;; amdgpu-corpus repo=pytorch/pytorch kind=compiled arch=gfx906 opt=O3
	.amdgcn_target "amdgcn-amd-amdhsa--gfx906"
	.amdhsa_code_object_version 6
	.section	.text._ZN2at6native29vectorized_elementwise_kernelILi16ENS0_13AUnaryFunctorIhhhZZZNS0_18lshift_kernel_cudaERNS_18TensorIteratorBaseEENKUlvE_clEvENKUlvE_clEvEUlhhE_EESt5arrayIPcLm2EEEEviT0_T1_,"axG",@progbits,_ZN2at6native29vectorized_elementwise_kernelILi16ENS0_13AUnaryFunctorIhhhZZZNS0_18lshift_kernel_cudaERNS_18TensorIteratorBaseEENKUlvE_clEvENKUlvE_clEvEUlhhE_EESt5arrayIPcLm2EEEEviT0_T1_,comdat
	.globl	_ZN2at6native29vectorized_elementwise_kernelILi16ENS0_13AUnaryFunctorIhhhZZZNS0_18lshift_kernel_cudaERNS_18TensorIteratorBaseEENKUlvE_clEvENKUlvE_clEvEUlhhE_EESt5arrayIPcLm2EEEEviT0_T1_ ; -- Begin function _ZN2at6native29vectorized_elementwise_kernelILi16ENS0_13AUnaryFunctorIhhhZZZNS0_18lshift_kernel_cudaERNS_18TensorIteratorBaseEENKUlvE_clEvENKUlvE_clEvEUlhhE_EESt5arrayIPcLm2EEEEviT0_T1_
	.p2align	8
	.type	_ZN2at6native29vectorized_elementwise_kernelILi16ENS0_13AUnaryFunctorIhhhZZZNS0_18lshift_kernel_cudaERNS_18TensorIteratorBaseEENKUlvE_clEvENKUlvE_clEvEUlhhE_EESt5arrayIPcLm2EEEEviT0_T1_,@function
_ZN2at6native29vectorized_elementwise_kernelILi16ENS0_13AUnaryFunctorIhhhZZZNS0_18lshift_kernel_cudaERNS_18TensorIteratorBaseEENKUlvE_clEvENKUlvE_clEvEUlhhE_EESt5arrayIPcLm2EEEEviT0_T1_: ; @_ZN2at6native29vectorized_elementwise_kernelILi16ENS0_13AUnaryFunctorIhhhZZZNS0_18lshift_kernel_cudaERNS_18TensorIteratorBaseEENKUlvE_clEvENKUlvE_clEvEUlhhE_EESt5arrayIPcLm2EEEEviT0_T1_
; %bb.0:
	v_mov_b32_e32 v1, 0
	global_load_ubyte v3, v1, s[4:5] offset:5
	s_load_dword s0, s[4:5], 0x0
	s_load_dwordx4 s[56:59], s[4:5], 0x8
	s_lshl_b32 s54, s6, 12
	s_waitcnt lgkmcnt(0)
	s_sub_i32 s33, s0, s54
	s_cmpk_gt_i32 s33, 0xfff
	s_mov_b64 s[0:1], -1
	s_cbranch_scc0 .LBB0_2
; %bb.1:
	s_ashr_i32 s29, s54, 31
	s_add_u32 s0, s58, s54
	s_addc_u32 s1, s59, s29
	v_lshlrev_b32_e32 v1, 4, v0
	global_load_dwordx4 v[4:7], v1, s[0:1]
	s_movk_i32 s22, 0xff
	v_mov_b32_e32 v2, 8
	s_add_u32 s28, s56, s54
	s_addc_u32 s29, s57, s29
	s_waitcnt vmcnt(0)
	v_lshlrev_b32_e32 v8, v4, v3
	v_lshlrev_b32_sdwa v9, v4, v3 dst_sel:DWORD dst_unused:UNUSED_PAD src0_sel:BYTE_1 src1_sel:DWORD
	v_lshlrev_b32_sdwa v10, v4, v3 dst_sel:DWORD dst_unused:UNUSED_PAD src0_sel:BYTE_3 src1_sel:DWORD
	v_cmp_lt_u16_sdwa vcc, v4, v2 src0_sel:BYTE_0 src1_sel:DWORD
	v_cmp_lt_u16_sdwa s[0:1], v4, v2 src0_sel:BYTE_1 src1_sel:DWORD
	v_cmp_lt_u16_sdwa s[2:3], v4, v2 src0_sel:BYTE_3 src1_sel:DWORD
	v_lshlrev_b32_e32 v11, v5, v3
	v_lshlrev_b32_sdwa v12, v5, v3 dst_sel:DWORD dst_unused:UNUSED_PAD src0_sel:BYTE_1 src1_sel:DWORD
	v_lshlrev_b32_sdwa v13, v5, v3 dst_sel:DWORD dst_unused:UNUSED_PAD src0_sel:BYTE_3 src1_sel:DWORD
	v_cmp_lt_u16_sdwa s[4:5], v5, v2 src0_sel:BYTE_0 src1_sel:DWORD
	v_cmp_lt_u16_sdwa s[6:7], v5, v2 src0_sel:BYTE_1 src1_sel:DWORD
	v_cmp_lt_u16_sdwa s[8:9], v5, v2 src0_sel:BYTE_3 src1_sel:DWORD
	v_lshlrev_b32_e32 v14, v6, v3
	v_lshlrev_b32_sdwa v15, v6, v3 dst_sel:DWORD dst_unused:UNUSED_PAD src0_sel:BYTE_1 src1_sel:DWORD
	v_lshlrev_b32_sdwa v16, v6, v3 dst_sel:DWORD dst_unused:UNUSED_PAD src0_sel:BYTE_3 src1_sel:DWORD
	v_cmp_lt_u16_sdwa s[10:11], v6, v2 src0_sel:BYTE_0 src1_sel:DWORD
	;; [unrolled: 6-line block ×3, first 2 shown]
	v_cmp_lt_u16_sdwa s[18:19], v7, v2 src0_sel:BYTE_1 src1_sel:DWORD
	v_cmp_lt_u16_sdwa s[20:21], v7, v2 src0_sel:BYTE_3 src1_sel:DWORD
	v_and_b32_sdwa v2, v4, s22 dst_sel:DWORD dst_unused:UNUSED_PAD src0_sel:WORD_1 src1_sel:DWORD
	v_and_b32_sdwa v20, v5, s22 dst_sel:DWORD dst_unused:UNUSED_PAD src0_sel:WORD_1 src1_sel:DWORD
	;; [unrolled: 1-line block ×4, first 2 shown]
	v_lshlrev_b32_sdwa v4, v4, v3 dst_sel:DWORD dst_unused:UNUSED_PAD src0_sel:WORD_1 src1_sel:DWORD
	v_lshlrev_b32_sdwa v5, v5, v3 dst_sel:DWORD dst_unused:UNUSED_PAD src0_sel:WORD_1 src1_sel:DWORD
	;; [unrolled: 1-line block ×4, first 2 shown]
	v_cmp_gt_u16_e64 s[22:23], 8, v2
	v_cmp_gt_u16_e64 s[24:25], 8, v20
	;; [unrolled: 1-line block ×3, first 2 shown]
	v_cndmask_b32_e32 v2, 0, v8, vcc
	v_cndmask_b32_e64 v8, 0, v9, s[0:1]
	v_cndmask_b32_e64 v9, 0, v10, s[2:3]
	;; [unrolled: 1-line block ×11, first 2 shown]
	v_cmp_gt_u16_e32 vcc, 8, v22
	v_cndmask_b32_e64 v4, 0, v4, s[22:23]
	v_cndmask_b32_e64 v5, 0, v5, s[24:25]
	;; [unrolled: 1-line block ×3, first 2 shown]
	v_cndmask_b32_e32 v7, 0, v7, vcc
	v_lshlrev_b16_e32 v8, 8, v8
	v_lshlrev_b16_e32 v9, 8, v9
	;; [unrolled: 1-line block ×8, first 2 shown]
	v_or_b32_sdwa v2, v2, v8 dst_sel:DWORD dst_unused:UNUSED_PAD src0_sel:BYTE_0 src1_sel:DWORD
	v_or_b32_sdwa v4, v4, v9 dst_sel:WORD_1 dst_unused:UNUSED_PAD src0_sel:BYTE_0 src1_sel:DWORD
	v_or_b32_sdwa v8, v10, v11 dst_sel:DWORD dst_unused:UNUSED_PAD src0_sel:BYTE_0 src1_sel:DWORD
	v_or_b32_sdwa v5, v5, v12 dst_sel:WORD_1 dst_unused:UNUSED_PAD src0_sel:BYTE_0 src1_sel:DWORD
	;; [unrolled: 2-line block ×4, first 2 shown]
	v_or_b32_sdwa v4, v2, v4 dst_sel:DWORD dst_unused:UNUSED_PAD src0_sel:WORD_0 src1_sel:DWORD
	v_or_b32_sdwa v5, v8, v5 dst_sel:DWORD dst_unused:UNUSED_PAD src0_sel:WORD_0 src1_sel:DWORD
	;; [unrolled: 1-line block ×4, first 2 shown]
	global_store_dwordx4 v1, v[4:7], s[28:29]
	s_mov_b64 s[0:1], 0
.LBB0_2:
	s_andn2_b64 vcc, exec, s[0:1]
	s_cbranch_vccnz .LBB0_52
; %bb.3:
	v_cmp_gt_i32_e32 vcc, s33, v0
	v_or_b32_e32 v10, 0x100, v0
	v_mov_b32_e32 v21, 0
	v_or_b32_e32 v4, s54, v0
	v_mov_b32_e32 v20, 0
	v_mov_b32_e32 v19, 0
	;; [unrolled: 1-line block ×15, first 2 shown]
	s_and_saveexec_b64 s[2:3], vcc
	s_cbranch_execz .LBB0_35
; %bb.4:
	global_load_ubyte v15, v4, s[58:59]
	v_cmp_gt_u32_e64 s[0:1], s33, v10
	v_mov_b32_e32 v18, 0
	v_mov_b32_e32 v16, 0
	;; [unrolled: 1-line block ×15, first 2 shown]
	s_and_saveexec_b64 s[4:5], s[0:1]
	s_cbranch_execz .LBB0_34
; %bb.5:
	v_add_u32_e32 v1, s54, v0
	global_load_ubyte v18, v1, s[58:59] offset:256
	v_or_b32_e32 v2, 0x200, v0
	v_mov_b32_e32 v16, 0
	v_cmp_gt_u32_e64 s[0:1], s33, v2
	v_mov_b32_e32 v14, 0
	v_mov_b32_e32 v5, 0
	;; [unrolled: 1-line block ×13, first 2 shown]
	s_and_saveexec_b64 s[6:7], s[0:1]
	s_cbranch_execz .LBB0_33
; %bb.6:
	v_mov_b32_e32 v2, s59
	v_add_co_u32_e64 v1, s[0:1], s58, v1
	v_addc_co_u32_e64 v2, s[0:1], 0, v2, s[0:1]
	global_load_ubyte v16, v[1:2], off offset:512
	v_or_b32_e32 v5, 0x300, v0
	v_cmp_gt_u32_e64 s[0:1], s33, v5
	v_mov_b32_e32 v14, 0
	v_mov_b32_e32 v5, 0
	;; [unrolled: 1-line block ×13, first 2 shown]
	s_and_saveexec_b64 s[8:9], s[0:1]
	s_cbranch_execz .LBB0_32
; %bb.7:
	global_load_ubyte v14, v[1:2], off offset:768
	v_or_b32_e32 v5, 0x400, v0
	v_cmp_gt_u32_e64 s[0:1], s33, v5
	v_mov_b32_e32 v5, 0
	v_mov_b32_e32 v6, 0
	;; [unrolled: 1-line block ×12, first 2 shown]
	s_and_saveexec_b64 s[10:11], s[0:1]
	s_cbranch_execz .LBB0_31
; %bb.8:
	global_load_ubyte v5, v[1:2], off offset:1024
	v_or_b32_e32 v6, 0x500, v0
	v_cmp_gt_u32_e64 s[0:1], s33, v6
	v_mov_b32_e32 v6, 0
	v_mov_b32_e32 v7, 0
	;; [unrolled: 1-line block ×11, first 2 shown]
	s_and_saveexec_b64 s[12:13], s[0:1]
	s_cbranch_execz .LBB0_30
; %bb.9:
	global_load_ubyte v6, v[1:2], off offset:1280
	v_or_b32_e32 v7, 0x600, v0
	v_cmp_gt_u32_e64 s[0:1], s33, v7
	v_mov_b32_e32 v7, 0
	v_mov_b32_e32 v8, 0
	;; [unrolled: 1-line block ×10, first 2 shown]
	s_and_saveexec_b64 s[14:15], s[0:1]
	s_cbranch_execz .LBB0_29
; %bb.10:
	global_load_ubyte v7, v[1:2], off offset:1536
	v_or_b32_e32 v8, 0x700, v0
	v_cmp_gt_u32_e64 s[0:1], s33, v8
	v_mov_b32_e32 v8, 0
	v_mov_b32_e32 v9, 0
	;; [unrolled: 1-line block ×9, first 2 shown]
	s_and_saveexec_b64 s[16:17], s[0:1]
	s_cbranch_execz .LBB0_28
; %bb.11:
	global_load_ubyte v8, v[1:2], off offset:1792
	v_or_b32_e32 v9, 0x800, v0
	v_cmp_gt_u32_e64 s[0:1], s33, v9
	v_mov_b32_e32 v9, 0
	v_mov_b32_e32 v11, 0
	;; [unrolled: 1-line block ×8, first 2 shown]
	s_and_saveexec_b64 s[18:19], s[0:1]
	s_cbranch_execz .LBB0_27
; %bb.12:
	global_load_ubyte v9, v[1:2], off offset:2048
	v_or_b32_e32 v11, 0x900, v0
	v_cmp_gt_u32_e64 s[0:1], s33, v11
	v_mov_b32_e32 v11, 0
	v_mov_b32_e32 v12, 0
	;; [unrolled: 1-line block ×7, first 2 shown]
	s_and_saveexec_b64 s[20:21], s[0:1]
	s_cbranch_execz .LBB0_26
; %bb.13:
	global_load_ubyte v11, v[1:2], off offset:2304
	v_or_b32_e32 v12, 0xa00, v0
	v_cmp_gt_u32_e64 s[0:1], s33, v12
	v_mov_b32_e32 v12, 0
	v_mov_b32_e32 v13, 0
	v_mov_b32_e32 v17, 0
	v_mov_b32_e32 v19, 0
	v_mov_b32_e32 v20, 0
	v_mov_b32_e32 v21, 0
	s_and_saveexec_b64 s[22:23], s[0:1]
	s_cbranch_execz .LBB0_25
; %bb.14:
	global_load_ubyte v12, v[1:2], off offset:2560
	v_or_b32_e32 v13, 0xb00, v0
	v_cmp_gt_u32_e64 s[0:1], s33, v13
	v_mov_b32_e32 v13, 0
	v_mov_b32_e32 v17, 0
	;; [unrolled: 1-line block ×5, first 2 shown]
	s_and_saveexec_b64 s[24:25], s[0:1]
	s_cbranch_execz .LBB0_24
; %bb.15:
	global_load_ubyte v13, v[1:2], off offset:2816
	v_or_b32_e32 v17, 0xc00, v0
	v_cmp_gt_u32_e64 s[0:1], s33, v17
	v_mov_b32_e32 v17, 0
	v_mov_b32_e32 v19, 0
	v_mov_b32_e32 v20, 0
	v_mov_b32_e32 v21, 0
	s_and_saveexec_b64 s[26:27], s[0:1]
	s_cbranch_execz .LBB0_23
; %bb.16:
	global_load_ubyte v17, v[1:2], off offset:3072
	v_or_b32_e32 v19, 0xd00, v0
	v_cmp_gt_u32_e64 s[0:1], s33, v19
	v_mov_b32_e32 v19, 0
	v_mov_b32_e32 v20, 0
	;; [unrolled: 1-line block ×3, first 2 shown]
	s_and_saveexec_b64 s[28:29], s[0:1]
	s_cbranch_execz .LBB0_22
; %bb.17:
	global_load_ubyte v19, v[1:2], off offset:3328
	v_or_b32_e32 v20, 0xe00, v0
	v_cmp_gt_u32_e64 s[0:1], s33, v20
	v_mov_b32_e32 v20, 0
	v_mov_b32_e32 v21, 0
	s_and_saveexec_b64 s[30:31], s[0:1]
	s_cbranch_execz .LBB0_21
; %bb.18:
	global_load_ubyte v20, v[1:2], off offset:3584
	v_or_b32_e32 v21, 0xf00, v0
	v_cmp_gt_u32_e64 s[0:1], s33, v21
	v_mov_b32_e32 v21, 0
	s_and_saveexec_b64 s[34:35], s[0:1]
	s_cbranch_execz .LBB0_20
; %bb.19:
	global_load_ubyte v21, v[1:2], off offset:3840
.LBB0_20:
	s_or_b64 exec, exec, s[34:35]
.LBB0_21:
	s_or_b64 exec, exec, s[30:31]
.LBB0_22:
	s_or_b64 exec, exec, s[28:29]
.LBB0_23:
	s_or_b64 exec, exec, s[26:27]
.LBB0_24:
	s_or_b64 exec, exec, s[24:25]
.LBB0_25:
	s_or_b64 exec, exec, s[22:23]
.LBB0_26:
	s_or_b64 exec, exec, s[20:21]
.LBB0_27:
	s_or_b64 exec, exec, s[18:19]
.LBB0_28:
	s_or_b64 exec, exec, s[16:17]
.LBB0_29:
	s_or_b64 exec, exec, s[14:15]
.LBB0_30:
	s_or_b64 exec, exec, s[12:13]
.LBB0_31:
	s_or_b64 exec, exec, s[10:11]
.LBB0_32:
	s_or_b64 exec, exec, s[8:9]
.LBB0_33:
	s_or_b64 exec, exec, s[6:7]
.LBB0_34:
	s_or_b64 exec, exec, s[4:5]
.LBB0_35:
	s_or_b64 exec, exec, s[2:3]
	s_and_saveexec_b64 s[0:1], vcc
	s_cbranch_execz .LBB0_52
; %bb.36:
	v_mov_b32_e32 v1, 8
	s_waitcnt vmcnt(0)
	v_lshlrev_b32_e32 v2, v18, v3
	v_cmp_lt_u16_sdwa s[0:1], v18, v1 src0_sel:BYTE_0 src1_sel:DWORD
	v_lshlrev_b32_e32 v18, v15, v3
	v_cmp_lt_u16_sdwa s[2:3], v15, v1 src0_sel:BYTE_0 src1_sel:DWORD
	v_cndmask_b32_e64 v15, 0, v18, s[2:3]
	s_mov_b32 s55, 0xffff
	v_and_b32_sdwa v15, s55, v15 dst_sel:DWORD dst_unused:UNUSED_PAD src0_sel:DWORD src1_sel:BYTE_0
	v_cndmask_b32_e64 v2, 0, v2, s[0:1]
	v_cndmask_b32_e32 v15, 0, v15, vcc
	v_lshlrev_b16_e32 v2, 8, v2
	v_or_b32_e32 v2, v15, v2
	v_and_b32_e32 v2, 0xffff, v2
	v_cmp_gt_i32_e64 s[52:53], s33, v10
	v_lshlrev_b32_e32 v10, v16, v3
	v_cmp_lt_u16_sdwa vcc, v16, v1 src0_sel:BYTE_0 src1_sel:DWORD
	v_cndmask_b32_e64 v2, v15, v2, s[52:53]
	v_cndmask_b32_e32 v10, 0, v10, vcc
	s_mov_b32 s59, 0xc0c0304
	v_or_b32_e32 v15, 0x200, v0
	v_perm_b32 v10, v10, v2, s59
	v_lshl_or_b32 v10, v10, 16, v2
	v_cmp_gt_i32_e64 s[20:21], s33, v15
	v_lshlrev_b32_e32 v15, v14, v3
	v_cmp_lt_u16_sdwa vcc, v14, v1 src0_sel:BYTE_0 src1_sel:DWORD
	s_movk_i32 s58, 0xff
	v_cndmask_b32_e64 v2, v2, v10, s[20:21]
	v_cndmask_b32_e32 v15, 0, v15, vcc
	v_and_b32_sdwa v10, v2, s58 dst_sel:DWORD dst_unused:UNUSED_PAD src0_sel:WORD_1 src1_sel:DWORD
	v_lshlrev_b16_e32 v15, 8, v15
	v_or_b32_e32 v14, 0x300, v0
	v_or_b32_sdwa v10, v10, v15 dst_sel:WORD_1 dst_unused:UNUSED_PAD src0_sel:DWORD src1_sel:DWORD
	v_and_or_b32 v10, v2, s55, v10
	v_cmp_gt_i32_e64 s[18:19], s33, v14
	v_cndmask_b32_e64 v15, v2, v10, s[18:19]
	v_or_b32_e32 v2, 0x500, v0
	v_cmp_gt_i32_e64 s[16:17], s33, v2
	v_or_b32_e32 v2, 0x600, v0
	v_cmp_gt_i32_e64 s[14:15], s33, v2
	v_or_b32_e32 v2, 0x700, v0
	v_cmp_gt_i32_e64 s[12:13], s33, v2
	v_or_b32_e32 v2, 0x900, v0
	v_cmp_gt_i32_e64 s[10:11], s33, v2
	v_or_b32_e32 v2, 0xa00, v0
	v_cmp_gt_i32_e64 s[8:9], s33, v2
	v_or_b32_e32 v2, 0xb00, v0
	v_cmp_gt_i32_e64 s[6:7], s33, v2
	v_or_b32_e32 v2, 0xd00, v0
	v_cmp_gt_i32_e64 s[4:5], s33, v2
	v_or_b32_e32 v2, 0xe00, v0
	v_cmp_gt_i32_e64 s[2:3], s33, v2
	v_or_b32_e32 v2, 0xf00, v0
	v_or_b32_e32 v14, 0x400, v0
	;; [unrolled: 1-line block ×3, first 2 shown]
	v_cmp_gt_i32_e64 s[0:1], s33, v2
	v_or_b32_e32 v2, 0xc00, v0
	v_cmp_lt_u16_sdwa s[50:51], v5, v1 src0_sel:BYTE_0 src1_sel:DWORD
	v_cmp_gt_i32_e64 s[48:49], s33, v14
	v_cmp_lt_u16_sdwa vcc, v6, v1 src0_sel:BYTE_0 src1_sel:DWORD
	v_cmp_lt_u16_sdwa s[46:47], v7, v1 src0_sel:BYTE_0 src1_sel:DWORD
	v_cmp_lt_u16_sdwa s[44:45], v8, v1 src0_sel:BYTE_0 src1_sel:DWORD
	v_cmp_gt_i32_e64 s[34:35], s33, v10
	v_cmp_lt_u16_sdwa s[42:43], v9, v1 src0_sel:BYTE_0 src1_sel:DWORD
	v_cmp_lt_u16_sdwa s[40:41], v11, v1 src0_sel:BYTE_0 src1_sel:DWORD
	v_cmp_lt_u16_sdwa s[30:31], v12, v1 src0_sel:BYTE_0 src1_sel:DWORD
	v_cmp_lt_u16_sdwa s[28:29], v13, v1 src0_sel:BYTE_0 src1_sel:DWORD
	v_cmp_lt_u16_sdwa s[22:23], v17, v1 src0_sel:BYTE_0 src1_sel:DWORD
	v_cmp_gt_i32_e64 s[38:39], s33, v2
	v_cmp_lt_u16_sdwa s[36:37], v19, v1 src0_sel:BYTE_0 src1_sel:DWORD
	v_cmp_lt_u16_sdwa s[26:27], v20, v1 src0_sel:BYTE_0 src1_sel:DWORD
	v_cmp_lt_u16_sdwa s[24:25], v21, v1 src0_sel:BYTE_0 src1_sel:DWORD
	global_store_byte v4, v15, s[56:57]
	s_and_b64 exec, exec, s[52:53]
	s_cbranch_execz .LBB0_52
; %bb.37:
	v_lshlrev_b32_e32 v1, v5, v3
	v_cndmask_b32_e64 v1, 0, v1, s[50:51]
	s_mov_b32 s50, 0x3020104
	v_perm_b32 v1, v1, 0, s50
	v_lshlrev_b32_e32 v4, v6, v3
	v_mov_b32_e32 v6, 0
	v_cndmask_b32_e64 v1, 0, v1, s[48:49]
	v_cndmask_b32_sdwa v4, v6, v4, vcc dst_sel:BYTE_1 dst_unused:UNUSED_PAD src0_sel:DWORD src1_sel:DWORD
	v_or_b32_sdwa v4, v1, v4 dst_sel:DWORD dst_unused:UNUSED_PAD src0_sel:BYTE_0 src1_sel:DWORD
	v_and_b32_e32 v4, 0xffff, v4
	s_mov_b32 s48, 0xffff0000
	v_and_or_b32 v4, v1, s48, v4
	v_cndmask_b32_e64 v1, v1, v4, s[16:17]
	v_lshlrev_b32_e32 v4, v7, v3
	v_cndmask_b32_e64 v4, 0, v4, s[46:47]
	s_mov_b32 s46, 0x7000504
	v_perm_b32 v4, v1, v4, s46
	v_lshlrev_b32_e32 v5, v8, v3
	v_cndmask_b32_e64 v1, v1, v4, s[14:15]
	v_cndmask_b32_e64 v5, 0, v5, s[44:45]
	v_and_b32_sdwa v4, v1, s58 dst_sel:DWORD dst_unused:UNUSED_PAD src0_sel:WORD_1 src1_sel:DWORD
	v_lshlrev_b16_e32 v5, 8, v5
	v_or_b32_sdwa v4, v4, v5 dst_sel:WORD_1 dst_unused:UNUSED_PAD src0_sel:DWORD src1_sel:DWORD
	v_and_or_b32 v4, v1, s55, v4
	v_cndmask_b32_e64 v5, v1, v4, s[12:13]
	v_lshlrev_b32_e32 v1, v9, v3
	v_cndmask_b32_e64 v1, 0, v1, s[42:43]
	v_lshlrev_b32_e32 v4, v11, v3
	v_and_b32_sdwa v1, s55, v1 dst_sel:DWORD dst_unused:UNUSED_PAD src0_sel:DWORD src1_sel:BYTE_0
	v_cndmask_b32_e64 v4, 0, v4, s[40:41]
	v_cndmask_b32_e64 v1, 0, v1, s[34:35]
	v_lshlrev_b16_e32 v4, 8, v4
	v_or_b32_e32 v4, v1, v4
	v_and_b32_e32 v4, 0xffff, v4
	v_cndmask_b32_e64 v1, v1, v4, s[10:11]
	v_lshlrev_b32_e32 v4, v12, v3
	v_cndmask_b32_e64 v4, 0, v4, s[30:31]
	v_perm_b32 v4, v4, v1, s59
	v_lshl_or_b32 v4, v4, 16, v1
	v_lshlrev_b32_e32 v7, v13, v3
	v_cndmask_b32_e64 v1, v1, v4, s[8:9]
	v_cndmask_b32_e64 v7, 0, v7, s[28:29]
	v_and_b32_sdwa v4, v1, s58 dst_sel:DWORD dst_unused:UNUSED_PAD src0_sel:WORD_1 src1_sel:DWORD
	v_lshlrev_b16_e32 v7, 8, v7
	v_or_b32_sdwa v4, v4, v7 dst_sel:WORD_1 dst_unused:UNUSED_PAD src0_sel:DWORD src1_sel:DWORD
	v_and_or_b32 v4, v1, s55, v4
	v_cndmask_b32_e64 v4, v1, v4, s[6:7]
	v_lshlrev_b32_e32 v1, v17, v3
	v_cndmask_b32_e64 v1, 0, v1, s[22:23]
	v_lshlrev_b32_e32 v7, v19, v3
	v_perm_b32 v1, v1, 0, s50
	v_cndmask_b32_e64 v7, 0, v7, s[36:37]
	v_cndmask_b32_e64 v1, 0, v1, s[38:39]
	v_lshlrev_b16_e32 v7, 8, v7
	v_or_b32_sdwa v7, v1, v7 dst_sel:DWORD dst_unused:UNUSED_PAD src0_sel:BYTE_0 src1_sel:DWORD
	v_and_b32_e32 v7, 0xffff, v7
	v_and_or_b32 v7, v1, s48, v7
	v_cndmask_b32_e64 v1, v1, v7, s[4:5]
	v_lshlrev_b32_e32 v7, v20, v3
	v_cndmask_b32_e64 v7, 0, v7, s[26:27]
	v_perm_b32 v7, v1, v7, s46
	v_cndmask_b32_e64 v1, v1, v7, s[2:3]
	v_lshlrev_b32_e32 v3, v21, v3
	s_mov_b64 vcc, s[24:25]
	v_and_b32_sdwa v7, v1, s58 dst_sel:DWORD dst_unused:UNUSED_PAD src0_sel:WORD_1 src1_sel:DWORD
	v_cndmask_b32_sdwa v3, v6, v3, vcc dst_sel:BYTE_1 dst_unused:UNUSED_PAD src0_sel:DWORD src1_sel:DWORD
	v_or_b32_sdwa v3, v7, v3 dst_sel:WORD_1 dst_unused:UNUSED_PAD src0_sel:DWORD src1_sel:DWORD
	v_and_or_b32 v3, v1, s55, v3
	v_cndmask_b32_e64 v3, v1, v3, s[0:1]
	v_lshrrev_b32_e32 v1, 8, v15
	v_add_u32_e32 v0, s54, v0
	global_store_byte v0, v1, s[56:57] offset:256
	s_and_b64 exec, exec, s[20:21]
	s_cbranch_execz .LBB0_52
; %bb.38:
	v_mov_b32_e32 v1, s57
	v_add_co_u32_e32 v0, vcc, s56, v0
	v_addc_co_u32_e32 v1, vcc, 0, v1, vcc
	global_store_byte_d16_hi v[0:1], v15, off offset:512
	s_and_b64 exec, exec, s[18:19]
	s_cbranch_execz .LBB0_52
; %bb.39:
	v_lshrrev_b32_e32 v6, 24, v15
	v_cmp_gt_u32_e32 vcc, s33, v14
	global_store_byte v[0:1], v6, off offset:768
	s_and_b64 exec, exec, vcc
	s_cbranch_execz .LBB0_52
; %bb.40:
	global_store_byte v[0:1], v5, off offset:1024
	s_and_b64 exec, exec, s[16:17]
	s_cbranch_execz .LBB0_52
; %bb.41:
	v_lshrrev_b32_e32 v6, 8, v5
	global_store_byte v[0:1], v6, off offset:1280
	s_and_b64 exec, exec, s[14:15]
	s_cbranch_execz .LBB0_52
; %bb.42:
	global_store_byte_d16_hi v[0:1], v5, off offset:1536
	s_and_b64 exec, exec, s[12:13]
	s_cbranch_execz .LBB0_52
; %bb.43:
	v_lshrrev_b32_e32 v5, 24, v5
	v_cmp_gt_u32_e32 vcc, s33, v10
	global_store_byte v[0:1], v5, off offset:1792
	s_and_b64 exec, exec, vcc
	s_cbranch_execz .LBB0_52
; %bb.44:
	global_store_byte v[0:1], v4, off offset:2048
	s_and_b64 exec, exec, s[10:11]
	s_cbranch_execz .LBB0_52
; %bb.45:
	v_lshrrev_b32_e32 v5, 8, v4
	global_store_byte v[0:1], v5, off offset:2304
	s_and_b64 exec, exec, s[8:9]
	s_cbranch_execz .LBB0_52
; %bb.46:
	;; [unrolled: 19-line block ×3, first 2 shown]
	global_store_byte_d16_hi v[0:1], v3, off offset:3584
	s_and_b64 exec, exec, s[0:1]
	s_cbranch_execz .LBB0_52
; %bb.51:
	v_lshrrev_b32_e32 v2, 24, v3
	global_store_byte v[0:1], v2, off offset:3840
.LBB0_52:
	s_endpgm
	.section	.rodata,"a",@progbits
	.p2align	6, 0x0
	.amdhsa_kernel _ZN2at6native29vectorized_elementwise_kernelILi16ENS0_13AUnaryFunctorIhhhZZZNS0_18lshift_kernel_cudaERNS_18TensorIteratorBaseEENKUlvE_clEvENKUlvE_clEvEUlhhE_EESt5arrayIPcLm2EEEEviT0_T1_
		.amdhsa_group_segment_fixed_size 0
		.amdhsa_private_segment_fixed_size 0
		.amdhsa_kernarg_size 24
		.amdhsa_user_sgpr_count 6
		.amdhsa_user_sgpr_private_segment_buffer 1
		.amdhsa_user_sgpr_dispatch_ptr 0
		.amdhsa_user_sgpr_queue_ptr 0
		.amdhsa_user_sgpr_kernarg_segment_ptr 1
		.amdhsa_user_sgpr_dispatch_id 0
		.amdhsa_user_sgpr_flat_scratch_init 0
		.amdhsa_user_sgpr_private_segment_size 0
		.amdhsa_uses_dynamic_stack 0
		.amdhsa_system_sgpr_private_segment_wavefront_offset 0
		.amdhsa_system_sgpr_workgroup_id_x 1
		.amdhsa_system_sgpr_workgroup_id_y 0
		.amdhsa_system_sgpr_workgroup_id_z 0
		.amdhsa_system_sgpr_workgroup_info 0
		.amdhsa_system_vgpr_workitem_id 0
		.amdhsa_next_free_vgpr 23
		.amdhsa_next_free_sgpr 60
		.amdhsa_reserve_vcc 1
		.amdhsa_reserve_flat_scratch 0
		.amdhsa_float_round_mode_32 0
		.amdhsa_float_round_mode_16_64 0
		.amdhsa_float_denorm_mode_32 3
		.amdhsa_float_denorm_mode_16_64 3
		.amdhsa_dx10_clamp 1
		.amdhsa_ieee_mode 1
		.amdhsa_fp16_overflow 0
		.amdhsa_exception_fp_ieee_invalid_op 0
		.amdhsa_exception_fp_denorm_src 0
		.amdhsa_exception_fp_ieee_div_zero 0
		.amdhsa_exception_fp_ieee_overflow 0
		.amdhsa_exception_fp_ieee_underflow 0
		.amdhsa_exception_fp_ieee_inexact 0
		.amdhsa_exception_int_div_zero 0
	.end_amdhsa_kernel
	.section	.text._ZN2at6native29vectorized_elementwise_kernelILi16ENS0_13AUnaryFunctorIhhhZZZNS0_18lshift_kernel_cudaERNS_18TensorIteratorBaseEENKUlvE_clEvENKUlvE_clEvEUlhhE_EESt5arrayIPcLm2EEEEviT0_T1_,"axG",@progbits,_ZN2at6native29vectorized_elementwise_kernelILi16ENS0_13AUnaryFunctorIhhhZZZNS0_18lshift_kernel_cudaERNS_18TensorIteratorBaseEENKUlvE_clEvENKUlvE_clEvEUlhhE_EESt5arrayIPcLm2EEEEviT0_T1_,comdat
.Lfunc_end0:
	.size	_ZN2at6native29vectorized_elementwise_kernelILi16ENS0_13AUnaryFunctorIhhhZZZNS0_18lshift_kernel_cudaERNS_18TensorIteratorBaseEENKUlvE_clEvENKUlvE_clEvEUlhhE_EESt5arrayIPcLm2EEEEviT0_T1_, .Lfunc_end0-_ZN2at6native29vectorized_elementwise_kernelILi16ENS0_13AUnaryFunctorIhhhZZZNS0_18lshift_kernel_cudaERNS_18TensorIteratorBaseEENKUlvE_clEvENKUlvE_clEvEUlhhE_EESt5arrayIPcLm2EEEEviT0_T1_
                                        ; -- End function
	.set _ZN2at6native29vectorized_elementwise_kernelILi16ENS0_13AUnaryFunctorIhhhZZZNS0_18lshift_kernel_cudaERNS_18TensorIteratorBaseEENKUlvE_clEvENKUlvE_clEvEUlhhE_EESt5arrayIPcLm2EEEEviT0_T1_.num_vgpr, 23
	.set _ZN2at6native29vectorized_elementwise_kernelILi16ENS0_13AUnaryFunctorIhhhZZZNS0_18lshift_kernel_cudaERNS_18TensorIteratorBaseEENKUlvE_clEvENKUlvE_clEvEUlhhE_EESt5arrayIPcLm2EEEEviT0_T1_.num_agpr, 0
	.set _ZN2at6native29vectorized_elementwise_kernelILi16ENS0_13AUnaryFunctorIhhhZZZNS0_18lshift_kernel_cudaERNS_18TensorIteratorBaseEENKUlvE_clEvENKUlvE_clEvEUlhhE_EESt5arrayIPcLm2EEEEviT0_T1_.numbered_sgpr, 60
	.set _ZN2at6native29vectorized_elementwise_kernelILi16ENS0_13AUnaryFunctorIhhhZZZNS0_18lshift_kernel_cudaERNS_18TensorIteratorBaseEENKUlvE_clEvENKUlvE_clEvEUlhhE_EESt5arrayIPcLm2EEEEviT0_T1_.num_named_barrier, 0
	.set _ZN2at6native29vectorized_elementwise_kernelILi16ENS0_13AUnaryFunctorIhhhZZZNS0_18lshift_kernel_cudaERNS_18TensorIteratorBaseEENKUlvE_clEvENKUlvE_clEvEUlhhE_EESt5arrayIPcLm2EEEEviT0_T1_.private_seg_size, 0
	.set _ZN2at6native29vectorized_elementwise_kernelILi16ENS0_13AUnaryFunctorIhhhZZZNS0_18lshift_kernel_cudaERNS_18TensorIteratorBaseEENKUlvE_clEvENKUlvE_clEvEUlhhE_EESt5arrayIPcLm2EEEEviT0_T1_.uses_vcc, 1
	.set _ZN2at6native29vectorized_elementwise_kernelILi16ENS0_13AUnaryFunctorIhhhZZZNS0_18lshift_kernel_cudaERNS_18TensorIteratorBaseEENKUlvE_clEvENKUlvE_clEvEUlhhE_EESt5arrayIPcLm2EEEEviT0_T1_.uses_flat_scratch, 0
	.set _ZN2at6native29vectorized_elementwise_kernelILi16ENS0_13AUnaryFunctorIhhhZZZNS0_18lshift_kernel_cudaERNS_18TensorIteratorBaseEENKUlvE_clEvENKUlvE_clEvEUlhhE_EESt5arrayIPcLm2EEEEviT0_T1_.has_dyn_sized_stack, 0
	.set _ZN2at6native29vectorized_elementwise_kernelILi16ENS0_13AUnaryFunctorIhhhZZZNS0_18lshift_kernel_cudaERNS_18TensorIteratorBaseEENKUlvE_clEvENKUlvE_clEvEUlhhE_EESt5arrayIPcLm2EEEEviT0_T1_.has_recursion, 0
	.set _ZN2at6native29vectorized_elementwise_kernelILi16ENS0_13AUnaryFunctorIhhhZZZNS0_18lshift_kernel_cudaERNS_18TensorIteratorBaseEENKUlvE_clEvENKUlvE_clEvEUlhhE_EESt5arrayIPcLm2EEEEviT0_T1_.has_indirect_call, 0
	.section	.AMDGPU.csdata,"",@progbits
; Kernel info:
; codeLenInByte = 3088
; TotalNumSgprs: 64
; NumVgprs: 23
; ScratchSize: 0
; MemoryBound: 0
; FloatMode: 240
; IeeeMode: 1
; LDSByteSize: 0 bytes/workgroup (compile time only)
; SGPRBlocks: 7
; VGPRBlocks: 5
; NumSGPRsForWavesPerEU: 64
; NumVGPRsForWavesPerEU: 23
; Occupancy: 10
; WaveLimiterHint : 0
; COMPUTE_PGM_RSRC2:SCRATCH_EN: 0
; COMPUTE_PGM_RSRC2:USER_SGPR: 6
; COMPUTE_PGM_RSRC2:TRAP_HANDLER: 0
; COMPUTE_PGM_RSRC2:TGID_X_EN: 1
; COMPUTE_PGM_RSRC2:TGID_Y_EN: 0
; COMPUTE_PGM_RSRC2:TGID_Z_EN: 0
; COMPUTE_PGM_RSRC2:TIDIG_COMP_CNT: 0
	.section	.text._ZN2at6native29vectorized_elementwise_kernelILi8ENS0_13AUnaryFunctorIhhhZZZNS0_18lshift_kernel_cudaERNS_18TensorIteratorBaseEENKUlvE_clEvENKUlvE_clEvEUlhhE_EESt5arrayIPcLm2EEEEviT0_T1_,"axG",@progbits,_ZN2at6native29vectorized_elementwise_kernelILi8ENS0_13AUnaryFunctorIhhhZZZNS0_18lshift_kernel_cudaERNS_18TensorIteratorBaseEENKUlvE_clEvENKUlvE_clEvEUlhhE_EESt5arrayIPcLm2EEEEviT0_T1_,comdat
	.globl	_ZN2at6native29vectorized_elementwise_kernelILi8ENS0_13AUnaryFunctorIhhhZZZNS0_18lshift_kernel_cudaERNS_18TensorIteratorBaseEENKUlvE_clEvENKUlvE_clEvEUlhhE_EESt5arrayIPcLm2EEEEviT0_T1_ ; -- Begin function _ZN2at6native29vectorized_elementwise_kernelILi8ENS0_13AUnaryFunctorIhhhZZZNS0_18lshift_kernel_cudaERNS_18TensorIteratorBaseEENKUlvE_clEvENKUlvE_clEvEUlhhE_EESt5arrayIPcLm2EEEEviT0_T1_
	.p2align	8
	.type	_ZN2at6native29vectorized_elementwise_kernelILi8ENS0_13AUnaryFunctorIhhhZZZNS0_18lshift_kernel_cudaERNS_18TensorIteratorBaseEENKUlvE_clEvENKUlvE_clEvEUlhhE_EESt5arrayIPcLm2EEEEviT0_T1_,@function
_ZN2at6native29vectorized_elementwise_kernelILi8ENS0_13AUnaryFunctorIhhhZZZNS0_18lshift_kernel_cudaERNS_18TensorIteratorBaseEENKUlvE_clEvENKUlvE_clEvEUlhhE_EESt5arrayIPcLm2EEEEviT0_T1_: ; @_ZN2at6native29vectorized_elementwise_kernelILi8ENS0_13AUnaryFunctorIhhhZZZNS0_18lshift_kernel_cudaERNS_18TensorIteratorBaseEENKUlvE_clEvENKUlvE_clEvEUlhhE_EESt5arrayIPcLm2EEEEviT0_T1_
; %bb.0:
	v_mov_b32_e32 v1, 0
	global_load_ubyte v3, v1, s[4:5] offset:5
	s_load_dword s0, s[4:5], 0x0
	s_load_dwordx4 s[56:59], s[4:5], 0x8
	s_lshl_b32 s54, s6, 12
	s_waitcnt lgkmcnt(0)
	s_sub_i32 s33, s0, s54
	s_cmpk_gt_i32 s33, 0xfff
	s_mov_b64 s[0:1], -1
	s_cbranch_scc0 .LBB1_2
; %bb.1:
	s_ashr_i32 s12, s54, 31
	s_add_u32 s0, s58, s54
	s_addc_u32 s1, s59, s12
	v_lshlrev_b32_e32 v6, 3, v0
	global_load_dwordx2 v[1:2], v6, s[0:1]
	global_load_dwordx2 v[4:5], v6, s[0:1] offset:2048
	s_brev_b32 s13, 16
	s_waitcnt vmcnt(1)
	v_lshlrev_b32_sdwa v13, v1, v3 dst_sel:DWORD dst_unused:UNUSED_PAD src0_sel:BYTE_3 src1_sel:DWORD
	v_cmp_gt_u32_e32 vcc, s13, v1
	s_waitcnt vmcnt(0)
	v_and_b32_e32 v25, 0xf80000, v4
	v_lshlrev_b32_sdwa v26, v4, v3 dst_sel:DWORD dst_unused:UNUSED_PAD src0_sel:WORD_1 src1_sel:DWORD
	v_cndmask_b32_e32 v13, 0, v13, vcc
	v_cmp_eq_u32_e32 vcc, 0, v25
	v_and_b32_e32 v11, 0xf80000, v1
	v_lshlrev_b32_sdwa v19, v4, v3 dst_sel:DWORD dst_unused:UNUSED_PAD src0_sel:BYTE_3 src1_sel:DWORD
	v_and_b32_e32 v21, 0xf8, v4
	v_and_b32_e32 v27, 0xf8, v5
	v_cndmask_b32_e32 v25, 0, v26, vcc
	v_cmp_gt_u32_e32 vcc, s13, v4
	v_and_b32_e32 v7, 0xf8, v1
	v_lshlrev_b32_e32 v22, v4, v3
	v_lshrrev_b32_e32 v23, 8, v4
	v_and_b32_e32 v24, 0xf800, v4
	v_cmp_eq_u32_e64 s[2:3], 0, v11
	v_lshlrev_b32_e32 v11, v5, v3
	v_cmp_eq_u32_e64 s[8:9], 0, v21
	v_and_b32_e32 v21, 0xf80000, v5
	v_cndmask_b32_e32 v4, 0, v19, vcc
	v_cmp_eq_u32_e32 vcc, 0, v27
	v_cmp_eq_u32_e64 s[10:11], 0, v7
	v_lshlrev_b32_sdwa v7, v5, v3 dst_sel:DWORD dst_unused:UNUSED_PAD src0_sel:WORD_1 src1_sel:DWORD
	v_cndmask_b32_e32 v11, 0, v11, vcc
	v_cmp_eq_u32_e32 vcc, 0, v21
	v_lshlrev_b32_e32 v8, v1, v3
	v_lshrrev_b32_e32 v9, 8, v1
	v_and_b32_e32 v10, 0xf800, v1
	v_lshlrev_b32_sdwa v12, v1, v3 dst_sel:DWORD dst_unused:UNUSED_PAD src0_sel:WORD_1 src1_sel:DWORD
	v_and_b32_e32 v1, 0xf8, v2
	v_and_b32_e32 v17, 0xf80000, v2
	v_lshlrev_b32_sdwa v20, v5, v3 dst_sel:DWORD dst_unused:UNUSED_PAD src0_sel:BYTE_3 src1_sel:DWORD
	v_cndmask_b32_e32 v7, 0, v7, vcc
	v_cmp_gt_u32_e32 vcc, s13, v5
	v_lshrrev_b32_e32 v15, 8, v2
	v_and_b32_e32 v16, 0xf800, v2
	v_cmp_eq_u32_e64 s[4:5], 0, v1
	v_lshrrev_b32_e32 v1, 8, v5
	v_cmp_eq_u32_e64 s[6:7], 0, v17
	v_and_b32_e32 v17, 0xf800, v5
	v_lshlrev_b32_e32 v9, v9, v3
	v_cndmask_b32_e32 v5, 0, v20, vcc
	v_cmp_eq_u32_e32 vcc, 0, v10
	v_lshlrev_b32_e32 v15, v15, v3
	v_cndmask_b32_e32 v9, 0, v9, vcc
	v_cmp_eq_u32_e32 vcc, 0, v16
	;; [unrolled: 3-line block ×3, first 2 shown]
	v_lshlrev_b32_sdwa v18, v2, v3 dst_sel:DWORD dst_unused:UNUSED_PAD src0_sel:BYTE_3 src1_sel:DWORD
	v_cmp_gt_u32_e64 s[0:1], s13, v2
	v_lshlrev_b32_e32 v1, v1, v3
	v_cndmask_b32_e32 v15, 0, v23, vcc
	v_cmp_eq_u32_e32 vcc, 0, v17
	v_lshlrev_b32_e32 v14, v2, v3
	v_lshlrev_b32_sdwa v2, v2, v3 dst_sel:DWORD dst_unused:UNUSED_PAD src0_sel:WORD_1 src1_sel:DWORD
	v_cndmask_b32_e64 v18, 0, v18, s[0:1]
	v_cndmask_b32_e32 v1, 0, v1, vcc
	v_lshlrev_b16_e32 v5, 8, v5
	v_cndmask_b32_e64 v2, 0, v2, s[6:7]
	v_cndmask_b32_e64 v22, 0, v22, s[8:9]
	v_lshlrev_b16_e32 v4, 8, v4
	v_lshlrev_b16_e32 v16, 8, v18
	;; [unrolled: 1-line block ×3, first 2 shown]
	v_or_b32_sdwa v5, v7, v5 dst_sel:WORD_1 dst_unused:UNUSED_PAD src0_sel:BYTE_0 src1_sel:DWORD
	v_lshlrev_b16_e32 v7, 8, v15
	v_cndmask_b32_e64 v8, 0, v8, s[10:11]
	v_cndmask_b32_e64 v12, 0, v12, s[2:3]
	v_cndmask_b32_e64 v14, 0, v14, s[4:5]
	v_lshlrev_b16_e32 v13, 8, v13
	v_or_b32_sdwa v4, v25, v4 dst_sel:WORD_1 dst_unused:UNUSED_PAD src0_sel:BYTE_0 src1_sel:DWORD
	v_lshlrev_b16_e32 v10, 8, v10
	v_or_b32_sdwa v15, v2, v16 dst_sel:WORD_1 dst_unused:UNUSED_PAD src0_sel:BYTE_0 src1_sel:DWORD
	v_lshlrev_b16_e32 v2, 8, v9
	v_or_b32_sdwa v1, v11, v1 dst_sel:DWORD dst_unused:UNUSED_PAD src0_sel:BYTE_0 src1_sel:DWORD
	v_or_b32_sdwa v7, v22, v7 dst_sel:DWORD dst_unused:UNUSED_PAD src0_sel:BYTE_0 src1_sel:DWORD
	;; [unrolled: 1-line block ×4, first 2 shown]
	v_or_b32_sdwa v2, v1, v5 dst_sel:DWORD dst_unused:UNUSED_PAD src0_sel:WORD_0 src1_sel:DWORD
	v_or_b32_sdwa v1, v7, v4 dst_sel:DWORD dst_unused:UNUSED_PAD src0_sel:WORD_0 src1_sel:DWORD
	v_or_b32_sdwa v4, v12, v13 dst_sel:WORD_1 dst_unused:UNUSED_PAD src0_sel:BYTE_0 src1_sel:DWORD
	s_add_u32 s0, s56, s54
	v_or_b32_sdwa v5, v9, v15 dst_sel:DWORD dst_unused:UNUSED_PAD src0_sel:WORD_0 src1_sel:DWORD
	v_or_b32_sdwa v4, v8, v4 dst_sel:DWORD dst_unused:UNUSED_PAD src0_sel:WORD_0 src1_sel:DWORD
	s_addc_u32 s1, s57, s12
	global_store_dwordx2 v6, v[4:5], s[0:1]
	global_store_dwordx2 v6, v[1:2], s[0:1] offset:2048
	s_mov_b64 s[0:1], 0
.LBB1_2:
	s_andn2_b64 vcc, exec, s[0:1]
	s_cbranch_vccnz .LBB1_52
; %bb.3:
	v_cmp_gt_i32_e32 vcc, s33, v0
	v_or_b32_e32 v10, 0x100, v0
	v_mov_b32_e32 v21, 0
	v_or_b32_e32 v4, s54, v0
	v_mov_b32_e32 v20, 0
	v_mov_b32_e32 v19, 0
	v_mov_b32_e32 v16, 0
	v_mov_b32_e32 v13, 0
	v_mov_b32_e32 v12, 0
	v_mov_b32_e32 v11, 0
	v_mov_b32_e32 v9, 0
	v_mov_b32_e32 v8, 0
	v_mov_b32_e32 v7, 0
	v_mov_b32_e32 v6, 0
	v_mov_b32_e32 v5, 0
	v_mov_b32_e32 v14, 0
	v_mov_b32_e32 v15, 0
	v_mov_b32_e32 v18, 0
	v_mov_b32_e32 v17, 0
	s_and_saveexec_b64 s[2:3], vcc
	s_cbranch_execz .LBB1_35
; %bb.4:
	global_load_ubyte v17, v4, s[58:59]
	v_cmp_gt_u32_e64 s[0:1], s33, v10
	v_mov_b32_e32 v18, 0
	v_mov_b32_e32 v15, 0
	;; [unrolled: 1-line block ×15, first 2 shown]
	s_and_saveexec_b64 s[4:5], s[0:1]
	s_cbranch_execz .LBB1_34
; %bb.5:
	v_add_u32_e32 v1, s54, v0
	global_load_ubyte v18, v1, s[58:59] offset:256
	v_or_b32_e32 v2, 0x200, v0
	v_mov_b32_e32 v15, 0
	v_cmp_gt_u32_e64 s[0:1], s33, v2
	v_mov_b32_e32 v14, 0
	v_mov_b32_e32 v5, 0
	;; [unrolled: 1-line block ×13, first 2 shown]
	s_and_saveexec_b64 s[6:7], s[0:1]
	s_cbranch_execz .LBB1_33
; %bb.6:
	v_mov_b32_e32 v2, s59
	v_add_co_u32_e64 v1, s[0:1], s58, v1
	v_addc_co_u32_e64 v2, s[0:1], 0, v2, s[0:1]
	global_load_ubyte v15, v[1:2], off offset:512
	v_or_b32_e32 v5, 0x300, v0
	v_cmp_gt_u32_e64 s[0:1], s33, v5
	v_mov_b32_e32 v14, 0
	v_mov_b32_e32 v5, 0
	v_mov_b32_e32 v6, 0
	v_mov_b32_e32 v7, 0
	v_mov_b32_e32 v8, 0
	v_mov_b32_e32 v9, 0
	v_mov_b32_e32 v11, 0
	v_mov_b32_e32 v12, 0
	v_mov_b32_e32 v13, 0
	v_mov_b32_e32 v16, 0
	v_mov_b32_e32 v19, 0
	v_mov_b32_e32 v20, 0
	v_mov_b32_e32 v21, 0
	s_and_saveexec_b64 s[8:9], s[0:1]
	s_cbranch_execz .LBB1_32
; %bb.7:
	global_load_ubyte v14, v[1:2], off offset:768
	v_or_b32_e32 v5, 0x400, v0
	v_cmp_gt_u32_e64 s[0:1], s33, v5
	v_mov_b32_e32 v5, 0
	v_mov_b32_e32 v6, 0
	v_mov_b32_e32 v7, 0
	v_mov_b32_e32 v8, 0
	v_mov_b32_e32 v9, 0
	v_mov_b32_e32 v11, 0
	v_mov_b32_e32 v12, 0
	v_mov_b32_e32 v13, 0
	v_mov_b32_e32 v16, 0
	v_mov_b32_e32 v19, 0
	v_mov_b32_e32 v20, 0
	v_mov_b32_e32 v21, 0
	s_and_saveexec_b64 s[10:11], s[0:1]
	s_cbranch_execz .LBB1_31
; %bb.8:
	global_load_ubyte v5, v[1:2], off offset:1024
	v_or_b32_e32 v6, 0x500, v0
	v_cmp_gt_u32_e64 s[0:1], s33, v6
	v_mov_b32_e32 v6, 0
	v_mov_b32_e32 v7, 0
	;; [unrolled: 1-line block ×11, first 2 shown]
	s_and_saveexec_b64 s[12:13], s[0:1]
	s_cbranch_execz .LBB1_30
; %bb.9:
	global_load_ubyte v6, v[1:2], off offset:1280
	v_or_b32_e32 v7, 0x600, v0
	v_cmp_gt_u32_e64 s[0:1], s33, v7
	v_mov_b32_e32 v7, 0
	v_mov_b32_e32 v8, 0
	;; [unrolled: 1-line block ×10, first 2 shown]
	s_and_saveexec_b64 s[14:15], s[0:1]
	s_cbranch_execz .LBB1_29
; %bb.10:
	global_load_ubyte v7, v[1:2], off offset:1536
	v_or_b32_e32 v8, 0x700, v0
	v_cmp_gt_u32_e64 s[0:1], s33, v8
	v_mov_b32_e32 v8, 0
	v_mov_b32_e32 v9, 0
	;; [unrolled: 1-line block ×9, first 2 shown]
	s_and_saveexec_b64 s[16:17], s[0:1]
	s_cbranch_execz .LBB1_28
; %bb.11:
	global_load_ubyte v8, v[1:2], off offset:1792
	v_or_b32_e32 v9, 0x800, v0
	v_cmp_gt_u32_e64 s[0:1], s33, v9
	v_mov_b32_e32 v9, 0
	v_mov_b32_e32 v11, 0
	;; [unrolled: 1-line block ×8, first 2 shown]
	s_and_saveexec_b64 s[18:19], s[0:1]
	s_cbranch_execz .LBB1_27
; %bb.12:
	global_load_ubyte v9, v[1:2], off offset:2048
	v_or_b32_e32 v11, 0x900, v0
	v_cmp_gt_u32_e64 s[0:1], s33, v11
	v_mov_b32_e32 v11, 0
	v_mov_b32_e32 v12, 0
	;; [unrolled: 1-line block ×7, first 2 shown]
	s_and_saveexec_b64 s[20:21], s[0:1]
	s_cbranch_execz .LBB1_26
; %bb.13:
	global_load_ubyte v11, v[1:2], off offset:2304
	v_or_b32_e32 v12, 0xa00, v0
	v_cmp_gt_u32_e64 s[0:1], s33, v12
	v_mov_b32_e32 v12, 0
	v_mov_b32_e32 v13, 0
	v_mov_b32_e32 v16, 0
	v_mov_b32_e32 v19, 0
	v_mov_b32_e32 v20, 0
	v_mov_b32_e32 v21, 0
	s_and_saveexec_b64 s[22:23], s[0:1]
	s_cbranch_execz .LBB1_25
; %bb.14:
	global_load_ubyte v12, v[1:2], off offset:2560
	v_or_b32_e32 v13, 0xb00, v0
	v_cmp_gt_u32_e64 s[0:1], s33, v13
	v_mov_b32_e32 v13, 0
	v_mov_b32_e32 v16, 0
	;; [unrolled: 1-line block ×5, first 2 shown]
	s_and_saveexec_b64 s[24:25], s[0:1]
	s_cbranch_execz .LBB1_24
; %bb.15:
	global_load_ubyte v13, v[1:2], off offset:2816
	v_or_b32_e32 v16, 0xc00, v0
	v_cmp_gt_u32_e64 s[0:1], s33, v16
	v_mov_b32_e32 v16, 0
	v_mov_b32_e32 v19, 0
	;; [unrolled: 1-line block ×4, first 2 shown]
	s_and_saveexec_b64 s[26:27], s[0:1]
	s_cbranch_execz .LBB1_23
; %bb.16:
	global_load_ubyte v16, v[1:2], off offset:3072
	v_or_b32_e32 v19, 0xd00, v0
	v_cmp_gt_u32_e64 s[0:1], s33, v19
	v_mov_b32_e32 v19, 0
	v_mov_b32_e32 v20, 0
	;; [unrolled: 1-line block ×3, first 2 shown]
	s_and_saveexec_b64 s[28:29], s[0:1]
	s_cbranch_execz .LBB1_22
; %bb.17:
	global_load_ubyte v19, v[1:2], off offset:3328
	v_or_b32_e32 v20, 0xe00, v0
	v_cmp_gt_u32_e64 s[0:1], s33, v20
	v_mov_b32_e32 v20, 0
	v_mov_b32_e32 v21, 0
	s_and_saveexec_b64 s[30:31], s[0:1]
	s_cbranch_execz .LBB1_21
; %bb.18:
	global_load_ubyte v20, v[1:2], off offset:3584
	v_or_b32_e32 v21, 0xf00, v0
	v_cmp_gt_u32_e64 s[0:1], s33, v21
	v_mov_b32_e32 v21, 0
	s_and_saveexec_b64 s[34:35], s[0:1]
	s_cbranch_execz .LBB1_20
; %bb.19:
	global_load_ubyte v21, v[1:2], off offset:3840
.LBB1_20:
	s_or_b64 exec, exec, s[34:35]
.LBB1_21:
	s_or_b64 exec, exec, s[30:31]
.LBB1_22:
	s_or_b64 exec, exec, s[28:29]
.LBB1_23:
	s_or_b64 exec, exec, s[26:27]
.LBB1_24:
	s_or_b64 exec, exec, s[24:25]
.LBB1_25:
	s_or_b64 exec, exec, s[22:23]
.LBB1_26:
	s_or_b64 exec, exec, s[20:21]
.LBB1_27:
	s_or_b64 exec, exec, s[18:19]
.LBB1_28:
	s_or_b64 exec, exec, s[16:17]
.LBB1_29:
	s_or_b64 exec, exec, s[14:15]
.LBB1_30:
	s_or_b64 exec, exec, s[12:13]
.LBB1_31:
	s_or_b64 exec, exec, s[10:11]
.LBB1_32:
	s_or_b64 exec, exec, s[8:9]
.LBB1_33:
	s_or_b64 exec, exec, s[6:7]
.LBB1_34:
	s_or_b64 exec, exec, s[4:5]
.LBB1_35:
	s_or_b64 exec, exec, s[2:3]
	s_and_saveexec_b64 s[0:1], vcc
	s_cbranch_execz .LBB1_52
; %bb.36:
	v_mov_b32_e32 v1, 8
	s_waitcnt vmcnt(0)
	v_lshlrev_b32_e32 v22, v17, v3
	v_cmp_lt_u16_sdwa s[0:1], v17, v1 src0_sel:BYTE_0 src1_sel:DWORD
	v_cndmask_b32_e64 v17, 0, v22, s[0:1]
	s_mov_b32 s55, 0xffff
	v_and_b32_sdwa v17, s55, v17 dst_sel:DWORD dst_unused:UNUSED_PAD src0_sel:DWORD src1_sel:BYTE_0
	v_lshlrev_b32_e32 v2, v18, v3
	v_cndmask_b32_e32 v17, 0, v17, vcc
	v_cmp_lt_u16_sdwa vcc, v18, v1 src0_sel:BYTE_0 src1_sel:DWORD
	v_cndmask_b32_e32 v2, 0, v2, vcc
	v_lshlrev_b16_e32 v2, 8, v2
	v_or_b32_e32 v2, v17, v2
	v_and_b32_e32 v2, 0xffff, v2
	v_cmp_gt_i32_e64 s[52:53], s33, v10
	v_lshlrev_b32_e32 v10, v15, v3
	v_cmp_lt_u16_sdwa vcc, v15, v1 src0_sel:BYTE_0 src1_sel:DWORD
	v_cndmask_b32_e64 v2, v17, v2, s[52:53]
	v_cndmask_b32_e32 v10, 0, v10, vcc
	s_mov_b32 s59, 0xc0c0304
	v_or_b32_e32 v17, 0x200, v0
	v_perm_b32 v10, v10, v2, s59
	v_lshl_or_b32 v10, v10, 16, v2
	v_cmp_gt_i32_e64 s[18:19], s33, v17
	v_lshlrev_b32_e32 v15, v14, v3
	v_cmp_lt_u16_sdwa vcc, v14, v1 src0_sel:BYTE_0 src1_sel:DWORD
	s_movk_i32 s58, 0xff
	v_cndmask_b32_e64 v2, v2, v10, s[18:19]
	v_cndmask_b32_e32 v14, 0, v15, vcc
	v_and_b32_sdwa v10, v2, s58 dst_sel:DWORD dst_unused:UNUSED_PAD src0_sel:WORD_1 src1_sel:DWORD
	v_lshlrev_b16_e32 v14, 8, v14
	v_or_b32_e32 v17, 0x300, v0
	v_or_b32_sdwa v10, v10, v14 dst_sel:WORD_1 dst_unused:UNUSED_PAD src0_sel:DWORD src1_sel:DWORD
	v_and_or_b32 v10, v2, s55, v10
	v_cmp_gt_i32_e64 s[20:21], s33, v17
	v_cndmask_b32_e64 v15, v2, v10, s[20:21]
	v_or_b32_e32 v2, 0x500, v0
	v_cmp_gt_i32_e64 s[16:17], s33, v2
	v_or_b32_e32 v2, 0x600, v0
	v_cmp_gt_i32_e64 s[14:15], s33, v2
	;; [unrolled: 2-line block ×8, first 2 shown]
	v_or_b32_e32 v2, 0xf00, v0
	v_or_b32_e32 v14, 0x400, v0
	;; [unrolled: 1-line block ×3, first 2 shown]
	v_cmp_gt_i32_e64 s[0:1], s33, v2
	v_or_b32_e32 v2, 0xc00, v0
	v_cmp_lt_u16_sdwa s[50:51], v5, v1 src0_sel:BYTE_0 src1_sel:DWORD
	v_cmp_gt_i32_e64 s[48:49], s33, v14
	v_cmp_lt_u16_sdwa vcc, v6, v1 src0_sel:BYTE_0 src1_sel:DWORD
	v_cmp_lt_u16_sdwa s[46:47], v7, v1 src0_sel:BYTE_0 src1_sel:DWORD
	v_cmp_lt_u16_sdwa s[44:45], v8, v1 src0_sel:BYTE_0 src1_sel:DWORD
	v_cmp_gt_i32_e64 s[34:35], s33, v10
	v_cmp_lt_u16_sdwa s[42:43], v9, v1 src0_sel:BYTE_0 src1_sel:DWORD
	v_cmp_lt_u16_sdwa s[40:41], v11, v1 src0_sel:BYTE_0 src1_sel:DWORD
	;; [unrolled: 1-line block ×5, first 2 shown]
	v_cmp_gt_i32_e64 s[38:39], s33, v2
	v_cmp_lt_u16_sdwa s[36:37], v19, v1 src0_sel:BYTE_0 src1_sel:DWORD
	v_cmp_lt_u16_sdwa s[26:27], v20, v1 src0_sel:BYTE_0 src1_sel:DWORD
	;; [unrolled: 1-line block ×3, first 2 shown]
	global_store_byte v4, v15, s[56:57]
	s_and_b64 exec, exec, s[52:53]
	s_cbranch_execz .LBB1_52
; %bb.37:
	v_lshlrev_b32_e32 v1, v5, v3
	v_cndmask_b32_e64 v1, 0, v1, s[50:51]
	s_mov_b32 s50, 0x3020104
	v_perm_b32 v1, v1, 0, s50
	v_lshlrev_b32_e32 v4, v6, v3
	v_mov_b32_e32 v6, 0
	v_cndmask_b32_e64 v1, 0, v1, s[48:49]
	v_cndmask_b32_sdwa v4, v6, v4, vcc dst_sel:BYTE_1 dst_unused:UNUSED_PAD src0_sel:DWORD src1_sel:DWORD
	v_or_b32_sdwa v4, v1, v4 dst_sel:DWORD dst_unused:UNUSED_PAD src0_sel:BYTE_0 src1_sel:DWORD
	v_and_b32_e32 v4, 0xffff, v4
	s_mov_b32 s48, 0xffff0000
	v_and_or_b32 v4, v1, s48, v4
	v_cndmask_b32_e64 v1, v1, v4, s[16:17]
	v_lshlrev_b32_e32 v4, v7, v3
	v_cndmask_b32_e64 v4, 0, v4, s[46:47]
	s_mov_b32 s46, 0x7000504
	v_perm_b32 v4, v1, v4, s46
	v_lshlrev_b32_e32 v5, v8, v3
	v_cndmask_b32_e64 v1, v1, v4, s[14:15]
	v_cndmask_b32_e64 v5, 0, v5, s[44:45]
	v_and_b32_sdwa v4, v1, s58 dst_sel:DWORD dst_unused:UNUSED_PAD src0_sel:WORD_1 src1_sel:DWORD
	v_lshlrev_b16_e32 v5, 8, v5
	v_or_b32_sdwa v4, v4, v5 dst_sel:WORD_1 dst_unused:UNUSED_PAD src0_sel:DWORD src1_sel:DWORD
	v_and_or_b32 v4, v1, s55, v4
	v_cndmask_b32_e64 v5, v1, v4, s[12:13]
	v_lshlrev_b32_e32 v1, v9, v3
	v_cndmask_b32_e64 v1, 0, v1, s[42:43]
	v_lshlrev_b32_e32 v4, v11, v3
	v_and_b32_sdwa v1, s55, v1 dst_sel:DWORD dst_unused:UNUSED_PAD src0_sel:DWORD src1_sel:BYTE_0
	v_cndmask_b32_e64 v4, 0, v4, s[40:41]
	v_cndmask_b32_e64 v1, 0, v1, s[34:35]
	v_lshlrev_b16_e32 v4, 8, v4
	v_or_b32_e32 v4, v1, v4
	v_and_b32_e32 v4, 0xffff, v4
	v_cndmask_b32_e64 v1, v1, v4, s[10:11]
	v_lshlrev_b32_e32 v4, v12, v3
	v_cndmask_b32_e64 v4, 0, v4, s[30:31]
	v_perm_b32 v4, v4, v1, s59
	v_lshl_or_b32 v4, v4, 16, v1
	v_lshlrev_b32_e32 v7, v13, v3
	v_cndmask_b32_e64 v1, v1, v4, s[8:9]
	v_cndmask_b32_e64 v7, 0, v7, s[28:29]
	v_and_b32_sdwa v4, v1, s58 dst_sel:DWORD dst_unused:UNUSED_PAD src0_sel:WORD_1 src1_sel:DWORD
	v_lshlrev_b16_e32 v7, 8, v7
	v_or_b32_sdwa v4, v4, v7 dst_sel:WORD_1 dst_unused:UNUSED_PAD src0_sel:DWORD src1_sel:DWORD
	v_and_or_b32 v4, v1, s55, v4
	v_cndmask_b32_e64 v4, v1, v4, s[6:7]
	v_lshlrev_b32_e32 v1, v16, v3
	v_cndmask_b32_e64 v1, 0, v1, s[22:23]
	v_lshlrev_b32_e32 v7, v19, v3
	v_perm_b32 v1, v1, 0, s50
	v_cndmask_b32_e64 v7, 0, v7, s[36:37]
	v_cndmask_b32_e64 v1, 0, v1, s[38:39]
	v_lshlrev_b16_e32 v7, 8, v7
	v_or_b32_sdwa v7, v1, v7 dst_sel:DWORD dst_unused:UNUSED_PAD src0_sel:BYTE_0 src1_sel:DWORD
	v_and_b32_e32 v7, 0xffff, v7
	v_and_or_b32 v7, v1, s48, v7
	v_cndmask_b32_e64 v1, v1, v7, s[4:5]
	v_lshlrev_b32_e32 v7, v20, v3
	v_cndmask_b32_e64 v7, 0, v7, s[26:27]
	v_perm_b32 v7, v1, v7, s46
	v_cndmask_b32_e64 v1, v1, v7, s[2:3]
	v_lshlrev_b32_e32 v3, v21, v3
	s_mov_b64 vcc, s[24:25]
	v_and_b32_sdwa v7, v1, s58 dst_sel:DWORD dst_unused:UNUSED_PAD src0_sel:WORD_1 src1_sel:DWORD
	v_cndmask_b32_sdwa v3, v6, v3, vcc dst_sel:BYTE_1 dst_unused:UNUSED_PAD src0_sel:DWORD src1_sel:DWORD
	v_or_b32_sdwa v3, v7, v3 dst_sel:WORD_1 dst_unused:UNUSED_PAD src0_sel:DWORD src1_sel:DWORD
	v_and_or_b32 v3, v1, s55, v3
	v_cndmask_b32_e64 v3, v1, v3, s[0:1]
	v_lshrrev_b32_e32 v1, 8, v15
	v_add_u32_e32 v0, s54, v0
	global_store_byte v0, v1, s[56:57] offset:256
	s_and_b64 exec, exec, s[18:19]
	s_cbranch_execz .LBB1_52
; %bb.38:
	v_mov_b32_e32 v1, s57
	v_add_co_u32_e32 v0, vcc, s56, v0
	v_addc_co_u32_e32 v1, vcc, 0, v1, vcc
	global_store_byte_d16_hi v[0:1], v15, off offset:512
	s_and_b64 exec, exec, s[20:21]
	s_cbranch_execz .LBB1_52
; %bb.39:
	v_lshrrev_b32_e32 v6, 24, v15
	v_cmp_gt_u32_e32 vcc, s33, v14
	global_store_byte v[0:1], v6, off offset:768
	s_and_b64 exec, exec, vcc
	s_cbranch_execz .LBB1_52
; %bb.40:
	global_store_byte v[0:1], v5, off offset:1024
	s_and_b64 exec, exec, s[16:17]
	s_cbranch_execz .LBB1_52
; %bb.41:
	v_lshrrev_b32_e32 v6, 8, v5
	global_store_byte v[0:1], v6, off offset:1280
	s_and_b64 exec, exec, s[14:15]
	s_cbranch_execz .LBB1_52
; %bb.42:
	global_store_byte_d16_hi v[0:1], v5, off offset:1536
	s_and_b64 exec, exec, s[12:13]
	s_cbranch_execz .LBB1_52
; %bb.43:
	v_lshrrev_b32_e32 v5, 24, v5
	v_cmp_gt_u32_e32 vcc, s33, v10
	global_store_byte v[0:1], v5, off offset:1792
	s_and_b64 exec, exec, vcc
	s_cbranch_execz .LBB1_52
; %bb.44:
	global_store_byte v[0:1], v4, off offset:2048
	s_and_b64 exec, exec, s[10:11]
	s_cbranch_execz .LBB1_52
; %bb.45:
	v_lshrrev_b32_e32 v5, 8, v4
	global_store_byte v[0:1], v5, off offset:2304
	s_and_b64 exec, exec, s[8:9]
	s_cbranch_execz .LBB1_52
; %bb.46:
	;; [unrolled: 19-line block ×3, first 2 shown]
	global_store_byte_d16_hi v[0:1], v3, off offset:3584
	s_and_b64 exec, exec, s[0:1]
	s_cbranch_execz .LBB1_52
; %bb.51:
	v_lshrrev_b32_e32 v2, 24, v3
	global_store_byte v[0:1], v2, off offset:3840
.LBB1_52:
	s_endpgm
	.section	.rodata,"a",@progbits
	.p2align	6, 0x0
	.amdhsa_kernel _ZN2at6native29vectorized_elementwise_kernelILi8ENS0_13AUnaryFunctorIhhhZZZNS0_18lshift_kernel_cudaERNS_18TensorIteratorBaseEENKUlvE_clEvENKUlvE_clEvEUlhhE_EESt5arrayIPcLm2EEEEviT0_T1_
		.amdhsa_group_segment_fixed_size 0
		.amdhsa_private_segment_fixed_size 0
		.amdhsa_kernarg_size 24
		.amdhsa_user_sgpr_count 6
		.amdhsa_user_sgpr_private_segment_buffer 1
		.amdhsa_user_sgpr_dispatch_ptr 0
		.amdhsa_user_sgpr_queue_ptr 0
		.amdhsa_user_sgpr_kernarg_segment_ptr 1
		.amdhsa_user_sgpr_dispatch_id 0
		.amdhsa_user_sgpr_flat_scratch_init 0
		.amdhsa_user_sgpr_private_segment_size 0
		.amdhsa_uses_dynamic_stack 0
		.amdhsa_system_sgpr_private_segment_wavefront_offset 0
		.amdhsa_system_sgpr_workgroup_id_x 1
		.amdhsa_system_sgpr_workgroup_id_y 0
		.amdhsa_system_sgpr_workgroup_id_z 0
		.amdhsa_system_sgpr_workgroup_info 0
		.amdhsa_system_vgpr_workitem_id 0
		.amdhsa_next_free_vgpr 28
		.amdhsa_next_free_sgpr 60
		.amdhsa_reserve_vcc 1
		.amdhsa_reserve_flat_scratch 0
		.amdhsa_float_round_mode_32 0
		.amdhsa_float_round_mode_16_64 0
		.amdhsa_float_denorm_mode_32 3
		.amdhsa_float_denorm_mode_16_64 3
		.amdhsa_dx10_clamp 1
		.amdhsa_ieee_mode 1
		.amdhsa_fp16_overflow 0
		.amdhsa_exception_fp_ieee_invalid_op 0
		.amdhsa_exception_fp_denorm_src 0
		.amdhsa_exception_fp_ieee_div_zero 0
		.amdhsa_exception_fp_ieee_overflow 0
		.amdhsa_exception_fp_ieee_underflow 0
		.amdhsa_exception_fp_ieee_inexact 0
		.amdhsa_exception_int_div_zero 0
	.end_amdhsa_kernel
	.section	.text._ZN2at6native29vectorized_elementwise_kernelILi8ENS0_13AUnaryFunctorIhhhZZZNS0_18lshift_kernel_cudaERNS_18TensorIteratorBaseEENKUlvE_clEvENKUlvE_clEvEUlhhE_EESt5arrayIPcLm2EEEEviT0_T1_,"axG",@progbits,_ZN2at6native29vectorized_elementwise_kernelILi8ENS0_13AUnaryFunctorIhhhZZZNS0_18lshift_kernel_cudaERNS_18TensorIteratorBaseEENKUlvE_clEvENKUlvE_clEvEUlhhE_EESt5arrayIPcLm2EEEEviT0_T1_,comdat
.Lfunc_end1:
	.size	_ZN2at6native29vectorized_elementwise_kernelILi8ENS0_13AUnaryFunctorIhhhZZZNS0_18lshift_kernel_cudaERNS_18TensorIteratorBaseEENKUlvE_clEvENKUlvE_clEvEUlhhE_EESt5arrayIPcLm2EEEEviT0_T1_, .Lfunc_end1-_ZN2at6native29vectorized_elementwise_kernelILi8ENS0_13AUnaryFunctorIhhhZZZNS0_18lshift_kernel_cudaERNS_18TensorIteratorBaseEENKUlvE_clEvENKUlvE_clEvEUlhhE_EESt5arrayIPcLm2EEEEviT0_T1_
                                        ; -- End function
	.set _ZN2at6native29vectorized_elementwise_kernelILi8ENS0_13AUnaryFunctorIhhhZZZNS0_18lshift_kernel_cudaERNS_18TensorIteratorBaseEENKUlvE_clEvENKUlvE_clEvEUlhhE_EESt5arrayIPcLm2EEEEviT0_T1_.num_vgpr, 28
	.set _ZN2at6native29vectorized_elementwise_kernelILi8ENS0_13AUnaryFunctorIhhhZZZNS0_18lshift_kernel_cudaERNS_18TensorIteratorBaseEENKUlvE_clEvENKUlvE_clEvEUlhhE_EESt5arrayIPcLm2EEEEviT0_T1_.num_agpr, 0
	.set _ZN2at6native29vectorized_elementwise_kernelILi8ENS0_13AUnaryFunctorIhhhZZZNS0_18lshift_kernel_cudaERNS_18TensorIteratorBaseEENKUlvE_clEvENKUlvE_clEvEUlhhE_EESt5arrayIPcLm2EEEEviT0_T1_.numbered_sgpr, 60
	.set _ZN2at6native29vectorized_elementwise_kernelILi8ENS0_13AUnaryFunctorIhhhZZZNS0_18lshift_kernel_cudaERNS_18TensorIteratorBaseEENKUlvE_clEvENKUlvE_clEvEUlhhE_EESt5arrayIPcLm2EEEEviT0_T1_.num_named_barrier, 0
	.set _ZN2at6native29vectorized_elementwise_kernelILi8ENS0_13AUnaryFunctorIhhhZZZNS0_18lshift_kernel_cudaERNS_18TensorIteratorBaseEENKUlvE_clEvENKUlvE_clEvEUlhhE_EESt5arrayIPcLm2EEEEviT0_T1_.private_seg_size, 0
	.set _ZN2at6native29vectorized_elementwise_kernelILi8ENS0_13AUnaryFunctorIhhhZZZNS0_18lshift_kernel_cudaERNS_18TensorIteratorBaseEENKUlvE_clEvENKUlvE_clEvEUlhhE_EESt5arrayIPcLm2EEEEviT0_T1_.uses_vcc, 1
	.set _ZN2at6native29vectorized_elementwise_kernelILi8ENS0_13AUnaryFunctorIhhhZZZNS0_18lshift_kernel_cudaERNS_18TensorIteratorBaseEENKUlvE_clEvENKUlvE_clEvEUlhhE_EESt5arrayIPcLm2EEEEviT0_T1_.uses_flat_scratch, 0
	.set _ZN2at6native29vectorized_elementwise_kernelILi8ENS0_13AUnaryFunctorIhhhZZZNS0_18lshift_kernel_cudaERNS_18TensorIteratorBaseEENKUlvE_clEvENKUlvE_clEvEUlhhE_EESt5arrayIPcLm2EEEEviT0_T1_.has_dyn_sized_stack, 0
	.set _ZN2at6native29vectorized_elementwise_kernelILi8ENS0_13AUnaryFunctorIhhhZZZNS0_18lshift_kernel_cudaERNS_18TensorIteratorBaseEENKUlvE_clEvENKUlvE_clEvEUlhhE_EESt5arrayIPcLm2EEEEviT0_T1_.has_recursion, 0
	.set _ZN2at6native29vectorized_elementwise_kernelILi8ENS0_13AUnaryFunctorIhhhZZZNS0_18lshift_kernel_cudaERNS_18TensorIteratorBaseEENKUlvE_clEvENKUlvE_clEvEUlhhE_EESt5arrayIPcLm2EEEEviT0_T1_.has_indirect_call, 0
	.section	.AMDGPU.csdata,"",@progbits
; Kernel info:
; codeLenInByte = 3096
; TotalNumSgprs: 64
; NumVgprs: 28
; ScratchSize: 0
; MemoryBound: 0
; FloatMode: 240
; IeeeMode: 1
; LDSByteSize: 0 bytes/workgroup (compile time only)
; SGPRBlocks: 7
; VGPRBlocks: 6
; NumSGPRsForWavesPerEU: 64
; NumVGPRsForWavesPerEU: 28
; Occupancy: 9
; WaveLimiterHint : 1
; COMPUTE_PGM_RSRC2:SCRATCH_EN: 0
; COMPUTE_PGM_RSRC2:USER_SGPR: 6
; COMPUTE_PGM_RSRC2:TRAP_HANDLER: 0
; COMPUTE_PGM_RSRC2:TGID_X_EN: 1
; COMPUTE_PGM_RSRC2:TGID_Y_EN: 0
; COMPUTE_PGM_RSRC2:TGID_Z_EN: 0
; COMPUTE_PGM_RSRC2:TIDIG_COMP_CNT: 0
	.section	.text._ZN2at6native29vectorized_elementwise_kernelILi4ENS0_13AUnaryFunctorIhhhZZZNS0_18lshift_kernel_cudaERNS_18TensorIteratorBaseEENKUlvE_clEvENKUlvE_clEvEUlhhE_EESt5arrayIPcLm2EEEEviT0_T1_,"axG",@progbits,_ZN2at6native29vectorized_elementwise_kernelILi4ENS0_13AUnaryFunctorIhhhZZZNS0_18lshift_kernel_cudaERNS_18TensorIteratorBaseEENKUlvE_clEvENKUlvE_clEvEUlhhE_EESt5arrayIPcLm2EEEEviT0_T1_,comdat
	.globl	_ZN2at6native29vectorized_elementwise_kernelILi4ENS0_13AUnaryFunctorIhhhZZZNS0_18lshift_kernel_cudaERNS_18TensorIteratorBaseEENKUlvE_clEvENKUlvE_clEvEUlhhE_EESt5arrayIPcLm2EEEEviT0_T1_ ; -- Begin function _ZN2at6native29vectorized_elementwise_kernelILi4ENS0_13AUnaryFunctorIhhhZZZNS0_18lshift_kernel_cudaERNS_18TensorIteratorBaseEENKUlvE_clEvENKUlvE_clEvEUlhhE_EESt5arrayIPcLm2EEEEviT0_T1_
	.p2align	8
	.type	_ZN2at6native29vectorized_elementwise_kernelILi4ENS0_13AUnaryFunctorIhhhZZZNS0_18lshift_kernel_cudaERNS_18TensorIteratorBaseEENKUlvE_clEvENKUlvE_clEvEUlhhE_EESt5arrayIPcLm2EEEEviT0_T1_,@function
_ZN2at6native29vectorized_elementwise_kernelILi4ENS0_13AUnaryFunctorIhhhZZZNS0_18lshift_kernel_cudaERNS_18TensorIteratorBaseEENKUlvE_clEvENKUlvE_clEvEUlhhE_EESt5arrayIPcLm2EEEEviT0_T1_: ; @_ZN2at6native29vectorized_elementwise_kernelILi4ENS0_13AUnaryFunctorIhhhZZZNS0_18lshift_kernel_cudaERNS_18TensorIteratorBaseEENKUlvE_clEvENKUlvE_clEvEUlhhE_EESt5arrayIPcLm2EEEEviT0_T1_
; %bb.0:
	v_mov_b32_e32 v1, 0
	global_load_ubyte v3, v1, s[4:5] offset:5
	s_load_dword s0, s[4:5], 0x0
	s_load_dwordx4 s[56:59], s[4:5], 0x8
	s_lshl_b32 s54, s6, 12
	s_waitcnt lgkmcnt(0)
	s_sub_i32 s33, s0, s54
	s_cmpk_gt_i32 s33, 0xfff
	s_mov_b64 s[0:1], -1
	s_cbranch_scc0 .LBB2_2
; %bb.1:
	s_ashr_i32 s28, s54, 31
	s_add_u32 s0, s58, s54
	s_addc_u32 s1, s59, s28
	v_lshlrev_b32_e32 v1, 2, v0
	global_load_dword v2, v1, s[0:1]
	global_load_dword v4, v1, s[0:1] offset:1024
	global_load_dword v5, v1, s[0:1] offset:2048
	global_load_dword v6, v1, s[0:1] offset:3072
	s_brev_b32 s26, 16
	s_waitcnt vmcnt(3)
	v_and_b32_e32 v7, 0xf8, v2
	v_lshlrev_b32_e32 v8, v2, v3
	v_lshrrev_b32_e32 v9, 8, v2
	v_and_b32_e32 v10, 0xf800, v2
	v_and_b32_e32 v11, 0xf80000, v2
	v_lshlrev_b32_sdwa v12, v2, v3 dst_sel:DWORD dst_unused:UNUSED_PAD src0_sel:WORD_1 src1_sel:DWORD
	v_lshlrev_b32_sdwa v13, v2, v3 dst_sel:DWORD dst_unused:UNUSED_PAD src0_sel:BYTE_3 src1_sel:DWORD
	v_cmp_gt_u32_e32 vcc, s26, v2
	s_waitcnt vmcnt(2)
	v_and_b32_e32 v2, 0xf8, v4
	v_and_b32_e32 v17, 0xf80000, v4
	v_cmp_eq_u32_e64 s[8:9], 0, v2
	s_waitcnt vmcnt(1)
	v_and_b32_e32 v2, 0xf80000, v5
	v_lshlrev_b32_e32 v14, v4, v3
	v_lshrrev_b32_e32 v15, 8, v4
	v_and_b32_e32 v16, 0xf800, v4
	v_lshlrev_b32_sdwa v18, v4, v3 dst_sel:DWORD dst_unused:UNUSED_PAD src0_sel:WORD_1 src1_sel:DWORD
	v_lshlrev_b32_sdwa v19, v4, v3 dst_sel:DWORD dst_unused:UNUSED_PAD src0_sel:BYTE_3 src1_sel:DWORD
	v_cmp_gt_u32_e64 s[0:1], s26, v4
	v_and_b32_e32 v4, 0xf8, v5
	v_cmp_eq_u32_e64 s[6:7], 0, v11
	v_and_b32_e32 v11, 0xf800, v5
	v_cmp_eq_u32_e64 s[14:15], 0, v17
	s_waitcnt vmcnt(0)
	v_and_b32_e32 v17, 0xf8, v6
	v_cmp_eq_u32_e64 s[20:21], 0, v2
	v_and_b32_e32 v2, 0xf80000, v6
	v_cmp_eq_u32_e64 s[4:5], 0, v10
	v_lshrrev_b32_e32 v10, 8, v5
	v_cmp_eq_u32_e64 s[10:11], 0, v16
	v_lshlrev_b32_sdwa v16, v5, v3 dst_sel:DWORD dst_unused:UNUSED_PAD src0_sel:BYTE_3 src1_sel:DWORD
	v_cmp_gt_u32_e64 s[12:13], s26, v5
	v_cmp_eq_u32_e64 s[16:17], 0, v4
	v_lshlrev_b32_e32 v4, v6, v3
	v_cmp_eq_u32_e64 s[18:19], 0, v11
	v_lshrrev_b32_e32 v11, 8, v6
	v_cmp_eq_u32_e64 s[22:23], 0, v17
	v_lshlrev_b32_sdwa v17, v6, v3 dst_sel:DWORD dst_unused:UNUSED_PAD src0_sel:WORD_1 src1_sel:DWORD
	v_cmp_eq_u32_e64 s[24:25], 0, v2
	v_lshlrev_b32_sdwa v2, v6, v3 dst_sel:DWORD dst_unused:UNUSED_PAD src0_sel:BYTE_3 src1_sel:DWORD
	v_cmp_gt_u32_e64 s[26:27], s26, v6
	v_and_b32_e32 v6, 0xf800, v6
	v_cmp_eq_u32_e64 s[2:3], 0, v7
	v_lshlrev_b32_e32 v7, v5, v3
	v_lshlrev_b32_e32 v15, v15, v3
	v_lshlrev_b32_sdwa v5, v5, v3 dst_sel:DWORD dst_unused:UNUSED_PAD src0_sel:WORD_1 src1_sel:DWORD
	v_lshlrev_b32_e32 v10, v10, v3
	v_cndmask_b32_e32 v13, 0, v13, vcc
	v_cndmask_b32_e64 v16, 0, v16, s[12:13]
	v_lshlrev_b32_e32 v11, v11, v3
	v_cmp_eq_u32_e32 vcc, 0, v6
	v_cndmask_b32_e64 v19, 0, v19, s[0:1]
	v_cndmask_b32_e64 v5, 0, v5, s[20:21]
	;; [unrolled: 1-line block ×5, first 2 shown]
	v_cndmask_b32_e32 v6, 0, v11, vcc
	v_lshlrev_b16_e32 v11, 8, v16
	v_lshlrev_b32_e32 v9, v9, v3
	v_cndmask_b32_e64 v14, 0, v14, s[8:9]
	v_cndmask_b32_e64 v18, 0, v18, s[14:15]
	;; [unrolled: 1-line block ×5, first 2 shown]
	v_lshlrev_b16_e32 v2, 8, v2
	v_lshlrev_b16_e32 v16, 8, v19
	;; [unrolled: 1-line block ×4, first 2 shown]
	v_or_b32_sdwa v5, v5, v11 dst_sel:WORD_1 dst_unused:UNUSED_PAD src0_sel:BYTE_0 src1_sel:DWORD
	v_lshlrev_b16_e32 v11, 8, v15
	v_cndmask_b32_e64 v9, 0, v9, s[4:5]
	v_or_b32_sdwa v2, v17, v2 dst_sel:WORD_1 dst_unused:UNUSED_PAD src0_sel:BYTE_0 src1_sel:DWORD
	v_or_b32_sdwa v15, v18, v16 dst_sel:WORD_1 dst_unused:UNUSED_PAD src0_sel:BYTE_0 src1_sel:DWORD
	v_or_b32_sdwa v4, v4, v6 dst_sel:DWORD dst_unused:UNUSED_PAD src0_sel:BYTE_0 src1_sel:DWORD
	v_or_b32_sdwa v6, v7, v10 dst_sel:DWORD dst_unused:UNUSED_PAD src0_sel:BYTE_0 src1_sel:DWORD
	;; [unrolled: 1-line block ×3, first 2 shown]
	v_cndmask_b32_e64 v8, 0, v8, s[2:3]
	v_cndmask_b32_e64 v12, 0, v12, s[6:7]
	v_lshlrev_b16_e32 v9, 8, v9
	v_or_b32_sdwa v2, v4, v2 dst_sel:DWORD dst_unused:UNUSED_PAD src0_sel:WORD_0 src1_sel:DWORD
	v_or_b32_sdwa v4, v6, v5 dst_sel:DWORD dst_unused:UNUSED_PAD src0_sel:WORD_0 src1_sel:DWORD
	;; [unrolled: 1-line block ×3, first 2 shown]
	v_lshlrev_b16_e32 v7, 8, v13
	v_or_b32_sdwa v6, v8, v9 dst_sel:DWORD dst_unused:UNUSED_PAD src0_sel:BYTE_0 src1_sel:DWORD
	v_or_b32_sdwa v7, v12, v7 dst_sel:WORD_1 dst_unused:UNUSED_PAD src0_sel:BYTE_0 src1_sel:DWORD
	s_add_u32 s0, s56, s54
	v_or_b32_sdwa v6, v6, v7 dst_sel:DWORD dst_unused:UNUSED_PAD src0_sel:WORD_0 src1_sel:DWORD
	s_addc_u32 s1, s57, s28
	global_store_dword v1, v6, s[0:1]
	global_store_dword v1, v5, s[0:1] offset:1024
	global_store_dword v1, v4, s[0:1] offset:2048
	;; [unrolled: 1-line block ×3, first 2 shown]
	s_mov_b64 s[0:1], 0
.LBB2_2:
	s_andn2_b64 vcc, exec, s[0:1]
	s_cbranch_vccnz .LBB2_52
; %bb.3:
	v_cmp_gt_i32_e32 vcc, s33, v0
	v_or_b32_e32 v10, 0x100, v0
	v_mov_b32_e32 v21, 0
	v_or_b32_e32 v4, s54, v0
	v_mov_b32_e32 v20, 0
	v_mov_b32_e32 v19, 0
	;; [unrolled: 1-line block ×15, first 2 shown]
	s_and_saveexec_b64 s[2:3], vcc
	s_cbranch_execz .LBB2_35
; %bb.4:
	global_load_ubyte v15, v4, s[58:59]
	v_cmp_gt_u32_e64 s[0:1], s33, v10
	v_mov_b32_e32 v18, 0
	v_mov_b32_e32 v16, 0
	;; [unrolled: 1-line block ×15, first 2 shown]
	s_and_saveexec_b64 s[4:5], s[0:1]
	s_cbranch_execz .LBB2_34
; %bb.5:
	v_add_u32_e32 v1, s54, v0
	global_load_ubyte v18, v1, s[58:59] offset:256
	v_or_b32_e32 v2, 0x200, v0
	v_mov_b32_e32 v16, 0
	v_cmp_gt_u32_e64 s[0:1], s33, v2
	v_mov_b32_e32 v14, 0
	v_mov_b32_e32 v5, 0
	v_mov_b32_e32 v6, 0
	v_mov_b32_e32 v7, 0
	v_mov_b32_e32 v8, 0
	v_mov_b32_e32 v9, 0
	v_mov_b32_e32 v11, 0
	v_mov_b32_e32 v12, 0
	v_mov_b32_e32 v13, 0
	v_mov_b32_e32 v17, 0
	v_mov_b32_e32 v19, 0
	v_mov_b32_e32 v20, 0
	v_mov_b32_e32 v21, 0
	s_and_saveexec_b64 s[6:7], s[0:1]
	s_cbranch_execz .LBB2_33
; %bb.6:
	v_mov_b32_e32 v2, s59
	v_add_co_u32_e64 v1, s[0:1], s58, v1
	v_addc_co_u32_e64 v2, s[0:1], 0, v2, s[0:1]
	global_load_ubyte v16, v[1:2], off offset:512
	v_or_b32_e32 v5, 0x300, v0
	v_cmp_gt_u32_e64 s[0:1], s33, v5
	v_mov_b32_e32 v14, 0
	v_mov_b32_e32 v5, 0
	;; [unrolled: 1-line block ×13, first 2 shown]
	s_and_saveexec_b64 s[8:9], s[0:1]
	s_cbranch_execz .LBB2_32
; %bb.7:
	global_load_ubyte v14, v[1:2], off offset:768
	v_or_b32_e32 v5, 0x400, v0
	v_cmp_gt_u32_e64 s[0:1], s33, v5
	v_mov_b32_e32 v5, 0
	v_mov_b32_e32 v6, 0
	;; [unrolled: 1-line block ×12, first 2 shown]
	s_and_saveexec_b64 s[10:11], s[0:1]
	s_cbranch_execz .LBB2_31
; %bb.8:
	global_load_ubyte v5, v[1:2], off offset:1024
	v_or_b32_e32 v6, 0x500, v0
	v_cmp_gt_u32_e64 s[0:1], s33, v6
	v_mov_b32_e32 v6, 0
	v_mov_b32_e32 v7, 0
	;; [unrolled: 1-line block ×11, first 2 shown]
	s_and_saveexec_b64 s[12:13], s[0:1]
	s_cbranch_execz .LBB2_30
; %bb.9:
	global_load_ubyte v6, v[1:2], off offset:1280
	v_or_b32_e32 v7, 0x600, v0
	v_cmp_gt_u32_e64 s[0:1], s33, v7
	v_mov_b32_e32 v7, 0
	v_mov_b32_e32 v8, 0
	;; [unrolled: 1-line block ×10, first 2 shown]
	s_and_saveexec_b64 s[14:15], s[0:1]
	s_cbranch_execz .LBB2_29
; %bb.10:
	global_load_ubyte v7, v[1:2], off offset:1536
	v_or_b32_e32 v8, 0x700, v0
	v_cmp_gt_u32_e64 s[0:1], s33, v8
	v_mov_b32_e32 v8, 0
	v_mov_b32_e32 v9, 0
	;; [unrolled: 1-line block ×9, first 2 shown]
	s_and_saveexec_b64 s[16:17], s[0:1]
	s_cbranch_execz .LBB2_28
; %bb.11:
	global_load_ubyte v8, v[1:2], off offset:1792
	v_or_b32_e32 v9, 0x800, v0
	v_cmp_gt_u32_e64 s[0:1], s33, v9
	v_mov_b32_e32 v9, 0
	v_mov_b32_e32 v11, 0
	;; [unrolled: 1-line block ×8, first 2 shown]
	s_and_saveexec_b64 s[18:19], s[0:1]
	s_cbranch_execz .LBB2_27
; %bb.12:
	global_load_ubyte v9, v[1:2], off offset:2048
	v_or_b32_e32 v11, 0x900, v0
	v_cmp_gt_u32_e64 s[0:1], s33, v11
	v_mov_b32_e32 v11, 0
	v_mov_b32_e32 v12, 0
	;; [unrolled: 1-line block ×7, first 2 shown]
	s_and_saveexec_b64 s[20:21], s[0:1]
	s_cbranch_execz .LBB2_26
; %bb.13:
	global_load_ubyte v11, v[1:2], off offset:2304
	v_or_b32_e32 v12, 0xa00, v0
	v_cmp_gt_u32_e64 s[0:1], s33, v12
	v_mov_b32_e32 v12, 0
	v_mov_b32_e32 v13, 0
	;; [unrolled: 1-line block ×6, first 2 shown]
	s_and_saveexec_b64 s[22:23], s[0:1]
	s_cbranch_execz .LBB2_25
; %bb.14:
	global_load_ubyte v12, v[1:2], off offset:2560
	v_or_b32_e32 v13, 0xb00, v0
	v_cmp_gt_u32_e64 s[0:1], s33, v13
	v_mov_b32_e32 v13, 0
	v_mov_b32_e32 v17, 0
	;; [unrolled: 1-line block ×5, first 2 shown]
	s_and_saveexec_b64 s[24:25], s[0:1]
	s_cbranch_execz .LBB2_24
; %bb.15:
	global_load_ubyte v13, v[1:2], off offset:2816
	v_or_b32_e32 v17, 0xc00, v0
	v_cmp_gt_u32_e64 s[0:1], s33, v17
	v_mov_b32_e32 v17, 0
	v_mov_b32_e32 v19, 0
	;; [unrolled: 1-line block ×4, first 2 shown]
	s_and_saveexec_b64 s[26:27], s[0:1]
	s_cbranch_execz .LBB2_23
; %bb.16:
	global_load_ubyte v17, v[1:2], off offset:3072
	v_or_b32_e32 v19, 0xd00, v0
	v_cmp_gt_u32_e64 s[0:1], s33, v19
	v_mov_b32_e32 v19, 0
	v_mov_b32_e32 v20, 0
	;; [unrolled: 1-line block ×3, first 2 shown]
	s_and_saveexec_b64 s[28:29], s[0:1]
	s_cbranch_execz .LBB2_22
; %bb.17:
	global_load_ubyte v19, v[1:2], off offset:3328
	v_or_b32_e32 v20, 0xe00, v0
	v_cmp_gt_u32_e64 s[0:1], s33, v20
	v_mov_b32_e32 v20, 0
	v_mov_b32_e32 v21, 0
	s_and_saveexec_b64 s[30:31], s[0:1]
	s_cbranch_execz .LBB2_21
; %bb.18:
	global_load_ubyte v20, v[1:2], off offset:3584
	v_or_b32_e32 v21, 0xf00, v0
	v_cmp_gt_u32_e64 s[0:1], s33, v21
	v_mov_b32_e32 v21, 0
	s_and_saveexec_b64 s[34:35], s[0:1]
	s_cbranch_execz .LBB2_20
; %bb.19:
	global_load_ubyte v21, v[1:2], off offset:3840
.LBB2_20:
	s_or_b64 exec, exec, s[34:35]
.LBB2_21:
	s_or_b64 exec, exec, s[30:31]
.LBB2_22:
	s_or_b64 exec, exec, s[28:29]
.LBB2_23:
	s_or_b64 exec, exec, s[26:27]
.LBB2_24:
	s_or_b64 exec, exec, s[24:25]
.LBB2_25:
	s_or_b64 exec, exec, s[22:23]
.LBB2_26:
	s_or_b64 exec, exec, s[20:21]
.LBB2_27:
	s_or_b64 exec, exec, s[18:19]
.LBB2_28:
	s_or_b64 exec, exec, s[16:17]
.LBB2_29:
	s_or_b64 exec, exec, s[14:15]
.LBB2_30:
	s_or_b64 exec, exec, s[12:13]
.LBB2_31:
	s_or_b64 exec, exec, s[10:11]
.LBB2_32:
	s_or_b64 exec, exec, s[8:9]
.LBB2_33:
	s_or_b64 exec, exec, s[6:7]
.LBB2_34:
	s_or_b64 exec, exec, s[4:5]
.LBB2_35:
	s_or_b64 exec, exec, s[2:3]
	s_and_saveexec_b64 s[0:1], vcc
	s_cbranch_execz .LBB2_52
; %bb.36:
	v_mov_b32_e32 v1, 8
	s_waitcnt vmcnt(0)
	v_lshlrev_b32_e32 v2, v18, v3
	v_cmp_lt_u16_sdwa s[0:1], v18, v1 src0_sel:BYTE_0 src1_sel:DWORD
	v_lshlrev_b32_e32 v18, v15, v3
	v_cmp_lt_u16_sdwa s[2:3], v15, v1 src0_sel:BYTE_0 src1_sel:DWORD
	v_cndmask_b32_e64 v15, 0, v18, s[2:3]
	s_mov_b32 s55, 0xffff
	v_and_b32_sdwa v15, s55, v15 dst_sel:DWORD dst_unused:UNUSED_PAD src0_sel:DWORD src1_sel:BYTE_0
	v_cndmask_b32_e64 v2, 0, v2, s[0:1]
	v_cndmask_b32_e32 v15, 0, v15, vcc
	v_lshlrev_b16_e32 v2, 8, v2
	v_or_b32_e32 v2, v15, v2
	v_and_b32_e32 v2, 0xffff, v2
	v_cmp_gt_i32_e64 s[52:53], s33, v10
	v_lshlrev_b32_e32 v10, v16, v3
	v_cmp_lt_u16_sdwa vcc, v16, v1 src0_sel:BYTE_0 src1_sel:DWORD
	v_cndmask_b32_e64 v2, v15, v2, s[52:53]
	v_cndmask_b32_e32 v10, 0, v10, vcc
	s_mov_b32 s59, 0xc0c0304
	v_or_b32_e32 v15, 0x200, v0
	v_perm_b32 v10, v10, v2, s59
	v_lshl_or_b32 v10, v10, 16, v2
	v_cmp_gt_i32_e64 s[20:21], s33, v15
	v_lshlrev_b32_e32 v15, v14, v3
	v_cmp_lt_u16_sdwa vcc, v14, v1 src0_sel:BYTE_0 src1_sel:DWORD
	s_movk_i32 s58, 0xff
	v_cndmask_b32_e64 v2, v2, v10, s[20:21]
	v_cndmask_b32_e32 v15, 0, v15, vcc
	v_and_b32_sdwa v10, v2, s58 dst_sel:DWORD dst_unused:UNUSED_PAD src0_sel:WORD_1 src1_sel:DWORD
	v_lshlrev_b16_e32 v15, 8, v15
	v_or_b32_e32 v14, 0x300, v0
	v_or_b32_sdwa v10, v10, v15 dst_sel:WORD_1 dst_unused:UNUSED_PAD src0_sel:DWORD src1_sel:DWORD
	v_and_or_b32 v10, v2, s55, v10
	v_cmp_gt_i32_e64 s[18:19], s33, v14
	v_cndmask_b32_e64 v15, v2, v10, s[18:19]
	v_or_b32_e32 v2, 0x500, v0
	v_cmp_gt_i32_e64 s[16:17], s33, v2
	v_or_b32_e32 v2, 0x600, v0
	v_cmp_gt_i32_e64 s[14:15], s33, v2
	;; [unrolled: 2-line block ×8, first 2 shown]
	v_or_b32_e32 v2, 0xf00, v0
	v_or_b32_e32 v14, 0x400, v0
	;; [unrolled: 1-line block ×3, first 2 shown]
	v_cmp_gt_i32_e64 s[0:1], s33, v2
	v_or_b32_e32 v2, 0xc00, v0
	v_cmp_lt_u16_sdwa s[50:51], v5, v1 src0_sel:BYTE_0 src1_sel:DWORD
	v_cmp_gt_i32_e64 s[48:49], s33, v14
	v_cmp_lt_u16_sdwa vcc, v6, v1 src0_sel:BYTE_0 src1_sel:DWORD
	v_cmp_lt_u16_sdwa s[46:47], v7, v1 src0_sel:BYTE_0 src1_sel:DWORD
	v_cmp_lt_u16_sdwa s[44:45], v8, v1 src0_sel:BYTE_0 src1_sel:DWORD
	v_cmp_gt_i32_e64 s[34:35], s33, v10
	v_cmp_lt_u16_sdwa s[42:43], v9, v1 src0_sel:BYTE_0 src1_sel:DWORD
	v_cmp_lt_u16_sdwa s[40:41], v11, v1 src0_sel:BYTE_0 src1_sel:DWORD
	;; [unrolled: 1-line block ×5, first 2 shown]
	v_cmp_gt_i32_e64 s[38:39], s33, v2
	v_cmp_lt_u16_sdwa s[36:37], v19, v1 src0_sel:BYTE_0 src1_sel:DWORD
	v_cmp_lt_u16_sdwa s[26:27], v20, v1 src0_sel:BYTE_0 src1_sel:DWORD
	;; [unrolled: 1-line block ×3, first 2 shown]
	global_store_byte v4, v15, s[56:57]
	s_and_b64 exec, exec, s[52:53]
	s_cbranch_execz .LBB2_52
; %bb.37:
	v_lshlrev_b32_e32 v1, v5, v3
	v_cndmask_b32_e64 v1, 0, v1, s[50:51]
	s_mov_b32 s50, 0x3020104
	v_perm_b32 v1, v1, 0, s50
	v_lshlrev_b32_e32 v4, v6, v3
	v_mov_b32_e32 v6, 0
	v_cndmask_b32_e64 v1, 0, v1, s[48:49]
	v_cndmask_b32_sdwa v4, v6, v4, vcc dst_sel:BYTE_1 dst_unused:UNUSED_PAD src0_sel:DWORD src1_sel:DWORD
	v_or_b32_sdwa v4, v1, v4 dst_sel:DWORD dst_unused:UNUSED_PAD src0_sel:BYTE_0 src1_sel:DWORD
	v_and_b32_e32 v4, 0xffff, v4
	s_mov_b32 s48, 0xffff0000
	v_and_or_b32 v4, v1, s48, v4
	v_cndmask_b32_e64 v1, v1, v4, s[16:17]
	v_lshlrev_b32_e32 v4, v7, v3
	v_cndmask_b32_e64 v4, 0, v4, s[46:47]
	s_mov_b32 s46, 0x7000504
	v_perm_b32 v4, v1, v4, s46
	v_lshlrev_b32_e32 v5, v8, v3
	v_cndmask_b32_e64 v1, v1, v4, s[14:15]
	v_cndmask_b32_e64 v5, 0, v5, s[44:45]
	v_and_b32_sdwa v4, v1, s58 dst_sel:DWORD dst_unused:UNUSED_PAD src0_sel:WORD_1 src1_sel:DWORD
	v_lshlrev_b16_e32 v5, 8, v5
	v_or_b32_sdwa v4, v4, v5 dst_sel:WORD_1 dst_unused:UNUSED_PAD src0_sel:DWORD src1_sel:DWORD
	v_and_or_b32 v4, v1, s55, v4
	v_cndmask_b32_e64 v5, v1, v4, s[12:13]
	v_lshlrev_b32_e32 v1, v9, v3
	v_cndmask_b32_e64 v1, 0, v1, s[42:43]
	v_lshlrev_b32_e32 v4, v11, v3
	v_and_b32_sdwa v1, s55, v1 dst_sel:DWORD dst_unused:UNUSED_PAD src0_sel:DWORD src1_sel:BYTE_0
	v_cndmask_b32_e64 v4, 0, v4, s[40:41]
	v_cndmask_b32_e64 v1, 0, v1, s[34:35]
	v_lshlrev_b16_e32 v4, 8, v4
	v_or_b32_e32 v4, v1, v4
	v_and_b32_e32 v4, 0xffff, v4
	v_cndmask_b32_e64 v1, v1, v4, s[10:11]
	v_lshlrev_b32_e32 v4, v12, v3
	v_cndmask_b32_e64 v4, 0, v4, s[30:31]
	v_perm_b32 v4, v4, v1, s59
	v_lshl_or_b32 v4, v4, 16, v1
	v_lshlrev_b32_e32 v7, v13, v3
	v_cndmask_b32_e64 v1, v1, v4, s[8:9]
	v_cndmask_b32_e64 v7, 0, v7, s[28:29]
	v_and_b32_sdwa v4, v1, s58 dst_sel:DWORD dst_unused:UNUSED_PAD src0_sel:WORD_1 src1_sel:DWORD
	v_lshlrev_b16_e32 v7, 8, v7
	v_or_b32_sdwa v4, v4, v7 dst_sel:WORD_1 dst_unused:UNUSED_PAD src0_sel:DWORD src1_sel:DWORD
	v_and_or_b32 v4, v1, s55, v4
	v_cndmask_b32_e64 v4, v1, v4, s[6:7]
	v_lshlrev_b32_e32 v1, v17, v3
	v_cndmask_b32_e64 v1, 0, v1, s[22:23]
	v_lshlrev_b32_e32 v7, v19, v3
	v_perm_b32 v1, v1, 0, s50
	v_cndmask_b32_e64 v7, 0, v7, s[36:37]
	v_cndmask_b32_e64 v1, 0, v1, s[38:39]
	v_lshlrev_b16_e32 v7, 8, v7
	v_or_b32_sdwa v7, v1, v7 dst_sel:DWORD dst_unused:UNUSED_PAD src0_sel:BYTE_0 src1_sel:DWORD
	v_and_b32_e32 v7, 0xffff, v7
	v_and_or_b32 v7, v1, s48, v7
	v_cndmask_b32_e64 v1, v1, v7, s[4:5]
	v_lshlrev_b32_e32 v7, v20, v3
	v_cndmask_b32_e64 v7, 0, v7, s[26:27]
	v_perm_b32 v7, v1, v7, s46
	v_cndmask_b32_e64 v1, v1, v7, s[2:3]
	v_lshlrev_b32_e32 v3, v21, v3
	s_mov_b64 vcc, s[24:25]
	v_and_b32_sdwa v7, v1, s58 dst_sel:DWORD dst_unused:UNUSED_PAD src0_sel:WORD_1 src1_sel:DWORD
	v_cndmask_b32_sdwa v3, v6, v3, vcc dst_sel:BYTE_1 dst_unused:UNUSED_PAD src0_sel:DWORD src1_sel:DWORD
	v_or_b32_sdwa v3, v7, v3 dst_sel:WORD_1 dst_unused:UNUSED_PAD src0_sel:DWORD src1_sel:DWORD
	v_and_or_b32 v3, v1, s55, v3
	v_cndmask_b32_e64 v3, v1, v3, s[0:1]
	v_lshrrev_b32_e32 v1, 8, v15
	v_add_u32_e32 v0, s54, v0
	global_store_byte v0, v1, s[56:57] offset:256
	s_and_b64 exec, exec, s[20:21]
	s_cbranch_execz .LBB2_52
; %bb.38:
	v_mov_b32_e32 v1, s57
	v_add_co_u32_e32 v0, vcc, s56, v0
	v_addc_co_u32_e32 v1, vcc, 0, v1, vcc
	global_store_byte_d16_hi v[0:1], v15, off offset:512
	s_and_b64 exec, exec, s[18:19]
	s_cbranch_execz .LBB2_52
; %bb.39:
	v_lshrrev_b32_e32 v6, 24, v15
	v_cmp_gt_u32_e32 vcc, s33, v14
	global_store_byte v[0:1], v6, off offset:768
	s_and_b64 exec, exec, vcc
	s_cbranch_execz .LBB2_52
; %bb.40:
	global_store_byte v[0:1], v5, off offset:1024
	s_and_b64 exec, exec, s[16:17]
	s_cbranch_execz .LBB2_52
; %bb.41:
	v_lshrrev_b32_e32 v6, 8, v5
	global_store_byte v[0:1], v6, off offset:1280
	s_and_b64 exec, exec, s[14:15]
	s_cbranch_execz .LBB2_52
; %bb.42:
	global_store_byte_d16_hi v[0:1], v5, off offset:1536
	s_and_b64 exec, exec, s[12:13]
	s_cbranch_execz .LBB2_52
; %bb.43:
	v_lshrrev_b32_e32 v5, 24, v5
	v_cmp_gt_u32_e32 vcc, s33, v10
	global_store_byte v[0:1], v5, off offset:1792
	s_and_b64 exec, exec, vcc
	s_cbranch_execz .LBB2_52
; %bb.44:
	global_store_byte v[0:1], v4, off offset:2048
	s_and_b64 exec, exec, s[10:11]
	s_cbranch_execz .LBB2_52
; %bb.45:
	v_lshrrev_b32_e32 v5, 8, v4
	global_store_byte v[0:1], v5, off offset:2304
	s_and_b64 exec, exec, s[8:9]
	s_cbranch_execz .LBB2_52
; %bb.46:
	;; [unrolled: 19-line block ×3, first 2 shown]
	global_store_byte_d16_hi v[0:1], v3, off offset:3584
	s_and_b64 exec, exec, s[0:1]
	s_cbranch_execz .LBB2_52
; %bb.51:
	v_lshrrev_b32_e32 v2, 24, v3
	global_store_byte v[0:1], v2, off offset:3840
.LBB2_52:
	s_endpgm
	.section	.rodata,"a",@progbits
	.p2align	6, 0x0
	.amdhsa_kernel _ZN2at6native29vectorized_elementwise_kernelILi4ENS0_13AUnaryFunctorIhhhZZZNS0_18lshift_kernel_cudaERNS_18TensorIteratorBaseEENKUlvE_clEvENKUlvE_clEvEUlhhE_EESt5arrayIPcLm2EEEEviT0_T1_
		.amdhsa_group_segment_fixed_size 0
		.amdhsa_private_segment_fixed_size 0
		.amdhsa_kernarg_size 24
		.amdhsa_user_sgpr_count 6
		.amdhsa_user_sgpr_private_segment_buffer 1
		.amdhsa_user_sgpr_dispatch_ptr 0
		.amdhsa_user_sgpr_queue_ptr 0
		.amdhsa_user_sgpr_kernarg_segment_ptr 1
		.amdhsa_user_sgpr_dispatch_id 0
		.amdhsa_user_sgpr_flat_scratch_init 0
		.amdhsa_user_sgpr_private_segment_size 0
		.amdhsa_uses_dynamic_stack 0
		.amdhsa_system_sgpr_private_segment_wavefront_offset 0
		.amdhsa_system_sgpr_workgroup_id_x 1
		.amdhsa_system_sgpr_workgroup_id_y 0
		.amdhsa_system_sgpr_workgroup_id_z 0
		.amdhsa_system_sgpr_workgroup_info 0
		.amdhsa_system_vgpr_workitem_id 0
		.amdhsa_next_free_vgpr 22
		.amdhsa_next_free_sgpr 60
		.amdhsa_reserve_vcc 1
		.amdhsa_reserve_flat_scratch 0
		.amdhsa_float_round_mode_32 0
		.amdhsa_float_round_mode_16_64 0
		.amdhsa_float_denorm_mode_32 3
		.amdhsa_float_denorm_mode_16_64 3
		.amdhsa_dx10_clamp 1
		.amdhsa_ieee_mode 1
		.amdhsa_fp16_overflow 0
		.amdhsa_exception_fp_ieee_invalid_op 0
		.amdhsa_exception_fp_denorm_src 0
		.amdhsa_exception_fp_ieee_div_zero 0
		.amdhsa_exception_fp_ieee_overflow 0
		.amdhsa_exception_fp_ieee_underflow 0
		.amdhsa_exception_fp_ieee_inexact 0
		.amdhsa_exception_int_div_zero 0
	.end_amdhsa_kernel
	.section	.text._ZN2at6native29vectorized_elementwise_kernelILi4ENS0_13AUnaryFunctorIhhhZZZNS0_18lshift_kernel_cudaERNS_18TensorIteratorBaseEENKUlvE_clEvENKUlvE_clEvEUlhhE_EESt5arrayIPcLm2EEEEviT0_T1_,"axG",@progbits,_ZN2at6native29vectorized_elementwise_kernelILi4ENS0_13AUnaryFunctorIhhhZZZNS0_18lshift_kernel_cudaERNS_18TensorIteratorBaseEENKUlvE_clEvENKUlvE_clEvEUlhhE_EESt5arrayIPcLm2EEEEviT0_T1_,comdat
.Lfunc_end2:
	.size	_ZN2at6native29vectorized_elementwise_kernelILi4ENS0_13AUnaryFunctorIhhhZZZNS0_18lshift_kernel_cudaERNS_18TensorIteratorBaseEENKUlvE_clEvENKUlvE_clEvEUlhhE_EESt5arrayIPcLm2EEEEviT0_T1_, .Lfunc_end2-_ZN2at6native29vectorized_elementwise_kernelILi4ENS0_13AUnaryFunctorIhhhZZZNS0_18lshift_kernel_cudaERNS_18TensorIteratorBaseEENKUlvE_clEvENKUlvE_clEvEUlhhE_EESt5arrayIPcLm2EEEEviT0_T1_
                                        ; -- End function
	.set _ZN2at6native29vectorized_elementwise_kernelILi4ENS0_13AUnaryFunctorIhhhZZZNS0_18lshift_kernel_cudaERNS_18TensorIteratorBaseEENKUlvE_clEvENKUlvE_clEvEUlhhE_EESt5arrayIPcLm2EEEEviT0_T1_.num_vgpr, 22
	.set _ZN2at6native29vectorized_elementwise_kernelILi4ENS0_13AUnaryFunctorIhhhZZZNS0_18lshift_kernel_cudaERNS_18TensorIteratorBaseEENKUlvE_clEvENKUlvE_clEvEUlhhE_EESt5arrayIPcLm2EEEEviT0_T1_.num_agpr, 0
	.set _ZN2at6native29vectorized_elementwise_kernelILi4ENS0_13AUnaryFunctorIhhhZZZNS0_18lshift_kernel_cudaERNS_18TensorIteratorBaseEENKUlvE_clEvENKUlvE_clEvEUlhhE_EESt5arrayIPcLm2EEEEviT0_T1_.numbered_sgpr, 60
	.set _ZN2at6native29vectorized_elementwise_kernelILi4ENS0_13AUnaryFunctorIhhhZZZNS0_18lshift_kernel_cudaERNS_18TensorIteratorBaseEENKUlvE_clEvENKUlvE_clEvEUlhhE_EESt5arrayIPcLm2EEEEviT0_T1_.num_named_barrier, 0
	.set _ZN2at6native29vectorized_elementwise_kernelILi4ENS0_13AUnaryFunctorIhhhZZZNS0_18lshift_kernel_cudaERNS_18TensorIteratorBaseEENKUlvE_clEvENKUlvE_clEvEUlhhE_EESt5arrayIPcLm2EEEEviT0_T1_.private_seg_size, 0
	.set _ZN2at6native29vectorized_elementwise_kernelILi4ENS0_13AUnaryFunctorIhhhZZZNS0_18lshift_kernel_cudaERNS_18TensorIteratorBaseEENKUlvE_clEvENKUlvE_clEvEUlhhE_EESt5arrayIPcLm2EEEEviT0_T1_.uses_vcc, 1
	.set _ZN2at6native29vectorized_elementwise_kernelILi4ENS0_13AUnaryFunctorIhhhZZZNS0_18lshift_kernel_cudaERNS_18TensorIteratorBaseEENKUlvE_clEvENKUlvE_clEvEUlhhE_EESt5arrayIPcLm2EEEEviT0_T1_.uses_flat_scratch, 0
	.set _ZN2at6native29vectorized_elementwise_kernelILi4ENS0_13AUnaryFunctorIhhhZZZNS0_18lshift_kernel_cudaERNS_18TensorIteratorBaseEENKUlvE_clEvENKUlvE_clEvEUlhhE_EESt5arrayIPcLm2EEEEviT0_T1_.has_dyn_sized_stack, 0
	.set _ZN2at6native29vectorized_elementwise_kernelILi4ENS0_13AUnaryFunctorIhhhZZZNS0_18lshift_kernel_cudaERNS_18TensorIteratorBaseEENKUlvE_clEvENKUlvE_clEvEUlhhE_EESt5arrayIPcLm2EEEEviT0_T1_.has_recursion, 0
	.set _ZN2at6native29vectorized_elementwise_kernelILi4ENS0_13AUnaryFunctorIhhhZZZNS0_18lshift_kernel_cudaERNS_18TensorIteratorBaseEENKUlvE_clEvENKUlvE_clEvEUlhhE_EESt5arrayIPcLm2EEEEviT0_T1_.has_indirect_call, 0
	.section	.AMDGPU.csdata,"",@progbits
; Kernel info:
; codeLenInByte = 3204
; TotalNumSgprs: 64
; NumVgprs: 22
; ScratchSize: 0
; MemoryBound: 0
; FloatMode: 240
; IeeeMode: 1
; LDSByteSize: 0 bytes/workgroup (compile time only)
; SGPRBlocks: 7
; VGPRBlocks: 5
; NumSGPRsForWavesPerEU: 64
; NumVGPRsForWavesPerEU: 22
; Occupancy: 10
; WaveLimiterHint : 1
; COMPUTE_PGM_RSRC2:SCRATCH_EN: 0
; COMPUTE_PGM_RSRC2:USER_SGPR: 6
; COMPUTE_PGM_RSRC2:TRAP_HANDLER: 0
; COMPUTE_PGM_RSRC2:TGID_X_EN: 1
; COMPUTE_PGM_RSRC2:TGID_Y_EN: 0
; COMPUTE_PGM_RSRC2:TGID_Z_EN: 0
; COMPUTE_PGM_RSRC2:TIDIG_COMP_CNT: 0
	.section	.text._ZN2at6native29vectorized_elementwise_kernelILi2ENS0_13AUnaryFunctorIhhhZZZNS0_18lshift_kernel_cudaERNS_18TensorIteratorBaseEENKUlvE_clEvENKUlvE_clEvEUlhhE_EESt5arrayIPcLm2EEEEviT0_T1_,"axG",@progbits,_ZN2at6native29vectorized_elementwise_kernelILi2ENS0_13AUnaryFunctorIhhhZZZNS0_18lshift_kernel_cudaERNS_18TensorIteratorBaseEENKUlvE_clEvENKUlvE_clEvEUlhhE_EESt5arrayIPcLm2EEEEviT0_T1_,comdat
	.globl	_ZN2at6native29vectorized_elementwise_kernelILi2ENS0_13AUnaryFunctorIhhhZZZNS0_18lshift_kernel_cudaERNS_18TensorIteratorBaseEENKUlvE_clEvENKUlvE_clEvEUlhhE_EESt5arrayIPcLm2EEEEviT0_T1_ ; -- Begin function _ZN2at6native29vectorized_elementwise_kernelILi2ENS0_13AUnaryFunctorIhhhZZZNS0_18lshift_kernel_cudaERNS_18TensorIteratorBaseEENKUlvE_clEvENKUlvE_clEvEUlhhE_EESt5arrayIPcLm2EEEEviT0_T1_
	.p2align	8
	.type	_ZN2at6native29vectorized_elementwise_kernelILi2ENS0_13AUnaryFunctorIhhhZZZNS0_18lshift_kernel_cudaERNS_18TensorIteratorBaseEENKUlvE_clEvENKUlvE_clEvEUlhhE_EESt5arrayIPcLm2EEEEviT0_T1_,@function
_ZN2at6native29vectorized_elementwise_kernelILi2ENS0_13AUnaryFunctorIhhhZZZNS0_18lshift_kernel_cudaERNS_18TensorIteratorBaseEENKUlvE_clEvENKUlvE_clEvEUlhhE_EESt5arrayIPcLm2EEEEviT0_T1_: ; @_ZN2at6native29vectorized_elementwise_kernelILi2ENS0_13AUnaryFunctorIhhhZZZNS0_18lshift_kernel_cudaERNS_18TensorIteratorBaseEENKUlvE_clEvENKUlvE_clEvEUlhhE_EESt5arrayIPcLm2EEEEviT0_T1_
; %bb.0:
	v_mov_b32_e32 v1, 0
	global_load_ubyte v3, v1, s[4:5] offset:5
	s_load_dword s0, s[4:5], 0x0
	s_load_dwordx4 s[56:59], s[4:5], 0x8
	s_lshl_b32 s54, s6, 12
	s_waitcnt lgkmcnt(0)
	s_sub_i32 s33, s0, s54
	s_cmpk_gt_i32 s33, 0xfff
	s_mov_b64 s[0:1], -1
	s_cbranch_scc0 .LBB3_2
; %bb.1:
	s_ashr_i32 s28, s54, 31
	s_add_u32 s0, s58, s54
	s_addc_u32 s1, s59, s28
	v_lshlrev_b32_e32 v1, 1, v0
	global_load_ushort v2, v1, s[0:1]
	global_load_ushort v4, v1, s[0:1] offset:512
	global_load_ushort v5, v1, s[0:1] offset:1024
	global_load_ushort v6, v1, s[0:1] offset:1536
	global_load_ushort v7, v1, s[0:1] offset:2048
	global_load_ushort v8, v1, s[0:1] offset:2560
	global_load_ushort v9, v1, s[0:1] offset:3072
	global_load_ushort v10, v1, s[0:1] offset:3584
	s_mov_b32 s29, 0xffff
	s_movk_i32 s26, 0x800
	s_waitcnt vmcnt(7)
	v_and_b32_e32 v11, 0xf8, v2
	v_and_b32_sdwa v12, s29, v2 dst_sel:DWORD dst_unused:UNUSED_PAD src0_sel:DWORD src1_sel:BYTE_0
	v_lshlrev_b32_sdwa v13, v2, v3 dst_sel:DWORD dst_unused:UNUSED_PAD src0_sel:BYTE_1 src1_sel:DWORD
	v_cmp_gt_u16_e32 vcc, s26, v2
	s_waitcnt vmcnt(6)
	v_and_b32_e32 v2, 0xf8, v4
	v_and_b32_sdwa v14, s29, v4 dst_sel:DWORD dst_unused:UNUSED_PAD src0_sel:DWORD src1_sel:BYTE_0
	v_lshlrev_b32_sdwa v15, v4, v3 dst_sel:DWORD dst_unused:UNUSED_PAD src0_sel:BYTE_1 src1_sel:DWORD
	v_cmp_gt_u16_e64 s[0:1], s26, v4
	s_waitcnt vmcnt(5)
	v_and_b32_e32 v4, 0xf8, v5
	v_and_b32_sdwa v16, s29, v5 dst_sel:DWORD dst_unused:UNUSED_PAD src0_sel:DWORD src1_sel:BYTE_0
	v_lshlrev_b32_sdwa v17, v5, v3 dst_sel:DWORD dst_unused:UNUSED_PAD src0_sel:BYTE_1 src1_sel:DWORD
	v_cmp_gt_u16_e64 s[2:3], s26, v5
	s_waitcnt vmcnt(4)
	v_and_b32_e32 v5, 0xf8, v6
	v_and_b32_sdwa v18, s29, v6 dst_sel:DWORD dst_unused:UNUSED_PAD src0_sel:DWORD src1_sel:BYTE_0
	v_lshlrev_b32_sdwa v19, v6, v3 dst_sel:DWORD dst_unused:UNUSED_PAD src0_sel:BYTE_1 src1_sel:DWORD
	v_cmp_gt_u16_e64 s[4:5], s26, v6
	s_waitcnt vmcnt(3)
	v_and_b32_e32 v6, 0xf8, v7
	v_cmp_eq_u16_e64 s[10:11], 0, v2
	s_waitcnt vmcnt(2)
	v_and_b32_e32 v2, 0xf8, v8
	v_cmp_eq_u16_e64 s[16:17], 0, v5
	;; [unrolled: 3-line block ×3, first 2 shown]
	v_lshlrev_b32_sdwa v11, v7, v3 dst_sel:DWORD dst_unused:UNUSED_PAD src0_sel:BYTE_1 src1_sel:DWORD
	v_cmp_gt_u16_e64 s[8:9], s26, v7
	v_and_b32_sdwa v7, s29, v7 dst_sel:DWORD dst_unused:UNUSED_PAD src0_sel:DWORD src1_sel:BYTE_0
	v_cmp_gt_u16_e64 s[14:15], s26, v8
	v_cmp_eq_u16_e64 s[18:19], 0, v6
	v_lshlrev_b32_sdwa v6, v9, v3 dst_sel:DWORD dst_unused:UNUSED_PAD src0_sel:BYTE_1 src1_sel:DWORD
	v_cmp_gt_u16_e64 s[20:21], s26, v9
	v_and_b32_sdwa v9, s29, v9 dst_sel:DWORD dst_unused:UNUSED_PAD src0_sel:DWORD src1_sel:BYTE_0
	v_cmp_eq_u16_e64 s[22:23], 0, v2
	s_waitcnt vmcnt(0)
	v_and_b32_e32 v2, 0xf8, v10
	v_cmp_eq_u16_e64 s[24:25], 0, v5
	v_lshlrev_b32_sdwa v5, v10, v3 dst_sel:DWORD dst_unused:UNUSED_PAD src0_sel:BYTE_1 src1_sel:DWORD
	v_cmp_gt_u16_e64 s[26:27], s26, v10
	v_and_b32_sdwa v10, s29, v10 dst_sel:DWORD dst_unused:UNUSED_PAD src0_sel:DWORD src1_sel:BYTE_0
	v_cmp_eq_u16_e64 s[12:13], 0, v4
	v_lshlrev_b32_sdwa v4, v8, v3 dst_sel:DWORD dst_unused:UNUSED_PAD src0_sel:BYTE_1 src1_sel:DWORD
	v_and_b32_sdwa v8, s29, v8 dst_sel:DWORD dst_unused:UNUSED_PAD src0_sel:DWORD src1_sel:BYTE_0
	v_lshlrev_b32_e32 v7, v7, v3
	v_lshlrev_b32_e32 v9, v9, v3
	v_cndmask_b32_e32 v13, 0, v13, vcc
	v_cndmask_b32_e64 v11, 0, v11, s[8:9]
	v_cndmask_b32_e64 v6, 0, v6, s[20:21]
	v_lshlrev_b32_e32 v10, v10, v3
	v_cndmask_b32_e64 v5, 0, v5, s[26:27]
	v_cmp_eq_u16_e32 vcc, 0, v2
	v_lshlrev_b32_e32 v12, v12, v3
	v_lshlrev_b32_e32 v8, v8, v3
	v_cndmask_b32_e64 v4, 0, v4, s[14:15]
	v_cndmask_b32_e64 v7, 0, v7, s[18:19]
	;; [unrolled: 1-line block ×3, first 2 shown]
	v_cndmask_b32_e32 v2, 0, v10, vcc
	v_lshlrev_b16_e32 v5, 8, v5
	v_lshlrev_b16_e32 v6, 8, v6
	;; [unrolled: 1-line block ×3, first 2 shown]
	v_lshlrev_b32_e32 v14, v14, v3
	v_lshlrev_b32_e32 v16, v16, v3
	;; [unrolled: 1-line block ×3, first 2 shown]
	v_cndmask_b32_e64 v15, 0, v15, s[0:1]
	v_cndmask_b32_e64 v17, 0, v17, s[2:3]
	v_cndmask_b32_e64 v19, 0, v19, s[4:5]
	v_cndmask_b32_e64 v12, 0, v12, s[6:7]
	v_cndmask_b32_e64 v8, 0, v8, s[22:23]
	v_lshlrev_b16_e32 v4, 8, v4
	v_or_b32_sdwa v2, v2, v5 dst_sel:DWORD dst_unused:UNUSED_PAD src0_sel:BYTE_0 src1_sel:DWORD
	v_or_b32_sdwa v5, v9, v6 dst_sel:DWORD dst_unused:UNUSED_PAD src0_sel:BYTE_0 src1_sel:DWORD
	;; [unrolled: 1-line block ×3, first 2 shown]
	v_lshlrev_b16_e32 v10, 8, v13
	s_add_u32 s0, s56, s54
	v_cndmask_b32_e64 v14, 0, v14, s[10:11]
	v_cndmask_b32_e64 v16, 0, v16, s[12:13]
	;; [unrolled: 1-line block ×3, first 2 shown]
	v_lshlrev_b16_e32 v11, 8, v19
	v_or_b32_sdwa v4, v8, v4 dst_sel:DWORD dst_unused:UNUSED_PAD src0_sel:BYTE_0 src1_sel:DWORD
	v_lshlrev_b16_e32 v8, 8, v17
	v_lshlrev_b16_e32 v9, 8, v15
	v_or_b32_sdwa v10, v12, v10 dst_sel:DWORD dst_unused:UNUSED_PAD src0_sel:BYTE_0 src1_sel:DWORD
	s_addc_u32 s1, s57, s28
	v_or_b32_sdwa v7, v18, v11 dst_sel:DWORD dst_unused:UNUSED_PAD src0_sel:BYTE_0 src1_sel:DWORD
	v_or_b32_sdwa v8, v16, v8 dst_sel:DWORD dst_unused:UNUSED_PAD src0_sel:BYTE_0 src1_sel:DWORD
	;; [unrolled: 1-line block ×3, first 2 shown]
	global_store_short v1, v10, s[0:1]
	global_store_short v1, v9, s[0:1] offset:512
	global_store_short v1, v8, s[0:1] offset:1024
	;; [unrolled: 1-line block ×7, first 2 shown]
	s_mov_b64 s[0:1], 0
.LBB3_2:
	s_andn2_b64 vcc, exec, s[0:1]
	s_cbranch_vccnz .LBB3_52
; %bb.3:
	v_cmp_gt_i32_e32 vcc, s33, v0
	v_or_b32_e32 v10, 0x100, v0
	v_mov_b32_e32 v21, 0
	v_or_b32_e32 v4, s54, v0
	v_mov_b32_e32 v20, 0
	v_mov_b32_e32 v19, 0
	;; [unrolled: 1-line block ×15, first 2 shown]
	s_and_saveexec_b64 s[2:3], vcc
	s_cbranch_execz .LBB3_35
; %bb.4:
	global_load_ubyte v15, v4, s[58:59]
	v_cmp_gt_u32_e64 s[0:1], s33, v10
	v_mov_b32_e32 v18, 0
	v_mov_b32_e32 v16, 0
	;; [unrolled: 1-line block ×15, first 2 shown]
	s_and_saveexec_b64 s[4:5], s[0:1]
	s_cbranch_execz .LBB3_34
; %bb.5:
	v_add_u32_e32 v1, s54, v0
	global_load_ubyte v18, v1, s[58:59] offset:256
	v_or_b32_e32 v2, 0x200, v0
	v_mov_b32_e32 v16, 0
	v_cmp_gt_u32_e64 s[0:1], s33, v2
	v_mov_b32_e32 v14, 0
	v_mov_b32_e32 v5, 0
	;; [unrolled: 1-line block ×13, first 2 shown]
	s_and_saveexec_b64 s[6:7], s[0:1]
	s_cbranch_execz .LBB3_33
; %bb.6:
	v_mov_b32_e32 v2, s59
	v_add_co_u32_e64 v1, s[0:1], s58, v1
	v_addc_co_u32_e64 v2, s[0:1], 0, v2, s[0:1]
	global_load_ubyte v16, v[1:2], off offset:512
	v_or_b32_e32 v5, 0x300, v0
	v_cmp_gt_u32_e64 s[0:1], s33, v5
	v_mov_b32_e32 v14, 0
	v_mov_b32_e32 v5, 0
	;; [unrolled: 1-line block ×13, first 2 shown]
	s_and_saveexec_b64 s[8:9], s[0:1]
	s_cbranch_execz .LBB3_32
; %bb.7:
	global_load_ubyte v14, v[1:2], off offset:768
	v_or_b32_e32 v5, 0x400, v0
	v_cmp_gt_u32_e64 s[0:1], s33, v5
	v_mov_b32_e32 v5, 0
	v_mov_b32_e32 v6, 0
	v_mov_b32_e32 v7, 0
	v_mov_b32_e32 v8, 0
	v_mov_b32_e32 v9, 0
	v_mov_b32_e32 v11, 0
	v_mov_b32_e32 v12, 0
	v_mov_b32_e32 v13, 0
	v_mov_b32_e32 v17, 0
	v_mov_b32_e32 v19, 0
	v_mov_b32_e32 v20, 0
	v_mov_b32_e32 v21, 0
	s_and_saveexec_b64 s[10:11], s[0:1]
	s_cbranch_execz .LBB3_31
; %bb.8:
	global_load_ubyte v5, v[1:2], off offset:1024
	v_or_b32_e32 v6, 0x500, v0
	v_cmp_gt_u32_e64 s[0:1], s33, v6
	v_mov_b32_e32 v6, 0
	v_mov_b32_e32 v7, 0
	v_mov_b32_e32 v8, 0
	v_mov_b32_e32 v9, 0
	v_mov_b32_e32 v11, 0
	v_mov_b32_e32 v12, 0
	v_mov_b32_e32 v13, 0
	v_mov_b32_e32 v17, 0
	v_mov_b32_e32 v19, 0
	v_mov_b32_e32 v20, 0
	v_mov_b32_e32 v21, 0
	s_and_saveexec_b64 s[12:13], s[0:1]
	s_cbranch_execz .LBB3_30
; %bb.9:
	global_load_ubyte v6, v[1:2], off offset:1280
	v_or_b32_e32 v7, 0x600, v0
	v_cmp_gt_u32_e64 s[0:1], s33, v7
	v_mov_b32_e32 v7, 0
	v_mov_b32_e32 v8, 0
	;; [unrolled: 1-line block ×10, first 2 shown]
	s_and_saveexec_b64 s[14:15], s[0:1]
	s_cbranch_execz .LBB3_29
; %bb.10:
	global_load_ubyte v7, v[1:2], off offset:1536
	v_or_b32_e32 v8, 0x700, v0
	v_cmp_gt_u32_e64 s[0:1], s33, v8
	v_mov_b32_e32 v8, 0
	v_mov_b32_e32 v9, 0
	;; [unrolled: 1-line block ×9, first 2 shown]
	s_and_saveexec_b64 s[16:17], s[0:1]
	s_cbranch_execz .LBB3_28
; %bb.11:
	global_load_ubyte v8, v[1:2], off offset:1792
	v_or_b32_e32 v9, 0x800, v0
	v_cmp_gt_u32_e64 s[0:1], s33, v9
	v_mov_b32_e32 v9, 0
	v_mov_b32_e32 v11, 0
	;; [unrolled: 1-line block ×8, first 2 shown]
	s_and_saveexec_b64 s[18:19], s[0:1]
	s_cbranch_execz .LBB3_27
; %bb.12:
	global_load_ubyte v9, v[1:2], off offset:2048
	v_or_b32_e32 v11, 0x900, v0
	v_cmp_gt_u32_e64 s[0:1], s33, v11
	v_mov_b32_e32 v11, 0
	v_mov_b32_e32 v12, 0
	v_mov_b32_e32 v13, 0
	v_mov_b32_e32 v17, 0
	v_mov_b32_e32 v19, 0
	v_mov_b32_e32 v20, 0
	v_mov_b32_e32 v21, 0
	s_and_saveexec_b64 s[20:21], s[0:1]
	s_cbranch_execz .LBB3_26
; %bb.13:
	global_load_ubyte v11, v[1:2], off offset:2304
	v_or_b32_e32 v12, 0xa00, v0
	v_cmp_gt_u32_e64 s[0:1], s33, v12
	v_mov_b32_e32 v12, 0
	v_mov_b32_e32 v13, 0
	;; [unrolled: 1-line block ×6, first 2 shown]
	s_and_saveexec_b64 s[22:23], s[0:1]
	s_cbranch_execz .LBB3_25
; %bb.14:
	global_load_ubyte v12, v[1:2], off offset:2560
	v_or_b32_e32 v13, 0xb00, v0
	v_cmp_gt_u32_e64 s[0:1], s33, v13
	v_mov_b32_e32 v13, 0
	v_mov_b32_e32 v17, 0
	;; [unrolled: 1-line block ×5, first 2 shown]
	s_and_saveexec_b64 s[24:25], s[0:1]
	s_cbranch_execz .LBB3_24
; %bb.15:
	global_load_ubyte v13, v[1:2], off offset:2816
	v_or_b32_e32 v17, 0xc00, v0
	v_cmp_gt_u32_e64 s[0:1], s33, v17
	v_mov_b32_e32 v17, 0
	v_mov_b32_e32 v19, 0
	;; [unrolled: 1-line block ×4, first 2 shown]
	s_and_saveexec_b64 s[26:27], s[0:1]
	s_cbranch_execz .LBB3_23
; %bb.16:
	global_load_ubyte v17, v[1:2], off offset:3072
	v_or_b32_e32 v19, 0xd00, v0
	v_cmp_gt_u32_e64 s[0:1], s33, v19
	v_mov_b32_e32 v19, 0
	v_mov_b32_e32 v20, 0
	;; [unrolled: 1-line block ×3, first 2 shown]
	s_and_saveexec_b64 s[28:29], s[0:1]
	s_cbranch_execz .LBB3_22
; %bb.17:
	global_load_ubyte v19, v[1:2], off offset:3328
	v_or_b32_e32 v20, 0xe00, v0
	v_cmp_gt_u32_e64 s[0:1], s33, v20
	v_mov_b32_e32 v20, 0
	v_mov_b32_e32 v21, 0
	s_and_saveexec_b64 s[30:31], s[0:1]
	s_cbranch_execz .LBB3_21
; %bb.18:
	global_load_ubyte v20, v[1:2], off offset:3584
	v_or_b32_e32 v21, 0xf00, v0
	v_cmp_gt_u32_e64 s[0:1], s33, v21
	v_mov_b32_e32 v21, 0
	s_and_saveexec_b64 s[34:35], s[0:1]
	s_cbranch_execz .LBB3_20
; %bb.19:
	global_load_ubyte v21, v[1:2], off offset:3840
.LBB3_20:
	s_or_b64 exec, exec, s[34:35]
.LBB3_21:
	s_or_b64 exec, exec, s[30:31]
.LBB3_22:
	s_or_b64 exec, exec, s[28:29]
.LBB3_23:
	s_or_b64 exec, exec, s[26:27]
.LBB3_24:
	s_or_b64 exec, exec, s[24:25]
.LBB3_25:
	s_or_b64 exec, exec, s[22:23]
.LBB3_26:
	s_or_b64 exec, exec, s[20:21]
.LBB3_27:
	s_or_b64 exec, exec, s[18:19]
.LBB3_28:
	s_or_b64 exec, exec, s[16:17]
.LBB3_29:
	s_or_b64 exec, exec, s[14:15]
.LBB3_30:
	s_or_b64 exec, exec, s[12:13]
.LBB3_31:
	s_or_b64 exec, exec, s[10:11]
.LBB3_32:
	s_or_b64 exec, exec, s[8:9]
.LBB3_33:
	s_or_b64 exec, exec, s[6:7]
.LBB3_34:
	s_or_b64 exec, exec, s[4:5]
.LBB3_35:
	s_or_b64 exec, exec, s[2:3]
	s_and_saveexec_b64 s[0:1], vcc
	s_cbranch_execz .LBB3_52
; %bb.36:
	v_mov_b32_e32 v1, 8
	s_waitcnt vmcnt(0)
	v_lshlrev_b32_e32 v2, v18, v3
	v_cmp_lt_u16_sdwa s[0:1], v18, v1 src0_sel:BYTE_0 src1_sel:DWORD
	v_lshlrev_b32_e32 v18, v15, v3
	v_cmp_lt_u16_sdwa s[2:3], v15, v1 src0_sel:BYTE_0 src1_sel:DWORD
	v_cndmask_b32_e64 v15, 0, v18, s[2:3]
	s_mov_b32 s55, 0xffff
	v_and_b32_sdwa v15, s55, v15 dst_sel:DWORD dst_unused:UNUSED_PAD src0_sel:DWORD src1_sel:BYTE_0
	v_cndmask_b32_e64 v2, 0, v2, s[0:1]
	v_cndmask_b32_e32 v15, 0, v15, vcc
	v_lshlrev_b16_e32 v2, 8, v2
	v_or_b32_e32 v2, v15, v2
	v_and_b32_e32 v2, 0xffff, v2
	v_cmp_gt_i32_e64 s[52:53], s33, v10
	v_lshlrev_b32_e32 v10, v16, v3
	v_cmp_lt_u16_sdwa vcc, v16, v1 src0_sel:BYTE_0 src1_sel:DWORD
	v_cndmask_b32_e64 v2, v15, v2, s[52:53]
	v_cndmask_b32_e32 v10, 0, v10, vcc
	s_mov_b32 s59, 0xc0c0304
	v_or_b32_e32 v15, 0x200, v0
	v_perm_b32 v10, v10, v2, s59
	v_lshl_or_b32 v10, v10, 16, v2
	v_cmp_gt_i32_e64 s[20:21], s33, v15
	v_lshlrev_b32_e32 v15, v14, v3
	v_cmp_lt_u16_sdwa vcc, v14, v1 src0_sel:BYTE_0 src1_sel:DWORD
	s_movk_i32 s58, 0xff
	v_cndmask_b32_e64 v2, v2, v10, s[20:21]
	v_cndmask_b32_e32 v15, 0, v15, vcc
	v_and_b32_sdwa v10, v2, s58 dst_sel:DWORD dst_unused:UNUSED_PAD src0_sel:WORD_1 src1_sel:DWORD
	v_lshlrev_b16_e32 v15, 8, v15
	v_or_b32_e32 v14, 0x300, v0
	v_or_b32_sdwa v10, v10, v15 dst_sel:WORD_1 dst_unused:UNUSED_PAD src0_sel:DWORD src1_sel:DWORD
	v_and_or_b32 v10, v2, s55, v10
	v_cmp_gt_i32_e64 s[18:19], s33, v14
	v_cndmask_b32_e64 v15, v2, v10, s[18:19]
	v_or_b32_e32 v2, 0x500, v0
	v_cmp_gt_i32_e64 s[16:17], s33, v2
	v_or_b32_e32 v2, 0x600, v0
	v_cmp_gt_i32_e64 s[14:15], s33, v2
	;; [unrolled: 2-line block ×8, first 2 shown]
	v_or_b32_e32 v2, 0xf00, v0
	v_or_b32_e32 v14, 0x400, v0
	;; [unrolled: 1-line block ×3, first 2 shown]
	v_cmp_gt_i32_e64 s[0:1], s33, v2
	v_or_b32_e32 v2, 0xc00, v0
	v_cmp_lt_u16_sdwa s[50:51], v5, v1 src0_sel:BYTE_0 src1_sel:DWORD
	v_cmp_gt_i32_e64 s[48:49], s33, v14
	v_cmp_lt_u16_sdwa vcc, v6, v1 src0_sel:BYTE_0 src1_sel:DWORD
	v_cmp_lt_u16_sdwa s[46:47], v7, v1 src0_sel:BYTE_0 src1_sel:DWORD
	v_cmp_lt_u16_sdwa s[44:45], v8, v1 src0_sel:BYTE_0 src1_sel:DWORD
	v_cmp_gt_i32_e64 s[34:35], s33, v10
	v_cmp_lt_u16_sdwa s[42:43], v9, v1 src0_sel:BYTE_0 src1_sel:DWORD
	v_cmp_lt_u16_sdwa s[40:41], v11, v1 src0_sel:BYTE_0 src1_sel:DWORD
	;; [unrolled: 1-line block ×5, first 2 shown]
	v_cmp_gt_i32_e64 s[38:39], s33, v2
	v_cmp_lt_u16_sdwa s[36:37], v19, v1 src0_sel:BYTE_0 src1_sel:DWORD
	v_cmp_lt_u16_sdwa s[26:27], v20, v1 src0_sel:BYTE_0 src1_sel:DWORD
	;; [unrolled: 1-line block ×3, first 2 shown]
	global_store_byte v4, v15, s[56:57]
	s_and_b64 exec, exec, s[52:53]
	s_cbranch_execz .LBB3_52
; %bb.37:
	v_lshlrev_b32_e32 v1, v5, v3
	v_cndmask_b32_e64 v1, 0, v1, s[50:51]
	s_mov_b32 s50, 0x3020104
	v_perm_b32 v1, v1, 0, s50
	v_lshlrev_b32_e32 v4, v6, v3
	v_mov_b32_e32 v6, 0
	v_cndmask_b32_e64 v1, 0, v1, s[48:49]
	v_cndmask_b32_sdwa v4, v6, v4, vcc dst_sel:BYTE_1 dst_unused:UNUSED_PAD src0_sel:DWORD src1_sel:DWORD
	v_or_b32_sdwa v4, v1, v4 dst_sel:DWORD dst_unused:UNUSED_PAD src0_sel:BYTE_0 src1_sel:DWORD
	v_and_b32_e32 v4, 0xffff, v4
	s_mov_b32 s48, 0xffff0000
	v_and_or_b32 v4, v1, s48, v4
	v_cndmask_b32_e64 v1, v1, v4, s[16:17]
	v_lshlrev_b32_e32 v4, v7, v3
	v_cndmask_b32_e64 v4, 0, v4, s[46:47]
	s_mov_b32 s46, 0x7000504
	v_perm_b32 v4, v1, v4, s46
	v_lshlrev_b32_e32 v5, v8, v3
	v_cndmask_b32_e64 v1, v1, v4, s[14:15]
	v_cndmask_b32_e64 v5, 0, v5, s[44:45]
	v_and_b32_sdwa v4, v1, s58 dst_sel:DWORD dst_unused:UNUSED_PAD src0_sel:WORD_1 src1_sel:DWORD
	v_lshlrev_b16_e32 v5, 8, v5
	v_or_b32_sdwa v4, v4, v5 dst_sel:WORD_1 dst_unused:UNUSED_PAD src0_sel:DWORD src1_sel:DWORD
	v_and_or_b32 v4, v1, s55, v4
	v_cndmask_b32_e64 v5, v1, v4, s[12:13]
	v_lshlrev_b32_e32 v1, v9, v3
	v_cndmask_b32_e64 v1, 0, v1, s[42:43]
	v_lshlrev_b32_e32 v4, v11, v3
	v_and_b32_sdwa v1, s55, v1 dst_sel:DWORD dst_unused:UNUSED_PAD src0_sel:DWORD src1_sel:BYTE_0
	v_cndmask_b32_e64 v4, 0, v4, s[40:41]
	v_cndmask_b32_e64 v1, 0, v1, s[34:35]
	v_lshlrev_b16_e32 v4, 8, v4
	v_or_b32_e32 v4, v1, v4
	v_and_b32_e32 v4, 0xffff, v4
	v_cndmask_b32_e64 v1, v1, v4, s[10:11]
	v_lshlrev_b32_e32 v4, v12, v3
	v_cndmask_b32_e64 v4, 0, v4, s[30:31]
	v_perm_b32 v4, v4, v1, s59
	v_lshl_or_b32 v4, v4, 16, v1
	v_lshlrev_b32_e32 v7, v13, v3
	v_cndmask_b32_e64 v1, v1, v4, s[8:9]
	v_cndmask_b32_e64 v7, 0, v7, s[28:29]
	v_and_b32_sdwa v4, v1, s58 dst_sel:DWORD dst_unused:UNUSED_PAD src0_sel:WORD_1 src1_sel:DWORD
	v_lshlrev_b16_e32 v7, 8, v7
	v_or_b32_sdwa v4, v4, v7 dst_sel:WORD_1 dst_unused:UNUSED_PAD src0_sel:DWORD src1_sel:DWORD
	v_and_or_b32 v4, v1, s55, v4
	v_cndmask_b32_e64 v4, v1, v4, s[6:7]
	v_lshlrev_b32_e32 v1, v17, v3
	v_cndmask_b32_e64 v1, 0, v1, s[22:23]
	v_lshlrev_b32_e32 v7, v19, v3
	v_perm_b32 v1, v1, 0, s50
	v_cndmask_b32_e64 v7, 0, v7, s[36:37]
	v_cndmask_b32_e64 v1, 0, v1, s[38:39]
	v_lshlrev_b16_e32 v7, 8, v7
	v_or_b32_sdwa v7, v1, v7 dst_sel:DWORD dst_unused:UNUSED_PAD src0_sel:BYTE_0 src1_sel:DWORD
	v_and_b32_e32 v7, 0xffff, v7
	v_and_or_b32 v7, v1, s48, v7
	v_cndmask_b32_e64 v1, v1, v7, s[4:5]
	v_lshlrev_b32_e32 v7, v20, v3
	v_cndmask_b32_e64 v7, 0, v7, s[26:27]
	v_perm_b32 v7, v1, v7, s46
	v_cndmask_b32_e64 v1, v1, v7, s[2:3]
	v_lshlrev_b32_e32 v3, v21, v3
	s_mov_b64 vcc, s[24:25]
	v_and_b32_sdwa v7, v1, s58 dst_sel:DWORD dst_unused:UNUSED_PAD src0_sel:WORD_1 src1_sel:DWORD
	v_cndmask_b32_sdwa v3, v6, v3, vcc dst_sel:BYTE_1 dst_unused:UNUSED_PAD src0_sel:DWORD src1_sel:DWORD
	v_or_b32_sdwa v3, v7, v3 dst_sel:WORD_1 dst_unused:UNUSED_PAD src0_sel:DWORD src1_sel:DWORD
	v_and_or_b32 v3, v1, s55, v3
	v_cndmask_b32_e64 v3, v1, v3, s[0:1]
	v_lshrrev_b32_e32 v1, 8, v15
	v_add_u32_e32 v0, s54, v0
	global_store_byte v0, v1, s[56:57] offset:256
	s_and_b64 exec, exec, s[20:21]
	s_cbranch_execz .LBB3_52
; %bb.38:
	v_mov_b32_e32 v1, s57
	v_add_co_u32_e32 v0, vcc, s56, v0
	v_addc_co_u32_e32 v1, vcc, 0, v1, vcc
	global_store_byte_d16_hi v[0:1], v15, off offset:512
	s_and_b64 exec, exec, s[18:19]
	s_cbranch_execz .LBB3_52
; %bb.39:
	v_lshrrev_b32_e32 v6, 24, v15
	v_cmp_gt_u32_e32 vcc, s33, v14
	global_store_byte v[0:1], v6, off offset:768
	s_and_b64 exec, exec, vcc
	s_cbranch_execz .LBB3_52
; %bb.40:
	global_store_byte v[0:1], v5, off offset:1024
	s_and_b64 exec, exec, s[16:17]
	s_cbranch_execz .LBB3_52
; %bb.41:
	v_lshrrev_b32_e32 v6, 8, v5
	global_store_byte v[0:1], v6, off offset:1280
	s_and_b64 exec, exec, s[14:15]
	s_cbranch_execz .LBB3_52
; %bb.42:
	global_store_byte_d16_hi v[0:1], v5, off offset:1536
	s_and_b64 exec, exec, s[12:13]
	s_cbranch_execz .LBB3_52
; %bb.43:
	v_lshrrev_b32_e32 v5, 24, v5
	v_cmp_gt_u32_e32 vcc, s33, v10
	global_store_byte v[0:1], v5, off offset:1792
	s_and_b64 exec, exec, vcc
	s_cbranch_execz .LBB3_52
; %bb.44:
	global_store_byte v[0:1], v4, off offset:2048
	s_and_b64 exec, exec, s[10:11]
	s_cbranch_execz .LBB3_52
; %bb.45:
	v_lshrrev_b32_e32 v5, 8, v4
	global_store_byte v[0:1], v5, off offset:2304
	s_and_b64 exec, exec, s[8:9]
	s_cbranch_execz .LBB3_52
; %bb.46:
	;; [unrolled: 19-line block ×3, first 2 shown]
	global_store_byte_d16_hi v[0:1], v3, off offset:3584
	s_and_b64 exec, exec, s[0:1]
	s_cbranch_execz .LBB3_52
; %bb.51:
	v_lshrrev_b32_e32 v2, 24, v3
	global_store_byte v[0:1], v2, off offset:3840
.LBB3_52:
	s_endpgm
	.section	.rodata,"a",@progbits
	.p2align	6, 0x0
	.amdhsa_kernel _ZN2at6native29vectorized_elementwise_kernelILi2ENS0_13AUnaryFunctorIhhhZZZNS0_18lshift_kernel_cudaERNS_18TensorIteratorBaseEENKUlvE_clEvENKUlvE_clEvEUlhhE_EESt5arrayIPcLm2EEEEviT0_T1_
		.amdhsa_group_segment_fixed_size 0
		.amdhsa_private_segment_fixed_size 0
		.amdhsa_kernarg_size 24
		.amdhsa_user_sgpr_count 6
		.amdhsa_user_sgpr_private_segment_buffer 1
		.amdhsa_user_sgpr_dispatch_ptr 0
		.amdhsa_user_sgpr_queue_ptr 0
		.amdhsa_user_sgpr_kernarg_segment_ptr 1
		.amdhsa_user_sgpr_dispatch_id 0
		.amdhsa_user_sgpr_flat_scratch_init 0
		.amdhsa_user_sgpr_private_segment_size 0
		.amdhsa_uses_dynamic_stack 0
		.amdhsa_system_sgpr_private_segment_wavefront_offset 0
		.amdhsa_system_sgpr_workgroup_id_x 1
		.amdhsa_system_sgpr_workgroup_id_y 0
		.amdhsa_system_sgpr_workgroup_id_z 0
		.amdhsa_system_sgpr_workgroup_info 0
		.amdhsa_system_vgpr_workitem_id 0
		.amdhsa_next_free_vgpr 22
		.amdhsa_next_free_sgpr 60
		.amdhsa_reserve_vcc 1
		.amdhsa_reserve_flat_scratch 0
		.amdhsa_float_round_mode_32 0
		.amdhsa_float_round_mode_16_64 0
		.amdhsa_float_denorm_mode_32 3
		.amdhsa_float_denorm_mode_16_64 3
		.amdhsa_dx10_clamp 1
		.amdhsa_ieee_mode 1
		.amdhsa_fp16_overflow 0
		.amdhsa_exception_fp_ieee_invalid_op 0
		.amdhsa_exception_fp_denorm_src 0
		.amdhsa_exception_fp_ieee_div_zero 0
		.amdhsa_exception_fp_ieee_overflow 0
		.amdhsa_exception_fp_ieee_underflow 0
		.amdhsa_exception_fp_ieee_inexact 0
		.amdhsa_exception_int_div_zero 0
	.end_amdhsa_kernel
	.section	.text._ZN2at6native29vectorized_elementwise_kernelILi2ENS0_13AUnaryFunctorIhhhZZZNS0_18lshift_kernel_cudaERNS_18TensorIteratorBaseEENKUlvE_clEvENKUlvE_clEvEUlhhE_EESt5arrayIPcLm2EEEEviT0_T1_,"axG",@progbits,_ZN2at6native29vectorized_elementwise_kernelILi2ENS0_13AUnaryFunctorIhhhZZZNS0_18lshift_kernel_cudaERNS_18TensorIteratorBaseEENKUlvE_clEvENKUlvE_clEvEUlhhE_EESt5arrayIPcLm2EEEEviT0_T1_,comdat
.Lfunc_end3:
	.size	_ZN2at6native29vectorized_elementwise_kernelILi2ENS0_13AUnaryFunctorIhhhZZZNS0_18lshift_kernel_cudaERNS_18TensorIteratorBaseEENKUlvE_clEvENKUlvE_clEvEUlhhE_EESt5arrayIPcLm2EEEEviT0_T1_, .Lfunc_end3-_ZN2at6native29vectorized_elementwise_kernelILi2ENS0_13AUnaryFunctorIhhhZZZNS0_18lshift_kernel_cudaERNS_18TensorIteratorBaseEENKUlvE_clEvENKUlvE_clEvEUlhhE_EESt5arrayIPcLm2EEEEviT0_T1_
                                        ; -- End function
	.set _ZN2at6native29vectorized_elementwise_kernelILi2ENS0_13AUnaryFunctorIhhhZZZNS0_18lshift_kernel_cudaERNS_18TensorIteratorBaseEENKUlvE_clEvENKUlvE_clEvEUlhhE_EESt5arrayIPcLm2EEEEviT0_T1_.num_vgpr, 22
	.set _ZN2at6native29vectorized_elementwise_kernelILi2ENS0_13AUnaryFunctorIhhhZZZNS0_18lshift_kernel_cudaERNS_18TensorIteratorBaseEENKUlvE_clEvENKUlvE_clEvEUlhhE_EESt5arrayIPcLm2EEEEviT0_T1_.num_agpr, 0
	.set _ZN2at6native29vectorized_elementwise_kernelILi2ENS0_13AUnaryFunctorIhhhZZZNS0_18lshift_kernel_cudaERNS_18TensorIteratorBaseEENKUlvE_clEvENKUlvE_clEvEUlhhE_EESt5arrayIPcLm2EEEEviT0_T1_.numbered_sgpr, 60
	.set _ZN2at6native29vectorized_elementwise_kernelILi2ENS0_13AUnaryFunctorIhhhZZZNS0_18lshift_kernel_cudaERNS_18TensorIteratorBaseEENKUlvE_clEvENKUlvE_clEvEUlhhE_EESt5arrayIPcLm2EEEEviT0_T1_.num_named_barrier, 0
	.set _ZN2at6native29vectorized_elementwise_kernelILi2ENS0_13AUnaryFunctorIhhhZZZNS0_18lshift_kernel_cudaERNS_18TensorIteratorBaseEENKUlvE_clEvENKUlvE_clEvEUlhhE_EESt5arrayIPcLm2EEEEviT0_T1_.private_seg_size, 0
	.set _ZN2at6native29vectorized_elementwise_kernelILi2ENS0_13AUnaryFunctorIhhhZZZNS0_18lshift_kernel_cudaERNS_18TensorIteratorBaseEENKUlvE_clEvENKUlvE_clEvEUlhhE_EESt5arrayIPcLm2EEEEviT0_T1_.uses_vcc, 1
	.set _ZN2at6native29vectorized_elementwise_kernelILi2ENS0_13AUnaryFunctorIhhhZZZNS0_18lshift_kernel_cudaERNS_18TensorIteratorBaseEENKUlvE_clEvENKUlvE_clEvEUlhhE_EESt5arrayIPcLm2EEEEviT0_T1_.uses_flat_scratch, 0
	.set _ZN2at6native29vectorized_elementwise_kernelILi2ENS0_13AUnaryFunctorIhhhZZZNS0_18lshift_kernel_cudaERNS_18TensorIteratorBaseEENKUlvE_clEvENKUlvE_clEvEUlhhE_EESt5arrayIPcLm2EEEEviT0_T1_.has_dyn_sized_stack, 0
	.set _ZN2at6native29vectorized_elementwise_kernelILi2ENS0_13AUnaryFunctorIhhhZZZNS0_18lshift_kernel_cudaERNS_18TensorIteratorBaseEENKUlvE_clEvENKUlvE_clEvEUlhhE_EESt5arrayIPcLm2EEEEviT0_T1_.has_recursion, 0
	.set _ZN2at6native29vectorized_elementwise_kernelILi2ENS0_13AUnaryFunctorIhhhZZZNS0_18lshift_kernel_cudaERNS_18TensorIteratorBaseEENKUlvE_clEvENKUlvE_clEvEUlhhE_EESt5arrayIPcLm2EEEEviT0_T1_.has_indirect_call, 0
	.section	.AMDGPU.csdata,"",@progbits
; Kernel info:
; codeLenInByte = 3276
; TotalNumSgprs: 64
; NumVgprs: 22
; ScratchSize: 0
; MemoryBound: 0
; FloatMode: 240
; IeeeMode: 1
; LDSByteSize: 0 bytes/workgroup (compile time only)
; SGPRBlocks: 7
; VGPRBlocks: 5
; NumSGPRsForWavesPerEU: 64
; NumVGPRsForWavesPerEU: 22
; Occupancy: 10
; WaveLimiterHint : 1
; COMPUTE_PGM_RSRC2:SCRATCH_EN: 0
; COMPUTE_PGM_RSRC2:USER_SGPR: 6
; COMPUTE_PGM_RSRC2:TRAP_HANDLER: 0
; COMPUTE_PGM_RSRC2:TGID_X_EN: 1
; COMPUTE_PGM_RSRC2:TGID_Y_EN: 0
; COMPUTE_PGM_RSRC2:TGID_Z_EN: 0
; COMPUTE_PGM_RSRC2:TIDIG_COMP_CNT: 0
	.section	.text._ZN2at6native27unrolled_elementwise_kernelINS0_13AUnaryFunctorIhhhZZZNS0_18lshift_kernel_cudaERNS_18TensorIteratorBaseEENKUlvE_clEvENKUlvE_clEvEUlhhE_EESt5arrayIPcLm2EELi4E23TrivialOffsetCalculatorILi1EjESD_NS0_6memory15LoadWithoutCastENSE_16StoreWithoutCastEEEviT_T0_T2_T3_T4_T5_,"axG",@progbits,_ZN2at6native27unrolled_elementwise_kernelINS0_13AUnaryFunctorIhhhZZZNS0_18lshift_kernel_cudaERNS_18TensorIteratorBaseEENKUlvE_clEvENKUlvE_clEvEUlhhE_EESt5arrayIPcLm2EELi4E23TrivialOffsetCalculatorILi1EjESD_NS0_6memory15LoadWithoutCastENSE_16StoreWithoutCastEEEviT_T0_T2_T3_T4_T5_,comdat
	.globl	_ZN2at6native27unrolled_elementwise_kernelINS0_13AUnaryFunctorIhhhZZZNS0_18lshift_kernel_cudaERNS_18TensorIteratorBaseEENKUlvE_clEvENKUlvE_clEvEUlhhE_EESt5arrayIPcLm2EELi4E23TrivialOffsetCalculatorILi1EjESD_NS0_6memory15LoadWithoutCastENSE_16StoreWithoutCastEEEviT_T0_T2_T3_T4_T5_ ; -- Begin function _ZN2at6native27unrolled_elementwise_kernelINS0_13AUnaryFunctorIhhhZZZNS0_18lshift_kernel_cudaERNS_18TensorIteratorBaseEENKUlvE_clEvENKUlvE_clEvEUlhhE_EESt5arrayIPcLm2EELi4E23TrivialOffsetCalculatorILi1EjESD_NS0_6memory15LoadWithoutCastENSE_16StoreWithoutCastEEEviT_T0_T2_T3_T4_T5_
	.p2align	8
	.type	_ZN2at6native27unrolled_elementwise_kernelINS0_13AUnaryFunctorIhhhZZZNS0_18lshift_kernel_cudaERNS_18TensorIteratorBaseEENKUlvE_clEvENKUlvE_clEvEUlhhE_EESt5arrayIPcLm2EELi4E23TrivialOffsetCalculatorILi1EjESD_NS0_6memory15LoadWithoutCastENSE_16StoreWithoutCastEEEviT_T0_T2_T3_T4_T5_,@function
_ZN2at6native27unrolled_elementwise_kernelINS0_13AUnaryFunctorIhhhZZZNS0_18lshift_kernel_cudaERNS_18TensorIteratorBaseEENKUlvE_clEvENKUlvE_clEvEUlhhE_EESt5arrayIPcLm2EELi4E23TrivialOffsetCalculatorILi1EjESD_NS0_6memory15LoadWithoutCastENSE_16StoreWithoutCastEEEviT_T0_T2_T3_T4_T5_: ; @_ZN2at6native27unrolled_elementwise_kernelINS0_13AUnaryFunctorIhhhZZZNS0_18lshift_kernel_cudaERNS_18TensorIteratorBaseEENKUlvE_clEvENKUlvE_clEvEUlhhE_EESt5arrayIPcLm2EELi4E23TrivialOffsetCalculatorILi1EjESD_NS0_6memory15LoadWithoutCastENSE_16StoreWithoutCastEEEviT_T0_T2_T3_T4_T5_
; %bb.0:
	v_mov_b32_e32 v3, 0
	global_load_ushort v4, v3, s[4:5] offset:4
	s_load_dword s0, s[4:5], 0x0
	s_load_dwordx4 s[8:11], s[4:5], 0x8
	s_lshl_b32 s14, s6, 10
	v_or_b32_e32 v1, 0x100, v0
	v_or_b32_e32 v2, s14, v0
	s_waitcnt lgkmcnt(0)
	s_sub_i32 s15, s0, s14
	v_cmp_gt_i32_e32 vcc, s15, v0
	v_mov_b32_e32 v5, 0
	v_mov_b32_e32 v6, 0
	;; [unrolled: 1-line block ×3, first 2 shown]
	s_and_saveexec_b64 s[2:3], vcc
	s_cbranch_execz .LBB4_8
; %bb.1:
	global_load_ubyte v7, v2, s[10:11]
	v_cmp_gt_u32_e64 s[0:1], s15, v1
	v_mov_b32_e32 v6, 0
	v_mov_b32_e32 v5, 0
	;; [unrolled: 1-line block ×3, first 2 shown]
	s_and_saveexec_b64 s[4:5], s[0:1]
	s_cbranch_execz .LBB4_7
; %bb.2:
	v_add_u32_e32 v3, s14, v1
	global_load_ubyte v6, v3, s[10:11]
	v_or_b32_e32 v8, 0x200, v0
	v_cmp_gt_u32_e64 s[0:1], s15, v8
	v_mov_b32_e32 v5, 0
	v_mov_b32_e32 v3, 0
	s_and_saveexec_b64 s[6:7], s[0:1]
	s_cbranch_execz .LBB4_6
; %bb.3:
	v_add_u32_e32 v3, s14, v8
	global_load_ubyte v5, v3, s[10:11]
	v_or_b32_e32 v8, 0x300, v0
	v_cmp_gt_u32_e64 s[0:1], s15, v8
	v_mov_b32_e32 v3, 0
	s_and_saveexec_b64 s[12:13], s[0:1]
	s_cbranch_execz .LBB4_5
; %bb.4:
	v_add_u32_e32 v3, s14, v8
	global_load_ubyte v3, v3, s[10:11]
.LBB4_5:
	s_or_b64 exec, exec, s[12:13]
.LBB4_6:
	s_or_b64 exec, exec, s[6:7]
.LBB4_7:
	s_or_b64 exec, exec, s[4:5]
.LBB4_8:
	s_or_b64 exec, exec, s[2:3]
	s_and_saveexec_b64 s[0:1], vcc
	s_cbranch_execz .LBB4_13
; %bb.9:
	v_mov_b32_e32 v8, 8
	s_waitcnt vmcnt(0)
	v_lshrrev_b32_sdwa v9, v8, v4 dst_sel:DWORD dst_unused:UNUSED_PAD src0_sel:DWORD src1_sel:WORD_0
	v_lshlrev_b32_e32 v4, v7, v9
	v_cmp_lt_u16_sdwa s[0:1], v7, v8 src0_sel:BYTE_0 src1_sel:DWORD
	s_mov_b32 s4, 0xffff
	v_cndmask_b32_e64 v4, 0, v4, s[0:1]
	v_and_b32_sdwa v4, s4, v4 dst_sel:DWORD dst_unused:UNUSED_PAD src0_sel:DWORD src1_sel:BYTE_0
	v_cndmask_b32_e32 v4, 0, v4, vcc
	v_lshlrev_b32_e32 v7, v6, v9
	v_cmp_lt_u16_sdwa vcc, v6, v8 src0_sel:BYTE_0 src1_sel:DWORD
	v_cndmask_b32_e32 v6, 0, v7, vcc
	v_lshlrev_b16_e32 v6, 8, v6
	v_or_b32_e32 v6, v4, v6
	v_and_b32_e32 v6, 0xffff, v6
	v_cmp_gt_i32_e64 s[2:3], s15, v1
	v_lshlrev_b32_e32 v7, v5, v9
	v_cmp_lt_u16_sdwa vcc, v5, v8 src0_sel:BYTE_0 src1_sel:DWORD
	v_cndmask_b32_e64 v6, v4, v6, s[2:3]
	v_cndmask_b32_e32 v5, 0, v7, vcc
	s_mov_b32 s0, 0xc0c0304
	v_or_b32_e32 v4, 0x200, v0
	v_perm_b32 v5, v5, v6, s0
	v_lshl_or_b32 v5, v5, 16, v6
	v_cmp_gt_i32_e64 s[0:1], s15, v4
	s_movk_i32 s5, 0xff
	v_cndmask_b32_e64 v5, v6, v5, s[0:1]
	v_lshlrev_b32_e32 v7, v3, v9
	v_cmp_lt_u16_sdwa vcc, v3, v8 src0_sel:BYTE_0 src1_sel:DWORD
	v_mov_b32_e32 v3, 0
	v_and_b32_sdwa v6, v5, s5 dst_sel:DWORD dst_unused:UNUSED_PAD src0_sel:WORD_1 src1_sel:DWORD
	v_cndmask_b32_sdwa v3, v3, v7, vcc dst_sel:BYTE_1 dst_unused:UNUSED_PAD src0_sel:DWORD src1_sel:DWORD
	v_or_b32_e32 v0, 0x300, v0
	v_or_b32_sdwa v3, v6, v3 dst_sel:WORD_1 dst_unused:UNUSED_PAD src0_sel:DWORD src1_sel:DWORD
	v_and_or_b32 v3, v5, s4, v3
	v_cmp_gt_i32_e32 vcc, s15, v0
	v_cndmask_b32_e32 v3, v5, v3, vcc
	global_store_byte v2, v3, s[8:9]
	s_and_b64 exec, exec, s[2:3]
	s_cbranch_execz .LBB4_13
; %bb.10:
	v_add_u32_e32 v1, s14, v1
	v_lshrrev_b32_e32 v2, 8, v3
	global_store_byte v1, v2, s[8:9]
	s_and_b64 exec, exec, s[0:1]
	s_cbranch_execz .LBB4_13
; %bb.11:
	v_add_u32_e32 v1, s14, v4
	global_store_byte_d16_hi v1, v3, s[8:9]
	s_and_b64 exec, exec, vcc
	s_cbranch_execz .LBB4_13
; %bb.12:
	v_lshrrev_b32_e32 v1, 24, v3
	v_add_u32_e32 v0, s14, v0
	global_store_byte v0, v1, s[8:9]
.LBB4_13:
	s_endpgm
	.section	.rodata,"a",@progbits
	.p2align	6, 0x0
	.amdhsa_kernel _ZN2at6native27unrolled_elementwise_kernelINS0_13AUnaryFunctorIhhhZZZNS0_18lshift_kernel_cudaERNS_18TensorIteratorBaseEENKUlvE_clEvENKUlvE_clEvEUlhhE_EESt5arrayIPcLm2EELi4E23TrivialOffsetCalculatorILi1EjESD_NS0_6memory15LoadWithoutCastENSE_16StoreWithoutCastEEEviT_T0_T2_T3_T4_T5_
		.amdhsa_group_segment_fixed_size 0
		.amdhsa_private_segment_fixed_size 0
		.amdhsa_kernarg_size 28
		.amdhsa_user_sgpr_count 6
		.amdhsa_user_sgpr_private_segment_buffer 1
		.amdhsa_user_sgpr_dispatch_ptr 0
		.amdhsa_user_sgpr_queue_ptr 0
		.amdhsa_user_sgpr_kernarg_segment_ptr 1
		.amdhsa_user_sgpr_dispatch_id 0
		.amdhsa_user_sgpr_flat_scratch_init 0
		.amdhsa_user_sgpr_private_segment_size 0
		.amdhsa_uses_dynamic_stack 0
		.amdhsa_system_sgpr_private_segment_wavefront_offset 0
		.amdhsa_system_sgpr_workgroup_id_x 1
		.amdhsa_system_sgpr_workgroup_id_y 0
		.amdhsa_system_sgpr_workgroup_id_z 0
		.amdhsa_system_sgpr_workgroup_info 0
		.amdhsa_system_vgpr_workitem_id 0
		.amdhsa_next_free_vgpr 10
		.amdhsa_next_free_sgpr 16
		.amdhsa_reserve_vcc 1
		.amdhsa_reserve_flat_scratch 0
		.amdhsa_float_round_mode_32 0
		.amdhsa_float_round_mode_16_64 0
		.amdhsa_float_denorm_mode_32 3
		.amdhsa_float_denorm_mode_16_64 3
		.amdhsa_dx10_clamp 1
		.amdhsa_ieee_mode 1
		.amdhsa_fp16_overflow 0
		.amdhsa_exception_fp_ieee_invalid_op 0
		.amdhsa_exception_fp_denorm_src 0
		.amdhsa_exception_fp_ieee_div_zero 0
		.amdhsa_exception_fp_ieee_overflow 0
		.amdhsa_exception_fp_ieee_underflow 0
		.amdhsa_exception_fp_ieee_inexact 0
		.amdhsa_exception_int_div_zero 0
	.end_amdhsa_kernel
	.section	.text._ZN2at6native27unrolled_elementwise_kernelINS0_13AUnaryFunctorIhhhZZZNS0_18lshift_kernel_cudaERNS_18TensorIteratorBaseEENKUlvE_clEvENKUlvE_clEvEUlhhE_EESt5arrayIPcLm2EELi4E23TrivialOffsetCalculatorILi1EjESD_NS0_6memory15LoadWithoutCastENSE_16StoreWithoutCastEEEviT_T0_T2_T3_T4_T5_,"axG",@progbits,_ZN2at6native27unrolled_elementwise_kernelINS0_13AUnaryFunctorIhhhZZZNS0_18lshift_kernel_cudaERNS_18TensorIteratorBaseEENKUlvE_clEvENKUlvE_clEvEUlhhE_EESt5arrayIPcLm2EELi4E23TrivialOffsetCalculatorILi1EjESD_NS0_6memory15LoadWithoutCastENSE_16StoreWithoutCastEEEviT_T0_T2_T3_T4_T5_,comdat
.Lfunc_end4:
	.size	_ZN2at6native27unrolled_elementwise_kernelINS0_13AUnaryFunctorIhhhZZZNS0_18lshift_kernel_cudaERNS_18TensorIteratorBaseEENKUlvE_clEvENKUlvE_clEvEUlhhE_EESt5arrayIPcLm2EELi4E23TrivialOffsetCalculatorILi1EjESD_NS0_6memory15LoadWithoutCastENSE_16StoreWithoutCastEEEviT_T0_T2_T3_T4_T5_, .Lfunc_end4-_ZN2at6native27unrolled_elementwise_kernelINS0_13AUnaryFunctorIhhhZZZNS0_18lshift_kernel_cudaERNS_18TensorIteratorBaseEENKUlvE_clEvENKUlvE_clEvEUlhhE_EESt5arrayIPcLm2EELi4E23TrivialOffsetCalculatorILi1EjESD_NS0_6memory15LoadWithoutCastENSE_16StoreWithoutCastEEEviT_T0_T2_T3_T4_T5_
                                        ; -- End function
	.set _ZN2at6native27unrolled_elementwise_kernelINS0_13AUnaryFunctorIhhhZZZNS0_18lshift_kernel_cudaERNS_18TensorIteratorBaseEENKUlvE_clEvENKUlvE_clEvEUlhhE_EESt5arrayIPcLm2EELi4E23TrivialOffsetCalculatorILi1EjESD_NS0_6memory15LoadWithoutCastENSE_16StoreWithoutCastEEEviT_T0_T2_T3_T4_T5_.num_vgpr, 10
	.set _ZN2at6native27unrolled_elementwise_kernelINS0_13AUnaryFunctorIhhhZZZNS0_18lshift_kernel_cudaERNS_18TensorIteratorBaseEENKUlvE_clEvENKUlvE_clEvEUlhhE_EESt5arrayIPcLm2EELi4E23TrivialOffsetCalculatorILi1EjESD_NS0_6memory15LoadWithoutCastENSE_16StoreWithoutCastEEEviT_T0_T2_T3_T4_T5_.num_agpr, 0
	.set _ZN2at6native27unrolled_elementwise_kernelINS0_13AUnaryFunctorIhhhZZZNS0_18lshift_kernel_cudaERNS_18TensorIteratorBaseEENKUlvE_clEvENKUlvE_clEvEUlhhE_EESt5arrayIPcLm2EELi4E23TrivialOffsetCalculatorILi1EjESD_NS0_6memory15LoadWithoutCastENSE_16StoreWithoutCastEEEviT_T0_T2_T3_T4_T5_.numbered_sgpr, 16
	.set _ZN2at6native27unrolled_elementwise_kernelINS0_13AUnaryFunctorIhhhZZZNS0_18lshift_kernel_cudaERNS_18TensorIteratorBaseEENKUlvE_clEvENKUlvE_clEvEUlhhE_EESt5arrayIPcLm2EELi4E23TrivialOffsetCalculatorILi1EjESD_NS0_6memory15LoadWithoutCastENSE_16StoreWithoutCastEEEviT_T0_T2_T3_T4_T5_.num_named_barrier, 0
	.set _ZN2at6native27unrolled_elementwise_kernelINS0_13AUnaryFunctorIhhhZZZNS0_18lshift_kernel_cudaERNS_18TensorIteratorBaseEENKUlvE_clEvENKUlvE_clEvEUlhhE_EESt5arrayIPcLm2EELi4E23TrivialOffsetCalculatorILi1EjESD_NS0_6memory15LoadWithoutCastENSE_16StoreWithoutCastEEEviT_T0_T2_T3_T4_T5_.private_seg_size, 0
	.set _ZN2at6native27unrolled_elementwise_kernelINS0_13AUnaryFunctorIhhhZZZNS0_18lshift_kernel_cudaERNS_18TensorIteratorBaseEENKUlvE_clEvENKUlvE_clEvEUlhhE_EESt5arrayIPcLm2EELi4E23TrivialOffsetCalculatorILi1EjESD_NS0_6memory15LoadWithoutCastENSE_16StoreWithoutCastEEEviT_T0_T2_T3_T4_T5_.uses_vcc, 1
	.set _ZN2at6native27unrolled_elementwise_kernelINS0_13AUnaryFunctorIhhhZZZNS0_18lshift_kernel_cudaERNS_18TensorIteratorBaseEENKUlvE_clEvENKUlvE_clEvEUlhhE_EESt5arrayIPcLm2EELi4E23TrivialOffsetCalculatorILi1EjESD_NS0_6memory15LoadWithoutCastENSE_16StoreWithoutCastEEEviT_T0_T2_T3_T4_T5_.uses_flat_scratch, 0
	.set _ZN2at6native27unrolled_elementwise_kernelINS0_13AUnaryFunctorIhhhZZZNS0_18lshift_kernel_cudaERNS_18TensorIteratorBaseEENKUlvE_clEvENKUlvE_clEvEUlhhE_EESt5arrayIPcLm2EELi4E23TrivialOffsetCalculatorILi1EjESD_NS0_6memory15LoadWithoutCastENSE_16StoreWithoutCastEEEviT_T0_T2_T3_T4_T5_.has_dyn_sized_stack, 0
	.set _ZN2at6native27unrolled_elementwise_kernelINS0_13AUnaryFunctorIhhhZZZNS0_18lshift_kernel_cudaERNS_18TensorIteratorBaseEENKUlvE_clEvENKUlvE_clEvEUlhhE_EESt5arrayIPcLm2EELi4E23TrivialOffsetCalculatorILi1EjESD_NS0_6memory15LoadWithoutCastENSE_16StoreWithoutCastEEEviT_T0_T2_T3_T4_T5_.has_recursion, 0
	.set _ZN2at6native27unrolled_elementwise_kernelINS0_13AUnaryFunctorIhhhZZZNS0_18lshift_kernel_cudaERNS_18TensorIteratorBaseEENKUlvE_clEvENKUlvE_clEvEUlhhE_EESt5arrayIPcLm2EELi4E23TrivialOffsetCalculatorILi1EjESD_NS0_6memory15LoadWithoutCastENSE_16StoreWithoutCastEEEviT_T0_T2_T3_T4_T5_.has_indirect_call, 0
	.section	.AMDGPU.csdata,"",@progbits
; Kernel info:
; codeLenInByte = 548
; TotalNumSgprs: 20
; NumVgprs: 10
; ScratchSize: 0
; MemoryBound: 0
; FloatMode: 240
; IeeeMode: 1
; LDSByteSize: 0 bytes/workgroup (compile time only)
; SGPRBlocks: 2
; VGPRBlocks: 2
; NumSGPRsForWavesPerEU: 20
; NumVGPRsForWavesPerEU: 10
; Occupancy: 10
; WaveLimiterHint : 0
; COMPUTE_PGM_RSRC2:SCRATCH_EN: 0
; COMPUTE_PGM_RSRC2:USER_SGPR: 6
; COMPUTE_PGM_RSRC2:TRAP_HANDLER: 0
; COMPUTE_PGM_RSRC2:TGID_X_EN: 1
; COMPUTE_PGM_RSRC2:TGID_Y_EN: 0
; COMPUTE_PGM_RSRC2:TGID_Z_EN: 0
; COMPUTE_PGM_RSRC2:TIDIG_COMP_CNT: 0
	.section	.text._ZN2at6native32elementwise_kernel_manual_unrollILi128ELi8EZNS0_22gpu_kernel_impl_nocastINS0_13AUnaryFunctorIhhhZZZNS0_18lshift_kernel_cudaERNS_18TensorIteratorBaseEENKUlvE_clEvENKUlvE_clEvEUlhhE_EEEEvS5_RKT_EUlibE_EEviT1_,"axG",@progbits,_ZN2at6native32elementwise_kernel_manual_unrollILi128ELi8EZNS0_22gpu_kernel_impl_nocastINS0_13AUnaryFunctorIhhhZZZNS0_18lshift_kernel_cudaERNS_18TensorIteratorBaseEENKUlvE_clEvENKUlvE_clEvEUlhhE_EEEEvS5_RKT_EUlibE_EEviT1_,comdat
	.globl	_ZN2at6native32elementwise_kernel_manual_unrollILi128ELi8EZNS0_22gpu_kernel_impl_nocastINS0_13AUnaryFunctorIhhhZZZNS0_18lshift_kernel_cudaERNS_18TensorIteratorBaseEENKUlvE_clEvENKUlvE_clEvEUlhhE_EEEEvS5_RKT_EUlibE_EEviT1_ ; -- Begin function _ZN2at6native32elementwise_kernel_manual_unrollILi128ELi8EZNS0_22gpu_kernel_impl_nocastINS0_13AUnaryFunctorIhhhZZZNS0_18lshift_kernel_cudaERNS_18TensorIteratorBaseEENKUlvE_clEvENKUlvE_clEvEUlhhE_EEEEvS5_RKT_EUlibE_EEviT1_
	.p2align	8
	.type	_ZN2at6native32elementwise_kernel_manual_unrollILi128ELi8EZNS0_22gpu_kernel_impl_nocastINS0_13AUnaryFunctorIhhhZZZNS0_18lshift_kernel_cudaERNS_18TensorIteratorBaseEENKUlvE_clEvENKUlvE_clEvEUlhhE_EEEEvS5_RKT_EUlibE_EEviT1_,@function
_ZN2at6native32elementwise_kernel_manual_unrollILi128ELi8EZNS0_22gpu_kernel_impl_nocastINS0_13AUnaryFunctorIhhhZZZNS0_18lshift_kernel_cudaERNS_18TensorIteratorBaseEENKUlvE_clEvENKUlvE_clEvEUlhhE_EEEEvS5_RKT_EUlibE_EEviT1_: ; @_ZN2at6native32elementwise_kernel_manual_unrollILi128ELi8EZNS0_22gpu_kernel_impl_nocastINS0_13AUnaryFunctorIhhhZZZNS0_18lshift_kernel_cudaERNS_18TensorIteratorBaseEENKUlvE_clEvENKUlvE_clEvEUlhhE_EEEEvS5_RKT_EUlibE_EEviT1_
; %bb.0:
	s_load_dword s58, s[4:5], 0x0
	s_load_dword s33, s[4:5], 0x8
	s_add_u32 s34, s4, 8
	s_addc_u32 s35, s5, 0
	v_lshl_or_b32 v19, s6, 10, v0
	v_or_b32_e32 v25, 0x380, v19
	s_waitcnt lgkmcnt(0)
	s_add_i32 s56, s33, -1
	s_cmp_gt_u32 s56, 1
	v_cmp_le_i32_e32 vcc, s58, v25
	s_cselect_b64 s[6:7], -1, 0
	s_and_saveexec_b64 s[0:1], vcc
	s_xor_b64 s[40:41], exec, s[0:1]
	s_cbranch_execz .LBB5_7
; %bb.1:
	s_cmp_lg_u32 s33, 0
	s_cselect_b64 s[48:49], -1, 0
	s_add_u32 s46, s34, 0xc4
	s_load_dwordx4 s[24:27], s[34:35], 0x4
	s_load_dwordx2 s[42:43], s[34:35], 0x14
	s_load_dword s8, s[4:5], 0x160
	s_load_dwordx4 s[28:31], s[34:35], 0xc4
	s_load_dwordx4 s[0:3], s[34:35], 0x148
	s_addc_u32 s47, s35, 0
	s_min_u32 s59, s56, 15
	s_cmp_gt_u32 s33, 1
	s_cselect_b64 s[44:45], -1, 0
	s_waitcnt lgkmcnt(0)
	s_bfe_u32 s57, s8, 0x80008
	v_cmp_gt_i32_e32 vcc, s58, v19
	s_and_saveexec_b64 s[50:51], vcc
	s_cbranch_execz .LBB5_14
; %bb.2:
	s_andn2_b64 vcc, exec, s[6:7]
	s_cbranch_vccnz .LBB5_21
; %bb.3:
	s_andn2_b64 vcc, exec, s[48:49]
	s_cbranch_vccnz .LBB5_129
; %bb.4:
	s_add_i32 s61, s59, 1
	s_cmp_eq_u32 s56, 2
	s_cbranch_scc1 .LBB5_131
; %bb.5:
	s_and_b32 s60, s61, 28
	v_mov_b32_e32 v2, 0
	s_mov_b32 s62, 0
	s_mov_b64 s[52:53], s[34:35]
	s_mov_b64 s[54:55], s[46:47]
	v_mov_b32_e32 v0, 0
	v_mov_b32_e32 v1, v19
.LBB5_6:                                ; =>This Inner Loop Header: Depth=1
	s_load_dwordx8 s[16:23], s[52:53], 0x4
	s_load_dwordx4 s[36:39], s[52:53], 0x24
	s_load_dwordx8 s[8:15], s[54:55], 0x0
	s_add_u32 s52, s52, 48
	s_addc_u32 s53, s53, 0
	s_waitcnt lgkmcnt(0)
	v_mul_hi_u32 v3, s17, v1
	s_add_i32 s62, s62, 4
	s_add_u32 s54, s54, 32
	s_addc_u32 s55, s55, 0
	v_add_u32_e32 v3, v1, v3
	v_lshrrev_b32_e32 v3, s18, v3
	v_mul_lo_u32 v4, v3, s16
	v_mul_hi_u32 v5, s20, v3
	s_cmp_lg_u32 s60, s62
	v_sub_u32_e32 v1, v1, v4
	v_add_u32_e32 v4, v3, v5
	v_mul_lo_u32 v5, v1, s8
	v_mul_lo_u32 v6, v1, s9
	v_lshrrev_b32_e32 v1, s21, v4
	v_mul_lo_u32 v4, v1, s19
	v_mul_hi_u32 v7, s23, v1
	v_sub_u32_e32 v3, v3, v4
	v_add_u32_e32 v4, v1, v7
	v_lshrrev_b32_e32 v4, s36, v4
	v_mul_hi_u32 v8, s38, v4
	v_mul_lo_u32 v9, v4, s22
	v_mul_lo_u32 v7, v3, s10
	;; [unrolled: 1-line block ×3, first 2 shown]
	v_sub_u32_e32 v9, v1, v9
	v_add_u32_e32 v1, v4, v8
	v_lshrrev_b32_e32 v1, s39, v1
	v_mul_lo_u32 v8, v1, s37
	v_mul_lo_u32 v10, v9, s12
	;; [unrolled: 1-line block ×3, first 2 shown]
	v_add3_u32 v0, v5, v0, v7
	v_sub_u32_e32 v4, v4, v8
	v_mul_lo_u32 v8, v4, s14
	v_mul_lo_u32 v4, v4, s15
	v_add3_u32 v2, v6, v2, v3
	v_add3_u32 v0, v10, v0, v8
	;; [unrolled: 1-line block ×3, first 2 shown]
	s_cbranch_scc1 .LBB5_6
	s_branch .LBB5_132
.LBB5_7:
	s_andn2_saveexec_b64 s[0:1], s[40:41]
	s_cbranch_execz .LBB5_221
.LBB5_8:
	v_cndmask_b32_e64 v0, 0, 1, s[6:7]
	v_cmp_ne_u32_e64 s[0:1], 1, v0
	s_andn2_b64 vcc, exec, s[6:7]
	s_cbranch_vccnz .LBB5_20
; %bb.9:
	s_cmp_lg_u32 s33, 0
	s_mov_b32 s28, 0
	s_cbranch_scc0 .LBB5_23
; %bb.10:
	s_min_u32 s29, s56, 15
	s_add_i32 s29, s29, 1
	s_cmp_eq_u32 s56, 2
	s_cbranch_scc1 .LBB5_24
; %bb.11:
	s_and_b32 s28, s29, 28
	s_add_u32 s2, s34, 0xc4
	s_addc_u32 s3, s35, 0
	v_mov_b32_e32 v2, 0
	s_mov_b32 s30, 0
	s_mov_b64 s[6:7], s[34:35]
	v_mov_b32_e32 v0, 0
	v_mov_b32_e32 v1, v19
.LBB5_12:                               ; =>This Inner Loop Header: Depth=1
	s_load_dwordx8 s[16:23], s[6:7], 0x4
	s_load_dwordx4 s[24:27], s[6:7], 0x24
	s_load_dwordx8 s[8:15], s[2:3], 0x0
	s_add_u32 s6, s6, 48
	s_addc_u32 s7, s7, 0
	s_waitcnt lgkmcnt(0)
	v_mul_hi_u32 v3, s17, v1
	s_add_i32 s30, s30, 4
	s_add_u32 s2, s2, 32
	s_addc_u32 s3, s3, 0
	v_add_u32_e32 v3, v1, v3
	v_lshrrev_b32_e32 v3, s18, v3
	v_mul_lo_u32 v4, v3, s16
	v_mul_hi_u32 v5, s20, v3
	s_cmp_lg_u32 s28, s30
	v_sub_u32_e32 v1, v1, v4
	v_add_u32_e32 v4, v3, v5
	v_mul_lo_u32 v5, v1, s8
	v_mul_lo_u32 v6, v1, s9
	v_lshrrev_b32_e32 v1, s21, v4
	v_mul_lo_u32 v4, v1, s19
	v_mul_hi_u32 v7, s23, v1
	v_sub_u32_e32 v3, v3, v4
	v_add_u32_e32 v4, v1, v7
	v_lshrrev_b32_e32 v4, s24, v4
	v_mul_hi_u32 v8, s26, v4
	v_mul_lo_u32 v9, v4, s22
	v_mul_lo_u32 v7, v3, s10
	;; [unrolled: 1-line block ×3, first 2 shown]
	v_sub_u32_e32 v9, v1, v9
	v_add_u32_e32 v1, v4, v8
	v_lshrrev_b32_e32 v1, s27, v1
	v_mul_lo_u32 v8, v1, s25
	v_mul_lo_u32 v10, v9, s12
	;; [unrolled: 1-line block ×3, first 2 shown]
	v_add3_u32 v0, v5, v0, v7
	v_sub_u32_e32 v4, v4, v8
	v_mul_lo_u32 v8, v4, s14
	v_mul_lo_u32 v4, v4, s15
	v_add3_u32 v2, v6, v2, v3
	v_add3_u32 v0, v10, v0, v8
	;; [unrolled: 1-line block ×3, first 2 shown]
	s_cbranch_scc1 .LBB5_12
; %bb.13:
	s_and_b32 s8, s29, 3
	s_cmp_eq_u32 s8, 0
	s_cbranch_scc0 .LBB5_25
	s_branch .LBB5_27
.LBB5_14:
	s_or_b64 exec, exec, s[50:51]
	v_cmp_gt_i32_e32 vcc, s58, v19
	s_and_saveexec_b64 s[50:51], vcc
	s_cbranch_execz .LBB5_139
.LBB5_15:
	s_andn2_b64 vcc, exec, s[6:7]
	s_cbranch_vccnz .LBB5_22
; %bb.16:
	s_andn2_b64 vcc, exec, s[48:49]
	s_cbranch_vccnz .LBB5_130
; %bb.17:
	s_add_i32 s61, s59, 1
	s_cmp_eq_u32 s56, 2
	s_cbranch_scc1 .LBB5_147
; %bb.18:
	s_and_b32 s60, s61, 28
	v_mov_b32_e32 v2, 0
	s_mov_b32 s62, 0
	s_mov_b64 s[52:53], s[34:35]
	s_mov_b64 s[54:55], s[46:47]
	v_mov_b32_e32 v0, 0
	v_mov_b32_e32 v1, v19
.LBB5_19:                               ; =>This Inner Loop Header: Depth=1
	s_load_dwordx8 s[16:23], s[52:53], 0x4
	s_load_dwordx4 s[36:39], s[52:53], 0x24
	s_load_dwordx8 s[8:15], s[54:55], 0x0
	s_add_u32 s52, s52, 48
	s_addc_u32 s53, s53, 0
	s_waitcnt lgkmcnt(0)
	v_mul_hi_u32 v3, s17, v1
	s_add_i32 s62, s62, 4
	s_add_u32 s54, s54, 32
	s_addc_u32 s55, s55, 0
	v_add_u32_e32 v3, v1, v3
	v_lshrrev_b32_e32 v3, s18, v3
	v_mul_lo_u32 v4, v3, s16
	v_mul_hi_u32 v5, s20, v3
	s_cmp_eq_u32 s60, s62
	v_sub_u32_e32 v1, v1, v4
	v_add_u32_e32 v4, v3, v5
	v_mul_lo_u32 v5, v1, s8
	v_mul_lo_u32 v6, v1, s9
	v_lshrrev_b32_e32 v1, s21, v4
	v_mul_lo_u32 v4, v1, s19
	v_mul_hi_u32 v7, s23, v1
	v_sub_u32_e32 v3, v3, v4
	v_add_u32_e32 v4, v1, v7
	v_lshrrev_b32_e32 v4, s36, v4
	v_mul_hi_u32 v8, s38, v4
	v_mul_lo_u32 v9, v4, s22
	v_mul_lo_u32 v7, v3, s10
	v_mul_lo_u32 v3, v3, s11
	v_sub_u32_e32 v9, v1, v9
	v_add_u32_e32 v1, v4, v8
	v_lshrrev_b32_e32 v1, s39, v1
	v_mul_lo_u32 v8, v1, s37
	v_mul_lo_u32 v10, v9, s12
	;; [unrolled: 1-line block ×3, first 2 shown]
	v_add3_u32 v0, v5, v0, v7
	v_sub_u32_e32 v4, v4, v8
	v_mul_lo_u32 v8, v4, s14
	v_mul_lo_u32 v4, v4, s15
	v_add3_u32 v2, v6, v2, v3
	v_add3_u32 v0, v10, v0, v8
	;; [unrolled: 1-line block ×3, first 2 shown]
	s_cbranch_scc0 .LBB5_19
	s_branch .LBB5_148
.LBB5_20:
                                        ; implicit-def: $vgpr0
                                        ; implicit-def: $vgpr2
	s_branch .LBB5_28
.LBB5_21:
                                        ; implicit-def: $vgpr0
                                        ; implicit-def: $vgpr2
	s_branch .LBB5_136
.LBB5_22:
                                        ; implicit-def: $vgpr0
                                        ; implicit-def: $vgpr2
	s_branch .LBB5_152
.LBB5_23:
	v_mov_b32_e32 v0, 0
	v_mov_b32_e32 v2, 0
	s_branch .LBB5_27
.LBB5_24:
	v_mov_b32_e32 v0, 0
	v_mov_b32_e32 v2, 0
	v_mov_b32_e32 v1, v19
	s_and_b32 s8, s29, 3
	s_cmp_eq_u32 s8, 0
	s_cbranch_scc1 .LBB5_27
.LBB5_25:
	s_lshl_b32 s2, s28, 3
	s_add_u32 s2, s34, s2
	s_addc_u32 s3, s35, 0
	s_add_u32 s2, s2, 0xc4
	s_addc_u32 s3, s3, 0
	s_mul_i32 s6, s28, 12
	s_add_u32 s6, s34, s6
	s_addc_u32 s7, s35, 0
.LBB5_26:                               ; =>This Inner Loop Header: Depth=1
	s_load_dwordx2 s[10:11], s[6:7], 0x4
	s_load_dword s9, s[6:7], 0xc
	s_load_dwordx2 s[12:13], s[2:3], 0x0
	s_add_u32 s6, s6, 12
	s_addc_u32 s7, s7, 0
	s_waitcnt lgkmcnt(0)
	v_mul_hi_u32 v4, s11, v1
	s_add_u32 s2, s2, 8
	s_addc_u32 s3, s3, 0
	s_add_i32 s8, s8, -1
	v_add_u32_e32 v4, v1, v4
	v_lshrrev_b32_e32 v4, s9, v4
	v_mul_lo_u32 v5, v4, s10
	s_cmp_lg_u32 s8, 0
	v_sub_u32_e32 v5, v1, v5
	v_mad_u64_u32 v[0:1], s[10:11], v5, s12, v[0:1]
	v_mad_u64_u32 v[2:3], s[10:11], v5, s13, v[2:3]
	v_mov_b32_e32 v1, v4
	s_cbranch_scc1 .LBB5_26
.LBB5_27:
	s_cbranch_execnz .LBB5_30
.LBB5_28:
	s_load_dwordx4 s[8:11], s[34:35], 0x4
	s_load_dwordx2 s[2:3], s[34:35], 0xc4
	s_cmp_lt_u32 s33, 2
	s_waitcnt lgkmcnt(0)
	v_mul_hi_u32 v0, s9, v19
	v_add_u32_e32 v0, v19, v0
	v_lshrrev_b32_e32 v1, s10, v0
	v_mul_lo_u32 v0, v1, s8
	v_sub_u32_e32 v2, v19, v0
	v_mul_lo_u32 v0, v2, s2
	v_mul_lo_u32 v2, v2, s3
	s_cbranch_scc1 .LBB5_30
; %bb.29:
	s_load_dwordx4 s[8:11], s[34:35], 0x10
	s_load_dwordx2 s[2:3], s[34:35], 0xcc
	s_waitcnt lgkmcnt(0)
	v_mul_hi_u32 v3, s9, v1
	v_add_u32_e32 v3, v1, v3
	v_lshrrev_b32_e32 v3, s10, v3
	v_mul_lo_u32 v3, v3, s8
	v_sub_u32_e32 v3, v1, v3
	v_mad_u64_u32 v[0:1], s[6:7], v3, s2, v[0:1]
	v_mad_u64_u32 v[2:3], s[2:3], v3, s3, v[2:3]
.LBB5_30:
	s_and_b64 vcc, exec, s[0:1]
	v_add_u32_e32 v1, 0x80, v19
	s_cbranch_vccnz .LBB5_36
; %bb.31:
	s_cmp_lg_u32 s33, 0
	s_mov_b32 s28, 0
	s_cbranch_scc0 .LBB5_37
; %bb.32:
	s_min_u32 s29, s56, 15
	s_add_i32 s29, s29, 1
	s_cmp_eq_u32 s56, 2
	s_cbranch_scc1 .LBB5_38
; %bb.33:
	s_and_b32 s28, s29, 28
	s_add_u32 s2, s34, 0xc4
	s_addc_u32 s3, s35, 0
	v_mov_b32_e32 v5, 0
	s_mov_b32 s30, 0
	s_mov_b64 s[6:7], s[34:35]
	v_mov_b32_e32 v3, 0
	v_mov_b32_e32 v4, v1
.LBB5_34:                               ; =>This Inner Loop Header: Depth=1
	s_load_dwordx8 s[16:23], s[6:7], 0x4
	s_load_dwordx4 s[24:27], s[6:7], 0x24
	s_load_dwordx8 s[8:15], s[2:3], 0x0
	s_add_u32 s6, s6, 48
	s_addc_u32 s7, s7, 0
	s_waitcnt lgkmcnt(0)
	v_mul_hi_u32 v6, s17, v4
	s_add_i32 s30, s30, 4
	s_add_u32 s2, s2, 32
	s_addc_u32 s3, s3, 0
	v_add_u32_e32 v6, v4, v6
	v_lshrrev_b32_e32 v6, s18, v6
	v_mul_lo_u32 v7, v6, s16
	v_mul_hi_u32 v8, s20, v6
	s_cmp_lg_u32 s28, s30
	v_sub_u32_e32 v4, v4, v7
	v_add_u32_e32 v7, v6, v8
	v_mul_lo_u32 v8, v4, s8
	v_mul_lo_u32 v9, v4, s9
	v_lshrrev_b32_e32 v4, s21, v7
	v_mul_lo_u32 v7, v4, s19
	v_mul_hi_u32 v10, s23, v4
	v_sub_u32_e32 v6, v6, v7
	v_add_u32_e32 v7, v4, v10
	v_lshrrev_b32_e32 v7, s24, v7
	v_mul_hi_u32 v11, s26, v7
	v_mul_lo_u32 v12, v7, s22
	v_mul_lo_u32 v10, v6, s10
	;; [unrolled: 1-line block ×3, first 2 shown]
	v_sub_u32_e32 v12, v4, v12
	v_add_u32_e32 v4, v7, v11
	v_lshrrev_b32_e32 v4, s27, v4
	v_mul_lo_u32 v11, v4, s25
	v_mul_lo_u32 v13, v12, s12
	;; [unrolled: 1-line block ×3, first 2 shown]
	v_add3_u32 v3, v8, v3, v10
	v_sub_u32_e32 v7, v7, v11
	v_mul_lo_u32 v11, v7, s14
	v_mul_lo_u32 v7, v7, s15
	v_add3_u32 v5, v9, v5, v6
	v_add3_u32 v3, v13, v3, v11
	;; [unrolled: 1-line block ×3, first 2 shown]
	s_cbranch_scc1 .LBB5_34
; %bb.35:
	s_and_b32 s8, s29, 3
	s_cmp_eq_u32 s8, 0
	s_cbranch_scc0 .LBB5_39
	s_branch .LBB5_41
.LBB5_36:
                                        ; implicit-def: $vgpr3
                                        ; implicit-def: $vgpr5
	s_branch .LBB5_42
.LBB5_37:
	v_mov_b32_e32 v3, 0
	v_mov_b32_e32 v5, 0
	s_branch .LBB5_41
.LBB5_38:
	v_mov_b32_e32 v3, 0
	v_mov_b32_e32 v5, 0
	;; [unrolled: 1-line block ×3, first 2 shown]
	s_and_b32 s8, s29, 3
	s_cmp_eq_u32 s8, 0
	s_cbranch_scc1 .LBB5_41
.LBB5_39:
	s_lshl_b32 s2, s28, 3
	s_add_u32 s2, s34, s2
	s_addc_u32 s3, s35, 0
	s_add_u32 s2, s2, 0xc4
	s_addc_u32 s3, s3, 0
	s_mul_i32 s6, s28, 12
	s_add_u32 s6, s34, s6
	s_addc_u32 s7, s35, 0
.LBB5_40:                               ; =>This Inner Loop Header: Depth=1
	s_load_dwordx2 s[10:11], s[6:7], 0x4
	s_load_dword s9, s[6:7], 0xc
	s_load_dwordx2 s[12:13], s[2:3], 0x0
	s_add_u32 s6, s6, 12
	s_addc_u32 s7, s7, 0
	s_waitcnt lgkmcnt(0)
	v_mul_hi_u32 v7, s11, v4
	s_add_u32 s2, s2, 8
	s_addc_u32 s3, s3, 0
	s_add_i32 s8, s8, -1
	v_add_u32_e32 v7, v4, v7
	v_lshrrev_b32_e32 v7, s9, v7
	v_mul_lo_u32 v8, v7, s10
	s_cmp_lg_u32 s8, 0
	v_sub_u32_e32 v8, v4, v8
	v_mad_u64_u32 v[3:4], s[10:11], v8, s12, v[3:4]
	v_mad_u64_u32 v[5:6], s[10:11], v8, s13, v[5:6]
	v_mov_b32_e32 v4, v7
	s_cbranch_scc1 .LBB5_40
.LBB5_41:
	s_cbranch_execnz .LBB5_44
.LBB5_42:
	s_load_dwordx4 s[8:11], s[34:35], 0x4
	s_load_dwordx2 s[2:3], s[34:35], 0xc4
	s_cmp_lt_u32 s33, 2
	s_waitcnt lgkmcnt(0)
	v_mul_hi_u32 v3, s9, v1
	v_add_u32_e32 v3, v1, v3
	v_lshrrev_b32_e32 v4, s10, v3
	v_mul_lo_u32 v3, v4, s8
	v_sub_u32_e32 v1, v1, v3
	v_mul_lo_u32 v3, v1, s2
	v_mul_lo_u32 v5, v1, s3
	s_cbranch_scc1 .LBB5_44
; %bb.43:
	s_load_dwordx4 s[8:11], s[34:35], 0x10
	s_load_dwordx2 s[2:3], s[34:35], 0xcc
	s_waitcnt lgkmcnt(0)
	v_mul_hi_u32 v1, s9, v4
	v_add_u32_e32 v1, v4, v1
	v_lshrrev_b32_e32 v1, s10, v1
	v_mul_lo_u32 v1, v1, s8
	v_sub_u32_e32 v1, v4, v1
	v_mad_u64_u32 v[3:4], s[6:7], v1, s2, v[3:4]
	v_mad_u64_u32 v[5:6], s[2:3], v1, s3, v[5:6]
.LBB5_44:
	s_and_b64 vcc, exec, s[0:1]
	v_add_u32_e32 v1, 0x100, v19
	s_cbranch_vccnz .LBB5_50
; %bb.45:
	s_cmp_lg_u32 s33, 0
	s_mov_b32 s28, 0
	s_cbranch_scc0 .LBB5_51
; %bb.46:
	s_min_u32 s29, s56, 15
	s_add_i32 s29, s29, 1
	s_cmp_eq_u32 s56, 2
	s_cbranch_scc1 .LBB5_52
; %bb.47:
	s_and_b32 s28, s29, 28
	s_add_u32 s2, s34, 0xc4
	s_addc_u32 s3, s35, 0
	v_mov_b32_e32 v8, 0
	s_mov_b32 s30, 0
	s_mov_b64 s[6:7], s[34:35]
	v_mov_b32_e32 v6, 0
	v_mov_b32_e32 v4, v1
.LBB5_48:                               ; =>This Inner Loop Header: Depth=1
	s_load_dwordx8 s[16:23], s[6:7], 0x4
	s_load_dwordx4 s[24:27], s[6:7], 0x24
	s_load_dwordx8 s[8:15], s[2:3], 0x0
	s_add_u32 s6, s6, 48
	s_addc_u32 s7, s7, 0
	s_waitcnt lgkmcnt(0)
	v_mul_hi_u32 v7, s17, v4
	s_add_i32 s30, s30, 4
	s_add_u32 s2, s2, 32
	s_addc_u32 s3, s3, 0
	v_add_u32_e32 v7, v4, v7
	v_lshrrev_b32_e32 v7, s18, v7
	v_mul_lo_u32 v9, v7, s16
	v_mul_hi_u32 v10, s20, v7
	s_cmp_lg_u32 s28, s30
	v_sub_u32_e32 v4, v4, v9
	v_add_u32_e32 v9, v7, v10
	v_mul_lo_u32 v10, v4, s8
	v_mul_lo_u32 v11, v4, s9
	v_lshrrev_b32_e32 v4, s21, v9
	v_mul_lo_u32 v9, v4, s19
	v_mul_hi_u32 v12, s23, v4
	v_sub_u32_e32 v7, v7, v9
	v_add_u32_e32 v9, v4, v12
	v_lshrrev_b32_e32 v9, s24, v9
	v_mul_hi_u32 v13, s26, v9
	v_mul_lo_u32 v14, v9, s22
	v_mul_lo_u32 v12, v7, s10
	;; [unrolled: 1-line block ×3, first 2 shown]
	v_sub_u32_e32 v14, v4, v14
	v_add_u32_e32 v4, v9, v13
	v_lshrrev_b32_e32 v4, s27, v4
	v_mul_lo_u32 v13, v4, s25
	v_mul_lo_u32 v15, v14, s12
	v_mul_lo_u32 v14, v14, s13
	v_add3_u32 v6, v10, v6, v12
	v_sub_u32_e32 v9, v9, v13
	v_mul_lo_u32 v13, v9, s14
	v_mul_lo_u32 v9, v9, s15
	v_add3_u32 v7, v11, v8, v7
	v_add3_u32 v6, v15, v6, v13
	;; [unrolled: 1-line block ×3, first 2 shown]
	s_cbranch_scc1 .LBB5_48
; %bb.49:
	s_and_b32 s8, s29, 3
	s_cmp_eq_u32 s8, 0
	s_cbranch_scc0 .LBB5_53
	s_branch .LBB5_55
.LBB5_50:
                                        ; implicit-def: $vgpr6
                                        ; implicit-def: $vgpr8
	s_branch .LBB5_56
.LBB5_51:
	v_mov_b32_e32 v6, 0
	v_mov_b32_e32 v8, 0
	s_branch .LBB5_55
.LBB5_52:
	v_mov_b32_e32 v6, 0
	v_mov_b32_e32 v8, 0
	;; [unrolled: 1-line block ×3, first 2 shown]
	s_and_b32 s8, s29, 3
	s_cmp_eq_u32 s8, 0
	s_cbranch_scc1 .LBB5_55
.LBB5_53:
	s_lshl_b32 s2, s28, 3
	s_add_u32 s2, s34, s2
	s_addc_u32 s3, s35, 0
	s_add_u32 s2, s2, 0xc4
	s_addc_u32 s3, s3, 0
	s_mul_i32 s6, s28, 12
	s_add_u32 s6, s34, s6
	s_addc_u32 s7, s35, 0
.LBB5_54:                               ; =>This Inner Loop Header: Depth=1
	s_load_dwordx2 s[10:11], s[6:7], 0x4
	s_load_dword s9, s[6:7], 0xc
	s_load_dwordx2 s[12:13], s[2:3], 0x0
	s_add_u32 s6, s6, 12
	s_addc_u32 s7, s7, 0
	s_waitcnt lgkmcnt(0)
	v_mul_hi_u32 v7, s11, v4
	s_add_u32 s2, s2, 8
	s_addc_u32 s3, s3, 0
	s_add_i32 s8, s8, -1
	v_add_u32_e32 v7, v4, v7
	v_lshrrev_b32_e32 v10, s9, v7
	v_mul_lo_u32 v7, v10, s10
	s_cmp_lg_u32 s8, 0
	v_sub_u32_e32 v4, v4, v7
	v_mad_u64_u32 v[6:7], s[10:11], v4, s12, v[6:7]
	v_mad_u64_u32 v[8:9], s[10:11], v4, s13, v[8:9]
	v_mov_b32_e32 v4, v10
	s_cbranch_scc1 .LBB5_54
.LBB5_55:
	s_cbranch_execnz .LBB5_58
.LBB5_56:
	s_load_dwordx4 s[8:11], s[34:35], 0x4
	s_load_dwordx2 s[2:3], s[34:35], 0xc4
	s_cmp_lt_u32 s33, 2
	s_waitcnt lgkmcnt(0)
	v_mul_hi_u32 v4, s9, v1
	v_add_u32_e32 v4, v1, v4
	v_lshrrev_b32_e32 v4, s10, v4
	v_mul_lo_u32 v6, v4, s8
	v_sub_u32_e32 v1, v1, v6
	v_mul_lo_u32 v6, v1, s2
	v_mul_lo_u32 v8, v1, s3
	s_cbranch_scc1 .LBB5_58
; %bb.57:
	s_load_dwordx4 s[8:11], s[34:35], 0x10
	s_load_dwordx2 s[2:3], s[34:35], 0xcc
	s_waitcnt lgkmcnt(0)
	v_mul_hi_u32 v1, s9, v4
	v_add_u32_e32 v1, v4, v1
	v_lshrrev_b32_e32 v1, s10, v1
	v_mul_lo_u32 v1, v1, s8
	v_sub_u32_e32 v1, v4, v1
	v_mad_u64_u32 v[6:7], s[6:7], v1, s2, v[6:7]
	v_mad_u64_u32 v[8:9], s[2:3], v1, s3, v[8:9]
.LBB5_58:
	s_and_b64 vcc, exec, s[0:1]
	v_add_u32_e32 v1, 0x180, v19
	s_cbranch_vccnz .LBB5_64
; %bb.59:
	s_cmp_lg_u32 s33, 0
	s_mov_b32 s28, 0
	s_cbranch_scc0 .LBB5_65
; %bb.60:
	s_min_u32 s29, s56, 15
	s_add_i32 s29, s29, 1
	s_cmp_eq_u32 s56, 2
	s_cbranch_scc1 .LBB5_66
; %bb.61:
	s_and_b32 s28, s29, 28
	s_add_u32 s2, s34, 0xc4
	s_addc_u32 s3, s35, 0
	v_mov_b32_e32 v11, 0
	s_mov_b32 s30, 0
	s_mov_b64 s[6:7], s[34:35]
	v_mov_b32_e32 v9, 0
	v_mov_b32_e32 v4, v1
.LBB5_62:                               ; =>This Inner Loop Header: Depth=1
	s_load_dwordx8 s[16:23], s[6:7], 0x4
	s_load_dwordx4 s[24:27], s[6:7], 0x24
	s_load_dwordx8 s[8:15], s[2:3], 0x0
	s_add_u32 s6, s6, 48
	s_addc_u32 s7, s7, 0
	s_waitcnt lgkmcnt(0)
	v_mul_hi_u32 v7, s17, v4
	s_add_i32 s30, s30, 4
	s_add_u32 s2, s2, 32
	s_addc_u32 s3, s3, 0
	v_add_u32_e32 v7, v4, v7
	v_lshrrev_b32_e32 v7, s18, v7
	v_mul_lo_u32 v10, v7, s16
	v_mul_hi_u32 v12, s20, v7
	s_cmp_lg_u32 s28, s30
	v_sub_u32_e32 v4, v4, v10
	v_add_u32_e32 v10, v7, v12
	v_mul_lo_u32 v12, v4, s8
	v_mul_lo_u32 v13, v4, s9
	v_lshrrev_b32_e32 v4, s21, v10
	v_mul_lo_u32 v10, v4, s19
	v_mul_hi_u32 v14, s23, v4
	v_sub_u32_e32 v7, v7, v10
	v_add_u32_e32 v10, v4, v14
	v_lshrrev_b32_e32 v10, s24, v10
	v_mul_hi_u32 v15, s26, v10
	v_mul_lo_u32 v16, v10, s22
	v_mul_lo_u32 v14, v7, s10
	;; [unrolled: 1-line block ×3, first 2 shown]
	v_sub_u32_e32 v16, v4, v16
	v_add_u32_e32 v4, v10, v15
	v_lshrrev_b32_e32 v4, s27, v4
	v_mul_lo_u32 v15, v4, s25
	v_mul_lo_u32 v17, v16, s12
	;; [unrolled: 1-line block ×3, first 2 shown]
	v_add3_u32 v9, v12, v9, v14
	v_sub_u32_e32 v10, v10, v15
	v_mul_lo_u32 v15, v10, s14
	v_mul_lo_u32 v10, v10, s15
	v_add3_u32 v7, v13, v11, v7
	v_add3_u32 v9, v17, v9, v15
	v_add3_u32 v11, v16, v7, v10
	s_cbranch_scc1 .LBB5_62
; %bb.63:
	s_and_b32 s8, s29, 3
	s_cmp_eq_u32 s8, 0
	s_cbranch_scc0 .LBB5_67
	s_branch .LBB5_69
.LBB5_64:
                                        ; implicit-def: $vgpr9
                                        ; implicit-def: $vgpr11
	s_branch .LBB5_70
.LBB5_65:
	v_mov_b32_e32 v9, 0
	v_mov_b32_e32 v11, 0
	s_branch .LBB5_69
.LBB5_66:
	v_mov_b32_e32 v9, 0
	v_mov_b32_e32 v11, 0
	;; [unrolled: 1-line block ×3, first 2 shown]
	s_and_b32 s8, s29, 3
	s_cmp_eq_u32 s8, 0
	s_cbranch_scc1 .LBB5_69
.LBB5_67:
	s_lshl_b32 s2, s28, 3
	s_add_u32 s2, s34, s2
	s_addc_u32 s3, s35, 0
	s_add_u32 s2, s2, 0xc4
	s_addc_u32 s3, s3, 0
	s_mul_i32 s6, s28, 12
	s_add_u32 s6, s34, s6
	s_addc_u32 s7, s35, 0
.LBB5_68:                               ; =>This Inner Loop Header: Depth=1
	s_load_dwordx2 s[10:11], s[6:7], 0x4
	s_load_dword s9, s[6:7], 0xc
	s_load_dwordx2 s[12:13], s[2:3], 0x0
	s_add_u32 s6, s6, 12
	s_addc_u32 s7, s7, 0
	s_waitcnt lgkmcnt(0)
	v_mul_hi_u32 v7, s11, v4
	s_add_u32 s2, s2, 8
	s_addc_u32 s3, s3, 0
	s_add_i32 s8, s8, -1
	v_add_u32_e32 v7, v4, v7
	v_lshrrev_b32_e32 v7, s9, v7
	v_mul_lo_u32 v10, v7, s10
	s_cmp_lg_u32 s8, 0
	v_sub_u32_e32 v4, v4, v10
	v_mad_u64_u32 v[9:10], s[10:11], v4, s12, v[9:10]
	v_mad_u64_u32 v[11:12], s[10:11], v4, s13, v[11:12]
	v_mov_b32_e32 v4, v7
	s_cbranch_scc1 .LBB5_68
.LBB5_69:
	s_cbranch_execnz .LBB5_72
.LBB5_70:
	s_load_dwordx4 s[8:11], s[34:35], 0x4
	s_load_dwordx2 s[2:3], s[34:35], 0xc4
	s_cmp_lt_u32 s33, 2
	s_waitcnt lgkmcnt(0)
	v_mul_hi_u32 v4, s9, v1
	v_add_u32_e32 v4, v1, v4
	v_lshrrev_b32_e32 v4, s10, v4
	v_mul_lo_u32 v7, v4, s8
	v_sub_u32_e32 v1, v1, v7
	v_mul_lo_u32 v9, v1, s2
	v_mul_lo_u32 v11, v1, s3
	s_cbranch_scc1 .LBB5_72
; %bb.71:
	s_load_dwordx4 s[8:11], s[34:35], 0x10
	s_load_dwordx2 s[2:3], s[34:35], 0xcc
	s_waitcnt lgkmcnt(0)
	v_mul_hi_u32 v1, s9, v4
	v_add_u32_e32 v1, v4, v1
	v_lshrrev_b32_e32 v1, s10, v1
	v_mul_lo_u32 v1, v1, s8
	v_sub_u32_e32 v1, v4, v1
	v_mad_u64_u32 v[9:10], s[6:7], v1, s2, v[9:10]
	v_mad_u64_u32 v[11:12], s[2:3], v1, s3, v[11:12]
.LBB5_72:
	s_and_b64 vcc, exec, s[0:1]
	v_add_u32_e32 v1, 0x200, v19
	s_cbranch_vccnz .LBB5_78
; %bb.73:
	s_cmp_lg_u32 s33, 0
	s_mov_b32 s28, 0
	s_cbranch_scc0 .LBB5_79
; %bb.74:
	s_min_u32 s29, s56, 15
	s_add_i32 s29, s29, 1
	s_cmp_eq_u32 s56, 2
	s_cbranch_scc1 .LBB5_80
; %bb.75:
	s_and_b32 s28, s29, 28
	s_add_u32 s2, s34, 0xc4
	s_addc_u32 s3, s35, 0
	v_mov_b32_e32 v14, 0
	s_mov_b32 s30, 0
	s_mov_b64 s[6:7], s[34:35]
	v_mov_b32_e32 v12, 0
	v_mov_b32_e32 v4, v1
.LBB5_76:                               ; =>This Inner Loop Header: Depth=1
	s_load_dwordx8 s[16:23], s[6:7], 0x4
	s_load_dwordx4 s[24:27], s[6:7], 0x24
	s_load_dwordx8 s[8:15], s[2:3], 0x0
	s_add_u32 s6, s6, 48
	s_addc_u32 s7, s7, 0
	s_waitcnt lgkmcnt(0)
	v_mul_hi_u32 v7, s17, v4
	s_add_i32 s30, s30, 4
	s_add_u32 s2, s2, 32
	s_addc_u32 s3, s3, 0
	v_add_u32_e32 v7, v4, v7
	v_lshrrev_b32_e32 v7, s18, v7
	v_mul_lo_u32 v10, v7, s16
	v_mul_hi_u32 v13, s20, v7
	s_cmp_lg_u32 s28, s30
	v_sub_u32_e32 v4, v4, v10
	v_add_u32_e32 v10, v7, v13
	v_mul_lo_u32 v13, v4, s8
	v_mul_lo_u32 v15, v4, s9
	v_lshrrev_b32_e32 v4, s21, v10
	v_mul_lo_u32 v10, v4, s19
	v_mul_hi_u32 v16, s23, v4
	v_sub_u32_e32 v7, v7, v10
	v_add_u32_e32 v10, v4, v16
	v_lshrrev_b32_e32 v10, s24, v10
	v_mul_hi_u32 v17, s26, v10
	v_mul_lo_u32 v18, v10, s22
	v_mul_lo_u32 v16, v7, s10
	;; [unrolled: 1-line block ×3, first 2 shown]
	v_sub_u32_e32 v18, v4, v18
	v_add_u32_e32 v4, v10, v17
	v_lshrrev_b32_e32 v4, s27, v4
	v_mul_lo_u32 v17, v4, s25
	v_mul_lo_u32 v20, v18, s12
	;; [unrolled: 1-line block ×3, first 2 shown]
	v_add3_u32 v12, v13, v12, v16
	v_sub_u32_e32 v10, v10, v17
	v_mul_lo_u32 v17, v10, s14
	v_mul_lo_u32 v10, v10, s15
	v_add3_u32 v7, v15, v14, v7
	v_add3_u32 v12, v20, v12, v17
	;; [unrolled: 1-line block ×3, first 2 shown]
	s_cbranch_scc1 .LBB5_76
; %bb.77:
	s_and_b32 s8, s29, 3
	s_cmp_eq_u32 s8, 0
	s_cbranch_scc0 .LBB5_81
	s_branch .LBB5_83
.LBB5_78:
                                        ; implicit-def: $vgpr12
                                        ; implicit-def: $vgpr14
	s_branch .LBB5_84
.LBB5_79:
	v_mov_b32_e32 v12, 0
	v_mov_b32_e32 v14, 0
	s_branch .LBB5_83
.LBB5_80:
	v_mov_b32_e32 v12, 0
	v_mov_b32_e32 v14, 0
	;; [unrolled: 1-line block ×3, first 2 shown]
	s_and_b32 s8, s29, 3
	s_cmp_eq_u32 s8, 0
	s_cbranch_scc1 .LBB5_83
.LBB5_81:
	s_lshl_b32 s2, s28, 3
	s_add_u32 s2, s34, s2
	s_addc_u32 s3, s35, 0
	s_add_u32 s2, s2, 0xc4
	s_addc_u32 s3, s3, 0
	s_mul_i32 s6, s28, 12
	s_add_u32 s6, s34, s6
	s_addc_u32 s7, s35, 0
.LBB5_82:                               ; =>This Inner Loop Header: Depth=1
	s_load_dwordx2 s[10:11], s[6:7], 0x4
	s_load_dword s9, s[6:7], 0xc
	s_load_dwordx2 s[12:13], s[2:3], 0x0
	s_add_u32 s6, s6, 12
	s_addc_u32 s7, s7, 0
	s_waitcnt lgkmcnt(0)
	v_mul_hi_u32 v7, s11, v4
	s_add_u32 s2, s2, 8
	s_addc_u32 s3, s3, 0
	s_add_i32 s8, s8, -1
	v_add_u32_e32 v7, v4, v7
	v_lshrrev_b32_e32 v7, s9, v7
	v_mul_lo_u32 v10, v7, s10
	s_cmp_lg_u32 s8, 0
	v_sub_u32_e32 v4, v4, v10
	v_mad_u64_u32 v[12:13], s[10:11], v4, s12, v[12:13]
	v_mad_u64_u32 v[14:15], s[10:11], v4, s13, v[14:15]
	v_mov_b32_e32 v4, v7
	s_cbranch_scc1 .LBB5_82
.LBB5_83:
	s_cbranch_execnz .LBB5_86
.LBB5_84:
	s_load_dwordx4 s[8:11], s[34:35], 0x4
	s_load_dwordx2 s[2:3], s[34:35], 0xc4
	s_cmp_lt_u32 s33, 2
	s_waitcnt lgkmcnt(0)
	v_mul_hi_u32 v4, s9, v1
	v_add_u32_e32 v4, v1, v4
	v_lshrrev_b32_e32 v4, s10, v4
	v_mul_lo_u32 v7, v4, s8
	v_sub_u32_e32 v1, v1, v7
	v_mul_lo_u32 v12, v1, s2
	v_mul_lo_u32 v14, v1, s3
	s_cbranch_scc1 .LBB5_86
; %bb.85:
	s_load_dwordx4 s[8:11], s[34:35], 0x10
	s_load_dwordx2 s[2:3], s[34:35], 0xcc
	s_waitcnt lgkmcnt(0)
	v_mul_hi_u32 v1, s9, v4
	v_add_u32_e32 v1, v4, v1
	v_lshrrev_b32_e32 v1, s10, v1
	v_mul_lo_u32 v1, v1, s8
	v_sub_u32_e32 v1, v4, v1
	v_mad_u64_u32 v[12:13], s[6:7], v1, s2, v[12:13]
	v_mad_u64_u32 v[14:15], s[2:3], v1, s3, v[14:15]
.LBB5_86:
	s_and_b64 vcc, exec, s[0:1]
	v_add_u32_e32 v1, 0x280, v19
	s_cbranch_vccnz .LBB5_92
; %bb.87:
	s_cmp_lg_u32 s33, 0
	s_mov_b32 s28, 0
	s_cbranch_scc0 .LBB5_93
; %bb.88:
	s_min_u32 s29, s56, 15
	s_add_i32 s29, s29, 1
	s_cmp_eq_u32 s56, 2
	s_cbranch_scc1 .LBB5_94
; %bb.89:
	s_and_b32 s28, s29, 28
	s_add_u32 s2, s34, 0xc4
	s_addc_u32 s3, s35, 0
	v_mov_b32_e32 v17, 0
	s_mov_b32 s30, 0
	s_mov_b64 s[6:7], s[34:35]
	v_mov_b32_e32 v15, 0
	v_mov_b32_e32 v4, v1
.LBB5_90:                               ; =>This Inner Loop Header: Depth=1
	s_load_dwordx8 s[16:23], s[6:7], 0x4
	s_load_dwordx4 s[24:27], s[6:7], 0x24
	s_load_dwordx8 s[8:15], s[2:3], 0x0
	s_add_u32 s6, s6, 48
	s_addc_u32 s7, s7, 0
	s_waitcnt lgkmcnt(0)
	v_mul_hi_u32 v7, s17, v4
	s_add_i32 s30, s30, 4
	s_add_u32 s2, s2, 32
	s_addc_u32 s3, s3, 0
	v_add_u32_e32 v7, v4, v7
	v_lshrrev_b32_e32 v7, s18, v7
	v_mul_lo_u32 v10, v7, s16
	v_mul_hi_u32 v13, s20, v7
	s_cmp_lg_u32 s28, s30
	v_sub_u32_e32 v4, v4, v10
	v_add_u32_e32 v10, v7, v13
	v_mul_lo_u32 v13, v4, s8
	v_mul_lo_u32 v16, v4, s9
	v_lshrrev_b32_e32 v4, s21, v10
	v_mul_lo_u32 v10, v4, s19
	v_mul_hi_u32 v18, s23, v4
	v_sub_u32_e32 v7, v7, v10
	v_add_u32_e32 v10, v4, v18
	v_lshrrev_b32_e32 v10, s24, v10
	v_mul_hi_u32 v20, s26, v10
	v_mul_lo_u32 v21, v10, s22
	v_mul_lo_u32 v18, v7, s10
	;; [unrolled: 1-line block ×3, first 2 shown]
	v_sub_u32_e32 v21, v4, v21
	v_add_u32_e32 v4, v10, v20
	v_lshrrev_b32_e32 v4, s27, v4
	v_mul_lo_u32 v20, v4, s25
	v_mul_lo_u32 v22, v21, s12
	v_mul_lo_u32 v21, v21, s13
	v_add3_u32 v13, v13, v15, v18
	v_sub_u32_e32 v10, v10, v20
	v_mul_lo_u32 v20, v10, s14
	v_mul_lo_u32 v10, v10, s15
	v_add3_u32 v7, v16, v17, v7
	v_add3_u32 v15, v22, v13, v20
	;; [unrolled: 1-line block ×3, first 2 shown]
	s_cbranch_scc1 .LBB5_90
; %bb.91:
	s_and_b32 s8, s29, 3
	s_cmp_eq_u32 s8, 0
	s_cbranch_scc0 .LBB5_95
	s_branch .LBB5_97
.LBB5_92:
                                        ; implicit-def: $vgpr15
                                        ; implicit-def: $vgpr17
	s_branch .LBB5_98
.LBB5_93:
	v_mov_b32_e32 v15, 0
	v_mov_b32_e32 v17, 0
	s_branch .LBB5_97
.LBB5_94:
	v_mov_b32_e32 v15, 0
	v_mov_b32_e32 v17, 0
	;; [unrolled: 1-line block ×3, first 2 shown]
	s_and_b32 s8, s29, 3
	s_cmp_eq_u32 s8, 0
	s_cbranch_scc1 .LBB5_97
.LBB5_95:
	s_lshl_b32 s2, s28, 3
	s_add_u32 s2, s34, s2
	s_addc_u32 s3, s35, 0
	s_add_u32 s2, s2, 0xc4
	s_addc_u32 s3, s3, 0
	s_mul_i32 s6, s28, 12
	s_add_u32 s6, s34, s6
	s_addc_u32 s7, s35, 0
.LBB5_96:                               ; =>This Inner Loop Header: Depth=1
	s_load_dwordx2 s[10:11], s[6:7], 0x4
	s_load_dword s9, s[6:7], 0xc
	s_load_dwordx2 s[12:13], s[2:3], 0x0
	s_add_u32 s6, s6, 12
	s_addc_u32 s7, s7, 0
	s_waitcnt lgkmcnt(0)
	v_mul_hi_u32 v7, s11, v4
	s_add_u32 s2, s2, 8
	s_addc_u32 s3, s3, 0
	s_add_i32 s8, s8, -1
	v_add_u32_e32 v7, v4, v7
	v_lshrrev_b32_e32 v7, s9, v7
	v_mul_lo_u32 v10, v7, s10
	s_cmp_lg_u32 s8, 0
	v_sub_u32_e32 v4, v4, v10
	v_mad_u64_u32 v[15:16], s[10:11], v4, s12, v[15:16]
	v_mad_u64_u32 v[17:18], s[10:11], v4, s13, v[17:18]
	v_mov_b32_e32 v4, v7
	s_cbranch_scc1 .LBB5_96
.LBB5_97:
	s_cbranch_execnz .LBB5_100
.LBB5_98:
	s_load_dwordx4 s[8:11], s[34:35], 0x4
	s_load_dwordx2 s[2:3], s[34:35], 0xc4
	s_cmp_lt_u32 s33, 2
	s_waitcnt lgkmcnt(0)
	v_mul_hi_u32 v4, s9, v1
	v_add_u32_e32 v4, v1, v4
	v_lshrrev_b32_e32 v4, s10, v4
	v_mul_lo_u32 v7, v4, s8
	v_sub_u32_e32 v1, v1, v7
	v_mul_lo_u32 v15, v1, s2
	v_mul_lo_u32 v17, v1, s3
	s_cbranch_scc1 .LBB5_100
; %bb.99:
	s_load_dwordx4 s[8:11], s[34:35], 0x10
	s_load_dwordx2 s[2:3], s[34:35], 0xcc
	s_waitcnt lgkmcnt(0)
	v_mul_hi_u32 v1, s9, v4
	v_add_u32_e32 v1, v4, v1
	v_lshrrev_b32_e32 v1, s10, v1
	v_mul_lo_u32 v1, v1, s8
	v_sub_u32_e32 v1, v4, v1
	v_mad_u64_u32 v[15:16], s[6:7], v1, s2, v[15:16]
	v_mad_u64_u32 v[17:18], s[2:3], v1, s3, v[17:18]
.LBB5_100:
	s_and_b64 vcc, exec, s[0:1]
	v_add_u32_e32 v1, 0x300, v19
	s_cbranch_vccnz .LBB5_106
; %bb.101:
	s_cmp_lg_u32 s33, 0
	s_mov_b32 s28, 0
	s_cbranch_scc0 .LBB5_107
; %bb.102:
	s_min_u32 s29, s56, 15
	s_add_i32 s29, s29, 1
	s_cmp_eq_u32 s56, 2
	s_cbranch_scc1 .LBB5_108
; %bb.103:
	s_and_b32 s28, s29, 28
	s_add_u32 s2, s34, 0xc4
	s_addc_u32 s3, s35, 0
	v_mov_b32_e32 v20, 0
	s_mov_b32 s30, 0
	s_mov_b64 s[6:7], s[34:35]
	v_mov_b32_e32 v18, 0
	v_mov_b32_e32 v4, v1
.LBB5_104:                              ; =>This Inner Loop Header: Depth=1
	s_load_dwordx8 s[16:23], s[6:7], 0x4
	s_load_dwordx4 s[24:27], s[6:7], 0x24
	s_load_dwordx8 s[8:15], s[2:3], 0x0
	s_add_u32 s6, s6, 48
	s_addc_u32 s7, s7, 0
	s_waitcnt lgkmcnt(0)
	v_mul_hi_u32 v7, s17, v4
	s_add_i32 s30, s30, 4
	s_add_u32 s2, s2, 32
	s_addc_u32 s3, s3, 0
	v_add_u32_e32 v7, v4, v7
	v_lshrrev_b32_e32 v7, s18, v7
	v_mul_lo_u32 v10, v7, s16
	v_mul_hi_u32 v13, s20, v7
	s_cmp_lg_u32 s28, s30
	v_sub_u32_e32 v4, v4, v10
	v_add_u32_e32 v10, v7, v13
	v_mul_lo_u32 v13, v4, s8
	v_mul_lo_u32 v16, v4, s9
	v_lshrrev_b32_e32 v4, s21, v10
	v_mul_lo_u32 v10, v4, s19
	v_mul_hi_u32 v19, s23, v4
	v_sub_u32_e32 v7, v7, v10
	v_add_u32_e32 v10, v4, v19
	v_lshrrev_b32_e32 v10, s24, v10
	v_mul_hi_u32 v21, s26, v10
	v_mul_lo_u32 v22, v10, s22
	v_mul_lo_u32 v19, v7, s10
	;; [unrolled: 1-line block ×3, first 2 shown]
	v_sub_u32_e32 v22, v4, v22
	v_add_u32_e32 v4, v10, v21
	v_lshrrev_b32_e32 v4, s27, v4
	v_mul_lo_u32 v21, v4, s25
	v_mul_lo_u32 v23, v22, s12
	;; [unrolled: 1-line block ×3, first 2 shown]
	v_add3_u32 v13, v13, v18, v19
	v_sub_u32_e32 v10, v10, v21
	v_mul_lo_u32 v21, v10, s14
	v_mul_lo_u32 v10, v10, s15
	v_add3_u32 v7, v16, v20, v7
	v_add3_u32 v18, v23, v13, v21
	;; [unrolled: 1-line block ×3, first 2 shown]
	s_cbranch_scc1 .LBB5_104
; %bb.105:
	s_and_b32 s8, s29, 3
	s_cmp_eq_u32 s8, 0
	s_cbranch_scc0 .LBB5_109
	s_branch .LBB5_111
.LBB5_106:
                                        ; implicit-def: $vgpr18
                                        ; implicit-def: $vgpr20
	s_branch .LBB5_112
.LBB5_107:
	v_mov_b32_e32 v18, 0
	v_mov_b32_e32 v20, 0
	s_branch .LBB5_111
.LBB5_108:
	v_mov_b32_e32 v18, 0
	v_mov_b32_e32 v20, 0
	;; [unrolled: 1-line block ×3, first 2 shown]
	s_and_b32 s8, s29, 3
	s_cmp_eq_u32 s8, 0
	s_cbranch_scc1 .LBB5_111
.LBB5_109:
	s_lshl_b32 s2, s28, 3
	s_add_u32 s2, s34, s2
	s_addc_u32 s3, s35, 0
	s_add_u32 s2, s2, 0xc4
	s_addc_u32 s3, s3, 0
	s_mul_i32 s6, s28, 12
	s_add_u32 s6, s34, s6
	s_addc_u32 s7, s35, 0
.LBB5_110:                              ; =>This Inner Loop Header: Depth=1
	s_load_dwordx2 s[10:11], s[6:7], 0x4
	s_load_dword s9, s[6:7], 0xc
	s_load_dwordx2 s[12:13], s[2:3], 0x0
	s_add_u32 s6, s6, 12
	s_addc_u32 s7, s7, 0
	s_waitcnt lgkmcnt(0)
	v_mul_hi_u32 v7, s11, v4
	s_add_u32 s2, s2, 8
	s_addc_u32 s3, s3, 0
	s_add_i32 s8, s8, -1
	v_add_u32_e32 v7, v4, v7
	v_lshrrev_b32_e32 v7, s9, v7
	v_mul_lo_u32 v10, v7, s10
	s_cmp_lg_u32 s8, 0
	v_sub_u32_e32 v4, v4, v10
	v_mad_u64_u32 v[18:19], s[10:11], v4, s12, v[18:19]
	v_mad_u64_u32 v[20:21], s[10:11], v4, s13, v[20:21]
	v_mov_b32_e32 v4, v7
	s_cbranch_scc1 .LBB5_110
.LBB5_111:
	s_cbranch_execnz .LBB5_114
.LBB5_112:
	s_load_dwordx4 s[8:11], s[34:35], 0x4
	s_load_dwordx2 s[2:3], s[34:35], 0xc4
	s_cmp_lt_u32 s33, 2
	s_waitcnt lgkmcnt(0)
	v_mul_hi_u32 v4, s9, v1
	v_add_u32_e32 v4, v1, v4
	v_lshrrev_b32_e32 v4, s10, v4
	v_mul_lo_u32 v7, v4, s8
	v_sub_u32_e32 v1, v1, v7
	v_mul_lo_u32 v18, v1, s2
	v_mul_lo_u32 v20, v1, s3
	s_cbranch_scc1 .LBB5_114
; %bb.113:
	s_load_dwordx4 s[8:11], s[34:35], 0x10
	s_load_dwordx2 s[2:3], s[34:35], 0xcc
	s_waitcnt lgkmcnt(0)
	v_mul_hi_u32 v1, s9, v4
	v_add_u32_e32 v1, v4, v1
	v_lshrrev_b32_e32 v1, s10, v1
	v_mul_lo_u32 v1, v1, s8
	v_sub_u32_e32 v1, v4, v1
	v_mad_u64_u32 v[18:19], s[6:7], v1, s2, v[18:19]
	v_mad_u64_u32 v[20:21], s[2:3], v1, s3, v[20:21]
.LBB5_114:
	s_and_b64 vcc, exec, s[0:1]
	s_cbranch_vccnz .LBB5_120
; %bb.115:
	s_cmp_lg_u32 s33, 0
	s_mov_b32 s26, 0
	s_cbranch_scc0 .LBB5_121
; %bb.116:
	s_min_u32 s27, s56, 15
	s_add_i32 s27, s27, 1
	s_cmp_eq_u32 s56, 2
	s_cbranch_scc1 .LBB5_122
; %bb.117:
	s_and_b32 s26, s27, 28
	s_add_u32 s6, s34, 0xc4
	s_addc_u32 s7, s35, 0
	v_mov_b32_e32 v23, 0
	s_mov_b32 s28, 0
	s_mov_b64 s[24:25], s[34:35]
	v_mov_b32_e32 v21, 0
	v_mov_b32_e32 v1, v25
.LBB5_118:                              ; =>This Inner Loop Header: Depth=1
	s_load_dwordx8 s[16:23], s[24:25], 0x4
	s_load_dwordx4 s[0:3], s[24:25], 0x24
	s_load_dwordx8 s[8:15], s[6:7], 0x0
	s_add_u32 s24, s24, 48
	s_addc_u32 s25, s25, 0
	s_waitcnt lgkmcnt(0)
	v_mul_hi_u32 v4, s17, v1
	s_add_i32 s28, s28, 4
	s_add_u32 s6, s6, 32
	s_addc_u32 s7, s7, 0
	v_add_u32_e32 v4, v1, v4
	v_lshrrev_b32_e32 v4, s18, v4
	v_mul_lo_u32 v7, v4, s16
	v_mul_hi_u32 v10, s20, v4
	s_cmp_lg_u32 s26, s28
	v_sub_u32_e32 v1, v1, v7
	v_add_u32_e32 v7, v4, v10
	v_mul_lo_u32 v10, v1, s8
	v_mul_lo_u32 v13, v1, s9
	v_lshrrev_b32_e32 v1, s21, v7
	v_mul_lo_u32 v7, v1, s19
	v_mul_hi_u32 v16, s23, v1
	v_sub_u32_e32 v4, v4, v7
	v_add_u32_e32 v7, v1, v16
	v_lshrrev_b32_e32 v7, s0, v7
	v_mul_hi_u32 v19, s2, v7
	v_mul_lo_u32 v22, v7, s22
	v_mul_lo_u32 v16, v4, s10
	;; [unrolled: 1-line block ×3, first 2 shown]
	v_sub_u32_e32 v22, v1, v22
	v_add_u32_e32 v1, v7, v19
	v_lshrrev_b32_e32 v1, s3, v1
	v_mul_lo_u32 v19, v1, s1
	v_mul_lo_u32 v24, v22, s12
	;; [unrolled: 1-line block ×3, first 2 shown]
	v_add3_u32 v10, v10, v21, v16
	v_sub_u32_e32 v7, v7, v19
	v_mul_lo_u32 v19, v7, s14
	v_mul_lo_u32 v7, v7, s15
	v_add3_u32 v4, v13, v23, v4
	v_add3_u32 v21, v24, v10, v19
	;; [unrolled: 1-line block ×3, first 2 shown]
	s_cbranch_scc1 .LBB5_118
; %bb.119:
	s_and_b32 s6, s27, 3
	s_cmp_eq_u32 s6, 0
	s_cbranch_scc0 .LBB5_123
	s_branch .LBB5_125
.LBB5_120:
                                        ; implicit-def: $vgpr21
                                        ; implicit-def: $vgpr23
	s_branch .LBB5_126
.LBB5_121:
	v_mov_b32_e32 v21, 0
	v_mov_b32_e32 v23, 0
	s_branch .LBB5_125
.LBB5_122:
	v_mov_b32_e32 v21, 0
	v_mov_b32_e32 v23, 0
	;; [unrolled: 1-line block ×3, first 2 shown]
	s_and_b32 s6, s27, 3
	s_cmp_eq_u32 s6, 0
	s_cbranch_scc1 .LBB5_125
.LBB5_123:
	s_lshl_b32 s0, s26, 3
	s_add_u32 s0, s34, s0
	s_addc_u32 s1, s35, 0
	s_add_u32 s0, s0, 0xc4
	s_addc_u32 s1, s1, 0
	s_mul_i32 s2, s26, 12
	s_add_u32 s2, s34, s2
	s_addc_u32 s3, s35, 0
.LBB5_124:                              ; =>This Inner Loop Header: Depth=1
	s_load_dwordx2 s[8:9], s[2:3], 0x4
	s_load_dword s7, s[2:3], 0xc
	s_load_dwordx2 s[10:11], s[0:1], 0x0
	s_add_u32 s2, s2, 12
	s_addc_u32 s3, s3, 0
	s_waitcnt lgkmcnt(0)
	v_mul_hi_u32 v4, s9, v1
	s_add_u32 s0, s0, 8
	s_addc_u32 s1, s1, 0
	s_add_i32 s6, s6, -1
	v_add_u32_e32 v4, v1, v4
	v_lshrrev_b32_e32 v4, s7, v4
	v_mul_lo_u32 v7, v4, s8
	s_cmp_lg_u32 s6, 0
	v_sub_u32_e32 v1, v1, v7
	v_mad_u64_u32 v[21:22], s[8:9], v1, s10, v[21:22]
	v_mad_u64_u32 v[23:24], s[8:9], v1, s11, v[23:24]
	v_mov_b32_e32 v1, v4
	s_cbranch_scc1 .LBB5_124
.LBB5_125:
	s_cbranch_execnz .LBB5_128
.LBB5_126:
	s_load_dwordx4 s[0:3], s[34:35], 0x4
	s_load_dwordx2 s[6:7], s[34:35], 0xc4
	s_cmp_lt_u32 s33, 2
	s_waitcnt lgkmcnt(0)
	v_mul_hi_u32 v1, s1, v25
	v_add_u32_e32 v1, v25, v1
	v_lshrrev_b32_e32 v1, s2, v1
	v_mul_lo_u32 v4, v1, s0
	v_sub_u32_e32 v4, v25, v4
	v_mul_lo_u32 v21, v4, s6
	v_mul_lo_u32 v23, v4, s7
	s_cbranch_scc1 .LBB5_128
; %bb.127:
	s_load_dwordx4 s[0:3], s[34:35], 0x10
	s_load_dwordx2 s[6:7], s[34:35], 0xcc
	s_waitcnt lgkmcnt(0)
	v_mul_hi_u32 v4, s1, v1
	v_add_u32_e32 v4, v1, v4
	v_lshrrev_b32_e32 v4, s2, v4
	v_mul_lo_u32 v4, v4, s0
	v_sub_u32_e32 v1, v1, v4
	v_mad_u64_u32 v[21:22], s[0:1], v1, s6, v[21:22]
	v_mad_u64_u32 v[23:24], s[0:1], v1, s7, v[23:24]
.LBB5_128:
	s_load_dwordx4 s[16:19], s[34:35], 0x148
	s_load_dword s0, s[4:5], 0x160
	s_waitcnt lgkmcnt(0)
	global_load_ubyte v1, v5, s[18:19]
	global_load_ubyte v4, v2, s[18:19]
	;; [unrolled: 1-line block ×8, first 2 shown]
	s_bfe_u32 s12, s0, 0x80008
	s_waitcnt vmcnt(7)
	v_lshlrev_b32_e64 v2, v1, s12
	v_cmp_gt_u32_e32 vcc, 8, v1
	s_waitcnt vmcnt(5)
	v_lshlrev_b32_e64 v1, v7, s12
	v_cmp_gt_u32_e64 s[0:1], 8, v7
	s_waitcnt vmcnt(4)
	v_lshlrev_b32_e64 v5, v10, s12
	v_cmp_gt_u32_e64 s[2:3], 8, v10
	;; [unrolled: 3-line block ×3, first 2 shown]
	s_waitcnt vmcnt(2)
	v_lshlrev_b32_e64 v8, v16, s12
	s_waitcnt vmcnt(1)
	v_lshlrev_b32_e64 v10, v19, s12
	;; [unrolled: 2-line block ×3, first 2 shown]
	v_lshlrev_b32_e64 v13, v4, s12
	v_cmp_gt_u32_e64 s[12:13], 8, v4
	v_cmp_gt_u32_e64 s[6:7], 8, v16
	;; [unrolled: 1-line block ×4, first 2 shown]
	v_cndmask_b32_e64 v4, 0, v13, s[12:13]
	v_cndmask_b32_e32 v2, 0, v2, vcc
	v_cndmask_b32_e64 v1, 0, v1, s[0:1]
	v_cndmask_b32_e64 v5, 0, v5, s[2:3]
	;; [unrolled: 1-line block ×6, first 2 shown]
	global_store_byte v0, v4, s[16:17]
	global_store_byte v3, v2, s[16:17]
	;; [unrolled: 1-line block ×8, first 2 shown]
	s_endpgm
.LBB5_129:
	v_mov_b32_e32 v0, 0
	v_mov_b32_e32 v2, 0
	s_branch .LBB5_135
.LBB5_130:
	v_mov_b32_e32 v0, 0
	v_mov_b32_e32 v2, 0
	s_branch .LBB5_151
.LBB5_131:
	s_mov_b32 s60, 0
	v_mov_b32_e32 v0, 0
	v_mov_b32_e32 v2, 0
	;; [unrolled: 1-line block ×3, first 2 shown]
.LBB5_132:
	s_and_b32 s12, s61, 3
	s_cmp_eq_u32 s12, 0
	s_cbranch_scc1 .LBB5_135
; %bb.133:
	s_lshl_b32 s8, s60, 3
	s_add_u32 s8, s34, s8
	s_addc_u32 s9, s35, 0
	s_add_u32 s8, s8, 0xc4
	s_addc_u32 s9, s9, 0
	s_mul_i32 s10, s60, 12
	s_add_u32 s10, s34, s10
	s_addc_u32 s11, s35, 0
.LBB5_134:                              ; =>This Inner Loop Header: Depth=1
	s_load_dwordx2 s[14:15], s[10:11], 0x4
	s_load_dword s13, s[10:11], 0xc
	s_load_dwordx2 s[16:17], s[8:9], 0x0
	s_add_u32 s10, s10, 12
	s_addc_u32 s11, s11, 0
	s_waitcnt lgkmcnt(0)
	v_mul_hi_u32 v3, s15, v1
	s_add_u32 s8, s8, 8
	s_addc_u32 s9, s9, 0
	s_add_i32 s12, s12, -1
	v_add_u32_e32 v3, v1, v3
	v_lshrrev_b32_e32 v4, s13, v3
	v_mul_lo_u32 v3, v4, s14
	s_cmp_lg_u32 s12, 0
	v_sub_u32_e32 v3, v1, v3
	v_mad_u64_u32 v[0:1], s[14:15], v3, s16, v[0:1]
	v_mad_u64_u32 v[2:3], s[14:15], v3, s17, v[2:3]
	v_mov_b32_e32 v1, v4
	s_cbranch_scc1 .LBB5_134
.LBB5_135:
	s_cbranch_execnz .LBB5_138
.LBB5_136:
	v_mul_hi_u32 v0, s25, v19
	s_andn2_b64 vcc, exec, s[44:45]
	v_add_u32_e32 v0, v19, v0
	v_lshrrev_b32_e32 v1, s26, v0
	v_mul_lo_u32 v0, v1, s24
	v_sub_u32_e32 v2, v19, v0
	v_mul_lo_u32 v0, v2, s28
	v_mul_lo_u32 v2, v2, s29
	s_cbranch_vccnz .LBB5_138
; %bb.137:
	v_mul_hi_u32 v3, s42, v1
	v_add_u32_e32 v3, v1, v3
	v_lshrrev_b32_e32 v3, s43, v3
	v_mul_lo_u32 v3, v3, s27
	v_sub_u32_e32 v3, v1, v3
	v_mad_u64_u32 v[0:1], s[8:9], v3, s30, v[0:1]
	v_mad_u64_u32 v[2:3], s[8:9], v3, s31, v[2:3]
.LBB5_138:
	global_load_ubyte v1, v2, s[2:3]
	v_add_u32_e32 v19, 0x80, v19
	s_waitcnt vmcnt(0)
	v_lshlrev_b32_e64 v2, v1, s57
	v_cmp_gt_u32_e32 vcc, 8, v1
	v_cndmask_b32_e32 v1, 0, v2, vcc
	global_store_byte v0, v1, s[0:1]
	s_or_b64 exec, exec, s[50:51]
	v_cmp_gt_i32_e32 vcc, s58, v19
	s_and_saveexec_b64 s[50:51], vcc
	s_cbranch_execnz .LBB5_15
.LBB5_139:
	s_or_b64 exec, exec, s[50:51]
	v_cmp_gt_i32_e32 vcc, s58, v19
	s_and_saveexec_b64 s[50:51], vcc
	s_cbranch_execz .LBB5_155
.LBB5_140:
	s_andn2_b64 vcc, exec, s[6:7]
	s_cbranch_vccnz .LBB5_145
; %bb.141:
	s_andn2_b64 vcc, exec, s[48:49]
	s_cbranch_vccnz .LBB5_146
; %bb.142:
	s_add_i32 s61, s59, 1
	s_cmp_eq_u32 s56, 2
	s_cbranch_scc1 .LBB5_163
; %bb.143:
	s_and_b32 s60, s61, 28
	v_mov_b32_e32 v2, 0
	s_mov_b32 s62, 0
	s_mov_b64 s[52:53], s[34:35]
	s_mov_b64 s[54:55], s[46:47]
	v_mov_b32_e32 v0, 0
	v_mov_b32_e32 v1, v19
.LBB5_144:                              ; =>This Inner Loop Header: Depth=1
	s_load_dwordx8 s[16:23], s[52:53], 0x4
	s_load_dwordx4 s[36:39], s[52:53], 0x24
	s_load_dwordx8 s[8:15], s[54:55], 0x0
	s_add_u32 s52, s52, 48
	s_addc_u32 s53, s53, 0
	s_waitcnt lgkmcnt(0)
	v_mul_hi_u32 v3, s17, v1
	s_add_i32 s62, s62, 4
	s_add_u32 s54, s54, 32
	s_addc_u32 s55, s55, 0
	v_add_u32_e32 v3, v1, v3
	v_lshrrev_b32_e32 v3, s18, v3
	v_mul_lo_u32 v4, v3, s16
	v_mul_hi_u32 v5, s20, v3
	s_cmp_eq_u32 s60, s62
	v_sub_u32_e32 v1, v1, v4
	v_add_u32_e32 v4, v3, v5
	v_mul_lo_u32 v5, v1, s8
	v_mul_lo_u32 v6, v1, s9
	v_lshrrev_b32_e32 v1, s21, v4
	v_mul_lo_u32 v4, v1, s19
	v_mul_hi_u32 v7, s23, v1
	v_sub_u32_e32 v3, v3, v4
	v_add_u32_e32 v4, v1, v7
	v_lshrrev_b32_e32 v4, s36, v4
	v_mul_hi_u32 v8, s38, v4
	v_mul_lo_u32 v9, v4, s22
	v_mul_lo_u32 v7, v3, s10
	;; [unrolled: 1-line block ×3, first 2 shown]
	v_sub_u32_e32 v9, v1, v9
	v_add_u32_e32 v1, v4, v8
	v_lshrrev_b32_e32 v1, s39, v1
	v_mul_lo_u32 v8, v1, s37
	v_mul_lo_u32 v10, v9, s12
	;; [unrolled: 1-line block ×3, first 2 shown]
	v_add3_u32 v0, v5, v0, v7
	v_sub_u32_e32 v4, v4, v8
	v_mul_lo_u32 v8, v4, s14
	v_mul_lo_u32 v4, v4, s15
	v_add3_u32 v2, v6, v2, v3
	v_add3_u32 v0, v10, v0, v8
	;; [unrolled: 1-line block ×3, first 2 shown]
	s_cbranch_scc0 .LBB5_144
	s_branch .LBB5_164
.LBB5_145:
                                        ; implicit-def: $vgpr0
                                        ; implicit-def: $vgpr2
	s_branch .LBB5_168
.LBB5_146:
	v_mov_b32_e32 v0, 0
	v_mov_b32_e32 v2, 0
	s_branch .LBB5_167
.LBB5_147:
	s_mov_b32 s60, 0
	v_mov_b32_e32 v0, 0
	v_mov_b32_e32 v2, 0
	;; [unrolled: 1-line block ×3, first 2 shown]
.LBB5_148:
	s_and_b32 s12, s61, 3
	s_cmp_eq_u32 s12, 0
	s_cbranch_scc1 .LBB5_151
; %bb.149:
	s_lshl_b32 s8, s60, 3
	s_add_u32 s8, s34, s8
	s_addc_u32 s9, s35, 0
	s_add_u32 s8, s8, 0xc4
	s_addc_u32 s9, s9, 0
	s_mul_i32 s10, s60, 12
	s_add_u32 s10, s34, s10
	s_addc_u32 s11, s35, 0
.LBB5_150:                              ; =>This Inner Loop Header: Depth=1
	s_load_dwordx2 s[14:15], s[10:11], 0x4
	s_load_dword s13, s[10:11], 0xc
	s_load_dwordx2 s[16:17], s[8:9], 0x0
	s_add_u32 s10, s10, 12
	s_addc_u32 s11, s11, 0
	s_waitcnt lgkmcnt(0)
	v_mul_hi_u32 v3, s15, v1
	s_add_u32 s8, s8, 8
	s_addc_u32 s9, s9, 0
	s_add_i32 s12, s12, -1
	v_add_u32_e32 v3, v1, v3
	v_lshrrev_b32_e32 v4, s13, v3
	v_mul_lo_u32 v3, v4, s14
	s_cmp_lg_u32 s12, 0
	v_sub_u32_e32 v3, v1, v3
	v_mad_u64_u32 v[0:1], s[14:15], v3, s16, v[0:1]
	v_mad_u64_u32 v[2:3], s[14:15], v3, s17, v[2:3]
	v_mov_b32_e32 v1, v4
	s_cbranch_scc1 .LBB5_150
.LBB5_151:
	s_cbranch_execnz .LBB5_154
.LBB5_152:
	v_mul_hi_u32 v0, s25, v19
	s_andn2_b64 vcc, exec, s[44:45]
	v_add_u32_e32 v0, v19, v0
	v_lshrrev_b32_e32 v1, s26, v0
	v_mul_lo_u32 v0, v1, s24
	v_sub_u32_e32 v2, v19, v0
	v_mul_lo_u32 v0, v2, s28
	v_mul_lo_u32 v2, v2, s29
	s_cbranch_vccnz .LBB5_154
; %bb.153:
	v_mul_hi_u32 v3, s42, v1
	v_add_u32_e32 v3, v1, v3
	v_lshrrev_b32_e32 v3, s43, v3
	v_mul_lo_u32 v3, v3, s27
	v_sub_u32_e32 v3, v1, v3
	v_mad_u64_u32 v[0:1], s[8:9], v3, s30, v[0:1]
	v_mad_u64_u32 v[2:3], s[8:9], v3, s31, v[2:3]
.LBB5_154:
	global_load_ubyte v1, v2, s[2:3]
	v_add_u32_e32 v19, 0x80, v19
	s_waitcnt vmcnt(0)
	v_lshlrev_b32_e64 v2, v1, s57
	v_cmp_gt_u32_e32 vcc, 8, v1
	v_cndmask_b32_e32 v1, 0, v2, vcc
	global_store_byte v0, v1, s[0:1]
	s_or_b64 exec, exec, s[50:51]
	v_cmp_gt_i32_e32 vcc, s58, v19
	s_and_saveexec_b64 s[50:51], vcc
	s_cbranch_execnz .LBB5_140
.LBB5_155:
	s_or_b64 exec, exec, s[50:51]
	v_cmp_gt_i32_e32 vcc, s58, v19
	s_and_saveexec_b64 s[50:51], vcc
	s_cbranch_execz .LBB5_171
.LBB5_156:
	s_andn2_b64 vcc, exec, s[6:7]
	s_cbranch_vccnz .LBB5_161
; %bb.157:
	s_andn2_b64 vcc, exec, s[48:49]
	s_cbranch_vccnz .LBB5_162
; %bb.158:
	s_add_i32 s61, s59, 1
	s_cmp_eq_u32 s56, 2
	s_cbranch_scc1 .LBB5_179
; %bb.159:
	s_and_b32 s60, s61, 28
	v_mov_b32_e32 v2, 0
	s_mov_b32 s62, 0
	s_mov_b64 s[52:53], s[34:35]
	s_mov_b64 s[54:55], s[46:47]
	v_mov_b32_e32 v0, 0
	v_mov_b32_e32 v1, v19
.LBB5_160:                              ; =>This Inner Loop Header: Depth=1
	s_load_dwordx8 s[16:23], s[52:53], 0x4
	s_load_dwordx4 s[36:39], s[52:53], 0x24
	s_load_dwordx8 s[8:15], s[54:55], 0x0
	s_add_u32 s52, s52, 48
	s_addc_u32 s53, s53, 0
	s_waitcnt lgkmcnt(0)
	v_mul_hi_u32 v3, s17, v1
	s_add_i32 s62, s62, 4
	s_add_u32 s54, s54, 32
	s_addc_u32 s55, s55, 0
	v_add_u32_e32 v3, v1, v3
	v_lshrrev_b32_e32 v3, s18, v3
	v_mul_lo_u32 v4, v3, s16
	v_mul_hi_u32 v5, s20, v3
	s_cmp_eq_u32 s60, s62
	v_sub_u32_e32 v1, v1, v4
	v_add_u32_e32 v4, v3, v5
	v_mul_lo_u32 v5, v1, s8
	v_mul_lo_u32 v6, v1, s9
	v_lshrrev_b32_e32 v1, s21, v4
	v_mul_lo_u32 v4, v1, s19
	v_mul_hi_u32 v7, s23, v1
	v_sub_u32_e32 v3, v3, v4
	v_add_u32_e32 v4, v1, v7
	v_lshrrev_b32_e32 v4, s36, v4
	v_mul_hi_u32 v8, s38, v4
	v_mul_lo_u32 v9, v4, s22
	v_mul_lo_u32 v7, v3, s10
	;; [unrolled: 1-line block ×3, first 2 shown]
	v_sub_u32_e32 v9, v1, v9
	v_add_u32_e32 v1, v4, v8
	v_lshrrev_b32_e32 v1, s39, v1
	v_mul_lo_u32 v8, v1, s37
	v_mul_lo_u32 v10, v9, s12
	v_mul_lo_u32 v9, v9, s13
	v_add3_u32 v0, v5, v0, v7
	v_sub_u32_e32 v4, v4, v8
	v_mul_lo_u32 v8, v4, s14
	v_mul_lo_u32 v4, v4, s15
	v_add3_u32 v2, v6, v2, v3
	v_add3_u32 v0, v10, v0, v8
	;; [unrolled: 1-line block ×3, first 2 shown]
	s_cbranch_scc0 .LBB5_160
	s_branch .LBB5_180
.LBB5_161:
                                        ; implicit-def: $vgpr0
                                        ; implicit-def: $vgpr2
	s_branch .LBB5_184
.LBB5_162:
	v_mov_b32_e32 v0, 0
	v_mov_b32_e32 v2, 0
	s_branch .LBB5_183
.LBB5_163:
	s_mov_b32 s60, 0
	v_mov_b32_e32 v0, 0
	v_mov_b32_e32 v2, 0
	;; [unrolled: 1-line block ×3, first 2 shown]
.LBB5_164:
	s_and_b32 s12, s61, 3
	s_cmp_eq_u32 s12, 0
	s_cbranch_scc1 .LBB5_167
; %bb.165:
	s_lshl_b32 s8, s60, 3
	s_add_u32 s8, s34, s8
	s_addc_u32 s9, s35, 0
	s_add_u32 s8, s8, 0xc4
	s_addc_u32 s9, s9, 0
	s_mul_i32 s10, s60, 12
	s_add_u32 s10, s34, s10
	s_addc_u32 s11, s35, 0
.LBB5_166:                              ; =>This Inner Loop Header: Depth=1
	s_load_dwordx2 s[14:15], s[10:11], 0x4
	s_load_dword s13, s[10:11], 0xc
	s_load_dwordx2 s[16:17], s[8:9], 0x0
	s_add_u32 s10, s10, 12
	s_addc_u32 s11, s11, 0
	s_waitcnt lgkmcnt(0)
	v_mul_hi_u32 v3, s15, v1
	s_add_u32 s8, s8, 8
	s_addc_u32 s9, s9, 0
	s_add_i32 s12, s12, -1
	v_add_u32_e32 v3, v1, v3
	v_lshrrev_b32_e32 v4, s13, v3
	v_mul_lo_u32 v3, v4, s14
	s_cmp_lg_u32 s12, 0
	v_sub_u32_e32 v3, v1, v3
	v_mad_u64_u32 v[0:1], s[14:15], v3, s16, v[0:1]
	v_mad_u64_u32 v[2:3], s[14:15], v3, s17, v[2:3]
	v_mov_b32_e32 v1, v4
	s_cbranch_scc1 .LBB5_166
.LBB5_167:
	s_cbranch_execnz .LBB5_170
.LBB5_168:
	v_mul_hi_u32 v0, s25, v19
	s_andn2_b64 vcc, exec, s[44:45]
	v_add_u32_e32 v0, v19, v0
	v_lshrrev_b32_e32 v1, s26, v0
	v_mul_lo_u32 v0, v1, s24
	v_sub_u32_e32 v2, v19, v0
	v_mul_lo_u32 v0, v2, s28
	v_mul_lo_u32 v2, v2, s29
	s_cbranch_vccnz .LBB5_170
; %bb.169:
	v_mul_hi_u32 v3, s42, v1
	v_add_u32_e32 v3, v1, v3
	v_lshrrev_b32_e32 v3, s43, v3
	v_mul_lo_u32 v3, v3, s27
	v_sub_u32_e32 v3, v1, v3
	v_mad_u64_u32 v[0:1], s[8:9], v3, s30, v[0:1]
	v_mad_u64_u32 v[2:3], s[8:9], v3, s31, v[2:3]
.LBB5_170:
	global_load_ubyte v1, v2, s[2:3]
	v_add_u32_e32 v19, 0x80, v19
	s_waitcnt vmcnt(0)
	v_lshlrev_b32_e64 v2, v1, s57
	v_cmp_gt_u32_e32 vcc, 8, v1
	v_cndmask_b32_e32 v1, 0, v2, vcc
	global_store_byte v0, v1, s[0:1]
	s_or_b64 exec, exec, s[50:51]
	v_cmp_gt_i32_e32 vcc, s58, v19
	s_and_saveexec_b64 s[50:51], vcc
	s_cbranch_execnz .LBB5_156
.LBB5_171:
	s_or_b64 exec, exec, s[50:51]
	v_cmp_gt_i32_e32 vcc, s58, v19
	s_and_saveexec_b64 s[50:51], vcc
	s_cbranch_execz .LBB5_187
.LBB5_172:
	s_andn2_b64 vcc, exec, s[6:7]
	s_cbranch_vccnz .LBB5_177
; %bb.173:
	s_andn2_b64 vcc, exec, s[48:49]
	s_cbranch_vccnz .LBB5_178
; %bb.174:
	s_add_i32 s61, s59, 1
	s_cmp_eq_u32 s56, 2
	s_cbranch_scc1 .LBB5_195
; %bb.175:
	s_and_b32 s60, s61, 28
	v_mov_b32_e32 v2, 0
	s_mov_b32 s62, 0
	s_mov_b64 s[52:53], s[34:35]
	s_mov_b64 s[54:55], s[46:47]
	v_mov_b32_e32 v0, 0
	v_mov_b32_e32 v1, v19
.LBB5_176:                              ; =>This Inner Loop Header: Depth=1
	s_load_dwordx8 s[16:23], s[52:53], 0x4
	s_load_dwordx4 s[36:39], s[52:53], 0x24
	s_load_dwordx8 s[8:15], s[54:55], 0x0
	s_add_u32 s52, s52, 48
	s_addc_u32 s53, s53, 0
	s_waitcnt lgkmcnt(0)
	v_mul_hi_u32 v3, s17, v1
	s_add_i32 s62, s62, 4
	s_add_u32 s54, s54, 32
	s_addc_u32 s55, s55, 0
	v_add_u32_e32 v3, v1, v3
	v_lshrrev_b32_e32 v3, s18, v3
	v_mul_lo_u32 v4, v3, s16
	v_mul_hi_u32 v5, s20, v3
	s_cmp_eq_u32 s60, s62
	v_sub_u32_e32 v1, v1, v4
	v_add_u32_e32 v4, v3, v5
	v_mul_lo_u32 v5, v1, s8
	v_mul_lo_u32 v6, v1, s9
	v_lshrrev_b32_e32 v1, s21, v4
	v_mul_lo_u32 v4, v1, s19
	v_mul_hi_u32 v7, s23, v1
	v_sub_u32_e32 v3, v3, v4
	v_add_u32_e32 v4, v1, v7
	v_lshrrev_b32_e32 v4, s36, v4
	v_mul_hi_u32 v8, s38, v4
	v_mul_lo_u32 v9, v4, s22
	v_mul_lo_u32 v7, v3, s10
	;; [unrolled: 1-line block ×3, first 2 shown]
	v_sub_u32_e32 v9, v1, v9
	v_add_u32_e32 v1, v4, v8
	v_lshrrev_b32_e32 v1, s39, v1
	v_mul_lo_u32 v8, v1, s37
	v_mul_lo_u32 v10, v9, s12
	;; [unrolled: 1-line block ×3, first 2 shown]
	v_add3_u32 v0, v5, v0, v7
	v_sub_u32_e32 v4, v4, v8
	v_mul_lo_u32 v8, v4, s14
	v_mul_lo_u32 v4, v4, s15
	v_add3_u32 v2, v6, v2, v3
	v_add3_u32 v0, v10, v0, v8
	;; [unrolled: 1-line block ×3, first 2 shown]
	s_cbranch_scc0 .LBB5_176
	s_branch .LBB5_196
.LBB5_177:
                                        ; implicit-def: $vgpr0
                                        ; implicit-def: $vgpr2
	s_branch .LBB5_200
.LBB5_178:
	v_mov_b32_e32 v0, 0
	v_mov_b32_e32 v2, 0
	s_branch .LBB5_199
.LBB5_179:
	s_mov_b32 s60, 0
	v_mov_b32_e32 v0, 0
	v_mov_b32_e32 v2, 0
	v_mov_b32_e32 v1, v19
.LBB5_180:
	s_and_b32 s12, s61, 3
	s_cmp_eq_u32 s12, 0
	s_cbranch_scc1 .LBB5_183
; %bb.181:
	s_lshl_b32 s8, s60, 3
	s_add_u32 s8, s34, s8
	s_addc_u32 s9, s35, 0
	s_add_u32 s8, s8, 0xc4
	s_addc_u32 s9, s9, 0
	s_mul_i32 s10, s60, 12
	s_add_u32 s10, s34, s10
	s_addc_u32 s11, s35, 0
.LBB5_182:                              ; =>This Inner Loop Header: Depth=1
	s_load_dwordx2 s[14:15], s[10:11], 0x4
	s_load_dword s13, s[10:11], 0xc
	s_load_dwordx2 s[16:17], s[8:9], 0x0
	s_add_u32 s10, s10, 12
	s_addc_u32 s11, s11, 0
	s_waitcnt lgkmcnt(0)
	v_mul_hi_u32 v3, s15, v1
	s_add_u32 s8, s8, 8
	s_addc_u32 s9, s9, 0
	s_add_i32 s12, s12, -1
	v_add_u32_e32 v3, v1, v3
	v_lshrrev_b32_e32 v4, s13, v3
	v_mul_lo_u32 v3, v4, s14
	s_cmp_lg_u32 s12, 0
	v_sub_u32_e32 v3, v1, v3
	v_mad_u64_u32 v[0:1], s[14:15], v3, s16, v[0:1]
	v_mad_u64_u32 v[2:3], s[14:15], v3, s17, v[2:3]
	v_mov_b32_e32 v1, v4
	s_cbranch_scc1 .LBB5_182
.LBB5_183:
	s_cbranch_execnz .LBB5_186
.LBB5_184:
	v_mul_hi_u32 v0, s25, v19
	s_andn2_b64 vcc, exec, s[44:45]
	v_add_u32_e32 v0, v19, v0
	v_lshrrev_b32_e32 v1, s26, v0
	v_mul_lo_u32 v0, v1, s24
	v_sub_u32_e32 v2, v19, v0
	v_mul_lo_u32 v0, v2, s28
	v_mul_lo_u32 v2, v2, s29
	s_cbranch_vccnz .LBB5_186
; %bb.185:
	v_mul_hi_u32 v3, s42, v1
	v_add_u32_e32 v3, v1, v3
	v_lshrrev_b32_e32 v3, s43, v3
	v_mul_lo_u32 v3, v3, s27
	v_sub_u32_e32 v3, v1, v3
	v_mad_u64_u32 v[0:1], s[8:9], v3, s30, v[0:1]
	v_mad_u64_u32 v[2:3], s[8:9], v3, s31, v[2:3]
.LBB5_186:
	global_load_ubyte v1, v2, s[2:3]
	v_add_u32_e32 v19, 0x80, v19
	s_waitcnt vmcnt(0)
	v_lshlrev_b32_e64 v2, v1, s57
	v_cmp_gt_u32_e32 vcc, 8, v1
	v_cndmask_b32_e32 v1, 0, v2, vcc
	global_store_byte v0, v1, s[0:1]
	s_or_b64 exec, exec, s[50:51]
	v_cmp_gt_i32_e32 vcc, s58, v19
	s_and_saveexec_b64 s[50:51], vcc
	s_cbranch_execnz .LBB5_172
.LBB5_187:
	s_or_b64 exec, exec, s[50:51]
	v_cmp_gt_i32_e32 vcc, s58, v19
	s_and_saveexec_b64 s[50:51], vcc
	s_cbranch_execz .LBB5_203
.LBB5_188:
	s_andn2_b64 vcc, exec, s[6:7]
	s_cbranch_vccnz .LBB5_193
; %bb.189:
	s_andn2_b64 vcc, exec, s[48:49]
	s_cbranch_vccnz .LBB5_194
; %bb.190:
	s_add_i32 s61, s59, 1
	s_cmp_eq_u32 s56, 2
	s_cbranch_scc1 .LBB5_211
; %bb.191:
	s_and_b32 s60, s61, 28
	v_mov_b32_e32 v2, 0
	s_mov_b32 s62, 0
	s_mov_b64 s[52:53], s[34:35]
	s_mov_b64 s[54:55], s[46:47]
	v_mov_b32_e32 v0, 0
	v_mov_b32_e32 v1, v19
.LBB5_192:                              ; =>This Inner Loop Header: Depth=1
	s_load_dwordx8 s[16:23], s[52:53], 0x4
	s_load_dwordx4 s[36:39], s[52:53], 0x24
	s_load_dwordx8 s[8:15], s[54:55], 0x0
	s_add_u32 s52, s52, 48
	s_addc_u32 s53, s53, 0
	s_waitcnt lgkmcnt(0)
	v_mul_hi_u32 v3, s17, v1
	s_add_i32 s62, s62, 4
	s_add_u32 s54, s54, 32
	s_addc_u32 s55, s55, 0
	v_add_u32_e32 v3, v1, v3
	v_lshrrev_b32_e32 v3, s18, v3
	v_mul_lo_u32 v4, v3, s16
	v_mul_hi_u32 v5, s20, v3
	s_cmp_eq_u32 s60, s62
	v_sub_u32_e32 v1, v1, v4
	v_add_u32_e32 v4, v3, v5
	v_mul_lo_u32 v5, v1, s8
	v_mul_lo_u32 v6, v1, s9
	v_lshrrev_b32_e32 v1, s21, v4
	v_mul_lo_u32 v4, v1, s19
	v_mul_hi_u32 v7, s23, v1
	v_sub_u32_e32 v3, v3, v4
	v_add_u32_e32 v4, v1, v7
	v_lshrrev_b32_e32 v4, s36, v4
	v_mul_hi_u32 v8, s38, v4
	v_mul_lo_u32 v9, v4, s22
	v_mul_lo_u32 v7, v3, s10
	;; [unrolled: 1-line block ×3, first 2 shown]
	v_sub_u32_e32 v9, v1, v9
	v_add_u32_e32 v1, v4, v8
	v_lshrrev_b32_e32 v1, s39, v1
	v_mul_lo_u32 v8, v1, s37
	v_mul_lo_u32 v10, v9, s12
	;; [unrolled: 1-line block ×3, first 2 shown]
	v_add3_u32 v0, v5, v0, v7
	v_sub_u32_e32 v4, v4, v8
	v_mul_lo_u32 v8, v4, s14
	v_mul_lo_u32 v4, v4, s15
	v_add3_u32 v2, v6, v2, v3
	v_add3_u32 v0, v10, v0, v8
	;; [unrolled: 1-line block ×3, first 2 shown]
	s_cbranch_scc0 .LBB5_192
	s_branch .LBB5_212
.LBB5_193:
                                        ; implicit-def: $vgpr0
                                        ; implicit-def: $vgpr2
	s_branch .LBB5_216
.LBB5_194:
	v_mov_b32_e32 v0, 0
	v_mov_b32_e32 v2, 0
	s_branch .LBB5_215
.LBB5_195:
	s_mov_b32 s60, 0
	v_mov_b32_e32 v0, 0
	v_mov_b32_e32 v2, 0
	;; [unrolled: 1-line block ×3, first 2 shown]
.LBB5_196:
	s_and_b32 s12, s61, 3
	s_cmp_eq_u32 s12, 0
	s_cbranch_scc1 .LBB5_199
; %bb.197:
	s_lshl_b32 s8, s60, 3
	s_add_u32 s8, s34, s8
	s_addc_u32 s9, s35, 0
	s_add_u32 s8, s8, 0xc4
	s_addc_u32 s9, s9, 0
	s_mul_i32 s10, s60, 12
	s_add_u32 s10, s34, s10
	s_addc_u32 s11, s35, 0
.LBB5_198:                              ; =>This Inner Loop Header: Depth=1
	s_load_dwordx2 s[14:15], s[10:11], 0x4
	s_load_dword s13, s[10:11], 0xc
	s_load_dwordx2 s[16:17], s[8:9], 0x0
	s_add_u32 s10, s10, 12
	s_addc_u32 s11, s11, 0
	s_waitcnt lgkmcnt(0)
	v_mul_hi_u32 v3, s15, v1
	s_add_u32 s8, s8, 8
	s_addc_u32 s9, s9, 0
	s_add_i32 s12, s12, -1
	v_add_u32_e32 v3, v1, v3
	v_lshrrev_b32_e32 v4, s13, v3
	v_mul_lo_u32 v3, v4, s14
	s_cmp_lg_u32 s12, 0
	v_sub_u32_e32 v3, v1, v3
	v_mad_u64_u32 v[0:1], s[14:15], v3, s16, v[0:1]
	v_mad_u64_u32 v[2:3], s[14:15], v3, s17, v[2:3]
	v_mov_b32_e32 v1, v4
	s_cbranch_scc1 .LBB5_198
.LBB5_199:
	s_cbranch_execnz .LBB5_202
.LBB5_200:
	v_mul_hi_u32 v0, s25, v19
	s_andn2_b64 vcc, exec, s[44:45]
	v_add_u32_e32 v0, v19, v0
	v_lshrrev_b32_e32 v1, s26, v0
	v_mul_lo_u32 v0, v1, s24
	v_sub_u32_e32 v2, v19, v0
	v_mul_lo_u32 v0, v2, s28
	v_mul_lo_u32 v2, v2, s29
	s_cbranch_vccnz .LBB5_202
; %bb.201:
	v_mul_hi_u32 v3, s42, v1
	v_add_u32_e32 v3, v1, v3
	v_lshrrev_b32_e32 v3, s43, v3
	v_mul_lo_u32 v3, v3, s27
	v_sub_u32_e32 v3, v1, v3
	v_mad_u64_u32 v[0:1], s[8:9], v3, s30, v[0:1]
	v_mad_u64_u32 v[2:3], s[8:9], v3, s31, v[2:3]
.LBB5_202:
	global_load_ubyte v1, v2, s[2:3]
	v_add_u32_e32 v19, 0x80, v19
	s_waitcnt vmcnt(0)
	v_lshlrev_b32_e64 v2, v1, s57
	v_cmp_gt_u32_e32 vcc, 8, v1
	v_cndmask_b32_e32 v1, 0, v2, vcc
	global_store_byte v0, v1, s[0:1]
	s_or_b64 exec, exec, s[50:51]
	v_cmp_gt_i32_e32 vcc, s58, v19
	s_and_saveexec_b64 s[50:51], vcc
	s_cbranch_execnz .LBB5_188
.LBB5_203:
	s_or_b64 exec, exec, s[50:51]
	v_cmp_gt_i32_e32 vcc, s58, v19
	s_and_saveexec_b64 s[50:51], vcc
	s_cbranch_execz .LBB5_219
.LBB5_204:
	s_andn2_b64 vcc, exec, s[6:7]
	s_cbranch_vccnz .LBB5_209
; %bb.205:
	s_andn2_b64 vcc, exec, s[48:49]
	s_cbranch_vccnz .LBB5_210
; %bb.206:
	s_add_i32 s61, s59, 1
	s_cmp_eq_u32 s56, 2
	s_cbranch_scc1 .LBB5_222
; %bb.207:
	s_and_b32 s60, s61, 28
	v_mov_b32_e32 v2, 0
	s_mov_b32 s62, 0
	s_mov_b64 s[52:53], s[34:35]
	s_mov_b64 s[54:55], s[46:47]
	v_mov_b32_e32 v0, 0
	v_mov_b32_e32 v1, v19
.LBB5_208:                              ; =>This Inner Loop Header: Depth=1
	s_load_dwordx8 s[16:23], s[52:53], 0x4
	s_load_dwordx4 s[36:39], s[52:53], 0x24
	s_load_dwordx8 s[8:15], s[54:55], 0x0
	s_add_u32 s52, s52, 48
	s_addc_u32 s53, s53, 0
	s_waitcnt lgkmcnt(0)
	v_mul_hi_u32 v3, s17, v1
	s_add_i32 s62, s62, 4
	s_add_u32 s54, s54, 32
	s_addc_u32 s55, s55, 0
	v_add_u32_e32 v3, v1, v3
	v_lshrrev_b32_e32 v3, s18, v3
	v_mul_lo_u32 v4, v3, s16
	v_mul_hi_u32 v5, s20, v3
	s_cmp_eq_u32 s60, s62
	v_sub_u32_e32 v1, v1, v4
	v_add_u32_e32 v4, v3, v5
	v_mul_lo_u32 v5, v1, s8
	v_mul_lo_u32 v6, v1, s9
	v_lshrrev_b32_e32 v1, s21, v4
	v_mul_lo_u32 v4, v1, s19
	v_mul_hi_u32 v7, s23, v1
	v_sub_u32_e32 v3, v3, v4
	v_add_u32_e32 v4, v1, v7
	v_lshrrev_b32_e32 v4, s36, v4
	v_mul_hi_u32 v8, s38, v4
	v_mul_lo_u32 v9, v4, s22
	v_mul_lo_u32 v7, v3, s10
	;; [unrolled: 1-line block ×3, first 2 shown]
	v_sub_u32_e32 v9, v1, v9
	v_add_u32_e32 v1, v4, v8
	v_lshrrev_b32_e32 v1, s39, v1
	v_mul_lo_u32 v8, v1, s37
	v_mul_lo_u32 v10, v9, s12
	;; [unrolled: 1-line block ×3, first 2 shown]
	v_add3_u32 v0, v5, v0, v7
	v_sub_u32_e32 v4, v4, v8
	v_mul_lo_u32 v8, v4, s14
	v_mul_lo_u32 v4, v4, s15
	v_add3_u32 v2, v6, v2, v3
	v_add3_u32 v0, v10, v0, v8
	;; [unrolled: 1-line block ×3, first 2 shown]
	s_cbranch_scc0 .LBB5_208
	s_branch .LBB5_223
.LBB5_209:
                                        ; implicit-def: $vgpr0
                                        ; implicit-def: $vgpr2
	s_branch .LBB5_227
.LBB5_210:
	v_mov_b32_e32 v0, 0
	v_mov_b32_e32 v2, 0
	s_branch .LBB5_226
.LBB5_211:
	s_mov_b32 s60, 0
	v_mov_b32_e32 v0, 0
	v_mov_b32_e32 v2, 0
	;; [unrolled: 1-line block ×3, first 2 shown]
.LBB5_212:
	s_and_b32 s12, s61, 3
	s_cmp_eq_u32 s12, 0
	s_cbranch_scc1 .LBB5_215
; %bb.213:
	s_lshl_b32 s8, s60, 3
	s_add_u32 s8, s34, s8
	s_addc_u32 s9, s35, 0
	s_add_u32 s8, s8, 0xc4
	s_addc_u32 s9, s9, 0
	s_mul_i32 s10, s60, 12
	s_add_u32 s10, s34, s10
	s_addc_u32 s11, s35, 0
.LBB5_214:                              ; =>This Inner Loop Header: Depth=1
	s_load_dwordx2 s[14:15], s[10:11], 0x4
	s_load_dword s13, s[10:11], 0xc
	s_load_dwordx2 s[16:17], s[8:9], 0x0
	s_add_u32 s10, s10, 12
	s_addc_u32 s11, s11, 0
	s_waitcnt lgkmcnt(0)
	v_mul_hi_u32 v3, s15, v1
	s_add_u32 s8, s8, 8
	s_addc_u32 s9, s9, 0
	s_add_i32 s12, s12, -1
	v_add_u32_e32 v3, v1, v3
	v_lshrrev_b32_e32 v4, s13, v3
	v_mul_lo_u32 v3, v4, s14
	s_cmp_lg_u32 s12, 0
	v_sub_u32_e32 v3, v1, v3
	v_mad_u64_u32 v[0:1], s[14:15], v3, s16, v[0:1]
	v_mad_u64_u32 v[2:3], s[14:15], v3, s17, v[2:3]
	v_mov_b32_e32 v1, v4
	s_cbranch_scc1 .LBB5_214
.LBB5_215:
	s_cbranch_execnz .LBB5_218
.LBB5_216:
	v_mul_hi_u32 v0, s25, v19
	s_andn2_b64 vcc, exec, s[44:45]
	v_add_u32_e32 v0, v19, v0
	v_lshrrev_b32_e32 v1, s26, v0
	v_mul_lo_u32 v0, v1, s24
	v_sub_u32_e32 v2, v19, v0
	v_mul_lo_u32 v0, v2, s28
	v_mul_lo_u32 v2, v2, s29
	s_cbranch_vccnz .LBB5_218
; %bb.217:
	v_mul_hi_u32 v3, s42, v1
	v_add_u32_e32 v3, v1, v3
	v_lshrrev_b32_e32 v3, s43, v3
	v_mul_lo_u32 v3, v3, s27
	v_sub_u32_e32 v3, v1, v3
	v_mad_u64_u32 v[0:1], s[8:9], v3, s30, v[0:1]
	v_mad_u64_u32 v[2:3], s[8:9], v3, s31, v[2:3]
.LBB5_218:
	global_load_ubyte v1, v2, s[2:3]
	v_add_u32_e32 v19, 0x80, v19
	s_waitcnt vmcnt(0)
	v_lshlrev_b32_e64 v2, v1, s57
	v_cmp_gt_u32_e32 vcc, 8, v1
	v_cndmask_b32_e32 v1, 0, v2, vcc
	global_store_byte v0, v1, s[0:1]
	s_or_b64 exec, exec, s[50:51]
	v_cmp_gt_i32_e32 vcc, s58, v19
	s_and_saveexec_b64 s[50:51], vcc
	s_cbranch_execnz .LBB5_204
.LBB5_219:
	s_or_b64 exec, exec, s[50:51]
	v_cmp_gt_i32_e32 vcc, s58, v19
	s_and_saveexec_b64 s[50:51], vcc
	s_cbranch_execnz .LBB5_230
.LBB5_220:
	s_or_b64 exec, exec, s[50:51]
                                        ; implicit-def: $vgpr25
                                        ; implicit-def: $vgpr19
	s_andn2_saveexec_b64 s[0:1], s[40:41]
	s_cbranch_execnz .LBB5_8
.LBB5_221:
	s_endpgm
.LBB5_222:
	s_mov_b32 s60, 0
	v_mov_b32_e32 v0, 0
	v_mov_b32_e32 v2, 0
	;; [unrolled: 1-line block ×3, first 2 shown]
.LBB5_223:
	s_and_b32 s12, s61, 3
	s_cmp_eq_u32 s12, 0
	s_cbranch_scc1 .LBB5_226
; %bb.224:
	s_lshl_b32 s8, s60, 3
	s_add_u32 s8, s34, s8
	s_addc_u32 s9, s35, 0
	s_add_u32 s8, s8, 0xc4
	s_addc_u32 s9, s9, 0
	s_mul_i32 s10, s60, 12
	s_add_u32 s10, s34, s10
	s_addc_u32 s11, s35, 0
.LBB5_225:                              ; =>This Inner Loop Header: Depth=1
	s_load_dwordx2 s[14:15], s[10:11], 0x4
	s_load_dword s13, s[10:11], 0xc
	s_load_dwordx2 s[16:17], s[8:9], 0x0
	s_add_u32 s10, s10, 12
	s_addc_u32 s11, s11, 0
	s_waitcnt lgkmcnt(0)
	v_mul_hi_u32 v3, s15, v1
	s_add_u32 s8, s8, 8
	s_addc_u32 s9, s9, 0
	s_add_i32 s12, s12, -1
	v_add_u32_e32 v3, v1, v3
	v_lshrrev_b32_e32 v4, s13, v3
	v_mul_lo_u32 v3, v4, s14
	s_cmp_lg_u32 s12, 0
	v_sub_u32_e32 v3, v1, v3
	v_mad_u64_u32 v[0:1], s[14:15], v3, s16, v[0:1]
	v_mad_u64_u32 v[2:3], s[14:15], v3, s17, v[2:3]
	v_mov_b32_e32 v1, v4
	s_cbranch_scc1 .LBB5_225
.LBB5_226:
	s_cbranch_execnz .LBB5_229
.LBB5_227:
	v_mul_hi_u32 v0, s25, v19
	s_andn2_b64 vcc, exec, s[44:45]
	v_add_u32_e32 v0, v19, v0
	v_lshrrev_b32_e32 v1, s26, v0
	v_mul_lo_u32 v0, v1, s24
	v_sub_u32_e32 v2, v19, v0
	v_mul_lo_u32 v0, v2, s28
	v_mul_lo_u32 v2, v2, s29
	s_cbranch_vccnz .LBB5_229
; %bb.228:
	v_mul_hi_u32 v3, s42, v1
	v_add_u32_e32 v3, v1, v3
	v_lshrrev_b32_e32 v3, s43, v3
	v_mul_lo_u32 v3, v3, s27
	v_sub_u32_e32 v3, v1, v3
	v_mad_u64_u32 v[0:1], s[8:9], v3, s30, v[0:1]
	v_mad_u64_u32 v[2:3], s[8:9], v3, s31, v[2:3]
.LBB5_229:
	global_load_ubyte v1, v2, s[2:3]
	v_add_u32_e32 v19, 0x80, v19
	s_waitcnt vmcnt(0)
	v_lshlrev_b32_e64 v2, v1, s57
	v_cmp_gt_u32_e32 vcc, 8, v1
	v_cndmask_b32_e32 v1, 0, v2, vcc
	global_store_byte v0, v1, s[0:1]
	s_or_b64 exec, exec, s[50:51]
	v_cmp_gt_i32_e32 vcc, s58, v19
	s_and_saveexec_b64 s[50:51], vcc
	s_cbranch_execz .LBB5_220
.LBB5_230:
	s_andn2_b64 vcc, exec, s[6:7]
	s_cbranch_vccnz .LBB5_235
; %bb.231:
	s_andn2_b64 vcc, exec, s[48:49]
	s_cbranch_vccnz .LBB5_236
; %bb.232:
	s_add_i32 s59, s59, 1
	s_cmp_eq_u32 s56, 2
	s_cbranch_scc1 .LBB5_237
; %bb.233:
	s_and_b32 s52, s59, 28
	v_mov_b32_e32 v2, 0
	s_mov_b32 s53, 0
	s_mov_b64 s[48:49], s[34:35]
	v_mov_b32_e32 v0, 0
	v_mov_b32_e32 v1, v19
.LBB5_234:                              ; =>This Inner Loop Header: Depth=1
	s_load_dwordx8 s[16:23], s[48:49], 0x4
	s_load_dwordx4 s[36:39], s[48:49], 0x24
	s_load_dwordx8 s[8:15], s[46:47], 0x0
	s_add_u32 s48, s48, 48
	s_addc_u32 s49, s49, 0
	s_waitcnt lgkmcnt(0)
	v_mul_hi_u32 v3, s17, v1
	s_add_i32 s53, s53, 4
	s_add_u32 s46, s46, 32
	s_addc_u32 s47, s47, 0
	v_add_u32_e32 v3, v1, v3
	v_lshrrev_b32_e32 v3, s18, v3
	v_mul_lo_u32 v4, v3, s16
	v_mul_hi_u32 v5, s20, v3
	s_cmp_eq_u32 s52, s53
	v_sub_u32_e32 v1, v1, v4
	v_add_u32_e32 v4, v3, v5
	v_mul_lo_u32 v5, v1, s8
	v_mul_lo_u32 v6, v1, s9
	v_lshrrev_b32_e32 v1, s21, v4
	v_mul_lo_u32 v4, v1, s19
	v_mul_hi_u32 v7, s23, v1
	v_sub_u32_e32 v3, v3, v4
	v_add_u32_e32 v4, v1, v7
	v_lshrrev_b32_e32 v4, s36, v4
	v_mul_hi_u32 v8, s38, v4
	v_mul_lo_u32 v9, v4, s22
	v_mul_lo_u32 v7, v3, s10
	v_mul_lo_u32 v3, v3, s11
	v_sub_u32_e32 v9, v1, v9
	v_add_u32_e32 v1, v4, v8
	v_lshrrev_b32_e32 v1, s39, v1
	v_mul_lo_u32 v8, v1, s37
	v_mul_lo_u32 v10, v9, s12
	;; [unrolled: 1-line block ×3, first 2 shown]
	v_add3_u32 v0, v5, v0, v7
	v_sub_u32_e32 v4, v4, v8
	v_mul_lo_u32 v8, v4, s14
	v_mul_lo_u32 v4, v4, s15
	v_add3_u32 v2, v6, v2, v3
	v_add3_u32 v0, v10, v0, v8
	;; [unrolled: 1-line block ×3, first 2 shown]
	s_cbranch_scc0 .LBB5_234
	s_branch .LBB5_238
.LBB5_235:
                                        ; implicit-def: $vgpr0
                                        ; implicit-def: $vgpr2
	s_branch .LBB5_242
.LBB5_236:
	v_mov_b32_e32 v0, 0
	v_mov_b32_e32 v2, 0
	s_branch .LBB5_241
.LBB5_237:
	s_mov_b32 s52, 0
	v_mov_b32_e32 v0, 0
	v_mov_b32_e32 v2, 0
	;; [unrolled: 1-line block ×3, first 2 shown]
.LBB5_238:
	s_and_b32 s12, s59, 3
	s_cmp_eq_u32 s12, 0
	s_cbranch_scc1 .LBB5_241
; %bb.239:
	s_lshl_b32 s8, s52, 3
	s_add_u32 s8, s34, s8
	s_addc_u32 s9, s35, 0
	s_add_u32 s8, s8, 0xc4
	s_addc_u32 s9, s9, 0
	s_mul_i32 s10, s52, 12
	s_add_u32 s10, s34, s10
	s_addc_u32 s11, s35, 0
.LBB5_240:                              ; =>This Inner Loop Header: Depth=1
	s_load_dwordx2 s[14:15], s[10:11], 0x4
	s_load_dword s13, s[10:11], 0xc
	s_load_dwordx2 s[16:17], s[8:9], 0x0
	s_add_u32 s10, s10, 12
	s_addc_u32 s11, s11, 0
	s_waitcnt lgkmcnt(0)
	v_mul_hi_u32 v3, s15, v1
	s_add_u32 s8, s8, 8
	s_addc_u32 s9, s9, 0
	s_add_i32 s12, s12, -1
	v_add_u32_e32 v3, v1, v3
	v_lshrrev_b32_e32 v4, s13, v3
	v_mul_lo_u32 v3, v4, s14
	s_cmp_lg_u32 s12, 0
	v_sub_u32_e32 v3, v1, v3
	v_mad_u64_u32 v[0:1], s[14:15], v3, s16, v[0:1]
	v_mad_u64_u32 v[2:3], s[14:15], v3, s17, v[2:3]
	v_mov_b32_e32 v1, v4
	s_cbranch_scc1 .LBB5_240
.LBB5_241:
	s_cbranch_execnz .LBB5_244
.LBB5_242:
	v_mul_hi_u32 v0, s25, v19
	s_andn2_b64 vcc, exec, s[44:45]
	v_add_u32_e32 v0, v19, v0
	v_lshrrev_b32_e32 v1, s26, v0
	v_mul_lo_u32 v0, v1, s24
	v_sub_u32_e32 v2, v19, v0
	v_mul_lo_u32 v0, v2, s28
	v_mul_lo_u32 v2, v2, s29
	s_cbranch_vccnz .LBB5_244
; %bb.243:
	v_mul_hi_u32 v3, s42, v1
	v_add_u32_e32 v3, v1, v3
	v_lshrrev_b32_e32 v3, s43, v3
	v_mul_lo_u32 v3, v3, s27
	v_sub_u32_e32 v3, v1, v3
	v_mad_u64_u32 v[0:1], s[8:9], v3, s30, v[0:1]
	v_mad_u64_u32 v[2:3], s[8:9], v3, s31, v[2:3]
.LBB5_244:
	global_load_ubyte v1, v2, s[2:3]
	s_waitcnt vmcnt(0)
	v_lshlrev_b32_e64 v2, v1, s57
	v_cmp_gt_u32_e32 vcc, 8, v1
	v_cndmask_b32_e32 v1, 0, v2, vcc
	global_store_byte v0, v1, s[0:1]
	s_or_b64 exec, exec, s[50:51]
                                        ; implicit-def: $vgpr25
                                        ; implicit-def: $vgpr19
	s_andn2_saveexec_b64 s[0:1], s[40:41]
	s_cbranch_execz .LBB5_221
	s_branch .LBB5_8
	.section	.rodata,"a",@progbits
	.p2align	6, 0x0
	.amdhsa_kernel _ZN2at6native32elementwise_kernel_manual_unrollILi128ELi8EZNS0_22gpu_kernel_impl_nocastINS0_13AUnaryFunctorIhhhZZZNS0_18lshift_kernel_cudaERNS_18TensorIteratorBaseEENKUlvE_clEvENKUlvE_clEvEUlhhE_EEEEvS5_RKT_EUlibE_EEviT1_
		.amdhsa_group_segment_fixed_size 0
		.amdhsa_private_segment_fixed_size 0
		.amdhsa_kernarg_size 360
		.amdhsa_user_sgpr_count 6
		.amdhsa_user_sgpr_private_segment_buffer 1
		.amdhsa_user_sgpr_dispatch_ptr 0
		.amdhsa_user_sgpr_queue_ptr 0
		.amdhsa_user_sgpr_kernarg_segment_ptr 1
		.amdhsa_user_sgpr_dispatch_id 0
		.amdhsa_user_sgpr_flat_scratch_init 0
		.amdhsa_user_sgpr_private_segment_size 0
		.amdhsa_uses_dynamic_stack 0
		.amdhsa_system_sgpr_private_segment_wavefront_offset 0
		.amdhsa_system_sgpr_workgroup_id_x 1
		.amdhsa_system_sgpr_workgroup_id_y 0
		.amdhsa_system_sgpr_workgroup_id_z 0
		.amdhsa_system_sgpr_workgroup_info 0
		.amdhsa_system_vgpr_workitem_id 0
		.amdhsa_next_free_vgpr 26
		.amdhsa_next_free_sgpr 63
		.amdhsa_reserve_vcc 1
		.amdhsa_reserve_flat_scratch 0
		.amdhsa_float_round_mode_32 0
		.amdhsa_float_round_mode_16_64 0
		.amdhsa_float_denorm_mode_32 3
		.amdhsa_float_denorm_mode_16_64 3
		.amdhsa_dx10_clamp 1
		.amdhsa_ieee_mode 1
		.amdhsa_fp16_overflow 0
		.amdhsa_exception_fp_ieee_invalid_op 0
		.amdhsa_exception_fp_denorm_src 0
		.amdhsa_exception_fp_ieee_div_zero 0
		.amdhsa_exception_fp_ieee_overflow 0
		.amdhsa_exception_fp_ieee_underflow 0
		.amdhsa_exception_fp_ieee_inexact 0
		.amdhsa_exception_int_div_zero 0
	.end_amdhsa_kernel
	.section	.text._ZN2at6native32elementwise_kernel_manual_unrollILi128ELi8EZNS0_22gpu_kernel_impl_nocastINS0_13AUnaryFunctorIhhhZZZNS0_18lshift_kernel_cudaERNS_18TensorIteratorBaseEENKUlvE_clEvENKUlvE_clEvEUlhhE_EEEEvS5_RKT_EUlibE_EEviT1_,"axG",@progbits,_ZN2at6native32elementwise_kernel_manual_unrollILi128ELi8EZNS0_22gpu_kernel_impl_nocastINS0_13AUnaryFunctorIhhhZZZNS0_18lshift_kernel_cudaERNS_18TensorIteratorBaseEENKUlvE_clEvENKUlvE_clEvEUlhhE_EEEEvS5_RKT_EUlibE_EEviT1_,comdat
.Lfunc_end5:
	.size	_ZN2at6native32elementwise_kernel_manual_unrollILi128ELi8EZNS0_22gpu_kernel_impl_nocastINS0_13AUnaryFunctorIhhhZZZNS0_18lshift_kernel_cudaERNS_18TensorIteratorBaseEENKUlvE_clEvENKUlvE_clEvEUlhhE_EEEEvS5_RKT_EUlibE_EEviT1_, .Lfunc_end5-_ZN2at6native32elementwise_kernel_manual_unrollILi128ELi8EZNS0_22gpu_kernel_impl_nocastINS0_13AUnaryFunctorIhhhZZZNS0_18lshift_kernel_cudaERNS_18TensorIteratorBaseEENKUlvE_clEvENKUlvE_clEvEUlhhE_EEEEvS5_RKT_EUlibE_EEviT1_
                                        ; -- End function
	.set _ZN2at6native32elementwise_kernel_manual_unrollILi128ELi8EZNS0_22gpu_kernel_impl_nocastINS0_13AUnaryFunctorIhhhZZZNS0_18lshift_kernel_cudaERNS_18TensorIteratorBaseEENKUlvE_clEvENKUlvE_clEvEUlhhE_EEEEvS5_RKT_EUlibE_EEviT1_.num_vgpr, 26
	.set _ZN2at6native32elementwise_kernel_manual_unrollILi128ELi8EZNS0_22gpu_kernel_impl_nocastINS0_13AUnaryFunctorIhhhZZZNS0_18lshift_kernel_cudaERNS_18TensorIteratorBaseEENKUlvE_clEvENKUlvE_clEvEUlhhE_EEEEvS5_RKT_EUlibE_EEviT1_.num_agpr, 0
	.set _ZN2at6native32elementwise_kernel_manual_unrollILi128ELi8EZNS0_22gpu_kernel_impl_nocastINS0_13AUnaryFunctorIhhhZZZNS0_18lshift_kernel_cudaERNS_18TensorIteratorBaseEENKUlvE_clEvENKUlvE_clEvEUlhhE_EEEEvS5_RKT_EUlibE_EEviT1_.numbered_sgpr, 63
	.set _ZN2at6native32elementwise_kernel_manual_unrollILi128ELi8EZNS0_22gpu_kernel_impl_nocastINS0_13AUnaryFunctorIhhhZZZNS0_18lshift_kernel_cudaERNS_18TensorIteratorBaseEENKUlvE_clEvENKUlvE_clEvEUlhhE_EEEEvS5_RKT_EUlibE_EEviT1_.num_named_barrier, 0
	.set _ZN2at6native32elementwise_kernel_manual_unrollILi128ELi8EZNS0_22gpu_kernel_impl_nocastINS0_13AUnaryFunctorIhhhZZZNS0_18lshift_kernel_cudaERNS_18TensorIteratorBaseEENKUlvE_clEvENKUlvE_clEvEUlhhE_EEEEvS5_RKT_EUlibE_EEviT1_.private_seg_size, 0
	.set _ZN2at6native32elementwise_kernel_manual_unrollILi128ELi8EZNS0_22gpu_kernel_impl_nocastINS0_13AUnaryFunctorIhhhZZZNS0_18lshift_kernel_cudaERNS_18TensorIteratorBaseEENKUlvE_clEvENKUlvE_clEvEUlhhE_EEEEvS5_RKT_EUlibE_EEviT1_.uses_vcc, 1
	.set _ZN2at6native32elementwise_kernel_manual_unrollILi128ELi8EZNS0_22gpu_kernel_impl_nocastINS0_13AUnaryFunctorIhhhZZZNS0_18lshift_kernel_cudaERNS_18TensorIteratorBaseEENKUlvE_clEvENKUlvE_clEvEUlhhE_EEEEvS5_RKT_EUlibE_EEviT1_.uses_flat_scratch, 0
	.set _ZN2at6native32elementwise_kernel_manual_unrollILi128ELi8EZNS0_22gpu_kernel_impl_nocastINS0_13AUnaryFunctorIhhhZZZNS0_18lshift_kernel_cudaERNS_18TensorIteratorBaseEENKUlvE_clEvENKUlvE_clEvEUlhhE_EEEEvS5_RKT_EUlibE_EEviT1_.has_dyn_sized_stack, 0
	.set _ZN2at6native32elementwise_kernel_manual_unrollILi128ELi8EZNS0_22gpu_kernel_impl_nocastINS0_13AUnaryFunctorIhhhZZZNS0_18lshift_kernel_cudaERNS_18TensorIteratorBaseEENKUlvE_clEvENKUlvE_clEvEUlhhE_EEEEvS5_RKT_EUlibE_EEviT1_.has_recursion, 0
	.set _ZN2at6native32elementwise_kernel_manual_unrollILi128ELi8EZNS0_22gpu_kernel_impl_nocastINS0_13AUnaryFunctorIhhhZZZNS0_18lshift_kernel_cudaERNS_18TensorIteratorBaseEENKUlvE_clEvENKUlvE_clEvEUlhhE_EEEEvS5_RKT_EUlibE_EEviT1_.has_indirect_call, 0
	.section	.AMDGPU.csdata,"",@progbits
; Kernel info:
; codeLenInByte = 11448
; TotalNumSgprs: 67
; NumVgprs: 26
; ScratchSize: 0
; MemoryBound: 0
; FloatMode: 240
; IeeeMode: 1
; LDSByteSize: 0 bytes/workgroup (compile time only)
; SGPRBlocks: 8
; VGPRBlocks: 6
; NumSGPRsForWavesPerEU: 67
; NumVGPRsForWavesPerEU: 26
; Occupancy: 9
; WaveLimiterHint : 1
; COMPUTE_PGM_RSRC2:SCRATCH_EN: 0
; COMPUTE_PGM_RSRC2:USER_SGPR: 6
; COMPUTE_PGM_RSRC2:TRAP_HANDLER: 0
; COMPUTE_PGM_RSRC2:TGID_X_EN: 1
; COMPUTE_PGM_RSRC2:TGID_Y_EN: 0
; COMPUTE_PGM_RSRC2:TGID_Z_EN: 0
; COMPUTE_PGM_RSRC2:TIDIG_COMP_CNT: 0
	.section	.text._ZN2at6native32elementwise_kernel_manual_unrollILi128ELi4EZNS0_15gpu_kernel_implINS0_13AUnaryFunctorIhhhZZZNS0_18lshift_kernel_cudaERNS_18TensorIteratorBaseEENKUlvE_clEvENKUlvE_clEvEUlhhE_EEEEvS5_RKT_EUlibE_EEviT1_,"axG",@progbits,_ZN2at6native32elementwise_kernel_manual_unrollILi128ELi4EZNS0_15gpu_kernel_implINS0_13AUnaryFunctorIhhhZZZNS0_18lshift_kernel_cudaERNS_18TensorIteratorBaseEENKUlvE_clEvENKUlvE_clEvEUlhhE_EEEEvS5_RKT_EUlibE_EEviT1_,comdat
	.globl	_ZN2at6native32elementwise_kernel_manual_unrollILi128ELi4EZNS0_15gpu_kernel_implINS0_13AUnaryFunctorIhhhZZZNS0_18lshift_kernel_cudaERNS_18TensorIteratorBaseEENKUlvE_clEvENKUlvE_clEvEUlhhE_EEEEvS5_RKT_EUlibE_EEviT1_ ; -- Begin function _ZN2at6native32elementwise_kernel_manual_unrollILi128ELi4EZNS0_15gpu_kernel_implINS0_13AUnaryFunctorIhhhZZZNS0_18lshift_kernel_cudaERNS_18TensorIteratorBaseEENKUlvE_clEvENKUlvE_clEvEUlhhE_EEEEvS5_RKT_EUlibE_EEviT1_
	.p2align	8
	.type	_ZN2at6native32elementwise_kernel_manual_unrollILi128ELi4EZNS0_15gpu_kernel_implINS0_13AUnaryFunctorIhhhZZZNS0_18lshift_kernel_cudaERNS_18TensorIteratorBaseEENKUlvE_clEvENKUlvE_clEvEUlhhE_EEEEvS5_RKT_EUlibE_EEviT1_,@function
_ZN2at6native32elementwise_kernel_manual_unrollILi128ELi4EZNS0_15gpu_kernel_implINS0_13AUnaryFunctorIhhhZZZNS0_18lshift_kernel_cudaERNS_18TensorIteratorBaseEENKUlvE_clEvENKUlvE_clEvEUlhhE_EEEEvS5_RKT_EUlibE_EEviT1_: ; @_ZN2at6native32elementwise_kernel_manual_unrollILi128ELi4EZNS0_15gpu_kernel_implINS0_13AUnaryFunctorIhhhZZZNS0_18lshift_kernel_cudaERNS_18TensorIteratorBaseEENKUlvE_clEvENKUlvE_clEvEUlhhE_EEEEvS5_RKT_EUlibE_EEviT1_
; %bb.0:
	v_mov_b32_e32 v1, 0
	global_load_ushort v7, v1, s[4:5] offset:33
	global_load_sbyte v2, v1, s[4:5] offset:35
	s_load_dwordx2 s[2:3], s[4:5], 0x18
	s_load_dword s38, s[4:5], 0x0
	s_load_dwordx4 s[8:11], s[4:5], 0x8
	v_lshl_or_b32 v8, s6, 9, v0
	v_or_b32_e32 v0, 0x180, v8
	s_mov_b64 s[12:13], 0
	s_waitcnt lgkmcnt(0)
	v_cmp_le_i32_e32 vcc, s38, v0
	s_mov_b64 s[6:7], 0
	s_waitcnt vmcnt(1)
	v_readfirstlane_b32 s0, v7
	s_waitcnt vmcnt(0)
	v_readfirstlane_b32 s42, v2
	s_lshr_b32 s33, s0, 8
	s_and_saveexec_b64 s[0:1], vcc
	s_xor_b64 s[4:5], exec, s[0:1]
	s_cbranch_execz .LBB6_1011
; %bb.1:
	v_cmp_gt_i32_e32 vcc, s38, v8
	s_mov_b64 s[18:19], -1
	s_mov_b64 s[20:21], 0
	s_mov_b64 s[14:15], 0
	s_and_saveexec_b64 s[16:17], vcc
	s_cbranch_execz .LBB6_248
; %bb.2:
	v_mul_lo_u32 v0, v8, s3
	v_mov_b32_e32 v1, s11
	s_and_b32 s18, s42, 0xff
	s_cmp_lt_i32 s18, 11
	v_ashrrev_i32_e32 v2, 31, v0
	v_add_co_u32_e32 v0, vcc, s10, v0
	v_addc_co_u32_e32 v1, vcc, v1, v2, vcc
	s_cbranch_scc1 .LBB6_9
; %bb.3:
	s_and_b32 s19, 0xffff, s18
	s_cmp_gt_i32 s19, 25
	s_cbranch_scc0 .LBB6_18
; %bb.4:
	s_cmp_gt_i32 s19, 28
	s_cbranch_scc0 .LBB6_22
; %bb.5:
	s_cmp_gt_i32 s19, 43
	s_cbranch_scc0 .LBB6_24
; %bb.6:
	s_cmp_gt_i32 s19, 45
	s_cbranch_scc0 .LBB6_26
; %bb.7:
	s_cmp_eq_u32 s19, 46
	s_cbranch_scc0 .LBB6_28
; %bb.8:
	global_load_dword v2, v[0:1], off
	s_mov_b32 s0, 0x2f800000
	s_mov_b32 s1, 0xcf800000
	s_waitcnt vmcnt(0)
	v_lshlrev_b32_e32 v2, 16, v2
	v_trunc_f32_e32 v2, v2
	v_mul_f32_e64 v3, |v2|, s0
	v_floor_f32_e32 v3, v3
	v_fma_f32 v3, v3, s1, |v2|
	v_cvt_u32_f32_e32 v3, v3
	v_ashrrev_i32_e32 v2, 31, v2
	s_mov_b64 s[0:1], -1
	v_xor_b32_e32 v3, v3, v2
	v_sub_u32_e32 v2, v3, v2
	s_branch .LBB6_30
.LBB6_9:
                                        ; implicit-def: $vgpr2
	s_mov_b64 s[0:1], 0
	s_cbranch_execnz .LBB6_199
.LBB6_10:
	s_andn2_b64 vcc, exec, s[0:1]
	s_cbranch_vccnz .LBB6_246
.LBB6_11:
	v_mul_lo_u32 v1, v8, s2
	s_waitcnt vmcnt(0)
	v_mov_b32_e32 v3, 8
	v_lshlrev_b32_sdwa v0, v2, v7 dst_sel:DWORD dst_unused:UNUSED_PAD src0_sel:DWORD src1_sel:BYTE_0
	v_cmp_lt_u16_sdwa vcc, v2, v3 src0_sel:BYTE_0 src1_sel:DWORD
	v_cndmask_b32_e32 v2, 0, v0, vcc
	v_ashrrev_i32_e32 v3, 31, v1
	v_mov_b32_e32 v4, s9
	s_and_b32 s24, s33, 0xff
	v_add_co_u32_e32 v0, vcc, s8, v1
	s_cmp_lt_i32 s24, 11
	v_addc_co_u32_e32 v1, vcc, v4, v3, vcc
	s_cbranch_scc1 .LBB6_19
; %bb.12:
	s_and_b32 s25, 0xffff, s24
	s_cmp_gt_i32 s25, 25
	s_cbranch_scc0 .LBB6_23
; %bb.13:
	s_cmp_gt_i32 s25, 28
	s_cbranch_scc0 .LBB6_25
; %bb.14:
	;; [unrolled: 3-line block ×4, first 2 shown]
	s_mov_b64 s[18:19], 0
	s_mov_b64 s[0:1], -1
	s_cmp_eq_u32 s25, 46
	s_mov_b64 s[6:7], 0
	s_cbranch_scc0 .LBB6_34
; %bb.17:
	v_cvt_f32_ubyte0_e32 v3, v2
	v_bfe_u32 v4, v3, 16, 1
	s_movk_i32 s0, 0x7fff
	v_add3_u32 v3, v3, v4, s0
	v_lshrrev_b32_e32 v3, 16, v3
	global_store_dword v[0:1], v3, off
	s_mov_b64 s[6:7], -1
	s_mov_b64 s[0:1], 0
	s_branch .LBB6_34
.LBB6_18:
	s_mov_b64 s[0:1], 0
                                        ; implicit-def: $vgpr2
	s_cbranch_execnz .LBB6_166
	s_branch .LBB6_198
.LBB6_19:
	s_mov_b64 s[0:1], 0
	s_mov_b64 s[6:7], 0
	s_cbranch_execnz .LBB6_103
.LBB6_20:
	s_andn2_b64 vcc, exec, s[6:7]
	s_cbranch_vccnz .LBB6_141
.LBB6_21:
	v_add_u32_e32 v8, 0x80, v8
	s_mov_b64 s[18:19], -1
	s_branch .LBB6_247
.LBB6_22:
	s_mov_b64 s[6:7], -1
	s_mov_b64 s[0:1], 0
                                        ; implicit-def: $vgpr2
	s_branch .LBB6_149
.LBB6_23:
	s_mov_b64 s[18:19], -1
	s_mov_b64 s[0:1], 0
	s_mov_b64 s[6:7], 0
	s_branch .LBB6_61
.LBB6_24:
	s_mov_b64 s[6:7], -1
	s_mov_b64 s[0:1], 0
                                        ; implicit-def: $vgpr2
	s_branch .LBB6_144
.LBB6_25:
	s_mov_b64 s[18:19], -1
	s_mov_b64 s[0:1], 0
	s_mov_b64 s[6:7], 0
	s_branch .LBB6_44
.LBB6_26:
	s_mov_b64 s[6:7], -1
	s_branch .LBB6_29
.LBB6_27:
	s_mov_b64 s[18:19], -1
	s_mov_b64 s[0:1], 0
	s_mov_b64 s[6:7], 0
	s_branch .LBB6_40
.LBB6_28:
	s_mov_b64 s[14:15], -1
.LBB6_29:
	s_mov_b64 s[0:1], 0
                                        ; implicit-def: $vgpr2
.LBB6_30:
	s_and_b64 vcc, exec, s[6:7]
	s_cbranch_vccz .LBB6_143
; %bb.31:
	s_cmp_eq_u32 s19, 44
	s_cbranch_scc0 .LBB6_142
; %bb.32:
	global_load_ubyte v2, v[0:1], off
	s_mov_b32 s0, 0x2f800000
	s_mov_b32 s1, 0xcf800000
	s_mov_b64 s[14:15], 0
	s_waitcnt vmcnt(0)
	v_lshlrev_b32_e32 v3, 23, v2
	v_trunc_f32_e32 v3, v3
	v_mul_f32_e64 v4, |v3|, s0
	v_floor_f32_e32 v4, v4
	v_fma_f32 v4, v4, s1, |v3|
	v_cvt_u32_f32_e32 v4, v4
	v_ashrrev_i32_e32 v3, 31, v3
	v_cmp_ne_u32_e32 vcc, 0, v2
	s_mov_b64 s[0:1], -1
	v_xor_b32_e32 v4, v4, v3
	v_sub_u32_e32 v3, v4, v3
	v_cndmask_b32_e32 v2, 0, v3, vcc
	s_branch .LBB6_143
.LBB6_33:
	s_mov_b64 s[18:19], -1
	s_mov_b64 s[0:1], 0
	s_mov_b64 s[6:7], 0
.LBB6_34:
	s_and_b64 vcc, exec, s[18:19]
	s_cbranch_vccz .LBB6_39
; %bb.35:
	s_cmp_eq_u32 s25, 44
	s_mov_b64 s[0:1], -1
	s_cbranch_scc0 .LBB6_39
; %bb.36:
	v_cvt_f32_ubyte0_e32 v4, v2
	v_lshrrev_b32_e32 v3, 23, v4
	s_movk_i32 s0, 0xff
	v_cmp_ne_u32_e32 vcc, s0, v3
	v_mov_b32_e32 v5, 0xff
	s_and_saveexec_b64 s[6:7], vcc
; %bb.37:
	s_mov_b32 s0, 0x3fffff
	v_and_b32_e32 v5, 0x400000, v4
	v_and_or_b32 v4, v4, s0, v3
	v_cmp_ne_u32_e32 vcc, 0, v5
	v_cmp_ne_u32_e64 s[0:1], 0, v4
	s_and_b64 s[0:1], vcc, s[0:1]
	v_cndmask_b32_e64 v4, 0, 1, s[0:1]
	v_add_u32_e32 v5, v3, v4
; %bb.38:
	s_or_b64 exec, exec, s[6:7]
	s_mov_b64 s[6:7], -1
	s_mov_b64 s[0:1], 0
	global_store_byte v[0:1], v5, off
.LBB6_39:
	s_mov_b64 s[18:19], 0
.LBB6_40:
	s_and_b64 vcc, exec, s[18:19]
	s_cbranch_vccz .LBB6_43
; %bb.41:
	s_cmp_eq_u32 s25, 29
	s_mov_b64 s[0:1], -1
	s_cbranch_scc0 .LBB6_43
; %bb.42:
	v_and_b32_e32 v3, 0xff, v2
	v_mov_b32_e32 v4, 0
	global_store_dwordx2 v[0:1], v[3:4], off
	s_mov_b64 s[6:7], -1
	s_mov_b64 s[0:1], 0
.LBB6_43:
	s_mov_b64 s[18:19], 0
.LBB6_44:
	s_and_b64 vcc, exec, s[18:19]
	s_cbranch_vccz .LBB6_60
; %bb.45:
	s_cmp_lt_i32 s25, 27
	s_mov_b64 s[6:7], -1
	s_cbranch_scc1 .LBB6_51
; %bb.46:
	s_cmp_gt_i32 s25, 27
	s_cbranch_scc0 .LBB6_48
; %bb.47:
	v_and_b32_e32 v3, 0xff, v2
	s_mov_b64 s[6:7], 0
	global_store_dword v[0:1], v3, off
.LBB6_48:
	s_andn2_b64 vcc, exec, s[6:7]
	s_cbranch_vccnz .LBB6_50
; %bb.49:
	v_and_b32_e32 v3, 0xff, v2
	global_store_short v[0:1], v3, off
.LBB6_50:
	s_mov_b64 s[6:7], 0
.LBB6_51:
	s_andn2_b64 vcc, exec, s[6:7]
	s_cbranch_vccnz .LBB6_59
; %bb.52:
	v_cvt_f32_ubyte0_e32 v4, v2
	s_mov_b32 s6, 0x43800000
	v_cmp_gt_u32_e32 vcc, s6, v4
	v_mov_b32_e32 v5, 0x80
	s_and_saveexec_b64 s[6:7], vcc
	s_cbranch_execz .LBB6_58
; %bb.53:
	s_mov_b32 s18, 0x3bffffff
	v_cmp_lt_u32_e32 vcc, s18, v4
	s_mov_b64 s[18:19], 0
                                        ; implicit-def: $vgpr3
	s_and_saveexec_b64 s[22:23], vcc
	s_xor_b64 s[22:23], exec, s[22:23]
	s_cbranch_execz .LBB6_275
; %bb.54:
	v_bfe_u32 v3, v4, 20, 1
	s_mov_b32 s26, 0x487ffff
	v_add3_u32 v3, v4, v3, s26
	s_mov_b64 s[18:19], exec
	v_lshrrev_b32_e32 v3, 20, v3
                                        ; implicit-def: $vgpr4
	s_andn2_saveexec_b64 s[22:23], s[22:23]
	s_cbranch_execnz .LBB6_276
.LBB6_55:
	s_or_b64 exec, exec, s[22:23]
	v_mov_b32_e32 v5, 0
	s_and_saveexec_b64 s[22:23], s[18:19]
.LBB6_56:
	v_mov_b32_e32 v5, v3
.LBB6_57:
	s_or_b64 exec, exec, s[22:23]
.LBB6_58:
	s_or_b64 exec, exec, s[6:7]
	global_store_byte v[0:1], v5, off
.LBB6_59:
	s_mov_b64 s[6:7], -1
.LBB6_60:
	s_mov_b64 s[18:19], 0
.LBB6_61:
	s_and_b64 vcc, exec, s[18:19]
	s_cbranch_vccz .LBB6_102
; %bb.62:
	s_cmp_gt_i32 s25, 22
	s_mov_b64 s[18:19], -1
	s_cbranch_scc0 .LBB6_94
; %bb.63:
	s_cmp_lt_i32 s25, 24
	s_mov_b64 s[6:7], -1
	s_cbranch_scc1 .LBB6_83
; %bb.64:
	s_cmp_gt_i32 s25, 24
	s_cbranch_scc0 .LBB6_72
; %bb.65:
	v_cvt_f32_ubyte0_e32 v4, v2
	s_mov_b32 s6, 0x47800000
	v_cmp_gt_u32_e32 vcc, s6, v4
	v_mov_b32_e32 v5, 0x80
	s_and_saveexec_b64 s[6:7], vcc
	s_cbranch_execz .LBB6_71
; %bb.66:
	s_mov_b32 s18, 0x37ffffff
	v_cmp_lt_u32_e32 vcc, s18, v4
	s_mov_b64 s[18:19], 0
                                        ; implicit-def: $vgpr3
	s_and_saveexec_b64 s[22:23], vcc
	s_xor_b64 s[22:23], exec, s[22:23]
	s_cbranch_execz .LBB6_279
; %bb.67:
	v_bfe_u32 v3, v4, 21, 1
	s_mov_b32 s26, 0x88fffff
	v_add3_u32 v3, v4, v3, s26
	s_mov_b64 s[18:19], exec
	v_lshrrev_b32_e32 v3, 21, v3
                                        ; implicit-def: $vgpr4
	s_andn2_saveexec_b64 s[22:23], s[22:23]
	s_cbranch_execnz .LBB6_280
.LBB6_68:
	s_or_b64 exec, exec, s[22:23]
	v_mov_b32_e32 v5, 0
	s_and_saveexec_b64 s[22:23], s[18:19]
.LBB6_69:
	v_mov_b32_e32 v5, v3
.LBB6_70:
	s_or_b64 exec, exec, s[22:23]
.LBB6_71:
	s_or_b64 exec, exec, s[6:7]
	s_mov_b64 s[6:7], 0
	global_store_byte v[0:1], v5, off
.LBB6_72:
	s_and_b64 vcc, exec, s[6:7]
	s_cbranch_vccz .LBB6_82
; %bb.73:
	v_cvt_f32_ubyte0_e32 v3, v2
	s_mov_b32 s6, 0x43f00000
	v_cmp_gt_u32_e32 vcc, s6, v3
                                        ; implicit-def: $vgpr4
	s_and_saveexec_b64 s[6:7], vcc
	s_xor_b64 s[6:7], exec, s[6:7]
	s_cbranch_execz .LBB6_79
; %bb.74:
	s_mov_b32 s18, 0x3c7fffff
	v_cmp_lt_u32_e32 vcc, s18, v3
                                        ; implicit-def: $vgpr4
	s_and_saveexec_b64 s[18:19], vcc
	s_xor_b64 s[18:19], exec, s[18:19]
; %bb.75:
	v_bfe_u32 v4, v3, 20, 1
	s_mov_b32 s22, 0x407ffff
	v_add3_u32 v3, v3, v4, s22
	v_lshrrev_b32_e32 v4, 20, v3
	v_and_b32_e32 v3, 0xff00000, v3
	s_mov_b32 s22, 0x7f00000
	v_mov_b32_e32 v5, 0x7e
	v_cmp_ne_u32_e32 vcc, s22, v3
	v_cndmask_b32_e32 v4, v5, v4, vcc
                                        ; implicit-def: $vgpr3
; %bb.76:
	s_andn2_saveexec_b64 s[18:19], s[18:19]
; %bb.77:
	v_add_f32_e32 v4, 0x46800000, v3
; %bb.78:
	s_or_b64 exec, exec, s[18:19]
                                        ; implicit-def: $vgpr3
.LBB6_79:
	s_andn2_saveexec_b64 s[6:7], s[6:7]
; %bb.80:
	s_mov_b32 s18, 0x7f800000
	v_mov_b32_e32 v4, 0x7e
	v_mov_b32_e32 v5, 0x7f
	v_cmp_lt_u32_e32 vcc, s18, v3
	v_cndmask_b32_e32 v4, v4, v5, vcc
; %bb.81:
	s_or_b64 exec, exec, s[6:7]
	global_store_byte v[0:1], v4, off
.LBB6_82:
	s_mov_b64 s[6:7], 0
.LBB6_83:
	s_andn2_b64 vcc, exec, s[6:7]
	s_cbranch_vccnz .LBB6_93
; %bb.84:
	v_cvt_f32_ubyte0_e32 v3, v2
	s_mov_b32 s6, 0x47800000
	v_cmp_gt_u32_e32 vcc, s6, v3
                                        ; implicit-def: $vgpr4
	s_and_saveexec_b64 s[6:7], vcc
	s_xor_b64 s[6:7], exec, s[6:7]
	s_cbranch_execz .LBB6_90
; %bb.85:
	s_mov_b32 s18, 0x387fffff
	v_cmp_lt_u32_e32 vcc, s18, v3
                                        ; implicit-def: $vgpr4
	s_and_saveexec_b64 s[18:19], vcc
	s_xor_b64 s[18:19], exec, s[18:19]
; %bb.86:
	v_bfe_u32 v4, v3, 21, 1
	s_mov_b32 s22, 0x80fffff
	v_add3_u32 v3, v3, v4, s22
	v_lshrrev_b32_e32 v4, 21, v3
                                        ; implicit-def: $vgpr3
; %bb.87:
	s_andn2_saveexec_b64 s[18:19], s[18:19]
; %bb.88:
	v_add_f32_e32 v4, 0x43000000, v3
; %bb.89:
	s_or_b64 exec, exec, s[18:19]
                                        ; implicit-def: $vgpr3
.LBB6_90:
	s_andn2_saveexec_b64 s[6:7], s[6:7]
; %bb.91:
	s_mov_b32 s18, 0x7f800000
	v_mov_b32_e32 v4, 0x7c
	v_mov_b32_e32 v5, 0x7f
	v_cmp_lt_u32_e32 vcc, s18, v3
	v_cndmask_b32_e32 v4, v4, v5, vcc
; %bb.92:
	s_or_b64 exec, exec, s[6:7]
	global_store_byte v[0:1], v4, off
.LBB6_93:
	s_mov_b64 s[18:19], 0
	s_mov_b64 s[6:7], -1
.LBB6_94:
	s_andn2_b64 vcc, exec, s[18:19]
	s_cbranch_vccnz .LBB6_102
; %bb.95:
	s_cmp_gt_i32 s25, 14
	s_mov_b64 s[18:19], -1
	s_cbranch_scc0 .LBB6_99
; %bb.96:
	s_cmp_eq_u32 s25, 15
	s_mov_b64 s[0:1], -1
	s_cbranch_scc0 .LBB6_98
; %bb.97:
	v_cvt_f32_ubyte0_e32 v3, v2
	v_bfe_u32 v4, v3, 16, 1
	s_movk_i32 s0, 0x7fff
	v_add3_u32 v3, v3, v4, s0
	global_store_short_d16_hi v[0:1], v3, off
	s_mov_b64 s[6:7], -1
	s_mov_b64 s[0:1], 0
.LBB6_98:
	s_mov_b64 s[18:19], 0
.LBB6_99:
	s_and_b64 vcc, exec, s[18:19]
	s_cbranch_vccz .LBB6_102
; %bb.100:
	s_cmp_eq_u32 s25, 11
	s_mov_b64 s[0:1], -1
	s_cbranch_scc0 .LBB6_102
; %bb.101:
	v_mov_b32_e32 v3, 0
	v_cmp_ne_u16_sdwa s[0:1], v2, v3 src0_sel:BYTE_0 src1_sel:DWORD
	v_cndmask_b32_e64 v3, 0, 1, s[0:1]
	s_mov_b64 s[6:7], -1
	s_mov_b64 s[0:1], 0
	global_store_byte v[0:1], v3, off
.LBB6_102:
	s_branch .LBB6_20
.LBB6_103:
	s_and_b32 s18, 0xffff, s24
	s_cmp_lt_i32 s18, 5
	s_mov_b64 s[6:7], -1
	s_cbranch_scc1 .LBB6_124
; %bb.104:
	s_cmp_lt_i32 s18, 8
	s_cbranch_scc1 .LBB6_114
; %bb.105:
	s_cmp_lt_i32 s18, 9
	s_cbranch_scc1 .LBB6_111
; %bb.106:
	s_cmp_gt_i32 s18, 9
	s_cbranch_scc0 .LBB6_108
; %bb.107:
	s_mov_b32 s6, 0xffff
	v_and_b32_sdwa v3, s6, v2 dst_sel:DWORD dst_unused:UNUSED_PAD src0_sel:DWORD src1_sel:BYTE_0
	v_cvt_f64_u32_e32 v[3:4], v3
	v_mov_b32_e32 v5, 0
	v_mov_b32_e32 v6, v5
	s_mov_b64 s[6:7], 0
	global_store_dwordx4 v[0:1], v[3:6], off
.LBB6_108:
	s_andn2_b64 vcc, exec, s[6:7]
	s_cbranch_vccnz .LBB6_110
; %bb.109:
	v_cvt_f32_ubyte0_e32 v3, v2
	v_mov_b32_e32 v4, 0
	global_store_dwordx2 v[0:1], v[3:4], off
.LBB6_110:
	s_mov_b64 s[6:7], 0
.LBB6_111:
	s_andn2_b64 vcc, exec, s[6:7]
	s_cbranch_vccnz .LBB6_113
; %bb.112:
	v_cvt_f16_u16_sdwa v3, v2 dst_sel:DWORD dst_unused:UNUSED_PAD src0_sel:BYTE_0
	global_store_dword v[0:1], v3, off
.LBB6_113:
	s_mov_b64 s[6:7], 0
.LBB6_114:
	s_andn2_b64 vcc, exec, s[6:7]
	s_cbranch_vccnz .LBB6_123
; %bb.115:
	s_cmp_lt_i32 s18, 6
	s_mov_b64 s[6:7], -1
	s_cbranch_scc1 .LBB6_121
; %bb.116:
	s_cmp_gt_i32 s18, 6
	s_cbranch_scc0 .LBB6_118
; %bb.117:
	s_mov_b32 s6, 0xffff
	v_and_b32_sdwa v3, s6, v2 dst_sel:DWORD dst_unused:UNUSED_PAD src0_sel:DWORD src1_sel:BYTE_0
	v_cvt_f64_u32_e32 v[3:4], v3
	s_mov_b64 s[6:7], 0
	global_store_dwordx2 v[0:1], v[3:4], off
.LBB6_118:
	s_andn2_b64 vcc, exec, s[6:7]
	s_cbranch_vccnz .LBB6_120
; %bb.119:
	v_cvt_f32_ubyte0_e32 v3, v2
	global_store_dword v[0:1], v3, off
.LBB6_120:
	s_mov_b64 s[6:7], 0
.LBB6_121:
	s_andn2_b64 vcc, exec, s[6:7]
	s_cbranch_vccnz .LBB6_123
; %bb.122:
	v_cvt_f16_u16_sdwa v3, v2 dst_sel:DWORD dst_unused:UNUSED_PAD src0_sel:BYTE_0
	global_store_short v[0:1], v3, off
.LBB6_123:
	s_mov_b64 s[6:7], 0
.LBB6_124:
	s_andn2_b64 vcc, exec, s[6:7]
	s_cbranch_vccnz .LBB6_140
; %bb.125:
	s_cmp_lt_i32 s18, 2
	s_mov_b64 s[6:7], -1
	s_cbranch_scc1 .LBB6_135
; %bb.126:
	s_cmp_lt_i32 s18, 3
	s_cbranch_scc1 .LBB6_132
; %bb.127:
	s_cmp_gt_i32 s18, 3
	s_cbranch_scc0 .LBB6_129
; %bb.128:
	v_and_b32_e32 v3, 0xff, v2
	v_mov_b32_e32 v4, 0
	global_store_dwordx2 v[0:1], v[3:4], off
	s_mov_b64 s[6:7], 0
.LBB6_129:
	s_andn2_b64 vcc, exec, s[6:7]
	s_cbranch_vccnz .LBB6_131
; %bb.130:
	v_and_b32_e32 v3, 0xff, v2
	global_store_dword v[0:1], v3, off
.LBB6_131:
	s_mov_b64 s[6:7], 0
.LBB6_132:
	s_andn2_b64 vcc, exec, s[6:7]
	s_cbranch_vccnz .LBB6_134
; %bb.133:
	v_and_b32_e32 v3, 0xff, v2
	global_store_short v[0:1], v3, off
.LBB6_134:
	s_mov_b64 s[6:7], 0
.LBB6_135:
	s_andn2_b64 vcc, exec, s[6:7]
	s_cbranch_vccnz .LBB6_140
; %bb.136:
	s_cmp_gt_i32 s18, 0
	s_mov_b64 s[6:7], -1
	s_cbranch_scc0 .LBB6_138
; %bb.137:
	global_store_byte v[0:1], v2, off
	s_mov_b64 s[6:7], 0
.LBB6_138:
	s_andn2_b64 vcc, exec, s[6:7]
	s_cbranch_vccnz .LBB6_140
; %bb.139:
	global_store_byte v[0:1], v2, off
.LBB6_140:
	s_branch .LBB6_21
.LBB6_141:
	s_mov_b64 s[18:19], 0
                                        ; implicit-def: $vgpr8
	s_branch .LBB6_247
.LBB6_142:
	s_mov_b64 s[14:15], -1
                                        ; implicit-def: $vgpr2
.LBB6_143:
	s_mov_b64 s[6:7], 0
.LBB6_144:
	s_and_b64 vcc, exec, s[6:7]
	s_cbranch_vccz .LBB6_148
; %bb.145:
	s_cmp_eq_u32 s19, 29
	s_cbranch_scc0 .LBB6_147
; %bb.146:
	global_load_dwordx2 v[2:3], v[0:1], off
	s_mov_b64 s[0:1], -1
	s_mov_b64 s[14:15], 0
	s_branch .LBB6_148
.LBB6_147:
	s_mov_b64 s[14:15], -1
                                        ; implicit-def: $vgpr2
.LBB6_148:
	s_mov_b64 s[6:7], 0
.LBB6_149:
	s_and_b64 vcc, exec, s[6:7]
	s_cbranch_vccz .LBB6_165
; %bb.150:
	s_cmp_lt_i32 s19, 27
	s_cbranch_scc1 .LBB6_153
; %bb.151:
	s_cmp_gt_i32 s19, 27
	s_cbranch_scc0 .LBB6_154
; %bb.152:
	global_load_dword v2, v[0:1], off
	s_mov_b64 s[0:1], 0
	s_branch .LBB6_155
.LBB6_153:
	s_mov_b64 s[0:1], -1
                                        ; implicit-def: $vgpr2
	s_branch .LBB6_158
.LBB6_154:
	s_mov_b64 s[0:1], -1
                                        ; implicit-def: $vgpr2
.LBB6_155:
	s_andn2_b64 vcc, exec, s[0:1]
	s_cbranch_vccnz .LBB6_157
; %bb.156:
	global_load_ushort v2, v[0:1], off
.LBB6_157:
	s_mov_b64 s[0:1], 0
.LBB6_158:
	s_andn2_b64 vcc, exec, s[0:1]
	s_cbranch_vccnz .LBB6_164
; %bb.159:
	global_load_ubyte v3, v[0:1], off
	s_movk_i32 s0, 0x7f
	s_mov_b64 s[6:7], 0
	s_waitcnt vmcnt(0)
	v_cmp_lt_i16_e32 vcc, s0, v3
	s_and_saveexec_b64 s[0:1], vcc
	s_xor_b64 s[0:1], exec, s[0:1]
	s_cbranch_execz .LBB6_175
; %bb.160:
	s_movk_i32 s6, 0x80
	v_cmp_ne_u16_e32 vcc, s6, v3
	s_and_b64 s[6:7], vcc, exec
	s_andn2_saveexec_b64 s[0:1], s[0:1]
	s_cbranch_execnz .LBB6_176
.LBB6_161:
	s_or_b64 exec, exec, s[0:1]
	v_mov_b32_e32 v2, 0
	s_and_saveexec_b64 s[0:1], s[6:7]
	s_cbranch_execz .LBB6_163
.LBB6_162:
	v_lshlrev_b32_e32 v2, 24, v3
	v_and_b32_e32 v3, 0xffff, v3
	v_and_b32_e32 v4, 7, v3
	v_ffbh_u32_e32 v6, v4
	v_min_u32_e32 v6, 32, v6
	v_subrev_u32_e32 v9, 28, v6
	v_bfe_u32 v5, v3, 3, 4
	v_lshlrev_b32_e32 v3, v9, v3
	v_sub_u32_e32 v6, 29, v6
	v_and_b32_e32 v3, 7, v3
	v_cmp_eq_u32_e32 vcc, 0, v5
	v_cndmask_b32_e32 v5, v5, v6, vcc
	v_cndmask_b32_e32 v3, v4, v3, vcc
	v_mov_b32_e32 v4, 0x3b800000
	v_lshlrev_b32_e32 v3, 20, v3
	v_and_b32_e32 v2, 0x80000000, v2
	v_lshl_add_u32 v4, v5, 23, v4
	v_or3_b32 v2, v2, v4, v3
	v_trunc_f32_e32 v2, v2
	s_mov_b32 s6, 0x2f800000
	v_mul_f32_e64 v3, |v2|, s6
	v_floor_f32_e32 v3, v3
	s_mov_b32 s6, 0xcf800000
	v_fma_f32 v3, v3, s6, |v2|
	v_cvt_u32_f32_e32 v3, v3
	v_ashrrev_i32_e32 v2, 31, v2
	v_xor_b32_e32 v3, v3, v2
	v_sub_u32_e32 v2, v3, v2
.LBB6_163:
	s_or_b64 exec, exec, s[0:1]
.LBB6_164:
	s_mov_b64 s[0:1], -1
.LBB6_165:
	s_branch .LBB6_198
.LBB6_166:
	s_cmp_gt_i32 s19, 22
	s_cbranch_scc0 .LBB6_174
; %bb.167:
	s_cmp_lt_i32 s19, 24
	s_cbranch_scc1 .LBB6_177
; %bb.168:
	s_cmp_gt_i32 s19, 24
	s_cbranch_scc0 .LBB6_178
; %bb.169:
	global_load_ubyte v3, v[0:1], off
	s_movk_i32 s0, 0x7f
	s_mov_b64 s[6:7], 0
	s_waitcnt vmcnt(0)
	v_cmp_lt_i16_e32 vcc, s0, v3
	s_and_saveexec_b64 s[0:1], vcc
	s_xor_b64 s[0:1], exec, s[0:1]
	s_cbranch_execz .LBB6_190
; %bb.170:
	s_movk_i32 s6, 0x80
	v_cmp_ne_u16_e32 vcc, s6, v3
	s_and_b64 s[6:7], vcc, exec
	s_andn2_saveexec_b64 s[0:1], s[0:1]
	s_cbranch_execnz .LBB6_191
.LBB6_171:
	s_or_b64 exec, exec, s[0:1]
	v_mov_b32_e32 v2, 0
	s_and_saveexec_b64 s[0:1], s[6:7]
	s_cbranch_execz .LBB6_173
.LBB6_172:
	v_lshlrev_b32_e32 v2, 24, v3
	v_and_b32_e32 v3, 0xffff, v3
	v_and_b32_e32 v4, 3, v3
	v_ffbh_u32_e32 v6, v4
	v_min_u32_e32 v6, 32, v6
	v_subrev_u32_e32 v9, 29, v6
	v_bfe_u32 v5, v3, 2, 5
	v_lshlrev_b32_e32 v3, v9, v3
	v_sub_u32_e32 v6, 30, v6
	v_and_b32_e32 v3, 3, v3
	v_cmp_eq_u32_e32 vcc, 0, v5
	v_cndmask_b32_e32 v5, v5, v6, vcc
	v_cndmask_b32_e32 v3, v4, v3, vcc
	v_mov_b32_e32 v4, 0x37800000
	v_lshlrev_b32_e32 v3, 21, v3
	v_and_b32_e32 v2, 0x80000000, v2
	v_lshl_add_u32 v4, v5, 23, v4
	v_or3_b32 v2, v2, v4, v3
	v_trunc_f32_e32 v2, v2
	s_mov_b32 s6, 0x2f800000
	v_mul_f32_e64 v3, |v2|, s6
	v_floor_f32_e32 v3, v3
	s_mov_b32 s6, 0xcf800000
	v_fma_f32 v3, v3, s6, |v2|
	v_cvt_u32_f32_e32 v3, v3
	v_ashrrev_i32_e32 v2, 31, v2
	v_xor_b32_e32 v3, v3, v2
	v_sub_u32_e32 v2, v3, v2
.LBB6_173:
	s_or_b64 exec, exec, s[0:1]
	s_mov_b64 s[0:1], 0
	s_branch .LBB6_179
.LBB6_174:
	s_mov_b64 s[6:7], -1
                                        ; implicit-def: $vgpr2
	s_branch .LBB6_185
.LBB6_175:
	s_andn2_saveexec_b64 s[0:1], s[0:1]
	s_cbranch_execz .LBB6_161
.LBB6_176:
	v_cmp_ne_u16_e32 vcc, 0, v3
	s_andn2_b64 s[6:7], s[6:7], exec
	s_and_b64 s[22:23], vcc, exec
	s_or_b64 s[6:7], s[6:7], s[22:23]
	s_or_b64 exec, exec, s[0:1]
	v_mov_b32_e32 v2, 0
	s_and_saveexec_b64 s[0:1], s[6:7]
	s_cbranch_execnz .LBB6_162
	s_branch .LBB6_163
.LBB6_177:
	s_mov_b64 s[0:1], -1
                                        ; implicit-def: $vgpr2
	s_branch .LBB6_182
.LBB6_178:
	s_mov_b64 s[0:1], -1
                                        ; implicit-def: $vgpr2
.LBB6_179:
	s_and_b64 vcc, exec, s[0:1]
	s_cbranch_vccz .LBB6_181
; %bb.180:
	global_load_ubyte v2, v[0:1], off
	s_mov_b32 s0, 0x7f800000
	s_brev_b32 s1, 1
	s_mov_b32 s6, 0x2f800000
	s_waitcnt vmcnt(0)
	v_lshlrev_b32_e32 v2, 24, v2
	v_and_b32_e32 v3, 0x7f000000, v2
	v_ffbh_u32_e32 v4, v3
	v_min_u32_e32 v4, 32, v4
	v_sub_u32_e64 v4, v4, 4 clamp
	v_lshlrev_b32_e32 v6, v4, v3
	v_lshlrev_b32_e32 v4, 23, v4
	v_lshrrev_b32_e32 v6, 4, v6
	v_add_u32_e32 v5, 0x1000000, v3
	v_sub_u32_e32 v4, v6, v4
	v_ashrrev_i32_e32 v5, 8, v5
	v_add_u32_e32 v4, 0x3c000000, v4
	v_and_or_b32 v4, v5, s0, v4
	v_cmp_ne_u32_e32 vcc, 0, v3
	v_cndmask_b32_e32 v3, 0, v4, vcc
	v_and_or_b32 v2, v2, s1, v3
	v_trunc_f32_e32 v2, v2
	v_mul_f32_e64 v3, |v2|, s6
	v_floor_f32_e32 v3, v3
	s_mov_b32 s0, 0xcf800000
	v_fma_f32 v3, v3, s0, |v2|
	v_cvt_u32_f32_e32 v3, v3
	v_ashrrev_i32_e32 v2, 31, v2
	v_xor_b32_e32 v3, v3, v2
	v_sub_u32_e32 v2, v3, v2
.LBB6_181:
	s_mov_b64 s[0:1], 0
.LBB6_182:
	s_andn2_b64 vcc, exec, s[0:1]
	s_cbranch_vccnz .LBB6_184
; %bb.183:
	global_load_ubyte v2, v[0:1], off
	s_movk_i32 s0, 0x7f00
	s_brev_b32 s1, 16
	s_brev_b32 s6, 1
	s_mov_b32 s7, 0x2f800000
	s_waitcnt vmcnt(0)
	v_lshlrev_b16_e32 v3, 8, v2
	v_lshlrev_b32_e32 v2, 25, v2
	v_lshrrev_b32_e32 v4, 4, v2
	v_and_or_b32 v5, v3, s0, 0.5
	v_or_b32_e32 v4, 0x70000000, v4
	v_add_f32_e32 v5, -0.5, v5
	v_mul_f32_e32 v4, 0x7800000, v4
	v_cmp_gt_u32_e32 vcc, s1, v2
	v_bfe_i32 v3, v3, 0, 16
	v_cndmask_b32_e32 v2, v4, v5, vcc
	v_and_or_b32 v2, v3, s6, v2
	v_trunc_f32_e32 v2, v2
	v_mul_f32_e64 v3, |v2|, s7
	v_floor_f32_e32 v3, v3
	s_mov_b32 s0, 0xcf800000
	v_fma_f32 v3, v3, s0, |v2|
	v_cvt_u32_f32_e32 v3, v3
	v_ashrrev_i32_e32 v2, 31, v2
	v_xor_b32_e32 v3, v3, v2
	v_sub_u32_e32 v2, v3, v2
.LBB6_184:
	s_mov_b64 s[6:7], 0
	s_mov_b64 s[0:1], -1
.LBB6_185:
	s_andn2_b64 vcc, exec, s[6:7]
	s_cbranch_vccnz .LBB6_198
; %bb.186:
	s_cmp_gt_i32 s19, 14
	s_cbranch_scc0 .LBB6_189
; %bb.187:
	s_cmp_eq_u32 s19, 15
	s_cbranch_scc0 .LBB6_192
; %bb.188:
	global_load_ushort v2, v[0:1], off
	s_mov_b32 s0, 0x2f800000
	s_mov_b32 s1, 0xcf800000
	s_mov_b64 s[14:15], 0
	s_waitcnt vmcnt(0)
	v_lshlrev_b32_e32 v2, 16, v2
	v_trunc_f32_e32 v2, v2
	v_mul_f32_e64 v3, |v2|, s0
	v_floor_f32_e32 v3, v3
	v_fma_f32 v3, v3, s1, |v2|
	v_cvt_u32_f32_e32 v3, v3
	v_ashrrev_i32_e32 v2, 31, v2
	s_mov_b64 s[0:1], -1
	v_xor_b32_e32 v3, v3, v2
	v_sub_u32_e32 v2, v3, v2
	s_branch .LBB6_193
.LBB6_189:
	s_mov_b64 s[6:7], -1
                                        ; implicit-def: $vgpr2
	s_branch .LBB6_194
.LBB6_190:
	s_andn2_saveexec_b64 s[0:1], s[0:1]
	s_cbranch_execz .LBB6_171
.LBB6_191:
	v_cmp_ne_u16_e32 vcc, 0, v3
	s_andn2_b64 s[6:7], s[6:7], exec
	s_and_b64 s[22:23], vcc, exec
	s_or_b64 s[6:7], s[6:7], s[22:23]
	s_or_b64 exec, exec, s[0:1]
	v_mov_b32_e32 v2, 0
	s_and_saveexec_b64 s[0:1], s[6:7]
	s_cbranch_execnz .LBB6_172
	s_branch .LBB6_173
.LBB6_192:
	s_mov_b64 s[14:15], -1
                                        ; implicit-def: $vgpr2
.LBB6_193:
	s_mov_b64 s[6:7], 0
.LBB6_194:
	s_and_b64 vcc, exec, s[6:7]
	s_cbranch_vccz .LBB6_198
; %bb.195:
	s_cmp_eq_u32 s19, 11
	s_cbranch_scc0 .LBB6_197
; %bb.196:
	global_load_ubyte v2, v[0:1], off
	s_mov_b64 s[0:1], -1
	s_mov_b64 s[14:15], 0
	s_waitcnt vmcnt(0)
	v_cmp_ne_u16_e32 vcc, 0, v2
	v_cndmask_b32_e64 v2, 0, 1, vcc
	s_branch .LBB6_198
.LBB6_197:
	s_mov_b64 s[14:15], -1
                                        ; implicit-def: $vgpr2
.LBB6_198:
	s_branch .LBB6_10
.LBB6_199:
	s_and_b32 s6, 0xffff, s18
	s_cmp_lt_i32 s6, 5
	s_cbranch_scc1 .LBB6_204
; %bb.200:
	s_cmp_lt_i32 s6, 8
	s_cbranch_scc1 .LBB6_205
; %bb.201:
	;; [unrolled: 3-line block ×3, first 2 shown]
	s_cmp_gt_i32 s6, 9
	s_cbranch_scc0 .LBB6_207
; %bb.203:
	global_load_dwordx2 v[2:3], v[0:1], off
	s_movk_i32 s0, 0xffe0
	s_waitcnt vmcnt(0)
	v_trunc_f64_e32 v[2:3], v[2:3]
	v_ldexp_f64 v[4:5], v[2:3], s0
	s_mov_b32 s0, 0
	s_mov_b32 s1, 0xc1f00000
	v_floor_f64_e32 v[4:5], v[4:5]
	v_fma_f64 v[2:3], v[4:5], s[0:1], v[2:3]
	s_mov_b64 s[0:1], 0
	v_cvt_u32_f64_e32 v2, v[2:3]
	s_branch .LBB6_208
.LBB6_204:
                                        ; implicit-def: $vgpr2
	s_branch .LBB6_226
.LBB6_205:
	s_mov_b64 s[0:1], -1
                                        ; implicit-def: $vgpr2
	s_branch .LBB6_214
.LBB6_206:
	s_mov_b64 s[0:1], -1
                                        ; implicit-def: $vgpr2
	s_branch .LBB6_211
.LBB6_207:
	s_mov_b64 s[0:1], -1
                                        ; implicit-def: $vgpr2
.LBB6_208:
	s_andn2_b64 vcc, exec, s[0:1]
	s_cbranch_vccnz .LBB6_210
; %bb.209:
	global_load_dword v2, v[0:1], off
	s_mov_b32 s0, 0x2f800000
	s_waitcnt vmcnt(0)
	v_trunc_f32_e32 v2, v2
	v_mul_f32_e64 v3, |v2|, s0
	v_floor_f32_e32 v3, v3
	s_mov_b32 s0, 0xcf800000
	v_fma_f32 v3, v3, s0, |v2|
	v_cvt_u32_f32_e32 v3, v3
	v_ashrrev_i32_e32 v2, 31, v2
	v_xor_b32_e32 v3, v3, v2
	v_sub_u32_e32 v2, v3, v2
.LBB6_210:
	s_mov_b64 s[0:1], 0
.LBB6_211:
	s_andn2_b64 vcc, exec, s[0:1]
	s_cbranch_vccnz .LBB6_213
; %bb.212:
	global_load_dword v2, v[0:1], off
	s_waitcnt vmcnt(0)
	v_cvt_f32_f16_e32 v2, v2
	v_cvt_i32_f32_e32 v2, v2
.LBB6_213:
	s_mov_b64 s[0:1], 0
.LBB6_214:
	s_andn2_b64 vcc, exec, s[0:1]
	s_cbranch_vccnz .LBB6_225
; %bb.215:
	s_cmp_lt_i32 s6, 6
	s_cbranch_scc1 .LBB6_218
; %bb.216:
	s_cmp_gt_i32 s6, 6
	s_cbranch_scc0 .LBB6_219
; %bb.217:
	global_load_dwordx2 v[2:3], v[0:1], off
	s_movk_i32 s0, 0xffe0
	s_waitcnt vmcnt(0)
	v_trunc_f64_e32 v[2:3], v[2:3]
	v_ldexp_f64 v[4:5], v[2:3], s0
	s_mov_b32 s0, 0
	s_mov_b32 s1, 0xc1f00000
	v_floor_f64_e32 v[4:5], v[4:5]
	v_fma_f64 v[2:3], v[4:5], s[0:1], v[2:3]
	s_mov_b64 s[0:1], 0
	v_cvt_u32_f64_e32 v2, v[2:3]
	s_branch .LBB6_220
.LBB6_218:
	s_mov_b64 s[0:1], -1
                                        ; implicit-def: $vgpr2
	s_branch .LBB6_223
.LBB6_219:
	s_mov_b64 s[0:1], -1
                                        ; implicit-def: $vgpr2
.LBB6_220:
	s_andn2_b64 vcc, exec, s[0:1]
	s_cbranch_vccnz .LBB6_222
; %bb.221:
	global_load_dword v2, v[0:1], off
	s_mov_b32 s0, 0x2f800000
	s_waitcnt vmcnt(0)
	v_trunc_f32_e32 v2, v2
	v_mul_f32_e64 v3, |v2|, s0
	v_floor_f32_e32 v3, v3
	s_mov_b32 s0, 0xcf800000
	v_fma_f32 v3, v3, s0, |v2|
	v_cvt_u32_f32_e32 v3, v3
	v_ashrrev_i32_e32 v2, 31, v2
	v_xor_b32_e32 v3, v3, v2
	v_sub_u32_e32 v2, v3, v2
.LBB6_222:
	s_mov_b64 s[0:1], 0
.LBB6_223:
	s_andn2_b64 vcc, exec, s[0:1]
	s_cbranch_vccnz .LBB6_225
; %bb.224:
	global_load_ushort v2, v[0:1], off
	s_waitcnt vmcnt(0)
	v_cvt_f32_f16_e32 v2, v2
	v_cvt_i32_f32_e32 v2, v2
.LBB6_225:
	s_cbranch_execnz .LBB6_245
.LBB6_226:
	s_cmp_lt_i32 s6, 2
	s_cbranch_scc1 .LBB6_230
; %bb.227:
	s_cmp_lt_i32 s6, 3
	s_cbranch_scc1 .LBB6_231
; %bb.228:
	s_cmp_gt_i32 s6, 3
	s_cbranch_scc0 .LBB6_232
; %bb.229:
	global_load_dwordx2 v[2:3], v[0:1], off
	s_mov_b64 s[0:1], 0
	s_branch .LBB6_233
.LBB6_230:
	s_mov_b64 s[0:1], -1
                                        ; implicit-def: $vgpr2
	s_branch .LBB6_239
.LBB6_231:
	s_mov_b64 s[0:1], -1
                                        ; implicit-def: $vgpr2
	s_branch .LBB6_236
.LBB6_232:
	s_mov_b64 s[0:1], -1
                                        ; implicit-def: $vgpr2
.LBB6_233:
	s_andn2_b64 vcc, exec, s[0:1]
	s_cbranch_vccnz .LBB6_235
; %bb.234:
	global_load_dword v2, v[0:1], off
.LBB6_235:
	s_mov_b64 s[0:1], 0
.LBB6_236:
	s_andn2_b64 vcc, exec, s[0:1]
	s_cbranch_vccnz .LBB6_238
; %bb.237:
	global_load_ushort v2, v[0:1], off
.LBB6_238:
	s_mov_b64 s[0:1], 0
.LBB6_239:
	s_andn2_b64 vcc, exec, s[0:1]
	s_cbranch_vccnz .LBB6_245
; %bb.240:
	s_cmp_gt_i32 s6, 0
	s_cbranch_scc0 .LBB6_242
; %bb.241:
	global_load_ubyte v2, v[0:1], off
	s_mov_b64 s[0:1], 0
	s_branch .LBB6_243
.LBB6_242:
	s_mov_b64 s[0:1], -1
                                        ; implicit-def: $vgpr2
.LBB6_243:
	s_andn2_b64 vcc, exec, s[0:1]
	s_cbranch_vccnz .LBB6_245
; %bb.244:
	global_load_ubyte v2, v[0:1], off
.LBB6_245:
	s_branch .LBB6_11
.LBB6_246:
	s_mov_b64 s[0:1], 0
                                        ; implicit-def: $vgpr8
	s_mov_b64 s[18:19], 0
.LBB6_247:
	s_and_b64 s[6:7], s[0:1], exec
	s_and_b64 s[14:15], s[14:15], exec
	s_orn2_b64 s[18:19], s[18:19], exec
.LBB6_248:
	s_or_b64 exec, exec, s[16:17]
	s_mov_b64 s[22:23], 0
	s_mov_b64 s[0:1], 0
                                        ; implicit-def: $sgpr43
                                        ; implicit-def: $vgpr0_vgpr1
                                        ; implicit-def: $vgpr2
	s_and_saveexec_b64 s[16:17], s[18:19]
	s_cbranch_execz .LBB6_257
; %bb.249:
	v_cmp_gt_i32_e32 vcc, s38, v8
	s_mov_b64 s[0:1], -1
	s_mov_b64 s[18:19], s[14:15]
	s_mov_b64 s[20:21], s[6:7]
	s_and_saveexec_b64 s[22:23], vcc
	s_cbranch_execz .LBB6_505
; %bb.250:
	v_mul_lo_u32 v0, v8, s3
	v_mov_b32_e32 v1, s11
	s_and_b32 s24, s42, 0xff
	s_cmp_lt_i32 s24, 11
	s_waitcnt vmcnt(0)
	v_ashrrev_i32_e32 v2, 31, v0
	v_add_co_u32_e32 v0, vcc, s10, v0
	v_addc_co_u32_e32 v1, vcc, v1, v2, vcc
	s_cbranch_scc1 .LBB6_260
; %bb.251:
	s_and_b32 s25, 0xffff, s24
	s_cmp_gt_i32 s25, 25
	s_cbranch_scc0 .LBB6_269
; %bb.252:
	s_cmp_gt_i32 s25, 28
	s_cbranch_scc0 .LBB6_271
; %bb.253:
	;; [unrolled: 3-line block ×4, first 2 shown]
	s_cmp_eq_u32 s25, 46
	s_mov_b64 s[20:21], 0
	s_cbranch_scc0 .LBB6_281
; %bb.256:
	global_load_dword v2, v[0:1], off
	s_mov_b32 s0, 0x2f800000
	s_mov_b32 s1, 0xcf800000
	s_mov_b64 s[18:19], 0
	s_waitcnt vmcnt(0)
	v_lshlrev_b32_e32 v2, 16, v2
	v_trunc_f32_e32 v2, v2
	v_mul_f32_e64 v3, |v2|, s0
	v_floor_f32_e32 v3, v3
	v_fma_f32 v3, v3, s1, |v2|
	v_cvt_u32_f32_e32 v3, v3
	v_ashrrev_i32_e32 v2, 31, v2
	s_mov_b64 s[0:1], -1
	v_xor_b32_e32 v3, v3, v2
	v_sub_u32_e32 v2, v3, v2
	s_branch .LBB6_282
.LBB6_257:
	s_or_b64 exec, exec, s[16:17]
	s_mov_b64 s[16:17], 0
	s_and_saveexec_b64 s[18:19], s[14:15]
	s_cbranch_execnz .LBB6_843
.LBB6_258:
	s_or_b64 exec, exec, s[18:19]
	s_and_saveexec_b64 s[14:15], s[20:21]
	s_xor_b64 s[14:15], exec, s[14:15]
	s_cbranch_execz .LBB6_844
.LBB6_259:
	global_load_ubyte v2, v[0:1], off
	s_or_b64 s[0:1], s[0:1], exec
	s_waitcnt vmcnt(0)
	v_cmp_ne_u16_e32 vcc, 0, v2
	v_cndmask_b32_e64 v2, 0, 1, vcc
	s_or_b64 exec, exec, s[14:15]
	s_and_saveexec_b64 s[14:15], s[22:23]
	s_cbranch_execz .LBB6_890
	s_branch .LBB6_845
.LBB6_260:
	s_mov_b64 s[0:1], 0
                                        ; implicit-def: $vgpr2
	s_mov_b64 s[18:19], s[14:15]
	s_cbranch_execnz .LBB6_455
.LBB6_261:
	s_andn2_b64 vcc, exec, s[0:1]
	s_cbranch_vccnz .LBB6_503
.LBB6_262:
	v_mul_lo_u32 v1, v8, s2
	s_waitcnt vmcnt(0)
	v_mov_b32_e32 v3, 8
	v_lshlrev_b32_sdwa v0, v2, v7 dst_sel:DWORD dst_unused:UNUSED_PAD src0_sel:DWORD src1_sel:BYTE_0
	v_cmp_lt_u16_sdwa vcc, v2, v3 src0_sel:BYTE_0 src1_sel:DWORD
	v_cndmask_b32_e32 v2, 0, v0, vcc
	v_ashrrev_i32_e32 v3, 31, v1
	v_mov_b32_e32 v4, s9
	s_and_b32 s28, s33, 0xff
	v_add_co_u32_e32 v0, vcc, s8, v1
	s_cmp_lt_i32 s28, 11
	v_addc_co_u32_e32 v1, vcc, v4, v3, vcc
	s_cbranch_scc1 .LBB6_270
; %bb.263:
	s_and_b32 s29, 0xffff, s28
	s_cmp_gt_i32 s29, 25
	s_cbranch_scc0 .LBB6_272
; %bb.264:
	s_cmp_gt_i32 s29, 28
	s_cbranch_scc0 .LBB6_274
; %bb.265:
	s_cmp_gt_i32 s29, 43
	s_cbranch_scc0 .LBB6_278
; %bb.266:
	s_cmp_gt_i32 s29, 45
	s_cbranch_scc0 .LBB6_285
; %bb.267:
	s_mov_b64 s[24:25], 0
	s_mov_b64 s[0:1], -1
	s_cmp_eq_u32 s29, 46
	s_mov_b64 s[20:21], 0
	s_cbranch_scc0 .LBB6_286
; %bb.268:
	v_cvt_f32_ubyte0_e32 v3, v2
	v_bfe_u32 v4, v3, 16, 1
	s_movk_i32 s0, 0x7fff
	v_add3_u32 v3, v3, v4, s0
	v_lshrrev_b32_e32 v3, 16, v3
	global_store_dword v[0:1], v3, off
	s_mov_b64 s[20:21], -1
	s_mov_b64 s[0:1], 0
	s_branch .LBB6_286
.LBB6_269:
	s_mov_b64 s[20:21], -1
	s_mov_b64 s[0:1], 0
	s_mov_b64 s[18:19], s[14:15]
                                        ; implicit-def: $vgpr2
	s_branch .LBB6_421
.LBB6_270:
	s_mov_b64 s[24:25], -1
	s_mov_b64 s[20:21], 0
	s_mov_b64 s[0:1], s[6:7]
	s_branch .LBB6_355
.LBB6_271:
	s_mov_b64 s[20:21], -1
	s_mov_b64 s[0:1], 0
	s_mov_b64 s[18:19], s[14:15]
                                        ; implicit-def: $vgpr2
	s_branch .LBB6_404
.LBB6_272:
	s_mov_b64 s[24:25], -1
	s_mov_b64 s[20:21], 0
	s_mov_b64 s[0:1], s[6:7]
	s_branch .LBB6_313
.LBB6_273:
	s_mov_b64 s[20:21], -1
	s_mov_b64 s[0:1], 0
	s_mov_b64 s[18:19], s[14:15]
                                        ; implicit-def: $vgpr2
	s_branch .LBB6_399
.LBB6_274:
	s_mov_b64 s[24:25], -1
	s_mov_b64 s[20:21], 0
	s_mov_b64 s[0:1], s[6:7]
	s_branch .LBB6_296
.LBB6_275:
	s_andn2_saveexec_b64 s[22:23], s[22:23]
	s_cbranch_execz .LBB6_55
.LBB6_276:
	v_add_f32_e32 v3, 0x46000000, v4
	v_and_b32_e32 v3, 0xff, v3
	v_cmp_ne_u32_e32 vcc, 0, v3
	s_andn2_b64 s[18:19], s[18:19], exec
	s_and_b64 s[26:27], vcc, exec
	s_or_b64 s[18:19], s[18:19], s[26:27]
	s_or_b64 exec, exec, s[22:23]
	v_mov_b32_e32 v5, 0
	s_and_saveexec_b64 s[22:23], s[18:19]
	s_cbranch_execnz .LBB6_56
	s_branch .LBB6_57
.LBB6_277:
	s_mov_b64 s[20:21], -1
	s_mov_b64 s[0:1], 0
	s_mov_b64 s[18:19], s[14:15]
                                        ; implicit-def: $vgpr2
	s_branch .LBB6_282
.LBB6_278:
	s_mov_b64 s[24:25], -1
	s_mov_b64 s[20:21], 0
	s_mov_b64 s[0:1], s[6:7]
	s_branch .LBB6_292
.LBB6_279:
	s_andn2_saveexec_b64 s[22:23], s[22:23]
	s_cbranch_execz .LBB6_68
.LBB6_280:
	v_add_f32_e32 v3, 0x42800000, v4
	v_and_b32_e32 v3, 0xff, v3
	v_cmp_ne_u32_e32 vcc, 0, v3
	s_andn2_b64 s[18:19], s[18:19], exec
	s_and_b64 s[26:27], vcc, exec
	s_or_b64 s[18:19], s[18:19], s[26:27]
	s_or_b64 exec, exec, s[22:23]
	v_mov_b32_e32 v5, 0
	s_and_saveexec_b64 s[22:23], s[18:19]
	s_cbranch_execnz .LBB6_69
	s_branch .LBB6_70
.LBB6_281:
	s_mov_b64 s[18:19], -1
                                        ; implicit-def: $vgpr2
	s_mov_b64 s[0:1], 0
.LBB6_282:
	s_and_b64 vcc, exec, s[20:21]
	s_cbranch_vccz .LBB6_398
; %bb.283:
	s_cmp_eq_u32 s25, 44
	s_cbranch_scc0 .LBB6_397
; %bb.284:
	global_load_ubyte v2, v[0:1], off
	s_mov_b32 s0, 0x2f800000
	s_mov_b32 s1, 0xcf800000
	s_mov_b64 s[18:19], 0
	s_waitcnt vmcnt(0)
	v_lshlrev_b32_e32 v3, 23, v2
	v_trunc_f32_e32 v3, v3
	v_mul_f32_e64 v4, |v3|, s0
	v_floor_f32_e32 v4, v4
	v_fma_f32 v4, v4, s1, |v3|
	v_cvt_u32_f32_e32 v4, v4
	v_ashrrev_i32_e32 v3, 31, v3
	v_cmp_ne_u32_e32 vcc, 0, v2
	s_mov_b64 s[0:1], -1
	v_xor_b32_e32 v4, v4, v3
	v_sub_u32_e32 v3, v4, v3
	v_cndmask_b32_e32 v2, 0, v3, vcc
	s_branch .LBB6_398
.LBB6_285:
	s_mov_b64 s[24:25], -1
	s_mov_b64 s[20:21], 0
	s_mov_b64 s[0:1], s[6:7]
.LBB6_286:
	s_and_b64 vcc, exec, s[24:25]
	s_cbranch_vccz .LBB6_291
; %bb.287:
	s_cmp_eq_u32 s29, 44
	s_mov_b64 s[0:1], -1
	s_cbranch_scc0 .LBB6_291
; %bb.288:
	v_cvt_f32_ubyte0_e32 v4, v2
	v_lshrrev_b32_e32 v3, 23, v4
	s_movk_i32 s0, 0xff
	v_cmp_ne_u32_e32 vcc, s0, v3
	v_mov_b32_e32 v5, 0xff
	s_and_saveexec_b64 s[20:21], vcc
; %bb.289:
	s_mov_b32 s0, 0x3fffff
	v_and_b32_e32 v5, 0x400000, v4
	v_and_or_b32 v4, v4, s0, v3
	v_cmp_ne_u32_e32 vcc, 0, v5
	v_cmp_ne_u32_e64 s[0:1], 0, v4
	s_and_b64 s[0:1], vcc, s[0:1]
	v_cndmask_b32_e64 v4, 0, 1, s[0:1]
	v_add_u32_e32 v5, v3, v4
; %bb.290:
	s_or_b64 exec, exec, s[20:21]
	s_mov_b64 s[20:21], -1
	s_mov_b64 s[0:1], 0
	global_store_byte v[0:1], v5, off
.LBB6_291:
	s_mov_b64 s[24:25], 0
.LBB6_292:
	s_and_b64 vcc, exec, s[24:25]
	s_cbranch_vccz .LBB6_295
; %bb.293:
	s_cmp_eq_u32 s29, 29
	s_mov_b64 s[0:1], -1
	s_cbranch_scc0 .LBB6_295
; %bb.294:
	v_and_b32_e32 v3, 0xff, v2
	v_mov_b32_e32 v4, 0
	global_store_dwordx2 v[0:1], v[3:4], off
	s_mov_b64 s[20:21], -1
	s_mov_b64 s[0:1], 0
.LBB6_295:
	s_mov_b64 s[24:25], 0
.LBB6_296:
	s_and_b64 vcc, exec, s[24:25]
	s_cbranch_vccz .LBB6_312
; %bb.297:
	s_cmp_lt_i32 s29, 27
	s_mov_b64 s[20:21], -1
	s_cbranch_scc1 .LBB6_303
; %bb.298:
	s_cmp_gt_i32 s29, 27
	s_cbranch_scc0 .LBB6_300
; %bb.299:
	v_and_b32_e32 v3, 0xff, v2
	s_mov_b64 s[20:21], 0
	global_store_dword v[0:1], v3, off
.LBB6_300:
	s_andn2_b64 vcc, exec, s[20:21]
	s_cbranch_vccnz .LBB6_302
; %bb.301:
	v_and_b32_e32 v3, 0xff, v2
	global_store_short v[0:1], v3, off
.LBB6_302:
	s_mov_b64 s[20:21], 0
.LBB6_303:
	s_andn2_b64 vcc, exec, s[20:21]
	s_cbranch_vccnz .LBB6_311
; %bb.304:
	v_cvt_f32_ubyte0_e32 v4, v2
	s_mov_b32 s20, 0x43800000
	v_cmp_gt_u32_e32 vcc, s20, v4
	v_mov_b32_e32 v5, 0x80
	s_and_saveexec_b64 s[20:21], vcc
	s_cbranch_execz .LBB6_310
; %bb.305:
	s_mov_b32 s24, 0x3bffffff
	v_cmp_lt_u32_e32 vcc, s24, v4
	s_mov_b64 s[24:25], 0
                                        ; implicit-def: $vgpr3
	s_and_saveexec_b64 s[26:27], vcc
	s_xor_b64 s[26:27], exec, s[26:27]
	s_cbranch_execz .LBB6_518
; %bb.306:
	v_bfe_u32 v3, v4, 20, 1
	s_mov_b32 s30, 0x487ffff
	v_add3_u32 v3, v4, v3, s30
	s_mov_b64 s[24:25], exec
	v_lshrrev_b32_e32 v3, 20, v3
                                        ; implicit-def: $vgpr4
	s_andn2_saveexec_b64 s[26:27], s[26:27]
	s_cbranch_execnz .LBB6_519
.LBB6_307:
	s_or_b64 exec, exec, s[26:27]
	v_mov_b32_e32 v5, 0
	s_and_saveexec_b64 s[26:27], s[24:25]
.LBB6_308:
	v_mov_b32_e32 v5, v3
.LBB6_309:
	s_or_b64 exec, exec, s[26:27]
.LBB6_310:
	s_or_b64 exec, exec, s[20:21]
	global_store_byte v[0:1], v5, off
.LBB6_311:
	s_mov_b64 s[20:21], -1
.LBB6_312:
	s_mov_b64 s[24:25], 0
.LBB6_313:
	s_and_b64 vcc, exec, s[24:25]
	s_cbranch_vccz .LBB6_354
; %bb.314:
	s_cmp_gt_i32 s29, 22
	s_mov_b64 s[24:25], -1
	s_cbranch_scc0 .LBB6_346
; %bb.315:
	s_cmp_lt_i32 s29, 24
	s_mov_b64 s[20:21], -1
	s_cbranch_scc1 .LBB6_335
; %bb.316:
	s_cmp_gt_i32 s29, 24
	s_cbranch_scc0 .LBB6_324
; %bb.317:
	v_cvt_f32_ubyte0_e32 v4, v2
	s_mov_b32 s20, 0x47800000
	v_cmp_gt_u32_e32 vcc, s20, v4
	v_mov_b32_e32 v5, 0x80
	s_and_saveexec_b64 s[20:21], vcc
	s_cbranch_execz .LBB6_323
; %bb.318:
	s_mov_b32 s24, 0x37ffffff
	v_cmp_lt_u32_e32 vcc, s24, v4
	s_mov_b64 s[24:25], 0
                                        ; implicit-def: $vgpr3
	s_and_saveexec_b64 s[26:27], vcc
	s_xor_b64 s[26:27], exec, s[26:27]
	s_cbranch_execz .LBB6_521
; %bb.319:
	v_bfe_u32 v3, v4, 21, 1
	s_mov_b32 s30, 0x88fffff
	v_add3_u32 v3, v4, v3, s30
	s_mov_b64 s[24:25], exec
	v_lshrrev_b32_e32 v3, 21, v3
                                        ; implicit-def: $vgpr4
	s_andn2_saveexec_b64 s[26:27], s[26:27]
	s_cbranch_execnz .LBB6_522
.LBB6_320:
	s_or_b64 exec, exec, s[26:27]
	v_mov_b32_e32 v5, 0
	s_and_saveexec_b64 s[26:27], s[24:25]
.LBB6_321:
	v_mov_b32_e32 v5, v3
.LBB6_322:
	s_or_b64 exec, exec, s[26:27]
.LBB6_323:
	s_or_b64 exec, exec, s[20:21]
	s_mov_b64 s[20:21], 0
	global_store_byte v[0:1], v5, off
.LBB6_324:
	s_and_b64 vcc, exec, s[20:21]
	s_cbranch_vccz .LBB6_334
; %bb.325:
	v_cvt_f32_ubyte0_e32 v3, v2
	s_mov_b32 s20, 0x43f00000
	v_cmp_gt_u32_e32 vcc, s20, v3
                                        ; implicit-def: $vgpr4
	s_and_saveexec_b64 s[20:21], vcc
	s_xor_b64 s[20:21], exec, s[20:21]
	s_cbranch_execz .LBB6_331
; %bb.326:
	s_mov_b32 s24, 0x3c7fffff
	v_cmp_lt_u32_e32 vcc, s24, v3
                                        ; implicit-def: $vgpr4
	s_and_saveexec_b64 s[24:25], vcc
	s_xor_b64 s[24:25], exec, s[24:25]
; %bb.327:
	v_bfe_u32 v4, v3, 20, 1
	s_mov_b32 s26, 0x407ffff
	v_add3_u32 v3, v3, v4, s26
	v_lshrrev_b32_e32 v4, 20, v3
	v_and_b32_e32 v3, 0xff00000, v3
	s_mov_b32 s26, 0x7f00000
	v_mov_b32_e32 v5, 0x7e
	v_cmp_ne_u32_e32 vcc, s26, v3
	v_cndmask_b32_e32 v4, v5, v4, vcc
                                        ; implicit-def: $vgpr3
; %bb.328:
	s_andn2_saveexec_b64 s[24:25], s[24:25]
; %bb.329:
	v_add_f32_e32 v4, 0x46800000, v3
; %bb.330:
	s_or_b64 exec, exec, s[24:25]
                                        ; implicit-def: $vgpr3
.LBB6_331:
	s_andn2_saveexec_b64 s[20:21], s[20:21]
; %bb.332:
	s_mov_b32 s24, 0x7f800000
	v_mov_b32_e32 v4, 0x7e
	v_mov_b32_e32 v5, 0x7f
	v_cmp_lt_u32_e32 vcc, s24, v3
	v_cndmask_b32_e32 v4, v4, v5, vcc
; %bb.333:
	s_or_b64 exec, exec, s[20:21]
	global_store_byte v[0:1], v4, off
.LBB6_334:
	s_mov_b64 s[20:21], 0
.LBB6_335:
	s_andn2_b64 vcc, exec, s[20:21]
	s_cbranch_vccnz .LBB6_345
; %bb.336:
	v_cvt_f32_ubyte0_e32 v3, v2
	s_mov_b32 s20, 0x47800000
	v_cmp_gt_u32_e32 vcc, s20, v3
                                        ; implicit-def: $vgpr4
	s_and_saveexec_b64 s[20:21], vcc
	s_xor_b64 s[20:21], exec, s[20:21]
	s_cbranch_execz .LBB6_342
; %bb.337:
	s_mov_b32 s24, 0x387fffff
	v_cmp_lt_u32_e32 vcc, s24, v3
                                        ; implicit-def: $vgpr4
	s_and_saveexec_b64 s[24:25], vcc
	s_xor_b64 s[24:25], exec, s[24:25]
; %bb.338:
	v_bfe_u32 v4, v3, 21, 1
	s_mov_b32 s26, 0x80fffff
	v_add3_u32 v3, v3, v4, s26
	v_lshrrev_b32_e32 v4, 21, v3
                                        ; implicit-def: $vgpr3
; %bb.339:
	s_andn2_saveexec_b64 s[24:25], s[24:25]
; %bb.340:
	v_add_f32_e32 v4, 0x43000000, v3
; %bb.341:
	s_or_b64 exec, exec, s[24:25]
                                        ; implicit-def: $vgpr3
.LBB6_342:
	s_andn2_saveexec_b64 s[20:21], s[20:21]
; %bb.343:
	s_mov_b32 s24, 0x7f800000
	v_mov_b32_e32 v4, 0x7c
	v_mov_b32_e32 v5, 0x7f
	v_cmp_lt_u32_e32 vcc, s24, v3
	v_cndmask_b32_e32 v4, v4, v5, vcc
; %bb.344:
	s_or_b64 exec, exec, s[20:21]
	global_store_byte v[0:1], v4, off
.LBB6_345:
	s_mov_b64 s[24:25], 0
	s_mov_b64 s[20:21], -1
.LBB6_346:
	s_andn2_b64 vcc, exec, s[24:25]
	s_cbranch_vccnz .LBB6_354
; %bb.347:
	s_cmp_gt_i32 s29, 14
	s_mov_b64 s[24:25], -1
	s_cbranch_scc0 .LBB6_351
; %bb.348:
	s_cmp_eq_u32 s29, 15
	s_mov_b64 s[0:1], -1
	s_cbranch_scc0 .LBB6_350
; %bb.349:
	v_cvt_f32_ubyte0_e32 v3, v2
	v_bfe_u32 v4, v3, 16, 1
	s_movk_i32 s0, 0x7fff
	v_add3_u32 v3, v3, v4, s0
	global_store_short_d16_hi v[0:1], v3, off
	s_mov_b64 s[20:21], -1
	s_mov_b64 s[0:1], 0
.LBB6_350:
	s_mov_b64 s[24:25], 0
.LBB6_351:
	s_and_b64 vcc, exec, s[24:25]
	s_cbranch_vccz .LBB6_354
; %bb.352:
	s_cmp_eq_u32 s29, 11
	s_mov_b64 s[0:1], -1
	s_cbranch_scc0 .LBB6_354
; %bb.353:
	v_mov_b32_e32 v3, 0
	v_cmp_ne_u16_sdwa s[0:1], v2, v3 src0_sel:BYTE_0 src1_sel:DWORD
	v_cndmask_b32_e64 v3, 0, 1, s[0:1]
	s_mov_b64 s[20:21], -1
	s_mov_b64 s[0:1], 0
	global_store_byte v[0:1], v3, off
.LBB6_354:
	s_mov_b64 s[24:25], 0
.LBB6_355:
	s_and_b64 vcc, exec, s[24:25]
	s_cbranch_vccz .LBB6_394
; %bb.356:
	s_and_b32 s24, 0xffff, s28
	s_cmp_lt_i32 s24, 5
	s_mov_b64 s[20:21], -1
	s_cbranch_scc1 .LBB6_377
; %bb.357:
	s_cmp_lt_i32 s24, 8
	s_cbranch_scc1 .LBB6_367
; %bb.358:
	s_cmp_lt_i32 s24, 9
	s_cbranch_scc1 .LBB6_364
; %bb.359:
	s_cmp_gt_i32 s24, 9
	s_cbranch_scc0 .LBB6_361
; %bb.360:
	s_mov_b32 s20, 0xffff
	v_and_b32_sdwa v3, s20, v2 dst_sel:DWORD dst_unused:UNUSED_PAD src0_sel:DWORD src1_sel:BYTE_0
	v_cvt_f64_u32_e32 v[3:4], v3
	v_mov_b32_e32 v5, 0
	v_mov_b32_e32 v6, v5
	s_mov_b64 s[20:21], 0
	global_store_dwordx4 v[0:1], v[3:6], off
.LBB6_361:
	s_andn2_b64 vcc, exec, s[20:21]
	s_cbranch_vccnz .LBB6_363
; %bb.362:
	v_cvt_f32_ubyte0_e32 v3, v2
	v_mov_b32_e32 v4, 0
	global_store_dwordx2 v[0:1], v[3:4], off
.LBB6_363:
	s_mov_b64 s[20:21], 0
.LBB6_364:
	s_andn2_b64 vcc, exec, s[20:21]
	s_cbranch_vccnz .LBB6_366
; %bb.365:
	v_cvt_f16_u16_sdwa v3, v2 dst_sel:DWORD dst_unused:UNUSED_PAD src0_sel:BYTE_0
	global_store_dword v[0:1], v3, off
.LBB6_366:
	s_mov_b64 s[20:21], 0
.LBB6_367:
	s_andn2_b64 vcc, exec, s[20:21]
	s_cbranch_vccnz .LBB6_376
; %bb.368:
	s_cmp_lt_i32 s24, 6
	s_mov_b64 s[20:21], -1
	s_cbranch_scc1 .LBB6_374
; %bb.369:
	s_cmp_gt_i32 s24, 6
	s_cbranch_scc0 .LBB6_371
; %bb.370:
	s_mov_b32 s20, 0xffff
	v_and_b32_sdwa v3, s20, v2 dst_sel:DWORD dst_unused:UNUSED_PAD src0_sel:DWORD src1_sel:BYTE_0
	v_cvt_f64_u32_e32 v[3:4], v3
	s_mov_b64 s[20:21], 0
	global_store_dwordx2 v[0:1], v[3:4], off
.LBB6_371:
	s_andn2_b64 vcc, exec, s[20:21]
	s_cbranch_vccnz .LBB6_373
; %bb.372:
	v_cvt_f32_ubyte0_e32 v3, v2
	global_store_dword v[0:1], v3, off
.LBB6_373:
	s_mov_b64 s[20:21], 0
.LBB6_374:
	s_andn2_b64 vcc, exec, s[20:21]
	s_cbranch_vccnz .LBB6_376
; %bb.375:
	v_cvt_f16_u16_sdwa v3, v2 dst_sel:DWORD dst_unused:UNUSED_PAD src0_sel:BYTE_0
	global_store_short v[0:1], v3, off
.LBB6_376:
	s_mov_b64 s[20:21], 0
.LBB6_377:
	s_andn2_b64 vcc, exec, s[20:21]
	s_cbranch_vccnz .LBB6_393
; %bb.378:
	s_cmp_lt_i32 s24, 2
	s_mov_b64 s[20:21], -1
	s_cbranch_scc1 .LBB6_388
; %bb.379:
	s_cmp_lt_i32 s24, 3
	s_cbranch_scc1 .LBB6_385
; %bb.380:
	s_cmp_gt_i32 s24, 3
	s_cbranch_scc0 .LBB6_382
; %bb.381:
	v_and_b32_e32 v3, 0xff, v2
	v_mov_b32_e32 v4, 0
	s_mov_b64 s[20:21], 0
	global_store_dwordx2 v[0:1], v[3:4], off
.LBB6_382:
	s_andn2_b64 vcc, exec, s[20:21]
	s_cbranch_vccnz .LBB6_384
; %bb.383:
	v_and_b32_e32 v3, 0xff, v2
	global_store_dword v[0:1], v3, off
.LBB6_384:
	s_mov_b64 s[20:21], 0
.LBB6_385:
	s_andn2_b64 vcc, exec, s[20:21]
	s_cbranch_vccnz .LBB6_387
; %bb.386:
	v_and_b32_e32 v3, 0xff, v2
	global_store_short v[0:1], v3, off
.LBB6_387:
	s_mov_b64 s[20:21], 0
.LBB6_388:
	s_andn2_b64 vcc, exec, s[20:21]
	s_cbranch_vccnz .LBB6_393
; %bb.389:
	s_cmp_gt_i32 s24, 0
	s_mov_b64 s[20:21], -1
	s_cbranch_scc0 .LBB6_391
; %bb.390:
	s_mov_b64 s[20:21], 0
	global_store_byte v[0:1], v2, off
.LBB6_391:
	s_andn2_b64 vcc, exec, s[20:21]
	s_cbranch_vccnz .LBB6_393
; %bb.392:
	global_store_byte v[0:1], v2, off
.LBB6_393:
	s_mov_b64 s[20:21], -1
.LBB6_394:
	s_andn2_b64 vcc, exec, s[20:21]
	s_cbranch_vccnz .LBB6_396
; %bb.395:
	v_add_u32_e32 v8, 0x80, v8
	s_mov_b64 s[24:25], -1
	s_branch .LBB6_504
.LBB6_396:
	s_mov_b64 s[24:25], 0
                                        ; implicit-def: $vgpr8
	s_branch .LBB6_504
.LBB6_397:
	s_mov_b64 s[18:19], -1
                                        ; implicit-def: $vgpr2
.LBB6_398:
	s_mov_b64 s[20:21], 0
.LBB6_399:
	s_and_b64 vcc, exec, s[20:21]
	s_cbranch_vccz .LBB6_403
; %bb.400:
	s_cmp_eq_u32 s25, 29
	s_cbranch_scc0 .LBB6_402
; %bb.401:
	global_load_dwordx2 v[2:3], v[0:1], off
	s_mov_b64 s[0:1], -1
	s_mov_b64 s[18:19], 0
	s_branch .LBB6_403
.LBB6_402:
	s_mov_b64 s[18:19], -1
                                        ; implicit-def: $vgpr2
.LBB6_403:
	s_mov_b64 s[20:21], 0
.LBB6_404:
	s_and_b64 vcc, exec, s[20:21]
	s_cbranch_vccz .LBB6_420
; %bb.405:
	s_cmp_lt_i32 s25, 27
	s_cbranch_scc1 .LBB6_408
; %bb.406:
	s_cmp_gt_i32 s25, 27
	s_cbranch_scc0 .LBB6_409
; %bb.407:
	global_load_dword v2, v[0:1], off
	s_mov_b64 s[0:1], 0
	s_branch .LBB6_410
.LBB6_408:
	s_mov_b64 s[0:1], -1
                                        ; implicit-def: $vgpr2
	s_branch .LBB6_413
.LBB6_409:
	s_mov_b64 s[0:1], -1
                                        ; implicit-def: $vgpr2
.LBB6_410:
	s_andn2_b64 vcc, exec, s[0:1]
	s_cbranch_vccnz .LBB6_412
; %bb.411:
	global_load_ushort v2, v[0:1], off
.LBB6_412:
	s_mov_b64 s[0:1], 0
.LBB6_413:
	s_andn2_b64 vcc, exec, s[0:1]
	s_cbranch_vccnz .LBB6_419
; %bb.414:
	global_load_ubyte v3, v[0:1], off
	s_movk_i32 s0, 0x7f
	s_mov_b64 s[20:21], 0
	s_waitcnt vmcnt(0)
	v_cmp_lt_i16_e32 vcc, s0, v3
	s_and_saveexec_b64 s[0:1], vcc
	s_xor_b64 s[0:1], exec, s[0:1]
	s_cbranch_execz .LBB6_431
; %bb.415:
	s_movk_i32 s20, 0x80
	v_cmp_ne_u16_e32 vcc, s20, v3
	s_and_b64 s[20:21], vcc, exec
	s_andn2_saveexec_b64 s[0:1], s[0:1]
	s_cbranch_execnz .LBB6_432
.LBB6_416:
	s_or_b64 exec, exec, s[0:1]
	v_mov_b32_e32 v2, 0
	s_and_saveexec_b64 s[0:1], s[20:21]
	s_cbranch_execz .LBB6_418
.LBB6_417:
	v_lshlrev_b32_e32 v2, 24, v3
	v_and_b32_e32 v3, 0xffff, v3
	v_and_b32_e32 v4, 7, v3
	v_ffbh_u32_e32 v6, v4
	v_min_u32_e32 v6, 32, v6
	v_subrev_u32_e32 v9, 28, v6
	v_bfe_u32 v5, v3, 3, 4
	v_lshlrev_b32_e32 v3, v9, v3
	v_sub_u32_e32 v6, 29, v6
	v_and_b32_e32 v3, 7, v3
	v_cmp_eq_u32_e32 vcc, 0, v5
	v_cndmask_b32_e32 v5, v5, v6, vcc
	v_cndmask_b32_e32 v3, v4, v3, vcc
	v_mov_b32_e32 v4, 0x3b800000
	v_lshlrev_b32_e32 v3, 20, v3
	v_and_b32_e32 v2, 0x80000000, v2
	v_lshl_add_u32 v4, v5, 23, v4
	v_or3_b32 v2, v2, v4, v3
	v_trunc_f32_e32 v2, v2
	s_mov_b32 s20, 0x2f800000
	v_mul_f32_e64 v3, |v2|, s20
	v_floor_f32_e32 v3, v3
	s_mov_b32 s20, 0xcf800000
	v_fma_f32 v3, v3, s20, |v2|
	v_cvt_u32_f32_e32 v3, v3
	v_ashrrev_i32_e32 v2, 31, v2
	v_xor_b32_e32 v3, v3, v2
	v_sub_u32_e32 v2, v3, v2
.LBB6_418:
	s_or_b64 exec, exec, s[0:1]
.LBB6_419:
	s_mov_b64 s[0:1], -1
.LBB6_420:
	s_mov_b64 s[20:21], 0
.LBB6_421:
	s_and_b64 vcc, exec, s[20:21]
	s_cbranch_vccz .LBB6_454
; %bb.422:
	s_cmp_gt_i32 s25, 22
	s_cbranch_scc0 .LBB6_430
; %bb.423:
	s_cmp_lt_i32 s25, 24
	s_cbranch_scc1 .LBB6_433
; %bb.424:
	s_cmp_gt_i32 s25, 24
	s_cbranch_scc0 .LBB6_434
; %bb.425:
	global_load_ubyte v3, v[0:1], off
	s_movk_i32 s0, 0x7f
	s_mov_b64 s[20:21], 0
	s_waitcnt vmcnt(0)
	v_cmp_lt_i16_e32 vcc, s0, v3
	s_and_saveexec_b64 s[0:1], vcc
	s_xor_b64 s[0:1], exec, s[0:1]
	s_cbranch_execz .LBB6_446
; %bb.426:
	s_movk_i32 s20, 0x80
	v_cmp_ne_u16_e32 vcc, s20, v3
	s_and_b64 s[20:21], vcc, exec
	s_andn2_saveexec_b64 s[0:1], s[0:1]
	s_cbranch_execnz .LBB6_447
.LBB6_427:
	s_or_b64 exec, exec, s[0:1]
	v_mov_b32_e32 v2, 0
	s_and_saveexec_b64 s[0:1], s[20:21]
	s_cbranch_execz .LBB6_429
.LBB6_428:
	v_lshlrev_b32_e32 v2, 24, v3
	v_and_b32_e32 v3, 0xffff, v3
	v_and_b32_e32 v4, 3, v3
	v_ffbh_u32_e32 v6, v4
	v_min_u32_e32 v6, 32, v6
	v_subrev_u32_e32 v9, 29, v6
	v_bfe_u32 v5, v3, 2, 5
	v_lshlrev_b32_e32 v3, v9, v3
	v_sub_u32_e32 v6, 30, v6
	v_and_b32_e32 v3, 3, v3
	v_cmp_eq_u32_e32 vcc, 0, v5
	v_cndmask_b32_e32 v5, v5, v6, vcc
	v_cndmask_b32_e32 v3, v4, v3, vcc
	v_mov_b32_e32 v4, 0x37800000
	v_lshlrev_b32_e32 v3, 21, v3
	v_and_b32_e32 v2, 0x80000000, v2
	v_lshl_add_u32 v4, v5, 23, v4
	v_or3_b32 v2, v2, v4, v3
	v_trunc_f32_e32 v2, v2
	s_mov_b32 s20, 0x2f800000
	v_mul_f32_e64 v3, |v2|, s20
	v_floor_f32_e32 v3, v3
	s_mov_b32 s20, 0xcf800000
	v_fma_f32 v3, v3, s20, |v2|
	v_cvt_u32_f32_e32 v3, v3
	v_ashrrev_i32_e32 v2, 31, v2
	v_xor_b32_e32 v3, v3, v2
	v_sub_u32_e32 v2, v3, v2
.LBB6_429:
	s_or_b64 exec, exec, s[0:1]
	s_mov_b64 s[0:1], 0
	s_branch .LBB6_435
.LBB6_430:
	s_mov_b64 s[20:21], -1
                                        ; implicit-def: $vgpr2
	s_branch .LBB6_441
.LBB6_431:
	s_andn2_saveexec_b64 s[0:1], s[0:1]
	s_cbranch_execz .LBB6_416
.LBB6_432:
	v_cmp_ne_u16_e32 vcc, 0, v3
	s_andn2_b64 s[20:21], s[20:21], exec
	s_and_b64 s[26:27], vcc, exec
	s_or_b64 s[20:21], s[20:21], s[26:27]
	s_or_b64 exec, exec, s[0:1]
	v_mov_b32_e32 v2, 0
	s_and_saveexec_b64 s[0:1], s[20:21]
	s_cbranch_execnz .LBB6_417
	s_branch .LBB6_418
.LBB6_433:
	s_mov_b64 s[0:1], -1
                                        ; implicit-def: $vgpr2
	s_branch .LBB6_438
.LBB6_434:
	s_mov_b64 s[0:1], -1
                                        ; implicit-def: $vgpr2
.LBB6_435:
	s_and_b64 vcc, exec, s[0:1]
	s_cbranch_vccz .LBB6_437
; %bb.436:
	global_load_ubyte v2, v[0:1], off
	s_mov_b32 s0, 0x7f800000
	s_brev_b32 s1, 1
	s_mov_b32 s20, 0x2f800000
	s_waitcnt vmcnt(0)
	v_lshlrev_b32_e32 v2, 24, v2
	v_and_b32_e32 v3, 0x7f000000, v2
	v_ffbh_u32_e32 v4, v3
	v_min_u32_e32 v4, 32, v4
	v_sub_u32_e64 v4, v4, 4 clamp
	v_lshlrev_b32_e32 v6, v4, v3
	v_lshlrev_b32_e32 v4, 23, v4
	v_lshrrev_b32_e32 v6, 4, v6
	v_add_u32_e32 v5, 0x1000000, v3
	v_sub_u32_e32 v4, v6, v4
	v_ashrrev_i32_e32 v5, 8, v5
	v_add_u32_e32 v4, 0x3c000000, v4
	v_and_or_b32 v4, v5, s0, v4
	v_cmp_ne_u32_e32 vcc, 0, v3
	v_cndmask_b32_e32 v3, 0, v4, vcc
	v_and_or_b32 v2, v2, s1, v3
	v_trunc_f32_e32 v2, v2
	v_mul_f32_e64 v3, |v2|, s20
	v_floor_f32_e32 v3, v3
	s_mov_b32 s0, 0xcf800000
	v_fma_f32 v3, v3, s0, |v2|
	v_cvt_u32_f32_e32 v3, v3
	v_ashrrev_i32_e32 v2, 31, v2
	v_xor_b32_e32 v3, v3, v2
	v_sub_u32_e32 v2, v3, v2
.LBB6_437:
	s_mov_b64 s[0:1], 0
.LBB6_438:
	s_andn2_b64 vcc, exec, s[0:1]
	s_cbranch_vccnz .LBB6_440
; %bb.439:
	global_load_ubyte v2, v[0:1], off
	s_movk_i32 s0, 0x7f00
	s_brev_b32 s1, 16
	s_brev_b32 s20, 1
	s_mov_b32 s21, 0x2f800000
	s_waitcnt vmcnt(0)
	v_lshlrev_b16_e32 v3, 8, v2
	v_lshlrev_b32_e32 v2, 25, v2
	v_lshrrev_b32_e32 v4, 4, v2
	v_and_or_b32 v5, v3, s0, 0.5
	v_or_b32_e32 v4, 0x70000000, v4
	v_add_f32_e32 v5, -0.5, v5
	v_mul_f32_e32 v4, 0x7800000, v4
	v_cmp_gt_u32_e32 vcc, s1, v2
	v_bfe_i32 v3, v3, 0, 16
	v_cndmask_b32_e32 v2, v4, v5, vcc
	v_and_or_b32 v2, v3, s20, v2
	v_trunc_f32_e32 v2, v2
	v_mul_f32_e64 v3, |v2|, s21
	v_floor_f32_e32 v3, v3
	s_mov_b32 s0, 0xcf800000
	v_fma_f32 v3, v3, s0, |v2|
	v_cvt_u32_f32_e32 v3, v3
	v_ashrrev_i32_e32 v2, 31, v2
	v_xor_b32_e32 v3, v3, v2
	v_sub_u32_e32 v2, v3, v2
.LBB6_440:
	s_mov_b64 s[20:21], 0
	s_mov_b64 s[0:1], -1
.LBB6_441:
	s_andn2_b64 vcc, exec, s[20:21]
	s_cbranch_vccnz .LBB6_454
; %bb.442:
	s_cmp_gt_i32 s25, 14
	s_cbranch_scc0 .LBB6_445
; %bb.443:
	s_cmp_eq_u32 s25, 15
	s_cbranch_scc0 .LBB6_448
; %bb.444:
	global_load_ushort v2, v[0:1], off
	s_mov_b32 s0, 0x2f800000
	s_mov_b32 s1, 0xcf800000
	s_mov_b64 s[18:19], 0
	s_waitcnt vmcnt(0)
	v_lshlrev_b32_e32 v2, 16, v2
	v_trunc_f32_e32 v2, v2
	v_mul_f32_e64 v3, |v2|, s0
	v_floor_f32_e32 v3, v3
	v_fma_f32 v3, v3, s1, |v2|
	v_cvt_u32_f32_e32 v3, v3
	v_ashrrev_i32_e32 v2, 31, v2
	s_mov_b64 s[0:1], -1
	v_xor_b32_e32 v3, v3, v2
	v_sub_u32_e32 v2, v3, v2
	s_branch .LBB6_449
.LBB6_445:
	s_mov_b64 s[20:21], -1
                                        ; implicit-def: $vgpr2
	s_branch .LBB6_450
.LBB6_446:
	s_andn2_saveexec_b64 s[0:1], s[0:1]
	s_cbranch_execz .LBB6_427
.LBB6_447:
	v_cmp_ne_u16_e32 vcc, 0, v3
	s_andn2_b64 s[20:21], s[20:21], exec
	s_and_b64 s[26:27], vcc, exec
	s_or_b64 s[20:21], s[20:21], s[26:27]
	s_or_b64 exec, exec, s[0:1]
	v_mov_b32_e32 v2, 0
	s_and_saveexec_b64 s[0:1], s[20:21]
	s_cbranch_execnz .LBB6_428
	s_branch .LBB6_429
.LBB6_448:
	s_mov_b64 s[18:19], -1
                                        ; implicit-def: $vgpr2
.LBB6_449:
	s_mov_b64 s[20:21], 0
.LBB6_450:
	s_and_b64 vcc, exec, s[20:21]
	s_cbranch_vccz .LBB6_454
; %bb.451:
	s_cmp_eq_u32 s25, 11
	s_cbranch_scc0 .LBB6_453
; %bb.452:
	global_load_ubyte v2, v[0:1], off
	s_mov_b64 s[0:1], -1
	s_mov_b64 s[18:19], 0
	s_waitcnt vmcnt(0)
	v_cmp_ne_u16_e32 vcc, 0, v2
	v_cndmask_b32_e64 v2, 0, 1, vcc
	s_branch .LBB6_454
.LBB6_453:
	s_mov_b64 s[18:19], -1
                                        ; implicit-def: $vgpr2
.LBB6_454:
	s_branch .LBB6_261
.LBB6_455:
	s_and_b32 s20, 0xffff, s24
	s_cmp_lt_i32 s20, 5
	s_cbranch_scc1 .LBB6_460
; %bb.456:
	s_cmp_lt_i32 s20, 8
	s_cbranch_scc1 .LBB6_461
; %bb.457:
	;; [unrolled: 3-line block ×3, first 2 shown]
	s_cmp_gt_i32 s20, 9
	s_cbranch_scc0 .LBB6_463
; %bb.459:
	global_load_dwordx2 v[2:3], v[0:1], off
	s_movk_i32 s0, 0xffe0
	s_waitcnt vmcnt(0)
	v_trunc_f64_e32 v[2:3], v[2:3]
	v_ldexp_f64 v[4:5], v[2:3], s0
	s_mov_b32 s0, 0
	s_mov_b32 s1, 0xc1f00000
	v_floor_f64_e32 v[4:5], v[4:5]
	v_fma_f64 v[2:3], v[4:5], s[0:1], v[2:3]
	s_mov_b64 s[0:1], 0
	v_cvt_u32_f64_e32 v2, v[2:3]
	s_branch .LBB6_464
.LBB6_460:
	s_mov_b64 s[0:1], -1
                                        ; implicit-def: $vgpr2
	s_branch .LBB6_482
.LBB6_461:
	s_mov_b64 s[0:1], -1
                                        ; implicit-def: $vgpr2
	s_branch .LBB6_470
.LBB6_462:
	s_mov_b64 s[0:1], -1
                                        ; implicit-def: $vgpr2
	s_branch .LBB6_467
.LBB6_463:
	s_mov_b64 s[0:1], -1
                                        ; implicit-def: $vgpr2
.LBB6_464:
	s_andn2_b64 vcc, exec, s[0:1]
	s_cbranch_vccnz .LBB6_466
; %bb.465:
	global_load_dword v2, v[0:1], off
	s_mov_b32 s0, 0x2f800000
	s_waitcnt vmcnt(0)
	v_trunc_f32_e32 v2, v2
	v_mul_f32_e64 v3, |v2|, s0
	v_floor_f32_e32 v3, v3
	s_mov_b32 s0, 0xcf800000
	v_fma_f32 v3, v3, s0, |v2|
	v_cvt_u32_f32_e32 v3, v3
	v_ashrrev_i32_e32 v2, 31, v2
	v_xor_b32_e32 v3, v3, v2
	v_sub_u32_e32 v2, v3, v2
.LBB6_466:
	s_mov_b64 s[0:1], 0
.LBB6_467:
	s_andn2_b64 vcc, exec, s[0:1]
	s_cbranch_vccnz .LBB6_469
; %bb.468:
	global_load_dword v2, v[0:1], off
	s_waitcnt vmcnt(0)
	v_cvt_f32_f16_e32 v2, v2
	v_cvt_i32_f32_e32 v2, v2
.LBB6_469:
	s_mov_b64 s[0:1], 0
.LBB6_470:
	s_andn2_b64 vcc, exec, s[0:1]
	s_cbranch_vccnz .LBB6_481
; %bb.471:
	s_cmp_lt_i32 s20, 6
	s_cbranch_scc1 .LBB6_474
; %bb.472:
	s_cmp_gt_i32 s20, 6
	s_cbranch_scc0 .LBB6_475
; %bb.473:
	global_load_dwordx2 v[2:3], v[0:1], off
	s_movk_i32 s0, 0xffe0
	s_waitcnt vmcnt(0)
	v_trunc_f64_e32 v[2:3], v[2:3]
	v_ldexp_f64 v[4:5], v[2:3], s0
	s_mov_b32 s0, 0
	s_mov_b32 s1, 0xc1f00000
	v_floor_f64_e32 v[4:5], v[4:5]
	v_fma_f64 v[2:3], v[4:5], s[0:1], v[2:3]
	s_mov_b64 s[0:1], 0
	v_cvt_u32_f64_e32 v2, v[2:3]
	s_branch .LBB6_476
.LBB6_474:
	s_mov_b64 s[0:1], -1
                                        ; implicit-def: $vgpr2
	s_branch .LBB6_479
.LBB6_475:
	s_mov_b64 s[0:1], -1
                                        ; implicit-def: $vgpr2
.LBB6_476:
	s_andn2_b64 vcc, exec, s[0:1]
	s_cbranch_vccnz .LBB6_478
; %bb.477:
	global_load_dword v2, v[0:1], off
	s_mov_b32 s0, 0x2f800000
	s_waitcnt vmcnt(0)
	v_trunc_f32_e32 v2, v2
	v_mul_f32_e64 v3, |v2|, s0
	v_floor_f32_e32 v3, v3
	s_mov_b32 s0, 0xcf800000
	v_fma_f32 v3, v3, s0, |v2|
	v_cvt_u32_f32_e32 v3, v3
	v_ashrrev_i32_e32 v2, 31, v2
	v_xor_b32_e32 v3, v3, v2
	v_sub_u32_e32 v2, v3, v2
.LBB6_478:
	s_mov_b64 s[0:1], 0
.LBB6_479:
	s_andn2_b64 vcc, exec, s[0:1]
	s_cbranch_vccnz .LBB6_481
; %bb.480:
	global_load_ushort v2, v[0:1], off
	s_waitcnt vmcnt(0)
	v_cvt_f32_f16_e32 v2, v2
	v_cvt_i32_f32_e32 v2, v2
.LBB6_481:
	s_mov_b64 s[0:1], 0
.LBB6_482:
	s_andn2_b64 vcc, exec, s[0:1]
	s_cbranch_vccnz .LBB6_502
; %bb.483:
	s_cmp_lt_i32 s20, 2
	s_cbranch_scc1 .LBB6_487
; %bb.484:
	s_cmp_lt_i32 s20, 3
	s_cbranch_scc1 .LBB6_488
; %bb.485:
	s_cmp_gt_i32 s20, 3
	s_cbranch_scc0 .LBB6_489
; %bb.486:
	global_load_dwordx2 v[2:3], v[0:1], off
	s_mov_b64 s[0:1], 0
	s_branch .LBB6_490
.LBB6_487:
	s_mov_b64 s[0:1], -1
                                        ; implicit-def: $vgpr2
	s_branch .LBB6_496
.LBB6_488:
	s_mov_b64 s[0:1], -1
                                        ; implicit-def: $vgpr2
	s_branch .LBB6_493
.LBB6_489:
	s_mov_b64 s[0:1], -1
                                        ; implicit-def: $vgpr2
.LBB6_490:
	s_andn2_b64 vcc, exec, s[0:1]
	s_cbranch_vccnz .LBB6_492
; %bb.491:
	global_load_dword v2, v[0:1], off
.LBB6_492:
	s_mov_b64 s[0:1], 0
.LBB6_493:
	s_andn2_b64 vcc, exec, s[0:1]
	s_cbranch_vccnz .LBB6_495
; %bb.494:
	global_load_ushort v2, v[0:1], off
.LBB6_495:
	s_mov_b64 s[0:1], 0
.LBB6_496:
	s_andn2_b64 vcc, exec, s[0:1]
	s_cbranch_vccnz .LBB6_502
; %bb.497:
	s_cmp_gt_i32 s20, 0
	s_cbranch_scc0 .LBB6_499
; %bb.498:
	global_load_ubyte v2, v[0:1], off
	s_mov_b64 s[0:1], 0
	s_branch .LBB6_500
.LBB6_499:
	s_mov_b64 s[0:1], -1
                                        ; implicit-def: $vgpr2
.LBB6_500:
	s_andn2_b64 vcc, exec, s[0:1]
	s_cbranch_vccnz .LBB6_502
; %bb.501:
	global_load_ubyte v2, v[0:1], off
.LBB6_502:
	s_branch .LBB6_262
.LBB6_503:
	s_mov_b64 s[24:25], 0
                                        ; implicit-def: $vgpr8
	s_mov_b64 s[0:1], s[6:7]
.LBB6_504:
	s_andn2_b64 s[20:21], s[6:7], exec
	s_and_b64 s[0:1], s[0:1], exec
	s_or_b64 s[20:21], s[20:21], s[0:1]
	s_andn2_b64 s[0:1], s[14:15], exec
	s_and_b64 s[18:19], s[18:19], exec
	s_or_b64 s[18:19], s[0:1], s[18:19]
	s_orn2_b64 s[0:1], s[24:25], exec
.LBB6_505:
	s_or_b64 exec, exec, s[22:23]
	s_mov_b64 s[24:25], 0
	s_mov_b64 s[26:27], 0
	;; [unrolled: 1-line block ×3, first 2 shown]
                                        ; implicit-def: $sgpr43
                                        ; implicit-def: $vgpr0_vgpr1
                                        ; implicit-def: $vgpr2
	s_and_saveexec_b64 s[22:23], s[0:1]
	s_cbranch_execz .LBB6_842
; %bb.506:
	v_cmp_gt_i32_e32 vcc, s38, v8
	s_mov_b64 s[34:35], -1
	s_mov_b64 s[0:1], s[18:19]
	s_mov_b64 s[28:29], s[20:21]
	s_and_saveexec_b64 s[24:25], vcc
	s_cbranch_execz .LBB6_760
; %bb.507:
	v_mul_lo_u32 v0, v8, s3
	v_mov_b32_e32 v1, s11
	s_and_b32 s30, s42, 0xff
	s_cmp_lt_i32 s30, 11
	s_waitcnt vmcnt(0)
	v_ashrrev_i32_e32 v2, 31, v0
	v_add_co_u32_e32 v0, vcc, s10, v0
	v_addc_co_u32_e32 v1, vcc, v1, v2, vcc
	s_cbranch_scc1 .LBB6_514
; %bb.508:
	s_and_b32 s31, 0xffff, s30
	s_cmp_gt_i32 s31, 25
	s_cbranch_scc0 .LBB6_515
; %bb.509:
	s_cmp_gt_i32 s31, 28
	s_cbranch_scc0 .LBB6_516
; %bb.510:
	;; [unrolled: 3-line block ×4, first 2 shown]
	s_cmp_eq_u32 s31, 46
	s_mov_b64 s[28:29], 0
	s_cbranch_scc0 .LBB6_523
; %bb.513:
	global_load_dword v2, v[0:1], off
	s_mov_b32 s0, 0x2f800000
	s_mov_b32 s1, 0xcf800000
	s_waitcnt vmcnt(0)
	v_lshlrev_b32_e32 v2, 16, v2
	v_trunc_f32_e32 v2, v2
	v_mul_f32_e64 v3, |v2|, s0
	v_floor_f32_e32 v3, v3
	v_fma_f32 v3, v3, s1, |v2|
	v_cvt_u32_f32_e32 v3, v3
	v_ashrrev_i32_e32 v2, 31, v2
	s_mov_b64 s[0:1], -1
	v_xor_b32_e32 v3, v3, v2
	v_sub_u32_e32 v2, v3, v2
	s_branch .LBB6_524
.LBB6_514:
	s_mov_b64 s[28:29], -1
	s_mov_b64 s[0:1], 0
                                        ; implicit-def: $vgpr2
	s_mov_b64 s[26:27], s[18:19]
	s_branch .LBB6_585
.LBB6_515:
	s_mov_b64 s[28:29], -1
	s_mov_b64 s[0:1], 0
	s_mov_b64 s[26:27], s[18:19]
                                        ; implicit-def: $vgpr2
	s_branch .LBB6_551
.LBB6_516:
	s_mov_b64 s[28:29], -1
	s_mov_b64 s[0:1], 0
	s_mov_b64 s[26:27], s[18:19]
                                        ; implicit-def: $vgpr2
	s_branch .LBB6_534
.LBB6_517:
	s_mov_b64 s[28:29], -1
	s_mov_b64 s[0:1], 0
	s_mov_b64 s[26:27], s[18:19]
                                        ; implicit-def: $vgpr2
	s_branch .LBB6_529
.LBB6_518:
	s_andn2_saveexec_b64 s[26:27], s[26:27]
	s_cbranch_execz .LBB6_307
.LBB6_519:
	v_add_f32_e32 v3, 0x46000000, v4
	v_and_b32_e32 v3, 0xff, v3
	v_cmp_ne_u32_e32 vcc, 0, v3
	s_andn2_b64 s[24:25], s[24:25], exec
	s_and_b64 s[30:31], vcc, exec
	s_or_b64 s[24:25], s[24:25], s[30:31]
	s_or_b64 exec, exec, s[26:27]
	v_mov_b32_e32 v5, 0
	s_and_saveexec_b64 s[26:27], s[24:25]
	s_cbranch_execnz .LBB6_308
	s_branch .LBB6_309
.LBB6_520:
	s_mov_b64 s[28:29], -1
	s_mov_b64 s[0:1], 0
	s_mov_b64 s[26:27], s[18:19]
                                        ; implicit-def: $vgpr2
	s_branch .LBB6_524
.LBB6_521:
	s_andn2_saveexec_b64 s[26:27], s[26:27]
	s_cbranch_execz .LBB6_320
.LBB6_522:
	v_add_f32_e32 v3, 0x42800000, v4
	v_and_b32_e32 v3, 0xff, v3
	v_cmp_ne_u32_e32 vcc, 0, v3
	s_andn2_b64 s[24:25], s[24:25], exec
	s_and_b64 s[30:31], vcc, exec
	s_or_b64 s[24:25], s[24:25], s[30:31]
	s_or_b64 exec, exec, s[26:27]
	v_mov_b32_e32 v5, 0
	s_and_saveexec_b64 s[26:27], s[24:25]
	s_cbranch_execnz .LBB6_321
	s_branch .LBB6_322
.LBB6_523:
	s_mov_b64 s[26:27], -1
                                        ; implicit-def: $vgpr2
	s_mov_b64 s[0:1], 0
.LBB6_524:
	s_and_b64 vcc, exec, s[28:29]
	s_cbranch_vccz .LBB6_528
; %bb.525:
	s_cmp_eq_u32 s31, 44
	s_cbranch_scc0 .LBB6_527
; %bb.526:
	global_load_ubyte v2, v[0:1], off
	s_mov_b32 s0, 0x2f800000
	s_mov_b32 s1, 0xcf800000
	s_mov_b64 s[26:27], 0
	s_waitcnt vmcnt(0)
	v_lshlrev_b32_e32 v3, 23, v2
	v_trunc_f32_e32 v3, v3
	v_mul_f32_e64 v4, |v3|, s0
	v_floor_f32_e32 v4, v4
	v_fma_f32 v4, v4, s1, |v3|
	v_cvt_u32_f32_e32 v4, v4
	v_ashrrev_i32_e32 v3, 31, v3
	v_cmp_ne_u32_e32 vcc, 0, v2
	s_mov_b64 s[0:1], -1
	v_xor_b32_e32 v4, v4, v3
	v_sub_u32_e32 v3, v4, v3
	v_cndmask_b32_e32 v2, 0, v3, vcc
	s_branch .LBB6_528
.LBB6_527:
	s_mov_b64 s[26:27], -1
                                        ; implicit-def: $vgpr2
.LBB6_528:
	s_mov_b64 s[28:29], 0
.LBB6_529:
	s_and_b64 vcc, exec, s[28:29]
	s_cbranch_vccz .LBB6_533
; %bb.530:
	s_cmp_eq_u32 s31, 29
	s_cbranch_scc0 .LBB6_532
; %bb.531:
	global_load_dwordx2 v[2:3], v[0:1], off
	s_mov_b64 s[0:1], -1
	s_mov_b64 s[26:27], 0
	s_branch .LBB6_533
.LBB6_532:
	s_mov_b64 s[26:27], -1
                                        ; implicit-def: $vgpr2
.LBB6_533:
	s_mov_b64 s[28:29], 0
.LBB6_534:
	s_and_b64 vcc, exec, s[28:29]
	s_cbranch_vccz .LBB6_550
; %bb.535:
	s_cmp_lt_i32 s31, 27
	s_cbranch_scc1 .LBB6_538
; %bb.536:
	s_cmp_gt_i32 s31, 27
	s_cbranch_scc0 .LBB6_539
; %bb.537:
	global_load_dword v2, v[0:1], off
	s_mov_b64 s[0:1], 0
	s_branch .LBB6_540
.LBB6_538:
	s_mov_b64 s[0:1], -1
                                        ; implicit-def: $vgpr2
	s_branch .LBB6_543
.LBB6_539:
	s_mov_b64 s[0:1], -1
                                        ; implicit-def: $vgpr2
.LBB6_540:
	s_andn2_b64 vcc, exec, s[0:1]
	s_cbranch_vccnz .LBB6_542
; %bb.541:
	global_load_ushort v2, v[0:1], off
.LBB6_542:
	s_mov_b64 s[0:1], 0
.LBB6_543:
	s_andn2_b64 vcc, exec, s[0:1]
	s_cbranch_vccnz .LBB6_549
; %bb.544:
	global_load_ubyte v3, v[0:1], off
	s_movk_i32 s0, 0x7f
	s_mov_b64 s[28:29], 0
	s_waitcnt vmcnt(0)
	v_cmp_lt_i16_e32 vcc, s0, v3
	s_and_saveexec_b64 s[0:1], vcc
	s_xor_b64 s[0:1], exec, s[0:1]
	s_cbranch_execz .LBB6_561
; %bb.545:
	s_movk_i32 s28, 0x80
	v_cmp_ne_u16_e32 vcc, s28, v3
	s_and_b64 s[28:29], vcc, exec
	s_andn2_saveexec_b64 s[0:1], s[0:1]
	s_cbranch_execnz .LBB6_562
.LBB6_546:
	s_or_b64 exec, exec, s[0:1]
	v_mov_b32_e32 v2, 0
	s_and_saveexec_b64 s[0:1], s[28:29]
	s_cbranch_execz .LBB6_548
.LBB6_547:
	v_lshlrev_b32_e32 v2, 24, v3
	v_and_b32_e32 v3, 0xffff, v3
	v_and_b32_e32 v4, 7, v3
	v_ffbh_u32_e32 v6, v4
	v_min_u32_e32 v6, 32, v6
	v_subrev_u32_e32 v9, 28, v6
	v_bfe_u32 v5, v3, 3, 4
	v_lshlrev_b32_e32 v3, v9, v3
	v_sub_u32_e32 v6, 29, v6
	v_and_b32_e32 v3, 7, v3
	v_cmp_eq_u32_e32 vcc, 0, v5
	v_cndmask_b32_e32 v5, v5, v6, vcc
	v_cndmask_b32_e32 v3, v4, v3, vcc
	v_mov_b32_e32 v4, 0x3b800000
	v_lshlrev_b32_e32 v3, 20, v3
	v_and_b32_e32 v2, 0x80000000, v2
	v_lshl_add_u32 v4, v5, 23, v4
	v_or3_b32 v2, v2, v4, v3
	v_trunc_f32_e32 v2, v2
	s_mov_b32 s28, 0x2f800000
	v_mul_f32_e64 v3, |v2|, s28
	v_floor_f32_e32 v3, v3
	s_mov_b32 s28, 0xcf800000
	v_fma_f32 v3, v3, s28, |v2|
	v_cvt_u32_f32_e32 v3, v3
	v_ashrrev_i32_e32 v2, 31, v2
	v_xor_b32_e32 v3, v3, v2
	v_sub_u32_e32 v2, v3, v2
.LBB6_548:
	s_or_b64 exec, exec, s[0:1]
.LBB6_549:
	s_mov_b64 s[0:1], -1
.LBB6_550:
	s_mov_b64 s[28:29], 0
.LBB6_551:
	s_and_b64 vcc, exec, s[28:29]
	s_cbranch_vccz .LBB6_584
; %bb.552:
	s_cmp_gt_i32 s31, 22
	s_cbranch_scc0 .LBB6_560
; %bb.553:
	s_cmp_lt_i32 s31, 24
	s_cbranch_scc1 .LBB6_563
; %bb.554:
	s_cmp_gt_i32 s31, 24
	s_cbranch_scc0 .LBB6_564
; %bb.555:
	global_load_ubyte v3, v[0:1], off
	s_movk_i32 s0, 0x7f
	s_mov_b64 s[28:29], 0
	s_waitcnt vmcnt(0)
	v_cmp_lt_i16_e32 vcc, s0, v3
	s_and_saveexec_b64 s[0:1], vcc
	s_xor_b64 s[0:1], exec, s[0:1]
	s_cbranch_execz .LBB6_576
; %bb.556:
	s_movk_i32 s28, 0x80
	v_cmp_ne_u16_e32 vcc, s28, v3
	s_and_b64 s[28:29], vcc, exec
	s_andn2_saveexec_b64 s[0:1], s[0:1]
	s_cbranch_execnz .LBB6_577
.LBB6_557:
	s_or_b64 exec, exec, s[0:1]
	v_mov_b32_e32 v2, 0
	s_and_saveexec_b64 s[0:1], s[28:29]
	s_cbranch_execz .LBB6_559
.LBB6_558:
	v_lshlrev_b32_e32 v2, 24, v3
	v_and_b32_e32 v3, 0xffff, v3
	v_and_b32_e32 v4, 3, v3
	v_ffbh_u32_e32 v6, v4
	v_min_u32_e32 v6, 32, v6
	v_subrev_u32_e32 v9, 29, v6
	v_bfe_u32 v5, v3, 2, 5
	v_lshlrev_b32_e32 v3, v9, v3
	v_sub_u32_e32 v6, 30, v6
	v_and_b32_e32 v3, 3, v3
	v_cmp_eq_u32_e32 vcc, 0, v5
	v_cndmask_b32_e32 v5, v5, v6, vcc
	v_cndmask_b32_e32 v3, v4, v3, vcc
	v_mov_b32_e32 v4, 0x37800000
	v_lshlrev_b32_e32 v3, 21, v3
	v_and_b32_e32 v2, 0x80000000, v2
	v_lshl_add_u32 v4, v5, 23, v4
	v_or3_b32 v2, v2, v4, v3
	v_trunc_f32_e32 v2, v2
	s_mov_b32 s28, 0x2f800000
	v_mul_f32_e64 v3, |v2|, s28
	v_floor_f32_e32 v3, v3
	s_mov_b32 s28, 0xcf800000
	v_fma_f32 v3, v3, s28, |v2|
	v_cvt_u32_f32_e32 v3, v3
	v_ashrrev_i32_e32 v2, 31, v2
	v_xor_b32_e32 v3, v3, v2
	v_sub_u32_e32 v2, v3, v2
.LBB6_559:
	s_or_b64 exec, exec, s[0:1]
	s_mov_b64 s[0:1], 0
	s_branch .LBB6_565
.LBB6_560:
	s_mov_b64 s[28:29], -1
                                        ; implicit-def: $vgpr2
	s_branch .LBB6_571
.LBB6_561:
	s_andn2_saveexec_b64 s[0:1], s[0:1]
	s_cbranch_execz .LBB6_546
.LBB6_562:
	v_cmp_ne_u16_e32 vcc, 0, v3
	s_andn2_b64 s[28:29], s[28:29], exec
	s_and_b64 s[34:35], vcc, exec
	s_or_b64 s[28:29], s[28:29], s[34:35]
	s_or_b64 exec, exec, s[0:1]
	v_mov_b32_e32 v2, 0
	s_and_saveexec_b64 s[0:1], s[28:29]
	s_cbranch_execnz .LBB6_547
	s_branch .LBB6_548
.LBB6_563:
	s_mov_b64 s[0:1], -1
                                        ; implicit-def: $vgpr2
	s_branch .LBB6_568
.LBB6_564:
	s_mov_b64 s[0:1], -1
                                        ; implicit-def: $vgpr2
.LBB6_565:
	s_and_b64 vcc, exec, s[0:1]
	s_cbranch_vccz .LBB6_567
; %bb.566:
	global_load_ubyte v2, v[0:1], off
	s_mov_b32 s0, 0x7f800000
	s_brev_b32 s1, 1
	s_mov_b32 s28, 0x2f800000
	s_waitcnt vmcnt(0)
	v_lshlrev_b32_e32 v2, 24, v2
	v_and_b32_e32 v3, 0x7f000000, v2
	v_ffbh_u32_e32 v4, v3
	v_min_u32_e32 v4, 32, v4
	v_sub_u32_e64 v4, v4, 4 clamp
	v_lshlrev_b32_e32 v6, v4, v3
	v_lshlrev_b32_e32 v4, 23, v4
	v_lshrrev_b32_e32 v6, 4, v6
	v_add_u32_e32 v5, 0x1000000, v3
	v_sub_u32_e32 v4, v6, v4
	v_ashrrev_i32_e32 v5, 8, v5
	v_add_u32_e32 v4, 0x3c000000, v4
	v_and_or_b32 v4, v5, s0, v4
	v_cmp_ne_u32_e32 vcc, 0, v3
	v_cndmask_b32_e32 v3, 0, v4, vcc
	v_and_or_b32 v2, v2, s1, v3
	v_trunc_f32_e32 v2, v2
	v_mul_f32_e64 v3, |v2|, s28
	v_floor_f32_e32 v3, v3
	s_mov_b32 s0, 0xcf800000
	v_fma_f32 v3, v3, s0, |v2|
	v_cvt_u32_f32_e32 v3, v3
	v_ashrrev_i32_e32 v2, 31, v2
	v_xor_b32_e32 v3, v3, v2
	v_sub_u32_e32 v2, v3, v2
.LBB6_567:
	s_mov_b64 s[0:1], 0
.LBB6_568:
	s_andn2_b64 vcc, exec, s[0:1]
	s_cbranch_vccnz .LBB6_570
; %bb.569:
	global_load_ubyte v2, v[0:1], off
	s_movk_i32 s0, 0x7f00
	s_brev_b32 s1, 16
	s_brev_b32 s28, 1
	s_mov_b32 s29, 0x2f800000
	s_waitcnt vmcnt(0)
	v_lshlrev_b16_e32 v3, 8, v2
	v_lshlrev_b32_e32 v2, 25, v2
	v_lshrrev_b32_e32 v4, 4, v2
	v_and_or_b32 v5, v3, s0, 0.5
	v_or_b32_e32 v4, 0x70000000, v4
	v_add_f32_e32 v5, -0.5, v5
	v_mul_f32_e32 v4, 0x7800000, v4
	v_cmp_gt_u32_e32 vcc, s1, v2
	v_bfe_i32 v3, v3, 0, 16
	v_cndmask_b32_e32 v2, v4, v5, vcc
	v_and_or_b32 v2, v3, s28, v2
	v_trunc_f32_e32 v2, v2
	v_mul_f32_e64 v3, |v2|, s29
	v_floor_f32_e32 v3, v3
	s_mov_b32 s0, 0xcf800000
	v_fma_f32 v3, v3, s0, |v2|
	v_cvt_u32_f32_e32 v3, v3
	v_ashrrev_i32_e32 v2, 31, v2
	v_xor_b32_e32 v3, v3, v2
	v_sub_u32_e32 v2, v3, v2
.LBB6_570:
	s_mov_b64 s[28:29], 0
	s_mov_b64 s[0:1], -1
.LBB6_571:
	s_andn2_b64 vcc, exec, s[28:29]
	s_cbranch_vccnz .LBB6_584
; %bb.572:
	s_cmp_gt_i32 s31, 14
	s_cbranch_scc0 .LBB6_575
; %bb.573:
	s_cmp_eq_u32 s31, 15
	s_cbranch_scc0 .LBB6_578
; %bb.574:
	global_load_ushort v2, v[0:1], off
	s_mov_b32 s0, 0x2f800000
	s_mov_b32 s1, 0xcf800000
	s_mov_b64 s[26:27], 0
	s_waitcnt vmcnt(0)
	v_lshlrev_b32_e32 v2, 16, v2
	v_trunc_f32_e32 v2, v2
	v_mul_f32_e64 v3, |v2|, s0
	v_floor_f32_e32 v3, v3
	v_fma_f32 v3, v3, s1, |v2|
	v_cvt_u32_f32_e32 v3, v3
	v_ashrrev_i32_e32 v2, 31, v2
	s_mov_b64 s[0:1], -1
	v_xor_b32_e32 v3, v3, v2
	v_sub_u32_e32 v2, v3, v2
	s_branch .LBB6_579
.LBB6_575:
	s_mov_b64 s[28:29], -1
                                        ; implicit-def: $vgpr2
	s_branch .LBB6_580
.LBB6_576:
	s_andn2_saveexec_b64 s[0:1], s[0:1]
	s_cbranch_execz .LBB6_557
.LBB6_577:
	v_cmp_ne_u16_e32 vcc, 0, v3
	s_andn2_b64 s[28:29], s[28:29], exec
	s_and_b64 s[34:35], vcc, exec
	s_or_b64 s[28:29], s[28:29], s[34:35]
	s_or_b64 exec, exec, s[0:1]
	v_mov_b32_e32 v2, 0
	s_and_saveexec_b64 s[0:1], s[28:29]
	s_cbranch_execnz .LBB6_558
	s_branch .LBB6_559
.LBB6_578:
	s_mov_b64 s[26:27], -1
                                        ; implicit-def: $vgpr2
.LBB6_579:
	s_mov_b64 s[28:29], 0
.LBB6_580:
	s_and_b64 vcc, exec, s[28:29]
	s_cbranch_vccz .LBB6_584
; %bb.581:
	s_cmp_eq_u32 s31, 11
	s_cbranch_scc0 .LBB6_583
; %bb.582:
	global_load_ubyte v2, v[0:1], off
	s_mov_b64 s[0:1], -1
	s_mov_b64 s[26:27], 0
	s_waitcnt vmcnt(0)
	v_cmp_ne_u16_e32 vcc, 0, v2
	v_cndmask_b32_e64 v2, 0, 1, vcc
	s_branch .LBB6_584
.LBB6_583:
	s_mov_b64 s[26:27], -1
                                        ; implicit-def: $vgpr2
.LBB6_584:
	s_mov_b64 s[28:29], 0
.LBB6_585:
	s_and_b64 vcc, exec, s[28:29]
	s_cbranch_vccz .LBB6_634
; %bb.586:
	s_and_b32 s28, 0xffff, s30
	s_cmp_lt_i32 s28, 5
	s_cbranch_scc1 .LBB6_591
; %bb.587:
	s_cmp_lt_i32 s28, 8
	s_cbranch_scc1 .LBB6_592
; %bb.588:
	;; [unrolled: 3-line block ×3, first 2 shown]
	s_cmp_gt_i32 s28, 9
	s_cbranch_scc0 .LBB6_594
; %bb.590:
	global_load_dwordx2 v[2:3], v[0:1], off
	s_movk_i32 s0, 0xffe0
	s_waitcnt vmcnt(0)
	v_trunc_f64_e32 v[2:3], v[2:3]
	v_ldexp_f64 v[4:5], v[2:3], s0
	s_mov_b32 s0, 0
	s_mov_b32 s1, 0xc1f00000
	v_floor_f64_e32 v[4:5], v[4:5]
	v_fma_f64 v[2:3], v[4:5], s[0:1], v[2:3]
	s_mov_b64 s[0:1], 0
	v_cvt_u32_f64_e32 v2, v[2:3]
	s_branch .LBB6_595
.LBB6_591:
	s_mov_b64 s[0:1], -1
                                        ; implicit-def: $vgpr2
	s_branch .LBB6_613
.LBB6_592:
	s_mov_b64 s[0:1], -1
                                        ; implicit-def: $vgpr2
	s_branch .LBB6_601
.LBB6_593:
	s_mov_b64 s[0:1], -1
                                        ; implicit-def: $vgpr2
	s_branch .LBB6_598
.LBB6_594:
	s_mov_b64 s[0:1], -1
                                        ; implicit-def: $vgpr2
.LBB6_595:
	s_andn2_b64 vcc, exec, s[0:1]
	s_cbranch_vccnz .LBB6_597
; %bb.596:
	global_load_dword v2, v[0:1], off
	s_mov_b32 s0, 0x2f800000
	s_waitcnt vmcnt(0)
	v_trunc_f32_e32 v2, v2
	v_mul_f32_e64 v3, |v2|, s0
	v_floor_f32_e32 v3, v3
	s_mov_b32 s0, 0xcf800000
	v_fma_f32 v3, v3, s0, |v2|
	v_cvt_u32_f32_e32 v3, v3
	v_ashrrev_i32_e32 v2, 31, v2
	v_xor_b32_e32 v3, v3, v2
	v_sub_u32_e32 v2, v3, v2
.LBB6_597:
	s_mov_b64 s[0:1], 0
.LBB6_598:
	s_andn2_b64 vcc, exec, s[0:1]
	s_cbranch_vccnz .LBB6_600
; %bb.599:
	global_load_dword v2, v[0:1], off
	s_waitcnt vmcnt(0)
	v_cvt_f32_f16_e32 v2, v2
	v_cvt_i32_f32_e32 v2, v2
.LBB6_600:
	s_mov_b64 s[0:1], 0
.LBB6_601:
	s_andn2_b64 vcc, exec, s[0:1]
	s_cbranch_vccnz .LBB6_612
; %bb.602:
	s_cmp_lt_i32 s28, 6
	s_cbranch_scc1 .LBB6_605
; %bb.603:
	s_cmp_gt_i32 s28, 6
	s_cbranch_scc0 .LBB6_606
; %bb.604:
	global_load_dwordx2 v[2:3], v[0:1], off
	s_movk_i32 s0, 0xffe0
	s_waitcnt vmcnt(0)
	v_trunc_f64_e32 v[2:3], v[2:3]
	v_ldexp_f64 v[4:5], v[2:3], s0
	s_mov_b32 s0, 0
	s_mov_b32 s1, 0xc1f00000
	v_floor_f64_e32 v[4:5], v[4:5]
	v_fma_f64 v[2:3], v[4:5], s[0:1], v[2:3]
	s_mov_b64 s[0:1], 0
	v_cvt_u32_f64_e32 v2, v[2:3]
	s_branch .LBB6_607
.LBB6_605:
	s_mov_b64 s[0:1], -1
                                        ; implicit-def: $vgpr2
	s_branch .LBB6_610
.LBB6_606:
	s_mov_b64 s[0:1], -1
                                        ; implicit-def: $vgpr2
.LBB6_607:
	s_andn2_b64 vcc, exec, s[0:1]
	s_cbranch_vccnz .LBB6_609
; %bb.608:
	global_load_dword v2, v[0:1], off
	s_mov_b32 s0, 0x2f800000
	s_waitcnt vmcnt(0)
	v_trunc_f32_e32 v2, v2
	v_mul_f32_e64 v3, |v2|, s0
	v_floor_f32_e32 v3, v3
	s_mov_b32 s0, 0xcf800000
	v_fma_f32 v3, v3, s0, |v2|
	v_cvt_u32_f32_e32 v3, v3
	v_ashrrev_i32_e32 v2, 31, v2
	v_xor_b32_e32 v3, v3, v2
	v_sub_u32_e32 v2, v3, v2
.LBB6_609:
	s_mov_b64 s[0:1], 0
.LBB6_610:
	s_andn2_b64 vcc, exec, s[0:1]
	s_cbranch_vccnz .LBB6_612
; %bb.611:
	global_load_ushort v2, v[0:1], off
	s_waitcnt vmcnt(0)
	v_cvt_f32_f16_e32 v2, v2
	v_cvt_i32_f32_e32 v2, v2
.LBB6_612:
	s_mov_b64 s[0:1], 0
.LBB6_613:
	s_andn2_b64 vcc, exec, s[0:1]
	s_cbranch_vccnz .LBB6_633
; %bb.614:
	s_cmp_lt_i32 s28, 2
	s_cbranch_scc1 .LBB6_618
; %bb.615:
	s_cmp_lt_i32 s28, 3
	s_cbranch_scc1 .LBB6_619
; %bb.616:
	s_cmp_gt_i32 s28, 3
	s_cbranch_scc0 .LBB6_620
; %bb.617:
	global_load_dwordx2 v[2:3], v[0:1], off
	s_mov_b64 s[0:1], 0
	s_branch .LBB6_621
.LBB6_618:
	s_mov_b64 s[0:1], -1
                                        ; implicit-def: $vgpr2
	s_branch .LBB6_627
.LBB6_619:
	s_mov_b64 s[0:1], -1
                                        ; implicit-def: $vgpr2
	s_branch .LBB6_624
.LBB6_620:
	s_mov_b64 s[0:1], -1
                                        ; implicit-def: $vgpr2
.LBB6_621:
	s_andn2_b64 vcc, exec, s[0:1]
	s_cbranch_vccnz .LBB6_623
; %bb.622:
	global_load_dword v2, v[0:1], off
.LBB6_623:
	s_mov_b64 s[0:1], 0
.LBB6_624:
	s_andn2_b64 vcc, exec, s[0:1]
	s_cbranch_vccnz .LBB6_626
; %bb.625:
	global_load_ushort v2, v[0:1], off
.LBB6_626:
	s_mov_b64 s[0:1], 0
.LBB6_627:
	s_andn2_b64 vcc, exec, s[0:1]
	s_cbranch_vccnz .LBB6_633
; %bb.628:
	s_cmp_gt_i32 s28, 0
	s_cbranch_scc0 .LBB6_630
; %bb.629:
	global_load_ubyte v2, v[0:1], off
	s_mov_b64 s[0:1], 0
	s_branch .LBB6_631
.LBB6_630:
	s_mov_b64 s[0:1], -1
                                        ; implicit-def: $vgpr2
.LBB6_631:
	s_andn2_b64 vcc, exec, s[0:1]
	s_cbranch_vccnz .LBB6_633
; %bb.632:
	global_load_ubyte v2, v[0:1], off
.LBB6_633:
	s_mov_b64 s[0:1], -1
.LBB6_634:
	s_andn2_b64 vcc, exec, s[0:1]
	s_cbranch_vccnz .LBB6_642
; %bb.635:
	v_mul_lo_u32 v1, v8, s2
	s_waitcnt vmcnt(0)
	v_mov_b32_e32 v3, 8
	v_lshlrev_b32_sdwa v0, v2, v7 dst_sel:DWORD dst_unused:UNUSED_PAD src0_sel:DWORD src1_sel:BYTE_0
	v_cmp_lt_u16_sdwa vcc, v2, v3 src0_sel:BYTE_0 src1_sel:DWORD
	v_cndmask_b32_e32 v2, 0, v0, vcc
	v_ashrrev_i32_e32 v3, 31, v1
	v_mov_b32_e32 v4, s9
	s_and_b32 s36, s33, 0xff
	v_add_co_u32_e32 v0, vcc, s8, v1
	s_cmp_lt_i32 s36, 11
	v_addc_co_u32_e32 v1, vcc, v4, v3, vcc
	s_cbranch_scc1 .LBB6_643
; %bb.636:
	s_and_b32 s37, 0xffff, s36
	s_cmp_gt_i32 s37, 25
	s_cbranch_scc0 .LBB6_644
; %bb.637:
	s_cmp_gt_i32 s37, 28
	s_cbranch_scc0 .LBB6_645
; %bb.638:
	;; [unrolled: 3-line block ×4, first 2 shown]
	s_mov_b64 s[30:31], 0
	s_mov_b64 s[0:1], -1
	s_cmp_eq_u32 s37, 46
	s_mov_b64 s[28:29], 0
	s_cbranch_scc0 .LBB6_648
; %bb.641:
	v_cvt_f32_ubyte0_e32 v3, v2
	v_bfe_u32 v4, v3, 16, 1
	s_movk_i32 s0, 0x7fff
	v_add3_u32 v3, v3, v4, s0
	v_lshrrev_b32_e32 v3, 16, v3
	global_store_dword v[0:1], v3, off
	s_mov_b64 s[28:29], -1
	s_mov_b64 s[0:1], 0
	s_branch .LBB6_648
.LBB6_642:
	s_mov_b64 s[30:31], 0
                                        ; implicit-def: $vgpr8
	s_mov_b64 s[0:1], s[20:21]
	s_branch .LBB6_759
.LBB6_643:
	s_mov_b64 s[30:31], -1
	s_mov_b64 s[28:29], 0
	s_mov_b64 s[0:1], s[20:21]
	s_branch .LBB6_717
.LBB6_644:
	s_mov_b64 s[30:31], -1
	s_mov_b64 s[28:29], 0
	s_mov_b64 s[0:1], s[20:21]
	s_branch .LBB6_675
.LBB6_645:
	s_mov_b64 s[30:31], -1
	s_mov_b64 s[28:29], 0
	s_mov_b64 s[0:1], s[20:21]
	s_branch .LBB6_658
.LBB6_646:
	s_mov_b64 s[30:31], -1
	s_mov_b64 s[28:29], 0
	s_mov_b64 s[0:1], s[20:21]
	s_branch .LBB6_654
.LBB6_647:
	s_mov_b64 s[30:31], -1
	s_mov_b64 s[28:29], 0
	s_mov_b64 s[0:1], s[20:21]
.LBB6_648:
	s_and_b64 vcc, exec, s[30:31]
	s_cbranch_vccz .LBB6_653
; %bb.649:
	s_cmp_eq_u32 s37, 44
	s_mov_b64 s[0:1], -1
	s_cbranch_scc0 .LBB6_653
; %bb.650:
	v_cvt_f32_ubyte0_e32 v4, v2
	v_lshrrev_b32_e32 v3, 23, v4
	s_movk_i32 s0, 0xff
	v_cmp_ne_u32_e32 vcc, s0, v3
	v_mov_b32_e32 v5, 0xff
	s_and_saveexec_b64 s[28:29], vcc
; %bb.651:
	s_mov_b32 s0, 0x3fffff
	v_and_b32_e32 v5, 0x400000, v4
	v_and_or_b32 v4, v4, s0, v3
	v_cmp_ne_u32_e32 vcc, 0, v5
	v_cmp_ne_u32_e64 s[0:1], 0, v4
	s_and_b64 s[0:1], vcc, s[0:1]
	v_cndmask_b32_e64 v4, 0, 1, s[0:1]
	v_add_u32_e32 v5, v3, v4
; %bb.652:
	s_or_b64 exec, exec, s[28:29]
	s_mov_b64 s[28:29], -1
	s_mov_b64 s[0:1], 0
	global_store_byte v[0:1], v5, off
.LBB6_653:
	s_mov_b64 s[30:31], 0
.LBB6_654:
	s_and_b64 vcc, exec, s[30:31]
	s_cbranch_vccz .LBB6_657
; %bb.655:
	s_cmp_eq_u32 s37, 29
	s_mov_b64 s[0:1], -1
	s_cbranch_scc0 .LBB6_657
; %bb.656:
	v_and_b32_e32 v3, 0xff, v2
	v_mov_b32_e32 v4, 0
	global_store_dwordx2 v[0:1], v[3:4], off
	s_mov_b64 s[28:29], -1
	s_mov_b64 s[0:1], 0
.LBB6_657:
	s_mov_b64 s[30:31], 0
.LBB6_658:
	s_and_b64 vcc, exec, s[30:31]
	s_cbranch_vccz .LBB6_674
; %bb.659:
	s_cmp_lt_i32 s37, 27
	s_mov_b64 s[28:29], -1
	s_cbranch_scc1 .LBB6_665
; %bb.660:
	s_cmp_gt_i32 s37, 27
	s_cbranch_scc0 .LBB6_662
; %bb.661:
	v_and_b32_e32 v3, 0xff, v2
	s_mov_b64 s[28:29], 0
	global_store_dword v[0:1], v3, off
.LBB6_662:
	s_andn2_b64 vcc, exec, s[28:29]
	s_cbranch_vccnz .LBB6_664
; %bb.663:
	v_and_b32_e32 v3, 0xff, v2
	global_store_short v[0:1], v3, off
.LBB6_664:
	s_mov_b64 s[28:29], 0
.LBB6_665:
	s_andn2_b64 vcc, exec, s[28:29]
	s_cbranch_vccnz .LBB6_673
; %bb.666:
	v_cvt_f32_ubyte0_e32 v4, v2
	s_mov_b32 s28, 0x43800000
	v_cmp_gt_u32_e32 vcc, s28, v4
	v_mov_b32_e32 v5, 0x80
	s_and_saveexec_b64 s[28:29], vcc
	s_cbranch_execz .LBB6_672
; %bb.667:
	s_mov_b32 s30, 0x3bffffff
	v_cmp_lt_u32_e32 vcc, s30, v4
	s_mov_b64 s[30:31], 0
                                        ; implicit-def: $vgpr3
	s_and_saveexec_b64 s[34:35], vcc
	s_xor_b64 s[34:35], exec, s[34:35]
	s_cbranch_execz .LBB6_773
; %bb.668:
	v_bfe_u32 v3, v4, 20, 1
	s_mov_b32 s39, 0x487ffff
	v_add3_u32 v3, v4, v3, s39
	s_mov_b64 s[30:31], exec
	v_lshrrev_b32_e32 v3, 20, v3
                                        ; implicit-def: $vgpr4
	s_andn2_saveexec_b64 s[34:35], s[34:35]
	s_cbranch_execnz .LBB6_774
.LBB6_669:
	s_or_b64 exec, exec, s[34:35]
	v_mov_b32_e32 v5, 0
	s_and_saveexec_b64 s[34:35], s[30:31]
.LBB6_670:
	v_mov_b32_e32 v5, v3
.LBB6_671:
	s_or_b64 exec, exec, s[34:35]
.LBB6_672:
	s_or_b64 exec, exec, s[28:29]
	global_store_byte v[0:1], v5, off
.LBB6_673:
	s_mov_b64 s[28:29], -1
.LBB6_674:
	s_mov_b64 s[30:31], 0
.LBB6_675:
	s_and_b64 vcc, exec, s[30:31]
	s_cbranch_vccz .LBB6_716
; %bb.676:
	s_cmp_gt_i32 s37, 22
	s_mov_b64 s[30:31], -1
	s_cbranch_scc0 .LBB6_708
; %bb.677:
	s_cmp_lt_i32 s37, 24
	s_mov_b64 s[28:29], -1
	s_cbranch_scc1 .LBB6_697
; %bb.678:
	s_cmp_gt_i32 s37, 24
	s_cbranch_scc0 .LBB6_686
; %bb.679:
	v_cvt_f32_ubyte0_e32 v4, v2
	s_mov_b32 s28, 0x47800000
	v_cmp_gt_u32_e32 vcc, s28, v4
	v_mov_b32_e32 v5, 0x80
	s_and_saveexec_b64 s[28:29], vcc
	s_cbranch_execz .LBB6_685
; %bb.680:
	s_mov_b32 s30, 0x37ffffff
	v_cmp_lt_u32_e32 vcc, s30, v4
	s_mov_b64 s[30:31], 0
                                        ; implicit-def: $vgpr3
	s_and_saveexec_b64 s[34:35], vcc
	s_xor_b64 s[34:35], exec, s[34:35]
	s_cbranch_execz .LBB6_776
; %bb.681:
	v_bfe_u32 v3, v4, 21, 1
	s_mov_b32 s39, 0x88fffff
	v_add3_u32 v3, v4, v3, s39
	s_mov_b64 s[30:31], exec
	v_lshrrev_b32_e32 v3, 21, v3
                                        ; implicit-def: $vgpr4
	s_andn2_saveexec_b64 s[34:35], s[34:35]
	s_cbranch_execnz .LBB6_777
.LBB6_682:
	s_or_b64 exec, exec, s[34:35]
	v_mov_b32_e32 v5, 0
	s_and_saveexec_b64 s[34:35], s[30:31]
.LBB6_683:
	v_mov_b32_e32 v5, v3
.LBB6_684:
	s_or_b64 exec, exec, s[34:35]
.LBB6_685:
	s_or_b64 exec, exec, s[28:29]
	s_mov_b64 s[28:29], 0
	global_store_byte v[0:1], v5, off
.LBB6_686:
	s_and_b64 vcc, exec, s[28:29]
	s_cbranch_vccz .LBB6_696
; %bb.687:
	v_cvt_f32_ubyte0_e32 v3, v2
	s_mov_b32 s28, 0x43f00000
	v_cmp_gt_u32_e32 vcc, s28, v3
                                        ; implicit-def: $vgpr4
	s_and_saveexec_b64 s[28:29], vcc
	s_xor_b64 s[28:29], exec, s[28:29]
	s_cbranch_execz .LBB6_693
; %bb.688:
	s_mov_b32 s30, 0x3c7fffff
	v_cmp_lt_u32_e32 vcc, s30, v3
                                        ; implicit-def: $vgpr4
	s_and_saveexec_b64 s[30:31], vcc
	s_xor_b64 s[30:31], exec, s[30:31]
; %bb.689:
	v_bfe_u32 v4, v3, 20, 1
	s_mov_b32 s34, 0x407ffff
	v_add3_u32 v3, v3, v4, s34
	v_lshrrev_b32_e32 v4, 20, v3
	v_and_b32_e32 v3, 0xff00000, v3
	s_mov_b32 s34, 0x7f00000
	v_mov_b32_e32 v5, 0x7e
	v_cmp_ne_u32_e32 vcc, s34, v3
	v_cndmask_b32_e32 v4, v5, v4, vcc
                                        ; implicit-def: $vgpr3
; %bb.690:
	s_andn2_saveexec_b64 s[30:31], s[30:31]
; %bb.691:
	v_add_f32_e32 v4, 0x46800000, v3
; %bb.692:
	s_or_b64 exec, exec, s[30:31]
                                        ; implicit-def: $vgpr3
.LBB6_693:
	s_andn2_saveexec_b64 s[28:29], s[28:29]
; %bb.694:
	s_mov_b32 s30, 0x7f800000
	v_mov_b32_e32 v4, 0x7e
	v_mov_b32_e32 v5, 0x7f
	v_cmp_lt_u32_e32 vcc, s30, v3
	v_cndmask_b32_e32 v4, v4, v5, vcc
; %bb.695:
	s_or_b64 exec, exec, s[28:29]
	global_store_byte v[0:1], v4, off
.LBB6_696:
	s_mov_b64 s[28:29], 0
.LBB6_697:
	s_andn2_b64 vcc, exec, s[28:29]
	s_cbranch_vccnz .LBB6_707
; %bb.698:
	v_cvt_f32_ubyte0_e32 v3, v2
	s_mov_b32 s28, 0x47800000
	v_cmp_gt_u32_e32 vcc, s28, v3
                                        ; implicit-def: $vgpr4
	s_and_saveexec_b64 s[28:29], vcc
	s_xor_b64 s[28:29], exec, s[28:29]
	s_cbranch_execz .LBB6_704
; %bb.699:
	s_mov_b32 s30, 0x387fffff
	v_cmp_lt_u32_e32 vcc, s30, v3
                                        ; implicit-def: $vgpr4
	s_and_saveexec_b64 s[30:31], vcc
	s_xor_b64 s[30:31], exec, s[30:31]
; %bb.700:
	v_bfe_u32 v4, v3, 21, 1
	s_mov_b32 s34, 0x80fffff
	v_add3_u32 v3, v3, v4, s34
	v_lshrrev_b32_e32 v4, 21, v3
                                        ; implicit-def: $vgpr3
; %bb.701:
	s_andn2_saveexec_b64 s[30:31], s[30:31]
; %bb.702:
	v_add_f32_e32 v4, 0x43000000, v3
; %bb.703:
	s_or_b64 exec, exec, s[30:31]
                                        ; implicit-def: $vgpr3
.LBB6_704:
	s_andn2_saveexec_b64 s[28:29], s[28:29]
; %bb.705:
	s_mov_b32 s30, 0x7f800000
	v_mov_b32_e32 v4, 0x7c
	v_mov_b32_e32 v5, 0x7f
	v_cmp_lt_u32_e32 vcc, s30, v3
	v_cndmask_b32_e32 v4, v4, v5, vcc
; %bb.706:
	s_or_b64 exec, exec, s[28:29]
	global_store_byte v[0:1], v4, off
.LBB6_707:
	s_mov_b64 s[30:31], 0
	s_mov_b64 s[28:29], -1
.LBB6_708:
	s_andn2_b64 vcc, exec, s[30:31]
	s_cbranch_vccnz .LBB6_716
; %bb.709:
	s_cmp_gt_i32 s37, 14
	s_mov_b64 s[30:31], -1
	s_cbranch_scc0 .LBB6_713
; %bb.710:
	s_cmp_eq_u32 s37, 15
	s_mov_b64 s[0:1], -1
	s_cbranch_scc0 .LBB6_712
; %bb.711:
	v_cvt_f32_ubyte0_e32 v3, v2
	v_bfe_u32 v4, v3, 16, 1
	s_movk_i32 s0, 0x7fff
	v_add3_u32 v3, v3, v4, s0
	global_store_short_d16_hi v[0:1], v3, off
	s_mov_b64 s[28:29], -1
	s_mov_b64 s[0:1], 0
.LBB6_712:
	s_mov_b64 s[30:31], 0
.LBB6_713:
	s_and_b64 vcc, exec, s[30:31]
	s_cbranch_vccz .LBB6_716
; %bb.714:
	s_cmp_eq_u32 s37, 11
	s_mov_b64 s[0:1], -1
	s_cbranch_scc0 .LBB6_716
; %bb.715:
	v_mov_b32_e32 v3, 0
	v_cmp_ne_u16_sdwa s[0:1], v2, v3 src0_sel:BYTE_0 src1_sel:DWORD
	v_cndmask_b32_e64 v3, 0, 1, s[0:1]
	s_mov_b64 s[28:29], -1
	s_mov_b64 s[0:1], 0
	global_store_byte v[0:1], v3, off
.LBB6_716:
	s_mov_b64 s[30:31], 0
.LBB6_717:
	s_and_b64 vcc, exec, s[30:31]
	s_cbranch_vccz .LBB6_756
; %bb.718:
	s_and_b32 s30, 0xffff, s36
	s_cmp_lt_i32 s30, 5
	s_mov_b64 s[28:29], -1
	s_cbranch_scc1 .LBB6_739
; %bb.719:
	s_cmp_lt_i32 s30, 8
	s_cbranch_scc1 .LBB6_729
; %bb.720:
	s_cmp_lt_i32 s30, 9
	s_cbranch_scc1 .LBB6_726
; %bb.721:
	s_cmp_gt_i32 s30, 9
	s_cbranch_scc0 .LBB6_723
; %bb.722:
	s_mov_b32 s28, 0xffff
	v_and_b32_sdwa v3, s28, v2 dst_sel:DWORD dst_unused:UNUSED_PAD src0_sel:DWORD src1_sel:BYTE_0
	v_cvt_f64_u32_e32 v[3:4], v3
	v_mov_b32_e32 v5, 0
	v_mov_b32_e32 v6, v5
	s_mov_b64 s[28:29], 0
	global_store_dwordx4 v[0:1], v[3:6], off
.LBB6_723:
	s_andn2_b64 vcc, exec, s[28:29]
	s_cbranch_vccnz .LBB6_725
; %bb.724:
	v_cvt_f32_ubyte0_e32 v3, v2
	v_mov_b32_e32 v4, 0
	global_store_dwordx2 v[0:1], v[3:4], off
.LBB6_725:
	s_mov_b64 s[28:29], 0
.LBB6_726:
	s_andn2_b64 vcc, exec, s[28:29]
	s_cbranch_vccnz .LBB6_728
; %bb.727:
	v_cvt_f16_u16_sdwa v3, v2 dst_sel:DWORD dst_unused:UNUSED_PAD src0_sel:BYTE_0
	global_store_dword v[0:1], v3, off
.LBB6_728:
	s_mov_b64 s[28:29], 0
.LBB6_729:
	s_andn2_b64 vcc, exec, s[28:29]
	s_cbranch_vccnz .LBB6_738
; %bb.730:
	s_cmp_lt_i32 s30, 6
	s_mov_b64 s[28:29], -1
	s_cbranch_scc1 .LBB6_736
; %bb.731:
	s_cmp_gt_i32 s30, 6
	s_cbranch_scc0 .LBB6_733
; %bb.732:
	s_mov_b32 s28, 0xffff
	v_and_b32_sdwa v3, s28, v2 dst_sel:DWORD dst_unused:UNUSED_PAD src0_sel:DWORD src1_sel:BYTE_0
	v_cvt_f64_u32_e32 v[3:4], v3
	s_mov_b64 s[28:29], 0
	global_store_dwordx2 v[0:1], v[3:4], off
.LBB6_733:
	s_andn2_b64 vcc, exec, s[28:29]
	s_cbranch_vccnz .LBB6_735
; %bb.734:
	v_cvt_f32_ubyte0_e32 v3, v2
	global_store_dword v[0:1], v3, off
.LBB6_735:
	s_mov_b64 s[28:29], 0
.LBB6_736:
	s_andn2_b64 vcc, exec, s[28:29]
	s_cbranch_vccnz .LBB6_738
; %bb.737:
	v_cvt_f16_u16_sdwa v3, v2 dst_sel:DWORD dst_unused:UNUSED_PAD src0_sel:BYTE_0
	global_store_short v[0:1], v3, off
.LBB6_738:
	s_mov_b64 s[28:29], 0
.LBB6_739:
	s_andn2_b64 vcc, exec, s[28:29]
	s_cbranch_vccnz .LBB6_755
; %bb.740:
	s_cmp_lt_i32 s30, 2
	s_mov_b64 s[28:29], -1
	s_cbranch_scc1 .LBB6_750
; %bb.741:
	s_cmp_lt_i32 s30, 3
	s_cbranch_scc1 .LBB6_747
; %bb.742:
	s_cmp_gt_i32 s30, 3
	s_cbranch_scc0 .LBB6_744
; %bb.743:
	v_and_b32_e32 v3, 0xff, v2
	v_mov_b32_e32 v4, 0
	s_mov_b64 s[28:29], 0
	global_store_dwordx2 v[0:1], v[3:4], off
.LBB6_744:
	s_andn2_b64 vcc, exec, s[28:29]
	s_cbranch_vccnz .LBB6_746
; %bb.745:
	v_and_b32_e32 v3, 0xff, v2
	global_store_dword v[0:1], v3, off
.LBB6_746:
	s_mov_b64 s[28:29], 0
.LBB6_747:
	s_andn2_b64 vcc, exec, s[28:29]
	s_cbranch_vccnz .LBB6_749
; %bb.748:
	v_and_b32_e32 v3, 0xff, v2
	global_store_short v[0:1], v3, off
.LBB6_749:
	s_mov_b64 s[28:29], 0
.LBB6_750:
	s_andn2_b64 vcc, exec, s[28:29]
	s_cbranch_vccnz .LBB6_755
; %bb.751:
	s_cmp_gt_i32 s30, 0
	s_mov_b64 s[28:29], -1
	s_cbranch_scc0 .LBB6_753
; %bb.752:
	s_mov_b64 s[28:29], 0
	global_store_byte v[0:1], v2, off
.LBB6_753:
	s_andn2_b64 vcc, exec, s[28:29]
	s_cbranch_vccnz .LBB6_755
; %bb.754:
	global_store_byte v[0:1], v2, off
.LBB6_755:
	s_mov_b64 s[28:29], -1
.LBB6_756:
	s_andn2_b64 vcc, exec, s[28:29]
	s_cbranch_vccnz .LBB6_758
; %bb.757:
	v_add_u32_e32 v8, 0x80, v8
	s_mov_b64 s[30:31], -1
	s_branch .LBB6_759
.LBB6_758:
	s_mov_b64 s[30:31], 0
                                        ; implicit-def: $vgpr8
.LBB6_759:
	s_andn2_b64 s[28:29], s[20:21], exec
	s_and_b64 s[0:1], s[0:1], exec
	s_or_b64 s[28:29], s[28:29], s[0:1]
	s_andn2_b64 s[0:1], s[18:19], exec
	s_and_b64 s[26:27], s[26:27], exec
	s_or_b64 s[0:1], s[0:1], s[26:27]
	s_orn2_b64 s[34:35], s[30:31], exec
.LBB6_760:
	s_or_b64 exec, exec, s[24:25]
	s_mov_b64 s[30:31], 0
	s_mov_b64 s[26:27], 0
	;; [unrolled: 1-line block ×3, first 2 shown]
                                        ; implicit-def: $sgpr43
                                        ; implicit-def: $vgpr0_vgpr1
                                        ; implicit-def: $vgpr2
	s_and_saveexec_b64 s[24:25], s[34:35]
	s_cbranch_execz .LBB6_841
; %bb.761:
	v_cmp_gt_i32_e32 vcc, s38, v8
	s_mov_b64 s[34:35], 0
	s_mov_b64 s[38:39], s[0:1]
	;; [unrolled: 1-line block ×3, first 2 shown]
                                        ; implicit-def: $sgpr43
                                        ; implicit-def: $vgpr0_vgpr1
                                        ; implicit-def: $vgpr2
	s_and_saveexec_b64 s[26:27], vcc
	s_cbranch_execz .LBB6_840
; %bb.762:
	v_mul_lo_u32 v0, v8, s3
	v_mov_b32_e32 v1, s11
	s_and_b32 s43, s42, 0xff
	s_cmp_lt_i32 s43, 11
	s_waitcnt vmcnt(0)
	v_ashrrev_i32_e32 v2, 31, v0
	v_add_co_u32_e32 v0, vcc, s10, v0
	v_addc_co_u32_e32 v1, vcc, v1, v2, vcc
	s_cbranch_scc1 .LBB6_769
; %bb.763:
	s_and_b32 s40, 0xffff, s43
	s_cmp_gt_i32 s40, 25
	s_cbranch_scc0 .LBB6_770
; %bb.764:
	s_cmp_gt_i32 s40, 28
	s_cbranch_scc0 .LBB6_771
; %bb.765:
	;; [unrolled: 3-line block ×4, first 2 shown]
	s_cmp_eq_u32 s40, 46
	s_mov_b64 s[38:39], 0
	s_cbranch_scc0 .LBB6_778
; %bb.768:
	global_load_dword v2, v[0:1], off
	s_mov_b32 s30, 0x2f800000
	s_mov_b32 s31, 0xcf800000
	s_mov_b64 s[36:37], -1
	s_waitcnt vmcnt(0)
	v_lshlrev_b32_e32 v2, 16, v2
	v_trunc_f32_e32 v2, v2
	v_mul_f32_e64 v3, |v2|, s30
	v_floor_f32_e32 v3, v3
	v_fma_f32 v3, v3, s31, |v2|
	v_cvt_u32_f32_e32 v3, v3
	v_ashrrev_i32_e32 v2, 31, v2
	s_mov_b64 s[30:31], 0
	v_xor_b32_e32 v3, v3, v2
	v_sub_u32_e32 v2, v3, v2
	s_branch .LBB6_780
.LBB6_769:
	s_mov_b64 s[38:39], -1
                                        ; implicit-def: $vgpr2
	s_mov_b64 s[30:31], s[0:1]
	s_branch .LBB6_839
.LBB6_770:
	s_mov_b64 s[38:39], -1
	s_mov_b64 s[30:31], s[0:1]
                                        ; implicit-def: $vgpr2
	s_branch .LBB6_807
.LBB6_771:
	s_mov_b64 s[38:39], -1
	s_mov_b64 s[30:31], s[0:1]
                                        ; implicit-def: $vgpr2
	s_branch .LBB6_790
.LBB6_772:
	s_mov_b64 s[38:39], -1
	s_mov_b64 s[30:31], s[0:1]
                                        ; implicit-def: $vgpr2
	s_branch .LBB6_785
.LBB6_773:
	s_andn2_saveexec_b64 s[34:35], s[34:35]
	s_cbranch_execz .LBB6_669
.LBB6_774:
	v_add_f32_e32 v3, 0x46000000, v4
	v_and_b32_e32 v3, 0xff, v3
	v_cmp_ne_u32_e32 vcc, 0, v3
	s_andn2_b64 s[30:31], s[30:31], exec
	s_and_b64 s[40:41], vcc, exec
	s_or_b64 s[30:31], s[30:31], s[40:41]
	s_or_b64 exec, exec, s[34:35]
	v_mov_b32_e32 v5, 0
	s_and_saveexec_b64 s[34:35], s[30:31]
	s_cbranch_execnz .LBB6_670
	s_branch .LBB6_671
.LBB6_775:
	s_mov_b64 s[38:39], -1
	s_mov_b64 s[30:31], s[0:1]
	s_branch .LBB6_779
.LBB6_776:
	s_andn2_saveexec_b64 s[34:35], s[34:35]
	s_cbranch_execz .LBB6_682
.LBB6_777:
	v_add_f32_e32 v3, 0x42800000, v4
	v_and_b32_e32 v3, 0xff, v3
	v_cmp_ne_u32_e32 vcc, 0, v3
	s_andn2_b64 s[30:31], s[30:31], exec
	s_and_b64 s[40:41], vcc, exec
	s_or_b64 s[30:31], s[30:31], s[40:41]
	s_or_b64 exec, exec, s[34:35]
	v_mov_b32_e32 v5, 0
	s_and_saveexec_b64 s[34:35], s[30:31]
	s_cbranch_execnz .LBB6_683
	s_branch .LBB6_684
.LBB6_778:
	s_mov_b64 s[30:31], -1
.LBB6_779:
                                        ; implicit-def: $vgpr2
.LBB6_780:
	s_and_b64 vcc, exec, s[38:39]
	s_cbranch_vccz .LBB6_784
; %bb.781:
	s_cmp_eq_u32 s40, 44
	s_cbranch_scc0 .LBB6_783
; %bb.782:
	global_load_ubyte v2, v[0:1], off
	s_mov_b32 s30, 0x2f800000
	s_mov_b32 s31, 0xcf800000
	s_mov_b64 s[36:37], -1
	s_waitcnt vmcnt(0)
	v_lshlrev_b32_e32 v3, 23, v2
	v_trunc_f32_e32 v3, v3
	v_mul_f32_e64 v4, |v3|, s30
	v_floor_f32_e32 v4, v4
	v_fma_f32 v4, v4, s31, |v3|
	v_cvt_u32_f32_e32 v4, v4
	v_ashrrev_i32_e32 v3, 31, v3
	v_cmp_ne_u32_e32 vcc, 0, v2
	s_mov_b64 s[30:31], 0
	v_xor_b32_e32 v4, v4, v3
	v_sub_u32_e32 v3, v4, v3
	v_cndmask_b32_e32 v2, 0, v3, vcc
	s_branch .LBB6_784
.LBB6_783:
	s_mov_b64 s[30:31], -1
                                        ; implicit-def: $vgpr2
.LBB6_784:
	s_mov_b64 s[38:39], 0
.LBB6_785:
	s_and_b64 vcc, exec, s[38:39]
	s_cbranch_vccz .LBB6_789
; %bb.786:
	s_cmp_eq_u32 s40, 29
	s_cbranch_scc0 .LBB6_788
; %bb.787:
	global_load_dwordx2 v[2:3], v[0:1], off
	s_mov_b64 s[30:31], 0
	s_mov_b64 s[36:37], -1
	s_branch .LBB6_789
.LBB6_788:
	s_mov_b64 s[30:31], -1
                                        ; implicit-def: $vgpr2
.LBB6_789:
	s_mov_b64 s[38:39], 0
.LBB6_790:
	s_and_b64 vcc, exec, s[38:39]
	s_cbranch_vccz .LBB6_806
; %bb.791:
	s_cmp_lt_i32 s40, 27
	s_cbranch_scc1 .LBB6_794
; %bb.792:
	s_cmp_gt_i32 s40, 27
	s_cbranch_scc0 .LBB6_795
; %bb.793:
	global_load_dword v2, v[0:1], off
	s_mov_b64 s[36:37], 0
	s_branch .LBB6_796
.LBB6_794:
	s_mov_b64 s[36:37], -1
                                        ; implicit-def: $vgpr2
	s_branch .LBB6_799
.LBB6_795:
	s_mov_b64 s[36:37], -1
                                        ; implicit-def: $vgpr2
.LBB6_796:
	s_andn2_b64 vcc, exec, s[36:37]
	s_cbranch_vccnz .LBB6_798
; %bb.797:
	global_load_ushort v2, v[0:1], off
.LBB6_798:
	s_mov_b64 s[36:37], 0
.LBB6_799:
	s_andn2_b64 vcc, exec, s[36:37]
	s_cbranch_vccnz .LBB6_805
; %bb.800:
	global_load_ubyte v3, v[0:1], off
	s_movk_i32 s36, 0x7f
	s_mov_b64 s[38:39], 0
	s_waitcnt vmcnt(0)
	v_cmp_lt_i16_e32 vcc, s36, v3
	s_and_saveexec_b64 s[36:37], vcc
	s_xor_b64 s[36:37], exec, s[36:37]
	s_cbranch_execz .LBB6_817
; %bb.801:
	s_movk_i32 s38, 0x80
	v_cmp_ne_u16_e32 vcc, s38, v3
	s_and_b64 s[38:39], vcc, exec
	s_andn2_saveexec_b64 s[36:37], s[36:37]
	s_cbranch_execnz .LBB6_818
.LBB6_802:
	s_or_b64 exec, exec, s[36:37]
	v_mov_b32_e32 v2, 0
	s_and_saveexec_b64 s[36:37], s[38:39]
	s_cbranch_execz .LBB6_804
.LBB6_803:
	v_lshlrev_b32_e32 v2, 24, v3
	v_and_b32_e32 v3, 0xffff, v3
	v_and_b32_e32 v4, 7, v3
	v_ffbh_u32_e32 v6, v4
	v_min_u32_e32 v6, 32, v6
	v_subrev_u32_e32 v9, 28, v6
	v_bfe_u32 v5, v3, 3, 4
	v_lshlrev_b32_e32 v3, v9, v3
	v_sub_u32_e32 v6, 29, v6
	v_and_b32_e32 v3, 7, v3
	v_cmp_eq_u32_e32 vcc, 0, v5
	v_cndmask_b32_e32 v5, v5, v6, vcc
	v_cndmask_b32_e32 v3, v4, v3, vcc
	v_mov_b32_e32 v4, 0x3b800000
	v_lshlrev_b32_e32 v3, 20, v3
	v_and_b32_e32 v2, 0x80000000, v2
	v_lshl_add_u32 v4, v5, 23, v4
	v_or3_b32 v2, v2, v4, v3
	v_trunc_f32_e32 v2, v2
	s_mov_b32 s38, 0x2f800000
	v_mul_f32_e64 v3, |v2|, s38
	v_floor_f32_e32 v3, v3
	s_mov_b32 s38, 0xcf800000
	v_fma_f32 v3, v3, s38, |v2|
	v_cvt_u32_f32_e32 v3, v3
	v_ashrrev_i32_e32 v2, 31, v2
	v_xor_b32_e32 v3, v3, v2
	v_sub_u32_e32 v2, v3, v2
.LBB6_804:
	s_or_b64 exec, exec, s[36:37]
.LBB6_805:
	s_mov_b64 s[36:37], -1
.LBB6_806:
	s_mov_b64 s[38:39], 0
.LBB6_807:
	s_and_b64 vcc, exec, s[38:39]
	s_cbranch_vccz .LBB6_838
; %bb.808:
	s_cmp_gt_i32 s40, 22
	s_cbranch_scc0 .LBB6_816
; %bb.809:
	s_cmp_lt_i32 s40, 24
	s_cbranch_scc1 .LBB6_819
; %bb.810:
	s_cmp_gt_i32 s40, 24
	s_cbranch_scc0 .LBB6_820
; %bb.811:
	global_load_ubyte v3, v[0:1], off
	s_movk_i32 s34, 0x7f
	s_mov_b64 s[36:37], 0
	s_waitcnt vmcnt(0)
	v_cmp_lt_i16_e32 vcc, s34, v3
	s_and_saveexec_b64 s[34:35], vcc
	s_xor_b64 s[34:35], exec, s[34:35]
	s_cbranch_execz .LBB6_832
; %bb.812:
	s_movk_i32 s36, 0x80
	v_cmp_ne_u16_e32 vcc, s36, v3
	s_and_b64 s[36:37], vcc, exec
	s_andn2_saveexec_b64 s[34:35], s[34:35]
	s_cbranch_execnz .LBB6_833
.LBB6_813:
	s_or_b64 exec, exec, s[34:35]
	v_mov_b32_e32 v2, 0
	s_and_saveexec_b64 s[34:35], s[36:37]
	s_cbranch_execz .LBB6_815
.LBB6_814:
	v_lshlrev_b32_e32 v2, 24, v3
	v_and_b32_e32 v3, 0xffff, v3
	v_and_b32_e32 v4, 3, v3
	v_ffbh_u32_e32 v6, v4
	v_min_u32_e32 v6, 32, v6
	v_subrev_u32_e32 v9, 29, v6
	v_bfe_u32 v5, v3, 2, 5
	v_lshlrev_b32_e32 v3, v9, v3
	v_sub_u32_e32 v6, 30, v6
	v_and_b32_e32 v3, 3, v3
	v_cmp_eq_u32_e32 vcc, 0, v5
	v_cndmask_b32_e32 v5, v5, v6, vcc
	v_cndmask_b32_e32 v3, v4, v3, vcc
	v_mov_b32_e32 v4, 0x37800000
	v_lshlrev_b32_e32 v3, 21, v3
	v_and_b32_e32 v2, 0x80000000, v2
	v_lshl_add_u32 v4, v5, 23, v4
	v_or3_b32 v2, v2, v4, v3
	v_trunc_f32_e32 v2, v2
	s_mov_b32 s36, 0x2f800000
	v_mul_f32_e64 v3, |v2|, s36
	v_floor_f32_e32 v3, v3
	s_mov_b32 s36, 0xcf800000
	v_fma_f32 v3, v3, s36, |v2|
	v_cvt_u32_f32_e32 v3, v3
	v_ashrrev_i32_e32 v2, 31, v2
	v_xor_b32_e32 v3, v3, v2
	v_sub_u32_e32 v2, v3, v2
.LBB6_815:
	s_or_b64 exec, exec, s[34:35]
	s_mov_b64 s[34:35], 0
	s_branch .LBB6_821
.LBB6_816:
	s_mov_b64 s[34:35], -1
                                        ; implicit-def: $vgpr2
	s_branch .LBB6_827
.LBB6_817:
	s_andn2_saveexec_b64 s[36:37], s[36:37]
	s_cbranch_execz .LBB6_802
.LBB6_818:
	v_cmp_ne_u16_e32 vcc, 0, v3
	s_andn2_b64 s[38:39], s[38:39], exec
	s_and_b64 s[44:45], vcc, exec
	s_or_b64 s[38:39], s[38:39], s[44:45]
	s_or_b64 exec, exec, s[36:37]
	v_mov_b32_e32 v2, 0
	s_and_saveexec_b64 s[36:37], s[38:39]
	s_cbranch_execnz .LBB6_803
	s_branch .LBB6_804
.LBB6_819:
	s_mov_b64 s[34:35], -1
                                        ; implicit-def: $vgpr2
	s_branch .LBB6_824
.LBB6_820:
	s_mov_b64 s[34:35], -1
                                        ; implicit-def: $vgpr2
.LBB6_821:
	s_and_b64 vcc, exec, s[34:35]
	s_cbranch_vccz .LBB6_823
; %bb.822:
	global_load_ubyte v2, v[0:1], off
	s_mov_b32 s34, 0x7f800000
	s_brev_b32 s35, 1
	s_mov_b32 s36, 0x2f800000
	s_waitcnt vmcnt(0)
	v_lshlrev_b32_e32 v2, 24, v2
	v_and_b32_e32 v3, 0x7f000000, v2
	v_ffbh_u32_e32 v4, v3
	v_min_u32_e32 v4, 32, v4
	v_sub_u32_e64 v4, v4, 4 clamp
	v_lshlrev_b32_e32 v6, v4, v3
	v_lshlrev_b32_e32 v4, 23, v4
	v_lshrrev_b32_e32 v6, 4, v6
	v_add_u32_e32 v5, 0x1000000, v3
	v_sub_u32_e32 v4, v6, v4
	v_ashrrev_i32_e32 v5, 8, v5
	v_add_u32_e32 v4, 0x3c000000, v4
	v_and_or_b32 v4, v5, s34, v4
	v_cmp_ne_u32_e32 vcc, 0, v3
	v_cndmask_b32_e32 v3, 0, v4, vcc
	v_and_or_b32 v2, v2, s35, v3
	v_trunc_f32_e32 v2, v2
	v_mul_f32_e64 v3, |v2|, s36
	v_floor_f32_e32 v3, v3
	s_mov_b32 s34, 0xcf800000
	v_fma_f32 v3, v3, s34, |v2|
	v_cvt_u32_f32_e32 v3, v3
	v_ashrrev_i32_e32 v2, 31, v2
	v_xor_b32_e32 v3, v3, v2
	v_sub_u32_e32 v2, v3, v2
.LBB6_823:
	s_mov_b64 s[34:35], 0
.LBB6_824:
	s_andn2_b64 vcc, exec, s[34:35]
	s_cbranch_vccnz .LBB6_826
; %bb.825:
	global_load_ubyte v2, v[0:1], off
	s_movk_i32 s34, 0x7f00
	s_brev_b32 s35, 16
	s_brev_b32 s36, 1
	s_mov_b32 s37, 0x2f800000
	s_waitcnt vmcnt(0)
	v_lshlrev_b16_e32 v3, 8, v2
	v_lshlrev_b32_e32 v2, 25, v2
	v_lshrrev_b32_e32 v4, 4, v2
	v_and_or_b32 v5, v3, s34, 0.5
	v_or_b32_e32 v4, 0x70000000, v4
	v_add_f32_e32 v5, -0.5, v5
	v_mul_f32_e32 v4, 0x7800000, v4
	v_cmp_gt_u32_e32 vcc, s35, v2
	v_bfe_i32 v3, v3, 0, 16
	v_cndmask_b32_e32 v2, v4, v5, vcc
	v_and_or_b32 v2, v3, s36, v2
	v_trunc_f32_e32 v2, v2
	v_mul_f32_e64 v3, |v2|, s37
	v_floor_f32_e32 v3, v3
	s_mov_b32 s34, 0xcf800000
	v_fma_f32 v3, v3, s34, |v2|
	v_cvt_u32_f32_e32 v3, v3
	v_ashrrev_i32_e32 v2, 31, v2
	v_xor_b32_e32 v3, v3, v2
	v_sub_u32_e32 v2, v3, v2
.LBB6_826:
	s_mov_b64 s[34:35], 0
	s_mov_b64 s[36:37], -1
.LBB6_827:
	s_andn2_b64 vcc, exec, s[34:35]
	s_mov_b64 s[34:35], 0
	s_cbranch_vccnz .LBB6_838
; %bb.828:
	s_cmp_gt_i32 s40, 14
	s_cbranch_scc0 .LBB6_831
; %bb.829:
	s_cmp_eq_u32 s40, 15
	s_cbranch_scc0 .LBB6_834
; %bb.830:
	global_load_ushort v2, v[0:1], off
	s_mov_b32 s30, 0x2f800000
	s_mov_b32 s31, 0xcf800000
	s_mov_b64 s[36:37], -1
	s_waitcnt vmcnt(0)
	v_lshlrev_b32_e32 v2, 16, v2
	v_trunc_f32_e32 v2, v2
	v_mul_f32_e64 v3, |v2|, s30
	v_floor_f32_e32 v3, v3
	v_fma_f32 v3, v3, s31, |v2|
	v_cvt_u32_f32_e32 v3, v3
	v_ashrrev_i32_e32 v2, 31, v2
	s_mov_b64 s[30:31], 0
	v_xor_b32_e32 v3, v3, v2
	v_sub_u32_e32 v2, v3, v2
	s_branch .LBB6_835
.LBB6_831:
	s_mov_b64 s[38:39], -1
                                        ; implicit-def: $vgpr2
	s_branch .LBB6_836
.LBB6_832:
	s_andn2_saveexec_b64 s[34:35], s[34:35]
	s_cbranch_execz .LBB6_813
.LBB6_833:
	v_cmp_ne_u16_e32 vcc, 0, v3
	s_andn2_b64 s[36:37], s[36:37], exec
	s_and_b64 s[38:39], vcc, exec
	s_or_b64 s[36:37], s[36:37], s[38:39]
	s_or_b64 exec, exec, s[34:35]
	v_mov_b32_e32 v2, 0
	s_and_saveexec_b64 s[34:35], s[36:37]
	s_cbranch_execnz .LBB6_814
	s_branch .LBB6_815
.LBB6_834:
	s_mov_b64 s[30:31], -1
                                        ; implicit-def: $vgpr2
.LBB6_835:
	s_mov_b64 s[38:39], 0
.LBB6_836:
	s_and_b64 vcc, exec, s[38:39]
	s_cbranch_vccz .LBB6_838
; %bb.837:
	s_cmp_lg_u32 s40, 11
	s_cselect_b64 s[38:39], -1, 0
	s_andn2_b64 s[30:31], s[30:31], exec
	s_and_b64 s[38:39], s[38:39], exec
	s_mov_b64 s[34:35], -1
	s_or_b64 s[30:31], s[30:31], s[38:39]
.LBB6_838:
	s_mov_b64 s[38:39], 0
.LBB6_839:
	s_and_b64 s[40:41], s[38:39], exec
	s_andn2_b64 s[38:39], s[0:1], exec
	s_and_b64 s[30:31], s[30:31], exec
	s_and_b64 s[36:37], s[36:37], exec
	;; [unrolled: 1-line block ×3, first 2 shown]
	s_or_b64 s[38:39], s[38:39], s[30:31]
.LBB6_840:
	s_or_b64 exec, exec, s[26:27]
	s_and_b64 s[30:31], s[34:35], exec
	s_andn2_b64 s[0:1], s[0:1], exec
	s_and_b64 s[34:35], s[38:39], exec
	s_and_b64 s[36:37], s[36:37], exec
	;; [unrolled: 1-line block ×3, first 2 shown]
	s_or_b64 s[0:1], s[0:1], s[34:35]
.LBB6_841:
	s_or_b64 exec, exec, s[24:25]
	s_andn2_b64 s[20:21], s[20:21], exec
	s_and_b64 s[24:25], s[28:29], exec
	s_andn2_b64 s[18:19], s[18:19], exec
	s_and_b64 s[0:1], s[0:1], exec
	s_or_b64 s[20:21], s[20:21], s[24:25]
	s_and_b64 s[28:29], s[36:37], exec
	s_and_b64 s[26:27], s[26:27], exec
	;; [unrolled: 1-line block ×3, first 2 shown]
	s_or_b64 s[18:19], s[18:19], s[0:1]
.LBB6_842:
	s_or_b64 exec, exec, s[22:23]
	s_andn2_b64 s[0:1], s[6:7], exec
	s_and_b64 s[6:7], s[20:21], exec
	s_andn2_b64 s[14:15], s[14:15], exec
	s_and_b64 s[18:19], s[18:19], exec
	s_or_b64 s[6:7], s[0:1], s[6:7]
	s_and_b64 s[0:1], s[28:29], exec
	s_and_b64 s[22:23], s[26:27], exec
	;; [unrolled: 1-line block ×3, first 2 shown]
	s_or_b64 s[14:15], s[14:15], s[18:19]
	s_or_b64 exec, exec, s[16:17]
	s_mov_b64 s[16:17], 0
	s_and_saveexec_b64 s[18:19], s[14:15]
	s_cbranch_execz .LBB6_258
.LBB6_843:
	s_mov_b64 s[16:17], exec
	s_andn2_b64 s[20:21], s[20:21], exec
	s_trap 2
	s_or_b64 exec, exec, s[18:19]
	s_and_saveexec_b64 s[14:15], s[20:21]
	s_xor_b64 s[14:15], exec, s[14:15]
	s_cbranch_execnz .LBB6_259
.LBB6_844:
	s_or_b64 exec, exec, s[14:15]
	s_and_saveexec_b64 s[14:15], s[22:23]
	s_cbranch_execz .LBB6_890
.LBB6_845:
	s_sext_i32_i16 s18, s43
	s_cmp_lt_i32 s18, 5
	s_cbranch_scc1 .LBB6_850
; %bb.846:
	s_cmp_lt_i32 s18, 8
	s_cbranch_scc1 .LBB6_851
; %bb.847:
	;; [unrolled: 3-line block ×3, first 2 shown]
	s_cmp_gt_i32 s18, 9
	s_cbranch_scc0 .LBB6_853
; %bb.849:
	global_load_dwordx2 v[2:3], v[0:1], off
	s_movk_i32 s18, 0xffe0
	s_waitcnt vmcnt(0)
	v_trunc_f64_e32 v[2:3], v[2:3]
	v_ldexp_f64 v[4:5], v[2:3], s18
	s_mov_b32 s18, 0
	s_mov_b32 s19, 0xc1f00000
	v_floor_f64_e32 v[4:5], v[4:5]
	v_fma_f64 v[2:3], v[4:5], s[18:19], v[2:3]
	s_mov_b64 s[18:19], 0
	v_cvt_u32_f64_e32 v2, v[2:3]
	s_branch .LBB6_854
.LBB6_850:
                                        ; implicit-def: $vgpr2
	s_branch .LBB6_871
.LBB6_851:
                                        ; implicit-def: $vgpr2
	s_branch .LBB6_860
.LBB6_852:
	s_mov_b64 s[18:19], -1
                                        ; implicit-def: $vgpr2
	s_branch .LBB6_857
.LBB6_853:
	s_mov_b64 s[18:19], -1
                                        ; implicit-def: $vgpr2
.LBB6_854:
	s_andn2_b64 vcc, exec, s[18:19]
	s_cbranch_vccnz .LBB6_856
; %bb.855:
	global_load_dword v2, v[0:1], off
	s_mov_b32 s18, 0x2f800000
	s_waitcnt vmcnt(0)
	v_trunc_f32_e32 v2, v2
	v_mul_f32_e64 v3, |v2|, s18
	v_floor_f32_e32 v3, v3
	s_mov_b32 s18, 0xcf800000
	v_fma_f32 v3, v3, s18, |v2|
	v_cvt_u32_f32_e32 v3, v3
	v_ashrrev_i32_e32 v2, 31, v2
	v_xor_b32_e32 v3, v3, v2
	v_sub_u32_e32 v2, v3, v2
.LBB6_856:
	s_mov_b64 s[18:19], 0
.LBB6_857:
	s_andn2_b64 vcc, exec, s[18:19]
	s_cbranch_vccnz .LBB6_859
; %bb.858:
	global_load_dword v2, v[0:1], off
	s_waitcnt vmcnt(0)
	v_cvt_f32_f16_e32 v2, v2
	v_cvt_i32_f32_e32 v2, v2
.LBB6_859:
	s_cbranch_execnz .LBB6_870
.LBB6_860:
	s_sext_i32_i16 s18, s43
	s_cmp_lt_i32 s18, 6
	s_cbranch_scc1 .LBB6_863
; %bb.861:
	s_cmp_gt_i32 s18, 6
	s_cbranch_scc0 .LBB6_864
; %bb.862:
	global_load_dwordx2 v[2:3], v[0:1], off
	s_movk_i32 s18, 0xffe0
	s_waitcnt vmcnt(0)
	v_trunc_f64_e32 v[2:3], v[2:3]
	v_ldexp_f64 v[4:5], v[2:3], s18
	s_mov_b32 s18, 0
	s_mov_b32 s19, 0xc1f00000
	v_floor_f64_e32 v[4:5], v[4:5]
	v_fma_f64 v[2:3], v[4:5], s[18:19], v[2:3]
	s_mov_b64 s[18:19], 0
	v_cvt_u32_f64_e32 v2, v[2:3]
	s_branch .LBB6_865
.LBB6_863:
	s_mov_b64 s[18:19], -1
                                        ; implicit-def: $vgpr2
	s_branch .LBB6_868
.LBB6_864:
	s_mov_b64 s[18:19], -1
                                        ; implicit-def: $vgpr2
.LBB6_865:
	s_andn2_b64 vcc, exec, s[18:19]
	s_cbranch_vccnz .LBB6_867
; %bb.866:
	global_load_dword v2, v[0:1], off
	s_mov_b32 s18, 0x2f800000
	s_waitcnt vmcnt(0)
	v_trunc_f32_e32 v2, v2
	v_mul_f32_e64 v3, |v2|, s18
	v_floor_f32_e32 v3, v3
	s_mov_b32 s18, 0xcf800000
	v_fma_f32 v3, v3, s18, |v2|
	v_cvt_u32_f32_e32 v3, v3
	v_ashrrev_i32_e32 v2, 31, v2
	v_xor_b32_e32 v3, v3, v2
	v_sub_u32_e32 v2, v3, v2
.LBB6_867:
	s_mov_b64 s[18:19], 0
.LBB6_868:
	s_andn2_b64 vcc, exec, s[18:19]
	s_cbranch_vccnz .LBB6_870
; %bb.869:
	global_load_ushort v2, v[0:1], off
	s_waitcnt vmcnt(0)
	v_cvt_f32_f16_e32 v2, v2
	v_cvt_i32_f32_e32 v2, v2
.LBB6_870:
	s_cbranch_execnz .LBB6_889
.LBB6_871:
	s_sext_i32_i16 s18, s43
	s_cmp_lt_i32 s18, 2
	s_cbranch_scc1 .LBB6_875
; %bb.872:
	s_cmp_lt_i32 s18, 3
	s_cbranch_scc1 .LBB6_876
; %bb.873:
	s_cmp_gt_i32 s18, 3
	s_cbranch_scc0 .LBB6_877
; %bb.874:
	global_load_dwordx2 v[2:3], v[0:1], off
	s_mov_b64 s[18:19], 0
	s_branch .LBB6_878
.LBB6_875:
                                        ; implicit-def: $vgpr2
	s_branch .LBB6_884
.LBB6_876:
	s_mov_b64 s[18:19], -1
                                        ; implicit-def: $vgpr2
	s_branch .LBB6_881
.LBB6_877:
	s_mov_b64 s[18:19], -1
                                        ; implicit-def: $vgpr2
.LBB6_878:
	s_andn2_b64 vcc, exec, s[18:19]
	s_cbranch_vccnz .LBB6_880
; %bb.879:
	global_load_dword v2, v[0:1], off
.LBB6_880:
	s_mov_b64 s[18:19], 0
.LBB6_881:
	s_andn2_b64 vcc, exec, s[18:19]
	s_cbranch_vccnz .LBB6_883
; %bb.882:
	global_load_ushort v2, v[0:1], off
.LBB6_883:
	s_cbranch_execnz .LBB6_889
.LBB6_884:
	s_sext_i32_i16 s18, s43
	s_cmp_gt_i32 s18, 0
	s_cbranch_scc0 .LBB6_886
; %bb.885:
	global_load_ubyte v2, v[0:1], off
	s_mov_b64 s[18:19], 0
	s_branch .LBB6_887
.LBB6_886:
	s_mov_b64 s[18:19], -1
                                        ; implicit-def: $vgpr2
.LBB6_887:
	s_andn2_b64 vcc, exec, s[18:19]
	s_cbranch_vccnz .LBB6_889
; %bb.888:
	global_load_ubyte v2, v[0:1], off
.LBB6_889:
	s_or_b64 s[0:1], s[0:1], exec
.LBB6_890:
	s_or_b64 exec, exec, s[14:15]
	s_mov_b64 s[20:21], 0
	s_mov_b64 s[18:19], 0
                                        ; implicit-def: $sgpr26
                                        ; implicit-def: $vgpr0_vgpr1
                                        ; implicit-def: $vgpr3
	s_and_saveexec_b64 s[14:15], s[0:1]
	s_cbranch_execz .LBB6_965
; %bb.891:
	v_mul_lo_u32 v1, v8, s2
	s_waitcnt vmcnt(0)
	v_mov_b32_e32 v3, 8
	v_lshlrev_b32_sdwa v0, v2, v7 dst_sel:DWORD dst_unused:UNUSED_PAD src0_sel:DWORD src1_sel:BYTE_0
	v_cmp_lt_u16_sdwa vcc, v2, v3 src0_sel:BYTE_0 src1_sel:DWORD
	v_cndmask_b32_e32 v3, 0, v0, vcc
	v_ashrrev_i32_e32 v2, 31, v1
	v_mov_b32_e32 v4, s9
	s_and_b32 s26, s33, 0xff
	v_add_co_u32_e32 v0, vcc, s8, v1
	s_cmp_lt_i32 s26, 11
	v_addc_co_u32_e32 v1, vcc, v4, v2, vcc
	s_cbranch_scc1 .LBB6_968
; %bb.892:
	s_and_b32 s27, 0xffff, s26
	s_mov_b64 s[20:21], -1
	s_cmp_gt_i32 s27, 25
	s_mov_b64 s[0:1], s[6:7]
	s_cbranch_scc0 .LBB6_925
; %bb.893:
	s_mov_b64 s[18:19], -1
	s_cmp_gt_i32 s27, 28
	s_mov_b64 s[0:1], s[6:7]
	s_cbranch_scc0 .LBB6_909
; %bb.894:
	s_cmp_gt_i32 s27, 43
	s_mov_b64 s[0:1], s[6:7]
	s_cbranch_scc0 .LBB6_905
; %bb.895:
	;; [unrolled: 4-line block ×3, first 2 shown]
	s_cmp_eq_u32 s27, 46
	s_mov_b64 s[0:1], -1
	s_cbranch_scc0 .LBB6_898
; %bb.897:
	v_cvt_f32_ubyte0_e32 v2, v3
	v_bfe_u32 v4, v2, 16, 1
	s_movk_i32 s0, 0x7fff
	v_add3_u32 v2, v2, v4, s0
	v_lshrrev_b32_e32 v2, 16, v2
	global_store_dword v[0:1], v2, off
	s_mov_b64 s[0:1], 0
.LBB6_898:
	s_mov_b64 s[18:19], 0
.LBB6_899:
	s_and_b64 vcc, exec, s[18:19]
	s_cbranch_vccz .LBB6_904
; %bb.900:
	s_cmp_eq_u32 s27, 44
	s_mov_b64 s[0:1], -1
	s_cbranch_scc0 .LBB6_904
; %bb.901:
	v_cvt_f32_ubyte0_e32 v4, v3
	v_lshrrev_b32_e32 v2, 23, v4
	s_movk_i32 s0, 0xff
	v_cmp_ne_u32_e32 vcc, s0, v2
	v_mov_b32_e32 v5, 0xff
	s_and_saveexec_b64 s[18:19], vcc
; %bb.902:
	s_mov_b32 s0, 0x3fffff
	v_and_b32_e32 v5, 0x400000, v4
	v_and_or_b32 v4, v4, s0, v2
	v_cmp_ne_u32_e32 vcc, 0, v5
	v_cmp_ne_u32_e64 s[0:1], 0, v4
	s_and_b64 s[0:1], vcc, s[0:1]
	v_cndmask_b32_e64 v4, 0, 1, s[0:1]
	v_add_u32_e32 v5, v2, v4
; %bb.903:
	s_or_b64 exec, exec, s[18:19]
	s_mov_b64 s[0:1], 0
	global_store_byte v[0:1], v5, off
.LBB6_904:
	s_mov_b64 s[18:19], 0
.LBB6_905:
	s_and_b64 vcc, exec, s[18:19]
	s_cbranch_vccz .LBB6_908
; %bb.906:
	s_cmp_eq_u32 s27, 29
	s_mov_b64 s[0:1], -1
	s_cbranch_scc0 .LBB6_908
; %bb.907:
	v_and_b32_e32 v4, 0xff, v3
	v_mov_b32_e32 v5, 0
	global_store_dwordx2 v[0:1], v[4:5], off
	s_mov_b64 s[0:1], 0
.LBB6_908:
	s_mov_b64 s[18:19], 0
.LBB6_909:
	s_and_b64 vcc, exec, s[18:19]
	s_cbranch_vccz .LBB6_924
; %bb.910:
	s_cmp_lt_i32 s27, 27
	s_mov_b64 s[18:19], -1
	s_cbranch_scc1 .LBB6_916
; %bb.911:
	s_cmp_gt_i32 s27, 27
	s_cbranch_scc0 .LBB6_913
; %bb.912:
	v_and_b32_e32 v2, 0xff, v3
	s_mov_b64 s[18:19], 0
	global_store_dword v[0:1], v2, off
.LBB6_913:
	s_andn2_b64 vcc, exec, s[18:19]
	s_cbranch_vccnz .LBB6_915
; %bb.914:
	v_and_b32_e32 v2, 0xff, v3
	global_store_short v[0:1], v2, off
.LBB6_915:
	s_mov_b64 s[18:19], 0
.LBB6_916:
	s_andn2_b64 vcc, exec, s[18:19]
	s_cbranch_vccnz .LBB6_924
; %bb.917:
	v_cvt_f32_ubyte0_e32 v4, v3
	s_mov_b32 s18, 0x43800000
	v_cmp_gt_u32_e32 vcc, s18, v4
	v_mov_b32_e32 v5, 0x80
	s_and_saveexec_b64 s[18:19], vcc
	s_cbranch_execz .LBB6_923
; %bb.918:
	s_mov_b32 s20, 0x3bffffff
	v_cmp_lt_u32_e32 vcc, s20, v4
	s_mov_b64 s[20:21], 0
                                        ; implicit-def: $vgpr2
	s_and_saveexec_b64 s[22:23], vcc
	s_xor_b64 s[22:23], exec, s[22:23]
	s_cbranch_execz .LBB6_1025
; %bb.919:
	v_bfe_u32 v2, v4, 20, 1
	s_mov_b32 s24, 0x487ffff
	v_add3_u32 v2, v4, v2, s24
	s_mov_b64 s[20:21], exec
	v_lshrrev_b32_e32 v2, 20, v2
                                        ; implicit-def: $vgpr4
	s_andn2_saveexec_b64 s[22:23], s[22:23]
	s_cbranch_execnz .LBB6_1026
.LBB6_920:
	s_or_b64 exec, exec, s[22:23]
	v_mov_b32_e32 v5, 0
	s_and_saveexec_b64 s[22:23], s[20:21]
.LBB6_921:
	v_mov_b32_e32 v5, v2
.LBB6_922:
	s_or_b64 exec, exec, s[22:23]
.LBB6_923:
	s_or_b64 exec, exec, s[18:19]
	global_store_byte v[0:1], v5, off
.LBB6_924:
	s_mov_b64 s[20:21], 0
.LBB6_925:
	s_mov_b64 s[18:19], 0
	s_and_b64 vcc, exec, s[20:21]
	s_cbranch_vccz .LBB6_969
; %bb.926:
	s_cmp_gt_i32 s27, 22
	s_mov_b64 s[20:21], -1
	s_cbranch_scc0 .LBB6_958
; %bb.927:
	s_cmp_lt_i32 s27, 24
	s_cbranch_scc1 .LBB6_947
; %bb.928:
	s_cmp_gt_i32 s27, 24
	s_cbranch_scc0 .LBB6_936
; %bb.929:
	v_cvt_f32_ubyte0_e32 v4, v3
	s_mov_b32 s20, 0x47800000
	v_cmp_gt_u32_e32 vcc, s20, v4
	v_mov_b32_e32 v5, 0x80
	s_and_saveexec_b64 s[20:21], vcc
	s_cbranch_execz .LBB6_935
; %bb.930:
	s_mov_b32 s22, 0x37ffffff
	v_cmp_lt_u32_e32 vcc, s22, v4
	s_mov_b64 s[22:23], 0
                                        ; implicit-def: $vgpr2
	s_and_saveexec_b64 s[24:25], vcc
	s_xor_b64 s[24:25], exec, s[24:25]
	s_cbranch_execz .LBB6_1145
; %bb.931:
	v_bfe_u32 v2, v4, 21, 1
	s_mov_b32 s28, 0x88fffff
	v_add3_u32 v2, v4, v2, s28
	s_mov_b64 s[22:23], exec
	v_lshrrev_b32_e32 v2, 21, v2
                                        ; implicit-def: $vgpr4
	s_andn2_saveexec_b64 s[24:25], s[24:25]
	s_cbranch_execnz .LBB6_1146
.LBB6_932:
	s_or_b64 exec, exec, s[24:25]
	v_mov_b32_e32 v5, 0
	s_and_saveexec_b64 s[24:25], s[22:23]
.LBB6_933:
	v_mov_b32_e32 v5, v2
.LBB6_934:
	s_or_b64 exec, exec, s[24:25]
.LBB6_935:
	s_or_b64 exec, exec, s[20:21]
	s_mov_b64 s[20:21], 0
	global_store_byte v[0:1], v5, off
.LBB6_936:
	s_and_b64 vcc, exec, s[20:21]
	s_cbranch_vccz .LBB6_946
; %bb.937:
	v_cvt_f32_ubyte0_e32 v2, v3
	s_mov_b32 s20, 0x43f00000
	v_cmp_gt_u32_e32 vcc, s20, v2
                                        ; implicit-def: $vgpr4
	s_and_saveexec_b64 s[20:21], vcc
	s_xor_b64 s[20:21], exec, s[20:21]
	s_cbranch_execz .LBB6_943
; %bb.938:
	s_mov_b32 s22, 0x3c7fffff
	v_cmp_lt_u32_e32 vcc, s22, v2
                                        ; implicit-def: $vgpr4
	s_and_saveexec_b64 s[22:23], vcc
	s_xor_b64 s[22:23], exec, s[22:23]
; %bb.939:
	v_bfe_u32 v4, v2, 20, 1
	s_mov_b32 s24, 0x407ffff
	v_add3_u32 v2, v2, v4, s24
	v_lshrrev_b32_e32 v4, 20, v2
	v_and_b32_e32 v2, 0xff00000, v2
	s_mov_b32 s24, 0x7f00000
	v_mov_b32_e32 v5, 0x7e
	v_cmp_ne_u32_e32 vcc, s24, v2
	v_cndmask_b32_e32 v4, v5, v4, vcc
                                        ; implicit-def: $vgpr2
; %bb.940:
	s_andn2_saveexec_b64 s[22:23], s[22:23]
; %bb.941:
	v_add_f32_e32 v4, 0x46800000, v2
; %bb.942:
	s_or_b64 exec, exec, s[22:23]
                                        ; implicit-def: $vgpr2
.LBB6_943:
	s_andn2_saveexec_b64 s[20:21], s[20:21]
; %bb.944:
	s_mov_b32 s22, 0x7f800000
	v_mov_b32_e32 v4, 0x7e
	v_mov_b32_e32 v5, 0x7f
	v_cmp_lt_u32_e32 vcc, s22, v2
	v_cndmask_b32_e32 v4, v4, v5, vcc
; %bb.945:
	s_or_b64 exec, exec, s[20:21]
	global_store_byte v[0:1], v4, off
.LBB6_946:
	s_mov_b64 s[20:21], 0
.LBB6_947:
	s_andn2_b64 vcc, exec, s[20:21]
	s_cbranch_vccnz .LBB6_957
; %bb.948:
	v_cvt_f32_ubyte0_e32 v2, v3
	s_mov_b32 s20, 0x47800000
	v_cmp_gt_u32_e32 vcc, s20, v2
                                        ; implicit-def: $vgpr4
	s_and_saveexec_b64 s[20:21], vcc
	s_xor_b64 s[20:21], exec, s[20:21]
	s_cbranch_execz .LBB6_954
; %bb.949:
	s_mov_b32 s22, 0x387fffff
	v_cmp_lt_u32_e32 vcc, s22, v2
                                        ; implicit-def: $vgpr4
	s_and_saveexec_b64 s[22:23], vcc
	s_xor_b64 s[22:23], exec, s[22:23]
; %bb.950:
	v_bfe_u32 v4, v2, 21, 1
	s_mov_b32 s24, 0x80fffff
	v_add3_u32 v2, v2, v4, s24
	v_lshrrev_b32_e32 v4, 21, v2
                                        ; implicit-def: $vgpr2
; %bb.951:
	s_andn2_saveexec_b64 s[22:23], s[22:23]
; %bb.952:
	v_add_f32_e32 v4, 0x43000000, v2
; %bb.953:
	s_or_b64 exec, exec, s[22:23]
                                        ; implicit-def: $vgpr2
.LBB6_954:
	s_andn2_saveexec_b64 s[20:21], s[20:21]
; %bb.955:
	s_mov_b32 s22, 0x7f800000
	v_mov_b32_e32 v4, 0x7c
	v_mov_b32_e32 v5, 0x7f
	v_cmp_lt_u32_e32 vcc, s22, v2
	v_cndmask_b32_e32 v4, v4, v5, vcc
; %bb.956:
	s_or_b64 exec, exec, s[20:21]
	global_store_byte v[0:1], v4, off
.LBB6_957:
	s_mov_b64 s[20:21], 0
.LBB6_958:
	s_andn2_b64 vcc, exec, s[20:21]
	s_mov_b64 s[20:21], 0
	s_cbranch_vccnz .LBB6_970
; %bb.959:
	s_cmp_gt_i32 s27, 14
	s_mov_b64 s[22:23], -1
	s_cbranch_scc0 .LBB6_963
; %bb.960:
	s_cmp_eq_u32 s27, 15
	s_mov_b64 s[0:1], -1
	s_cbranch_scc0 .LBB6_962
; %bb.961:
	v_cvt_f32_ubyte0_e32 v2, v3
	v_bfe_u32 v4, v2, 16, 1
	s_movk_i32 s0, 0x7fff
	v_add3_u32 v2, v2, v4, s0
	global_store_short_d16_hi v[0:1], v2, off
	s_mov_b64 s[0:1], 0
.LBB6_962:
	s_mov_b64 s[22:23], 0
.LBB6_963:
	s_and_b64 vcc, exec, s[22:23]
	s_cbranch_vccz .LBB6_970
; %bb.964:
	s_cmp_lg_u32 s27, 11
	s_cselect_b64 s[22:23], -1, 0
	s_andn2_b64 s[0:1], s[0:1], exec
	s_and_b64 s[22:23], s[22:23], exec
	s_mov_b64 s[20:21], -1
	s_or_b64 s[0:1], s[0:1], s[22:23]
	s_branch .LBB6_970
.LBB6_965:
	s_or_b64 exec, exec, s[14:15]
	s_and_saveexec_b64 s[0:1], s[6:7]
	s_cbranch_execnz .LBB6_971
.LBB6_966:
	s_or_b64 exec, exec, s[0:1]
	s_and_saveexec_b64 s[0:1], s[20:21]
	s_xor_b64 s[0:1], exec, s[0:1]
	s_cbranch_execz .LBB6_972
.LBB6_967:
	s_waitcnt vmcnt(0)
	v_mov_b32_e32 v2, 0
	v_cmp_ne_u16_sdwa s[6:7], v3, v2 src0_sel:BYTE_0 src1_sel:DWORD
	v_cndmask_b32_e64 v2, 0, 1, s[6:7]
	global_store_byte v[0:1], v2, off
	s_or_b64 exec, exec, s[0:1]
	s_and_saveexec_b64 s[0:1], s[18:19]
	s_xor_b64 s[0:1], exec, s[0:1]
	s_cbranch_execz .LBB6_1010
	s_branch .LBB6_973
.LBB6_968:
	s_mov_b64 s[18:19], -1
	s_mov_b64 s[0:1], s[6:7]
	s_branch .LBB6_970
.LBB6_969:
	s_mov_b64 s[20:21], 0
.LBB6_970:
	s_andn2_b64 s[6:7], s[6:7], exec
	s_and_b64 s[0:1], s[0:1], exec
	s_and_b64 s[18:19], s[18:19], exec
	;; [unrolled: 1-line block ×3, first 2 shown]
	s_or_b64 s[6:7], s[6:7], s[0:1]
	s_or_b64 exec, exec, s[14:15]
	s_and_saveexec_b64 s[0:1], s[6:7]
	s_cbranch_execz .LBB6_966
.LBB6_971:
	s_or_b64 s[16:17], s[16:17], exec
	s_andn2_b64 s[20:21], s[20:21], exec
	s_trap 2
	s_or_b64 exec, exec, s[0:1]
	s_and_saveexec_b64 s[0:1], s[20:21]
	s_xor_b64 s[0:1], exec, s[0:1]
	s_cbranch_execnz .LBB6_967
.LBB6_972:
	s_or_b64 exec, exec, s[0:1]
	s_and_saveexec_b64 s[0:1], s[18:19]
	s_xor_b64 s[0:1], exec, s[0:1]
	s_cbranch_execz .LBB6_1010
.LBB6_973:
	s_sext_i32_i16 s14, s26
	s_cmp_lt_i32 s14, 5
	s_mov_b64 s[6:7], -1
	s_cbranch_scc1 .LBB6_994
; %bb.974:
	s_cmp_lt_i32 s14, 8
	s_cbranch_scc1 .LBB6_984
; %bb.975:
	s_cmp_lt_i32 s14, 9
	s_cbranch_scc1 .LBB6_981
; %bb.976:
	s_cmp_gt_i32 s14, 9
	s_cbranch_scc0 .LBB6_978
; %bb.977:
	s_mov_b32 s6, 0xffff
	s_waitcnt vmcnt(0)
	v_and_b32_sdwa v2, s6, v3 dst_sel:DWORD dst_unused:UNUSED_PAD src0_sel:DWORD src1_sel:BYTE_0
	v_cvt_f64_u32_e32 v[4:5], v2
	v_mov_b32_e32 v6, 0
	v_mov_b32_e32 v7, v6
	s_mov_b64 s[6:7], 0
	global_store_dwordx4 v[0:1], v[4:7], off
.LBB6_978:
	s_andn2_b64 vcc, exec, s[6:7]
	s_cbranch_vccnz .LBB6_980
; %bb.979:
	s_waitcnt vmcnt(0)
	v_cvt_f32_ubyte0_e32 v4, v3
	v_mov_b32_e32 v5, 0
	global_store_dwordx2 v[0:1], v[4:5], off
.LBB6_980:
	s_mov_b64 s[6:7], 0
.LBB6_981:
	s_andn2_b64 vcc, exec, s[6:7]
	s_cbranch_vccnz .LBB6_983
; %bb.982:
	s_waitcnt vmcnt(0)
	v_cvt_f16_u16_sdwa v2, v3 dst_sel:DWORD dst_unused:UNUSED_PAD src0_sel:BYTE_0
	global_store_dword v[0:1], v2, off
.LBB6_983:
	s_mov_b64 s[6:7], 0
.LBB6_984:
	s_andn2_b64 vcc, exec, s[6:7]
	s_cbranch_vccnz .LBB6_993
; %bb.985:
	s_sext_i32_i16 s14, s26
	s_cmp_lt_i32 s14, 6
	s_mov_b64 s[6:7], -1
	s_cbranch_scc1 .LBB6_991
; %bb.986:
	s_cmp_gt_i32 s14, 6
	s_cbranch_scc0 .LBB6_988
; %bb.987:
	s_mov_b32 s6, 0xffff
	s_waitcnt vmcnt(0)
	v_and_b32_sdwa v2, s6, v3 dst_sel:DWORD dst_unused:UNUSED_PAD src0_sel:DWORD src1_sel:BYTE_0
	v_cvt_f64_u32_e32 v[4:5], v2
	s_mov_b64 s[6:7], 0
	global_store_dwordx2 v[0:1], v[4:5], off
.LBB6_988:
	s_andn2_b64 vcc, exec, s[6:7]
	s_cbranch_vccnz .LBB6_990
; %bb.989:
	s_waitcnt vmcnt(0)
	v_cvt_f32_ubyte0_e32 v2, v3
	global_store_dword v[0:1], v2, off
.LBB6_990:
	s_mov_b64 s[6:7], 0
.LBB6_991:
	s_andn2_b64 vcc, exec, s[6:7]
	s_cbranch_vccnz .LBB6_993
; %bb.992:
	s_waitcnt vmcnt(0)
	v_cvt_f16_u16_sdwa v2, v3 dst_sel:DWORD dst_unused:UNUSED_PAD src0_sel:BYTE_0
	global_store_short v[0:1], v2, off
.LBB6_993:
	s_mov_b64 s[6:7], 0
.LBB6_994:
	s_andn2_b64 vcc, exec, s[6:7]
	s_cbranch_vccnz .LBB6_1010
; %bb.995:
	s_sext_i32_i16 s14, s26
	s_cmp_lt_i32 s14, 2
	s_mov_b64 s[6:7], -1
	s_cbranch_scc1 .LBB6_1005
; %bb.996:
	s_cmp_lt_i32 s14, 3
	s_cbranch_scc1 .LBB6_1002
; %bb.997:
	s_cmp_gt_i32 s14, 3
	s_cbranch_scc0 .LBB6_999
; %bb.998:
	s_waitcnt vmcnt(0)
	v_and_b32_e32 v4, 0xff, v3
	v_mov_b32_e32 v5, 0
	s_mov_b64 s[6:7], 0
	global_store_dwordx2 v[0:1], v[4:5], off
.LBB6_999:
	s_andn2_b64 vcc, exec, s[6:7]
	s_cbranch_vccnz .LBB6_1001
; %bb.1000:
	s_waitcnt vmcnt(0)
	v_and_b32_e32 v2, 0xff, v3
	global_store_dword v[0:1], v2, off
.LBB6_1001:
	s_mov_b64 s[6:7], 0
.LBB6_1002:
	s_andn2_b64 vcc, exec, s[6:7]
	s_cbranch_vccnz .LBB6_1004
; %bb.1003:
	s_waitcnt vmcnt(0)
	v_and_b32_e32 v2, 0xff, v3
	global_store_short v[0:1], v2, off
.LBB6_1004:
	s_mov_b64 s[6:7], 0
.LBB6_1005:
	s_andn2_b64 vcc, exec, s[6:7]
	s_cbranch_vccnz .LBB6_1010
; %bb.1006:
	s_sext_i32_i16 s6, s26
	s_cmp_gt_i32 s6, 0
	s_mov_b64 s[6:7], -1
	s_cbranch_scc0 .LBB6_1008
; %bb.1007:
	s_mov_b64 s[6:7], 0
	s_waitcnt vmcnt(0)
	global_store_byte v[0:1], v3, off
.LBB6_1008:
	s_andn2_b64 vcc, exec, s[6:7]
	s_cbranch_vccnz .LBB6_1010
; %bb.1009:
	s_waitcnt vmcnt(0)
	global_store_byte v[0:1], v3, off
.LBB6_1010:
	s_or_b64 exec, exec, s[0:1]
	s_and_b64 s[6:7], s[16:17], exec
                                        ; implicit-def: $vgpr8
                                        ; implicit-def: $vgpr7
.LBB6_1011:
	s_or_saveexec_b64 s[4:5], s[4:5]
	s_mov_b64 s[0:1], 0
                                        ; implicit-def: $sgpr20
                                        ; implicit-def: $vgpr0_vgpr1
                                        ; implicit-def: $vgpr2
	s_xor_b64 exec, exec, s[4:5]
	s_cbranch_execz .LBB6_1942
; %bb.1012:
	v_mul_lo_u32 v4, s3, v8
	v_mov_b32_e32 v0, s11
	s_and_b32 s20, s42, 0xff
	s_cmp_lt_i32 s20, 11
	v_ashrrev_i32_e32 v1, 31, v4
	s_waitcnt vmcnt(0)
	v_add_co_u32_e32 v2, vcc, s10, v4
	v_addc_co_u32_e32 v3, vcc, v0, v1, vcc
	s_cbranch_scc1 .LBB6_1019
; %bb.1013:
	s_and_b32 s18, 0xffff, s20
	s_cmp_gt_i32 s18, 25
	s_cbranch_scc0 .LBB6_1021
; %bb.1014:
	s_cmp_gt_i32 s18, 28
	s_cbranch_scc0 .LBB6_1022
; %bb.1015:
	;; [unrolled: 3-line block ×4, first 2 shown]
	s_cmp_eq_u32 s18, 46
	s_mov_b64 s[14:15], 0
	s_cbranch_scc0 .LBB6_1027
; %bb.1018:
	global_load_dword v0, v[2:3], off
	s_mov_b32 s0, 0x2f800000
	s_mov_b32 s1, 0xcf800000
	s_mov_b64 s[16:17], -1
	s_waitcnt vmcnt(0)
	v_lshlrev_b32_e32 v0, 16, v0
	v_trunc_f32_e32 v0, v0
	v_mul_f32_e64 v1, |v0|, s0
	v_floor_f32_e32 v1, v1
	v_fma_f32 v1, v1, s1, |v0|
	v_cvt_u32_f32_e32 v1, v1
	v_ashrrev_i32_e32 v0, 31, v0
	s_mov_b64 s[0:1], 0
	v_xor_b32_e32 v1, v1, v0
	v_sub_u32_e32 v0, v1, v0
	s_branch .LBB6_1028
.LBB6_1019:
	s_mov_b64 s[16:17], 0
                                        ; implicit-def: $vgpr0
	s_mov_b64 s[14:15], s[6:7]
	s_cbranch_execnz .LBB6_1086
.LBB6_1020:
	s_andn2_b64 vcc, exec, s[16:17]
	s_cbranch_vccz .LBB6_1131
	s_branch .LBB6_1940
.LBB6_1021:
	s_mov_b64 s[16:17], 0
                                        ; implicit-def: $vgpr0
	s_cbranch_execnz .LBB6_1053
	s_branch .LBB6_1082
.LBB6_1022:
	s_mov_b64 s[16:17], 0
                                        ; implicit-def: $vgpr0
	s_cbranch_execz .LBB6_1052
	s_branch .LBB6_1037
.LBB6_1023:
	s_mov_b64 s[16:17], 0
                                        ; implicit-def: $vgpr0
	s_cbranch_execnz .LBB6_1033
	s_branch .LBB6_1036
.LBB6_1024:
	s_mov_b64 s[14:15], -1
	s_mov_b64 s[16:17], 0
                                        ; implicit-def: $vgpr0
	s_branch .LBB6_1028
.LBB6_1025:
	s_andn2_saveexec_b64 s[22:23], s[22:23]
	s_cbranch_execz .LBB6_920
.LBB6_1026:
	v_add_f32_e32 v2, 0x46000000, v4
	v_and_b32_e32 v2, 0xff, v2
	v_cmp_ne_u32_e32 vcc, 0, v2
	s_andn2_b64 s[20:21], s[20:21], exec
	s_and_b64 s[24:25], vcc, exec
	s_or_b64 s[20:21], s[20:21], s[24:25]
	s_or_b64 exec, exec, s[22:23]
	v_mov_b32_e32 v5, 0
	s_and_saveexec_b64 s[22:23], s[20:21]
	s_cbranch_execnz .LBB6_921
	s_branch .LBB6_922
.LBB6_1027:
	s_mov_b64 s[0:1], -1
                                        ; implicit-def: $vgpr0
	s_mov_b64 s[16:17], 0
.LBB6_1028:
	s_and_b64 vcc, exec, s[14:15]
	s_cbranch_vccz .LBB6_1031
; %bb.1029:
	s_cmp_eq_u32 s18, 44
	s_cbranch_scc0 .LBB6_1032
; %bb.1030:
	global_load_ubyte v0, v[2:3], off
	s_mov_b32 s0, 0x2f800000
	s_mov_b32 s1, 0xcf800000
	s_mov_b64 s[16:17], -1
	s_waitcnt vmcnt(0)
	v_lshlrev_b32_e32 v1, 23, v0
	v_trunc_f32_e32 v1, v1
	v_mul_f32_e64 v5, |v1|, s0
	v_floor_f32_e32 v5, v5
	v_fma_f32 v5, v5, s1, |v1|
	v_cvt_u32_f32_e32 v5, v5
	v_ashrrev_i32_e32 v1, 31, v1
	v_cmp_ne_u32_e32 vcc, 0, v0
	s_mov_b64 s[0:1], 0
	v_xor_b32_e32 v5, v5, v1
	v_sub_u32_e32 v1, v5, v1
	v_cndmask_b32_e32 v0, 0, v1, vcc
.LBB6_1031:
	s_branch .LBB6_1036
.LBB6_1032:
	s_mov_b64 s[0:1], -1
                                        ; implicit-def: $vgpr0
	s_branch .LBB6_1036
.LBB6_1033:
	s_cmp_eq_u32 s18, 29
	s_cbranch_scc0 .LBB6_1035
; %bb.1034:
	global_load_dwordx2 v[0:1], v[2:3], off
	s_mov_b64 s[0:1], 0
	s_mov_b64 s[16:17], -1
	s_branch .LBB6_1036
.LBB6_1035:
	s_mov_b64 s[0:1], -1
                                        ; implicit-def: $vgpr0
.LBB6_1036:
	s_branch .LBB6_1052
.LBB6_1037:
	s_cmp_lt_i32 s18, 27
	s_cbranch_scc1 .LBB6_1040
; %bb.1038:
	s_cmp_gt_i32 s18, 27
	s_cbranch_scc0 .LBB6_1041
; %bb.1039:
	global_load_dword v0, v[2:3], off
	s_mov_b64 s[14:15], 0
	s_branch .LBB6_1042
.LBB6_1040:
	s_mov_b64 s[14:15], -1
                                        ; implicit-def: $vgpr0
	s_branch .LBB6_1045
.LBB6_1041:
	s_mov_b64 s[14:15], -1
                                        ; implicit-def: $vgpr0
.LBB6_1042:
	s_andn2_b64 vcc, exec, s[14:15]
	s_cbranch_vccnz .LBB6_1044
; %bb.1043:
	global_load_ushort v0, v[2:3], off
.LBB6_1044:
	s_mov_b64 s[14:15], 0
.LBB6_1045:
	s_andn2_b64 vcc, exec, s[14:15]
	s_cbranch_vccnz .LBB6_1051
; %bb.1046:
	global_load_ubyte v1, v[2:3], off
	s_movk_i32 s14, 0x7f
	s_mov_b64 s[16:17], 0
	s_waitcnt vmcnt(0)
	v_cmp_lt_i16_e32 vcc, s14, v1
	s_and_saveexec_b64 s[14:15], vcc
	s_xor_b64 s[14:15], exec, s[14:15]
	s_cbranch_execz .LBB6_1062
; %bb.1047:
	s_movk_i32 s16, 0x80
	v_cmp_ne_u16_e32 vcc, s16, v1
	s_and_b64 s[16:17], vcc, exec
	s_andn2_saveexec_b64 s[14:15], s[14:15]
	s_cbranch_execnz .LBB6_1063
.LBB6_1048:
	s_or_b64 exec, exec, s[14:15]
	v_mov_b32_e32 v0, 0
	s_and_saveexec_b64 s[14:15], s[16:17]
	s_cbranch_execz .LBB6_1050
.LBB6_1049:
	v_lshlrev_b32_e32 v0, 24, v1
	v_and_b32_e32 v1, 0xffff, v1
	v_and_b32_e32 v5, 7, v1
	v_ffbh_u32_e32 v9, v5
	v_min_u32_e32 v9, 32, v9
	v_subrev_u32_e32 v10, 28, v9
	v_bfe_u32 v6, v1, 3, 4
	v_lshlrev_b32_e32 v1, v10, v1
	v_sub_u32_e32 v9, 29, v9
	v_and_b32_e32 v1, 7, v1
	v_cmp_eq_u32_e32 vcc, 0, v6
	v_cndmask_b32_e32 v6, v6, v9, vcc
	v_cndmask_b32_e32 v1, v5, v1, vcc
	v_mov_b32_e32 v5, 0x3b800000
	v_lshlrev_b32_e32 v1, 20, v1
	v_and_b32_e32 v0, 0x80000000, v0
	v_lshl_add_u32 v5, v6, 23, v5
	v_or3_b32 v0, v0, v5, v1
	v_trunc_f32_e32 v0, v0
	s_mov_b32 s16, 0x2f800000
	v_mul_f32_e64 v1, |v0|, s16
	v_floor_f32_e32 v1, v1
	s_mov_b32 s16, 0xcf800000
	v_fma_f32 v1, v1, s16, |v0|
	v_cvt_u32_f32_e32 v1, v1
	v_ashrrev_i32_e32 v0, 31, v0
	v_xor_b32_e32 v1, v1, v0
	v_sub_u32_e32 v0, v1, v0
.LBB6_1050:
	s_or_b64 exec, exec, s[14:15]
.LBB6_1051:
	s_mov_b64 s[16:17], -1
.LBB6_1052:
	s_branch .LBB6_1082
.LBB6_1053:
	s_cmp_gt_i32 s18, 22
	s_cbranch_scc0 .LBB6_1061
; %bb.1054:
	s_cmp_lt_i32 s18, 24
	s_cbranch_scc1 .LBB6_1064
; %bb.1055:
	s_cmp_gt_i32 s18, 24
	s_cbranch_scc0 .LBB6_1065
; %bb.1056:
	global_load_ubyte v1, v[2:3], off
	s_movk_i32 s12, 0x7f
	s_mov_b64 s[14:15], 0
	s_waitcnt vmcnt(0)
	v_cmp_lt_i16_e32 vcc, s12, v1
	s_and_saveexec_b64 s[12:13], vcc
	s_xor_b64 s[12:13], exec, s[12:13]
	s_cbranch_execz .LBB6_1076
; %bb.1057:
	s_movk_i32 s14, 0x80
	v_cmp_ne_u16_e32 vcc, s14, v1
	s_and_b64 s[14:15], vcc, exec
	s_andn2_saveexec_b64 s[12:13], s[12:13]
	s_cbranch_execnz .LBB6_1077
.LBB6_1058:
	s_or_b64 exec, exec, s[12:13]
	v_mov_b32_e32 v0, 0
	s_and_saveexec_b64 s[12:13], s[14:15]
	s_cbranch_execz .LBB6_1060
.LBB6_1059:
	v_lshlrev_b32_e32 v0, 24, v1
	v_and_b32_e32 v1, 0xffff, v1
	v_and_b32_e32 v5, 3, v1
	v_ffbh_u32_e32 v9, v5
	v_min_u32_e32 v9, 32, v9
	v_subrev_u32_e32 v10, 29, v9
	v_bfe_u32 v6, v1, 2, 5
	v_lshlrev_b32_e32 v1, v10, v1
	v_sub_u32_e32 v9, 30, v9
	v_and_b32_e32 v1, 3, v1
	v_cmp_eq_u32_e32 vcc, 0, v6
	v_cndmask_b32_e32 v6, v6, v9, vcc
	v_cndmask_b32_e32 v1, v5, v1, vcc
	v_mov_b32_e32 v5, 0x37800000
	v_lshlrev_b32_e32 v1, 21, v1
	v_and_b32_e32 v0, 0x80000000, v0
	v_lshl_add_u32 v5, v6, 23, v5
	v_or3_b32 v0, v0, v5, v1
	v_trunc_f32_e32 v0, v0
	s_mov_b32 s14, 0x2f800000
	v_mul_f32_e64 v1, |v0|, s14
	v_floor_f32_e32 v1, v1
	s_mov_b32 s14, 0xcf800000
	v_fma_f32 v1, v1, s14, |v0|
	v_cvt_u32_f32_e32 v1, v1
	v_ashrrev_i32_e32 v0, 31, v0
	v_xor_b32_e32 v1, v1, v0
	v_sub_u32_e32 v0, v1, v0
.LBB6_1060:
	s_or_b64 exec, exec, s[12:13]
	s_mov_b64 s[12:13], 0
	s_branch .LBB6_1066
.LBB6_1061:
                                        ; implicit-def: $vgpr0
	s_mov_b64 s[12:13], 0
	s_branch .LBB6_1072
.LBB6_1062:
	s_andn2_saveexec_b64 s[14:15], s[14:15]
	s_cbranch_execz .LBB6_1048
.LBB6_1063:
	v_cmp_ne_u16_e32 vcc, 0, v1
	s_andn2_b64 s[16:17], s[16:17], exec
	s_and_b64 s[22:23], vcc, exec
	s_or_b64 s[16:17], s[16:17], s[22:23]
	s_or_b64 exec, exec, s[14:15]
	v_mov_b32_e32 v0, 0
	s_and_saveexec_b64 s[14:15], s[16:17]
	s_cbranch_execnz .LBB6_1049
	s_branch .LBB6_1050
.LBB6_1064:
	s_mov_b64 s[12:13], -1
                                        ; implicit-def: $vgpr0
	s_branch .LBB6_1069
.LBB6_1065:
	s_mov_b64 s[12:13], -1
                                        ; implicit-def: $vgpr0
.LBB6_1066:
	s_and_b64 vcc, exec, s[12:13]
	s_cbranch_vccz .LBB6_1068
; %bb.1067:
	global_load_ubyte v0, v[2:3], off
	s_mov_b32 s12, 0x7f800000
	s_brev_b32 s13, 1
	s_mov_b32 s14, 0x2f800000
	s_waitcnt vmcnt(0)
	v_lshlrev_b32_e32 v0, 24, v0
	v_and_b32_e32 v1, 0x7f000000, v0
	v_ffbh_u32_e32 v5, v1
	v_min_u32_e32 v5, 32, v5
	v_sub_u32_e64 v5, v5, 4 clamp
	v_lshlrev_b32_e32 v9, v5, v1
	v_lshlrev_b32_e32 v5, 23, v5
	v_lshrrev_b32_e32 v9, 4, v9
	v_add_u32_e32 v6, 0x1000000, v1
	v_sub_u32_e32 v5, v9, v5
	v_ashrrev_i32_e32 v6, 8, v6
	v_add_u32_e32 v5, 0x3c000000, v5
	v_and_or_b32 v5, v6, s12, v5
	v_cmp_ne_u32_e32 vcc, 0, v1
	v_cndmask_b32_e32 v1, 0, v5, vcc
	v_and_or_b32 v0, v0, s13, v1
	v_trunc_f32_e32 v0, v0
	v_mul_f32_e64 v1, |v0|, s14
	v_floor_f32_e32 v1, v1
	s_mov_b32 s12, 0xcf800000
	v_fma_f32 v1, v1, s12, |v0|
	v_cvt_u32_f32_e32 v1, v1
	v_ashrrev_i32_e32 v0, 31, v0
	v_xor_b32_e32 v1, v1, v0
	v_sub_u32_e32 v0, v1, v0
.LBB6_1068:
	s_mov_b64 s[12:13], 0
.LBB6_1069:
	s_andn2_b64 vcc, exec, s[12:13]
	s_cbranch_vccnz .LBB6_1071
; %bb.1070:
	global_load_ubyte v0, v[2:3], off
	s_movk_i32 s12, 0x7f00
	s_brev_b32 s13, 16
	s_brev_b32 s14, 1
	s_mov_b32 s15, 0x2f800000
	s_waitcnt vmcnt(0)
	v_lshlrev_b16_e32 v1, 8, v0
	v_lshlrev_b32_e32 v0, 25, v0
	v_lshrrev_b32_e32 v5, 4, v0
	v_and_or_b32 v6, v1, s12, 0.5
	v_or_b32_e32 v5, 0x70000000, v5
	v_add_f32_e32 v6, -0.5, v6
	v_mul_f32_e32 v5, 0x7800000, v5
	v_cmp_gt_u32_e32 vcc, s13, v0
	v_bfe_i32 v1, v1, 0, 16
	v_cndmask_b32_e32 v0, v5, v6, vcc
	v_and_or_b32 v0, v1, s14, v0
	v_trunc_f32_e32 v0, v0
	v_mul_f32_e64 v1, |v0|, s15
	v_floor_f32_e32 v1, v1
	s_mov_b32 s12, 0xcf800000
	v_fma_f32 v1, v1, s12, |v0|
	v_cvt_u32_f32_e32 v1, v1
	v_ashrrev_i32_e32 v0, 31, v0
	v_xor_b32_e32 v1, v1, v0
	v_sub_u32_e32 v0, v1, v0
.LBB6_1071:
	s_mov_b64 s[16:17], -1
	s_mov_b64 s[12:13], 0
	s_cbranch_execnz .LBB6_1082
.LBB6_1072:
	s_cmp_gt_i32 s18, 14
	s_cbranch_scc0 .LBB6_1075
; %bb.1073:
	s_cmp_eq_u32 s18, 15
	s_cbranch_scc0 .LBB6_1078
; %bb.1074:
	global_load_ushort v0, v[2:3], off
	s_mov_b32 s0, 0x2f800000
	s_mov_b32 s1, 0xcf800000
	s_mov_b64 s[16:17], -1
	s_waitcnt vmcnt(0)
	v_lshlrev_b32_e32 v0, 16, v0
	v_trunc_f32_e32 v0, v0
	v_mul_f32_e64 v1, |v0|, s0
	v_floor_f32_e32 v1, v1
	v_fma_f32 v1, v1, s1, |v0|
	v_cvt_u32_f32_e32 v1, v1
	v_ashrrev_i32_e32 v0, 31, v0
	s_mov_b64 s[0:1], 0
	v_xor_b32_e32 v1, v1, v0
	v_sub_u32_e32 v0, v1, v0
	s_branch .LBB6_1079
.LBB6_1075:
	s_mov_b64 s[14:15], -1
                                        ; implicit-def: $vgpr0
	s_branch .LBB6_1080
.LBB6_1076:
	s_andn2_saveexec_b64 s[12:13], s[12:13]
	s_cbranch_execz .LBB6_1058
.LBB6_1077:
	v_cmp_ne_u16_e32 vcc, 0, v1
	s_andn2_b64 s[14:15], s[14:15], exec
	s_and_b64 s[16:17], vcc, exec
	s_or_b64 s[14:15], s[14:15], s[16:17]
	s_or_b64 exec, exec, s[12:13]
	v_mov_b32_e32 v0, 0
	s_and_saveexec_b64 s[12:13], s[14:15]
	s_cbranch_execnz .LBB6_1059
	s_branch .LBB6_1060
.LBB6_1078:
	s_mov_b64 s[0:1], -1
                                        ; implicit-def: $vgpr0
.LBB6_1079:
	s_mov_b64 s[14:15], 0
.LBB6_1080:
	s_and_b64 vcc, exec, s[14:15]
	s_cbranch_vccz .LBB6_1082
; %bb.1081:
	s_cmp_lg_u32 s18, 11
	s_mov_b64 s[12:13], -1
	s_cselect_b64 s[0:1], -1, 0
.LBB6_1082:
	s_and_b64 vcc, exec, s[0:1]
	s_mov_b64 s[14:15], s[6:7]
	s_cbranch_vccnz .LBB6_1143
; %bb.1083:
	s_andn2_b64 vcc, exec, s[12:13]
	s_cbranch_vccnz .LBB6_1085
.LBB6_1084:
	global_load_ubyte v0, v[2:3], off
	s_mov_b64 s[16:17], -1
	s_waitcnt vmcnt(0)
	v_cmp_ne_u16_e32 vcc, 0, v0
	v_cndmask_b32_e64 v0, 0, 1, vcc
.LBB6_1085:
	s_branch .LBB6_1020
.LBB6_1086:
	s_and_b32 s12, 0xffff, s20
	s_cmp_lt_i32 s12, 5
	s_cbranch_scc1 .LBB6_1091
; %bb.1087:
	s_cmp_lt_i32 s12, 8
	s_cbranch_scc1 .LBB6_1092
; %bb.1088:
	;; [unrolled: 3-line block ×3, first 2 shown]
	s_cmp_gt_i32 s12, 9
	s_cbranch_scc0 .LBB6_1094
; %bb.1090:
	global_load_dwordx2 v[0:1], v[2:3], off
	s_movk_i32 s0, 0xffe0
	s_waitcnt vmcnt(0)
	v_trunc_f64_e32 v[0:1], v[0:1]
	v_ldexp_f64 v[5:6], v[0:1], s0
	s_mov_b32 s0, 0
	s_mov_b32 s1, 0xc1f00000
	v_floor_f64_e32 v[5:6], v[5:6]
	v_fma_f64 v[0:1], v[5:6], s[0:1], v[0:1]
	s_mov_b64 s[0:1], 0
	v_cvt_u32_f64_e32 v0, v[0:1]
	s_branch .LBB6_1095
.LBB6_1091:
                                        ; implicit-def: $vgpr0
	s_branch .LBB6_1112
.LBB6_1092:
                                        ; implicit-def: $vgpr0
	s_branch .LBB6_1101
.LBB6_1093:
	s_mov_b64 s[0:1], -1
                                        ; implicit-def: $vgpr0
	s_branch .LBB6_1098
.LBB6_1094:
	s_mov_b64 s[0:1], -1
                                        ; implicit-def: $vgpr0
.LBB6_1095:
	s_andn2_b64 vcc, exec, s[0:1]
	s_cbranch_vccnz .LBB6_1097
; %bb.1096:
	global_load_dword v0, v[2:3], off
	s_mov_b32 s0, 0x2f800000
	s_waitcnt vmcnt(0)
	v_trunc_f32_e32 v0, v0
	v_mul_f32_e64 v1, |v0|, s0
	v_floor_f32_e32 v1, v1
	s_mov_b32 s0, 0xcf800000
	v_fma_f32 v1, v1, s0, |v0|
	v_cvt_u32_f32_e32 v1, v1
	v_ashrrev_i32_e32 v0, 31, v0
	v_xor_b32_e32 v1, v1, v0
	v_sub_u32_e32 v0, v1, v0
.LBB6_1097:
	s_mov_b64 s[0:1], 0
.LBB6_1098:
	s_andn2_b64 vcc, exec, s[0:1]
	s_cbranch_vccnz .LBB6_1100
; %bb.1099:
	global_load_dword v0, v[2:3], off
	s_waitcnt vmcnt(0)
	v_cvt_f32_f16_e32 v0, v0
	v_cvt_i32_f32_e32 v0, v0
.LBB6_1100:
	s_cbranch_execnz .LBB6_1111
.LBB6_1101:
	s_cmp_lt_i32 s12, 6
	s_cbranch_scc1 .LBB6_1104
; %bb.1102:
	s_cmp_gt_i32 s12, 6
	s_cbranch_scc0 .LBB6_1105
; %bb.1103:
	global_load_dwordx2 v[0:1], v[2:3], off
	s_movk_i32 s0, 0xffe0
	s_waitcnt vmcnt(0)
	v_trunc_f64_e32 v[0:1], v[0:1]
	v_ldexp_f64 v[5:6], v[0:1], s0
	s_mov_b32 s0, 0
	s_mov_b32 s1, 0xc1f00000
	v_floor_f64_e32 v[5:6], v[5:6]
	v_fma_f64 v[0:1], v[5:6], s[0:1], v[0:1]
	s_mov_b64 s[0:1], 0
	v_cvt_u32_f64_e32 v0, v[0:1]
	s_branch .LBB6_1106
.LBB6_1104:
	s_mov_b64 s[0:1], -1
                                        ; implicit-def: $vgpr0
	s_branch .LBB6_1109
.LBB6_1105:
	s_mov_b64 s[0:1], -1
                                        ; implicit-def: $vgpr0
.LBB6_1106:
	s_andn2_b64 vcc, exec, s[0:1]
	s_cbranch_vccnz .LBB6_1108
; %bb.1107:
	global_load_dword v0, v[2:3], off
	s_mov_b32 s0, 0x2f800000
	s_waitcnt vmcnt(0)
	v_trunc_f32_e32 v0, v0
	v_mul_f32_e64 v1, |v0|, s0
	v_floor_f32_e32 v1, v1
	s_mov_b32 s0, 0xcf800000
	v_fma_f32 v1, v1, s0, |v0|
	v_cvt_u32_f32_e32 v1, v1
	v_ashrrev_i32_e32 v0, 31, v0
	v_xor_b32_e32 v1, v1, v0
	v_sub_u32_e32 v0, v1, v0
.LBB6_1108:
	s_mov_b64 s[0:1], 0
.LBB6_1109:
	s_andn2_b64 vcc, exec, s[0:1]
	s_cbranch_vccnz .LBB6_1111
; %bb.1110:
	global_load_ushort v0, v[2:3], off
	s_waitcnt vmcnt(0)
	v_cvt_f32_f16_e32 v0, v0
	v_cvt_i32_f32_e32 v0, v0
.LBB6_1111:
	s_cbranch_execnz .LBB6_1130
.LBB6_1112:
	s_cmp_lt_i32 s12, 2
	s_cbranch_scc1 .LBB6_1116
; %bb.1113:
	s_cmp_lt_i32 s12, 3
	s_cbranch_scc1 .LBB6_1117
; %bb.1114:
	s_cmp_gt_i32 s12, 3
	s_cbranch_scc0 .LBB6_1118
; %bb.1115:
	global_load_dwordx2 v[0:1], v[2:3], off
	s_mov_b64 s[0:1], 0
	s_branch .LBB6_1119
.LBB6_1116:
                                        ; implicit-def: $vgpr0
	s_branch .LBB6_1125
.LBB6_1117:
	s_mov_b64 s[0:1], -1
                                        ; implicit-def: $vgpr0
	s_branch .LBB6_1122
.LBB6_1118:
	s_mov_b64 s[0:1], -1
                                        ; implicit-def: $vgpr0
.LBB6_1119:
	s_andn2_b64 vcc, exec, s[0:1]
	s_cbranch_vccnz .LBB6_1121
; %bb.1120:
	global_load_dword v0, v[2:3], off
.LBB6_1121:
	s_mov_b64 s[0:1], 0
.LBB6_1122:
	s_andn2_b64 vcc, exec, s[0:1]
	s_cbranch_vccnz .LBB6_1124
; %bb.1123:
	global_load_ushort v0, v[2:3], off
.LBB6_1124:
	s_cbranch_execnz .LBB6_1130
.LBB6_1125:
	s_cmp_gt_i32 s12, 0
	s_cbranch_scc0 .LBB6_1127
; %bb.1126:
	global_load_ubyte v0, v[2:3], off
	s_mov_b64 s[0:1], 0
	s_branch .LBB6_1128
.LBB6_1127:
	s_mov_b64 s[0:1], -1
                                        ; implicit-def: $vgpr0
.LBB6_1128:
	s_andn2_b64 vcc, exec, s[0:1]
	s_cbranch_vccnz .LBB6_1130
; %bb.1129:
	global_load_ubyte v0, v[2:3], off
.LBB6_1130:
.LBB6_1131:
	s_lshl_b32 s3, s3, 7
	v_add_u32_e32 v5, s3, v4
	s_waitcnt vmcnt(0)
	v_ashrrev_i32_e32 v1, 31, v5
	v_mov_b32_e32 v2, s11
	v_add_co_u32_e32 v3, vcc, s10, v5
	s_cmp_lt_i32 s20, 11
	v_addc_co_u32_e32 v4, vcc, v2, v1, vcc
	s_cbranch_scc1 .LBB6_1138
; %bb.1132:
	s_and_b32 s21, 0xffff, s20
	s_cmp_gt_i32 s21, 25
	s_mov_b64 s[12:13], 0
	s_cbranch_scc0 .LBB6_1140
; %bb.1133:
	s_cmp_gt_i32 s21, 28
	s_cbranch_scc0 .LBB6_1141
; %bb.1134:
	s_cmp_gt_i32 s21, 43
	;; [unrolled: 3-line block ×3, first 2 shown]
	s_cbranch_scc0 .LBB6_1144
; %bb.1136:
	s_cmp_eq_u32 s21, 46
	s_mov_b64 s[18:19], 0
	s_cbranch_scc0 .LBB6_1147
; %bb.1137:
	global_load_dword v1, v[3:4], off
	s_mov_b32 s0, 0x2f800000
	s_mov_b32 s1, 0xcf800000
	s_mov_b64 s[16:17], -1
	s_waitcnt vmcnt(0)
	v_lshlrev_b32_e32 v1, 16, v1
	v_trunc_f32_e32 v1, v1
	v_mul_f32_e64 v2, |v1|, s0
	v_floor_f32_e32 v2, v2
	v_fma_f32 v2, v2, s1, |v1|
	v_cvt_u32_f32_e32 v2, v2
	v_ashrrev_i32_e32 v1, 31, v1
	s_mov_b64 s[0:1], 0
	v_xor_b32_e32 v2, v2, v1
	v_sub_u32_e32 v1, v2, v1
	s_branch .LBB6_1148
.LBB6_1138:
	s_mov_b64 s[16:17], 0
                                        ; implicit-def: $vgpr1
	s_cbranch_execnz .LBB6_1209
.LBB6_1139:
	s_andn2_b64 vcc, exec, s[16:17]
	s_cbranch_vccnz .LBB6_1940
	s_branch .LBB6_1256
.LBB6_1140:
	s_mov_b64 s[16:17], 0
	s_mov_b64 s[0:1], 0
                                        ; implicit-def: $vgpr1
	s_cbranch_execnz .LBB6_1175
	s_branch .LBB6_1205
.LBB6_1141:
	s_mov_b64 s[18:19], -1
	s_mov_b64 s[16:17], 0
	s_mov_b64 s[0:1], 0
                                        ; implicit-def: $vgpr1
	s_branch .LBB6_1158
.LBB6_1142:
	s_mov_b64 s[18:19], -1
	s_mov_b64 s[16:17], 0
	s_mov_b64 s[0:1], 0
                                        ; implicit-def: $vgpr1
	s_branch .LBB6_1153
.LBB6_1143:
	s_or_b64 s[14:15], s[6:7], exec
	s_trap 2
	s_cbranch_execz .LBB6_1084
	s_branch .LBB6_1085
.LBB6_1144:
	s_mov_b64 s[18:19], -1
	s_mov_b64 s[16:17], 0
	s_mov_b64 s[0:1], 0
                                        ; implicit-def: $vgpr1
	s_branch .LBB6_1148
.LBB6_1145:
	s_andn2_saveexec_b64 s[24:25], s[24:25]
	s_cbranch_execz .LBB6_932
.LBB6_1146:
	v_add_f32_e32 v2, 0x42800000, v4
	v_and_b32_e32 v2, 0xff, v2
	v_cmp_ne_u32_e32 vcc, 0, v2
	s_andn2_b64 s[22:23], s[22:23], exec
	s_and_b64 s[28:29], vcc, exec
	s_or_b64 s[22:23], s[22:23], s[28:29]
	s_or_b64 exec, exec, s[24:25]
	v_mov_b32_e32 v5, 0
	s_and_saveexec_b64 s[24:25], s[22:23]
	s_cbranch_execnz .LBB6_933
	s_branch .LBB6_934
.LBB6_1147:
	s_mov_b64 s[0:1], -1
                                        ; implicit-def: $vgpr1
	s_mov_b64 s[16:17], 0
.LBB6_1148:
	s_and_b64 vcc, exec, s[18:19]
	s_cbranch_vccz .LBB6_1152
; %bb.1149:
	s_cmp_eq_u32 s21, 44
	s_cbranch_scc0 .LBB6_1151
; %bb.1150:
	global_load_ubyte v1, v[3:4], off
	s_mov_b32 s0, 0x2f800000
	s_mov_b32 s1, 0xcf800000
	s_mov_b64 s[16:17], -1
	s_waitcnt vmcnt(0)
	v_lshlrev_b32_e32 v2, 23, v1
	v_trunc_f32_e32 v2, v2
	v_mul_f32_e64 v6, |v2|, s0
	v_floor_f32_e32 v6, v6
	v_fma_f32 v6, v6, s1, |v2|
	v_cvt_u32_f32_e32 v6, v6
	v_ashrrev_i32_e32 v2, 31, v2
	v_cmp_ne_u32_e32 vcc, 0, v1
	s_mov_b64 s[0:1], 0
	v_xor_b32_e32 v6, v6, v2
	v_sub_u32_e32 v2, v6, v2
	v_cndmask_b32_e32 v1, 0, v2, vcc
	s_branch .LBB6_1152
.LBB6_1151:
	s_mov_b64 s[0:1], -1
                                        ; implicit-def: $vgpr1
.LBB6_1152:
	s_mov_b64 s[18:19], 0
.LBB6_1153:
	s_and_b64 vcc, exec, s[18:19]
	s_cbranch_vccz .LBB6_1157
; %bb.1154:
	s_cmp_eq_u32 s21, 29
	s_cbranch_scc0 .LBB6_1156
; %bb.1155:
	global_load_dwordx2 v[1:2], v[3:4], off
	s_mov_b64 s[0:1], 0
	s_mov_b64 s[16:17], -1
	s_branch .LBB6_1157
.LBB6_1156:
	s_mov_b64 s[0:1], -1
                                        ; implicit-def: $vgpr1
.LBB6_1157:
	s_mov_b64 s[18:19], 0
.LBB6_1158:
	s_and_b64 vcc, exec, s[18:19]
	s_cbranch_vccz .LBB6_1174
; %bb.1159:
	s_cmp_lt_i32 s21, 27
	s_cbranch_scc1 .LBB6_1162
; %bb.1160:
	s_cmp_gt_i32 s21, 27
	s_cbranch_scc0 .LBB6_1163
; %bb.1161:
	global_load_dword v1, v[3:4], off
	s_mov_b64 s[16:17], 0
	s_branch .LBB6_1164
.LBB6_1162:
	s_mov_b64 s[16:17], -1
                                        ; implicit-def: $vgpr1
	s_branch .LBB6_1167
.LBB6_1163:
	s_mov_b64 s[16:17], -1
                                        ; implicit-def: $vgpr1
.LBB6_1164:
	s_andn2_b64 vcc, exec, s[16:17]
	s_cbranch_vccnz .LBB6_1166
; %bb.1165:
	global_load_ushort v1, v[3:4], off
.LBB6_1166:
	s_mov_b64 s[16:17], 0
.LBB6_1167:
	s_andn2_b64 vcc, exec, s[16:17]
	s_cbranch_vccnz .LBB6_1173
; %bb.1168:
	global_load_ubyte v2, v[3:4], off
	s_movk_i32 s16, 0x7f
	s_mov_b64 s[18:19], 0
	s_waitcnt vmcnt(0)
	v_cmp_lt_i16_e32 vcc, s16, v2
	s_and_saveexec_b64 s[16:17], vcc
	s_xor_b64 s[16:17], exec, s[16:17]
	s_cbranch_execz .LBB6_1184
; %bb.1169:
	s_movk_i32 s18, 0x80
	v_cmp_ne_u16_e32 vcc, s18, v2
	s_and_b64 s[18:19], vcc, exec
	s_andn2_saveexec_b64 s[16:17], s[16:17]
	s_cbranch_execnz .LBB6_1185
.LBB6_1170:
	s_or_b64 exec, exec, s[16:17]
	v_mov_b32_e32 v1, 0
	s_and_saveexec_b64 s[16:17], s[18:19]
	s_cbranch_execz .LBB6_1172
.LBB6_1171:
	v_lshlrev_b32_e32 v1, 24, v2
	v_and_b32_e32 v2, 0xffff, v2
	v_and_b32_e32 v6, 7, v2
	v_ffbh_u32_e32 v10, v6
	v_min_u32_e32 v10, 32, v10
	v_subrev_u32_e32 v11, 28, v10
	v_bfe_u32 v9, v2, 3, 4
	v_lshlrev_b32_e32 v2, v11, v2
	v_sub_u32_e32 v10, 29, v10
	v_and_b32_e32 v2, 7, v2
	v_cmp_eq_u32_e32 vcc, 0, v9
	v_cndmask_b32_e32 v9, v9, v10, vcc
	v_cndmask_b32_e32 v2, v6, v2, vcc
	v_mov_b32_e32 v6, 0x3b800000
	v_lshlrev_b32_e32 v2, 20, v2
	v_and_b32_e32 v1, 0x80000000, v1
	v_lshl_add_u32 v6, v9, 23, v6
	v_or3_b32 v1, v1, v6, v2
	v_trunc_f32_e32 v1, v1
	s_mov_b32 s18, 0x2f800000
	v_mul_f32_e64 v2, |v1|, s18
	v_floor_f32_e32 v2, v2
	s_mov_b32 s18, 0xcf800000
	v_fma_f32 v2, v2, s18, |v1|
	v_cvt_u32_f32_e32 v2, v2
	v_ashrrev_i32_e32 v1, 31, v1
	v_xor_b32_e32 v2, v2, v1
	v_sub_u32_e32 v1, v2, v1
.LBB6_1172:
	s_or_b64 exec, exec, s[16:17]
.LBB6_1173:
	s_mov_b64 s[16:17], -1
.LBB6_1174:
	s_branch .LBB6_1205
.LBB6_1175:
	s_cmp_gt_i32 s21, 22
	s_cbranch_scc0 .LBB6_1183
; %bb.1176:
	s_cmp_lt_i32 s21, 24
	s_cbranch_scc1 .LBB6_1186
; %bb.1177:
	s_cmp_gt_i32 s21, 24
	s_cbranch_scc0 .LBB6_1187
; %bb.1178:
	global_load_ubyte v2, v[3:4], off
	s_movk_i32 s12, 0x7f
	s_mov_b64 s[16:17], 0
	s_waitcnt vmcnt(0)
	v_cmp_lt_i16_e32 vcc, s12, v2
	s_and_saveexec_b64 s[12:13], vcc
	s_xor_b64 s[12:13], exec, s[12:13]
	s_cbranch_execz .LBB6_1199
; %bb.1179:
	s_movk_i32 s16, 0x80
	v_cmp_ne_u16_e32 vcc, s16, v2
	s_and_b64 s[16:17], vcc, exec
	s_andn2_saveexec_b64 s[12:13], s[12:13]
	s_cbranch_execnz .LBB6_1200
.LBB6_1180:
	s_or_b64 exec, exec, s[12:13]
	v_mov_b32_e32 v1, 0
	s_and_saveexec_b64 s[12:13], s[16:17]
	s_cbranch_execz .LBB6_1182
.LBB6_1181:
	v_lshlrev_b32_e32 v1, 24, v2
	v_and_b32_e32 v2, 0xffff, v2
	v_and_b32_e32 v6, 3, v2
	v_ffbh_u32_e32 v10, v6
	v_min_u32_e32 v10, 32, v10
	v_subrev_u32_e32 v11, 29, v10
	v_bfe_u32 v9, v2, 2, 5
	v_lshlrev_b32_e32 v2, v11, v2
	v_sub_u32_e32 v10, 30, v10
	v_and_b32_e32 v2, 3, v2
	v_cmp_eq_u32_e32 vcc, 0, v9
	v_cndmask_b32_e32 v9, v9, v10, vcc
	v_cndmask_b32_e32 v2, v6, v2, vcc
	v_mov_b32_e32 v6, 0x37800000
	v_lshlrev_b32_e32 v2, 21, v2
	v_and_b32_e32 v1, 0x80000000, v1
	v_lshl_add_u32 v6, v9, 23, v6
	v_or3_b32 v1, v1, v6, v2
	v_trunc_f32_e32 v1, v1
	s_mov_b32 s16, 0x2f800000
	v_mul_f32_e64 v2, |v1|, s16
	v_floor_f32_e32 v2, v2
	s_mov_b32 s16, 0xcf800000
	v_fma_f32 v2, v2, s16, |v1|
	v_cvt_u32_f32_e32 v2, v2
	v_ashrrev_i32_e32 v1, 31, v1
	v_xor_b32_e32 v2, v2, v1
	v_sub_u32_e32 v1, v2, v1
.LBB6_1182:
	s_or_b64 exec, exec, s[12:13]
	s_mov_b64 s[12:13], 0
	s_branch .LBB6_1188
.LBB6_1183:
	s_mov_b64 s[12:13], -1
                                        ; implicit-def: $vgpr1
	s_branch .LBB6_1194
.LBB6_1184:
	s_andn2_saveexec_b64 s[16:17], s[16:17]
	s_cbranch_execz .LBB6_1170
.LBB6_1185:
	v_cmp_ne_u16_e32 vcc, 0, v2
	s_andn2_b64 s[18:19], s[18:19], exec
	s_and_b64 s[22:23], vcc, exec
	s_or_b64 s[18:19], s[18:19], s[22:23]
	s_or_b64 exec, exec, s[16:17]
	v_mov_b32_e32 v1, 0
	s_and_saveexec_b64 s[16:17], s[18:19]
	s_cbranch_execnz .LBB6_1171
	s_branch .LBB6_1172
.LBB6_1186:
	s_mov_b64 s[12:13], -1
                                        ; implicit-def: $vgpr1
	s_branch .LBB6_1191
.LBB6_1187:
	s_mov_b64 s[12:13], -1
                                        ; implicit-def: $vgpr1
.LBB6_1188:
	s_and_b64 vcc, exec, s[12:13]
	s_cbranch_vccz .LBB6_1190
; %bb.1189:
	global_load_ubyte v1, v[3:4], off
	s_mov_b32 s12, 0x7f800000
	s_brev_b32 s13, 1
	s_mov_b32 s16, 0x2f800000
	s_waitcnt vmcnt(0)
	v_lshlrev_b32_e32 v1, 24, v1
	v_and_b32_e32 v2, 0x7f000000, v1
	v_ffbh_u32_e32 v6, v2
	v_min_u32_e32 v6, 32, v6
	v_sub_u32_e64 v6, v6, 4 clamp
	v_lshlrev_b32_e32 v10, v6, v2
	v_lshlrev_b32_e32 v6, 23, v6
	v_lshrrev_b32_e32 v10, 4, v10
	v_add_u32_e32 v9, 0x1000000, v2
	v_sub_u32_e32 v6, v10, v6
	v_ashrrev_i32_e32 v9, 8, v9
	v_add_u32_e32 v6, 0x3c000000, v6
	v_and_or_b32 v6, v9, s12, v6
	v_cmp_ne_u32_e32 vcc, 0, v2
	v_cndmask_b32_e32 v2, 0, v6, vcc
	v_and_or_b32 v1, v1, s13, v2
	v_trunc_f32_e32 v1, v1
	v_mul_f32_e64 v2, |v1|, s16
	v_floor_f32_e32 v2, v2
	s_mov_b32 s12, 0xcf800000
	v_fma_f32 v2, v2, s12, |v1|
	v_cvt_u32_f32_e32 v2, v2
	v_ashrrev_i32_e32 v1, 31, v1
	v_xor_b32_e32 v2, v2, v1
	v_sub_u32_e32 v1, v2, v1
.LBB6_1190:
	s_mov_b64 s[12:13], 0
.LBB6_1191:
	s_andn2_b64 vcc, exec, s[12:13]
	s_cbranch_vccnz .LBB6_1193
; %bb.1192:
	global_load_ubyte v1, v[3:4], off
	s_movk_i32 s12, 0x7f00
	s_brev_b32 s13, 16
	s_brev_b32 s16, 1
	s_mov_b32 s17, 0x2f800000
	s_waitcnt vmcnt(0)
	v_lshlrev_b16_e32 v2, 8, v1
	v_lshlrev_b32_e32 v1, 25, v1
	v_lshrrev_b32_e32 v6, 4, v1
	v_and_or_b32 v9, v2, s12, 0.5
	v_or_b32_e32 v6, 0x70000000, v6
	v_add_f32_e32 v9, -0.5, v9
	v_mul_f32_e32 v6, 0x7800000, v6
	v_cmp_gt_u32_e32 vcc, s13, v1
	v_bfe_i32 v2, v2, 0, 16
	v_cndmask_b32_e32 v1, v6, v9, vcc
	v_and_or_b32 v1, v2, s16, v1
	v_trunc_f32_e32 v1, v1
	v_mul_f32_e64 v2, |v1|, s17
	v_floor_f32_e32 v2, v2
	s_mov_b32 s12, 0xcf800000
	v_fma_f32 v2, v2, s12, |v1|
	v_cvt_u32_f32_e32 v2, v2
	v_ashrrev_i32_e32 v1, 31, v1
	v_xor_b32_e32 v2, v2, v1
	v_sub_u32_e32 v1, v2, v1
.LBB6_1193:
	s_mov_b64 s[12:13], 0
	s_mov_b64 s[16:17], -1
.LBB6_1194:
	s_andn2_b64 vcc, exec, s[12:13]
	s_mov_b64 s[12:13], 0
	s_cbranch_vccnz .LBB6_1205
; %bb.1195:
	s_cmp_gt_i32 s21, 14
	s_cbranch_scc0 .LBB6_1198
; %bb.1196:
	s_cmp_eq_u32 s21, 15
	s_cbranch_scc0 .LBB6_1201
; %bb.1197:
	global_load_ushort v1, v[3:4], off
	s_mov_b32 s0, 0x2f800000
	s_mov_b32 s1, 0xcf800000
	s_mov_b64 s[16:17], -1
	s_waitcnt vmcnt(0)
	v_lshlrev_b32_e32 v1, 16, v1
	v_trunc_f32_e32 v1, v1
	v_mul_f32_e64 v2, |v1|, s0
	v_floor_f32_e32 v2, v2
	v_fma_f32 v2, v2, s1, |v1|
	v_cvt_u32_f32_e32 v2, v2
	v_ashrrev_i32_e32 v1, 31, v1
	s_mov_b64 s[0:1], 0
	v_xor_b32_e32 v2, v2, v1
	v_sub_u32_e32 v1, v2, v1
	s_branch .LBB6_1202
.LBB6_1198:
	s_mov_b64 s[18:19], -1
                                        ; implicit-def: $vgpr1
	s_branch .LBB6_1203
.LBB6_1199:
	s_andn2_saveexec_b64 s[12:13], s[12:13]
	s_cbranch_execz .LBB6_1180
.LBB6_1200:
	v_cmp_ne_u16_e32 vcc, 0, v2
	s_andn2_b64 s[16:17], s[16:17], exec
	s_and_b64 s[18:19], vcc, exec
	s_or_b64 s[16:17], s[16:17], s[18:19]
	s_or_b64 exec, exec, s[12:13]
	v_mov_b32_e32 v1, 0
	s_and_saveexec_b64 s[12:13], s[16:17]
	s_cbranch_execnz .LBB6_1181
	s_branch .LBB6_1182
.LBB6_1201:
	s_mov_b64 s[0:1], -1
                                        ; implicit-def: $vgpr1
.LBB6_1202:
	s_mov_b64 s[18:19], 0
.LBB6_1203:
	s_and_b64 vcc, exec, s[18:19]
	s_cbranch_vccz .LBB6_1205
; %bb.1204:
	s_cmp_lg_u32 s21, 11
	s_mov_b64 s[12:13], -1
	s_cselect_b64 s[0:1], -1, 0
.LBB6_1205:
	s_and_b64 vcc, exec, s[0:1]
	s_cbranch_vccnz .LBB6_1268
; %bb.1206:
	s_andn2_b64 vcc, exec, s[12:13]
	s_cbranch_vccnz .LBB6_1208
.LBB6_1207:
	global_load_ubyte v1, v[3:4], off
	s_mov_b64 s[16:17], -1
	s_waitcnt vmcnt(0)
	v_cmp_ne_u16_e32 vcc, 0, v1
	v_cndmask_b32_e64 v1, 0, 1, vcc
.LBB6_1208:
	s_branch .LBB6_1139
.LBB6_1209:
	s_and_b32 s12, 0xffff, s20
	s_cmp_lt_i32 s12, 5
	s_cbranch_scc1 .LBB6_1214
; %bb.1210:
	s_cmp_lt_i32 s12, 8
	s_cbranch_scc1 .LBB6_1215
; %bb.1211:
	;; [unrolled: 3-line block ×3, first 2 shown]
	s_cmp_gt_i32 s12, 9
	s_cbranch_scc0 .LBB6_1217
; %bb.1213:
	global_load_dwordx2 v[1:2], v[3:4], off
	s_movk_i32 s0, 0xffe0
	s_waitcnt vmcnt(0)
	v_trunc_f64_e32 v[1:2], v[1:2]
	v_ldexp_f64 v[9:10], v[1:2], s0
	s_mov_b32 s0, 0
	s_mov_b32 s1, 0xc1f00000
	v_floor_f64_e32 v[9:10], v[9:10]
	v_fma_f64 v[1:2], v[9:10], s[0:1], v[1:2]
	s_mov_b64 s[0:1], 0
	v_cvt_u32_f64_e32 v1, v[1:2]
	s_branch .LBB6_1218
.LBB6_1214:
                                        ; implicit-def: $vgpr1
	s_branch .LBB6_1236
.LBB6_1215:
	s_mov_b64 s[0:1], -1
                                        ; implicit-def: $vgpr1
	s_branch .LBB6_1224
.LBB6_1216:
	s_mov_b64 s[0:1], -1
                                        ; implicit-def: $vgpr1
	s_branch .LBB6_1221
.LBB6_1217:
	s_mov_b64 s[0:1], -1
                                        ; implicit-def: $vgpr1
.LBB6_1218:
	s_andn2_b64 vcc, exec, s[0:1]
	s_cbranch_vccnz .LBB6_1220
; %bb.1219:
	global_load_dword v1, v[3:4], off
	s_mov_b32 s0, 0x2f800000
	s_waitcnt vmcnt(0)
	v_trunc_f32_e32 v1, v1
	v_mul_f32_e64 v2, |v1|, s0
	v_floor_f32_e32 v2, v2
	s_mov_b32 s0, 0xcf800000
	v_fma_f32 v2, v2, s0, |v1|
	v_cvt_u32_f32_e32 v2, v2
	v_ashrrev_i32_e32 v1, 31, v1
	v_xor_b32_e32 v2, v2, v1
	v_sub_u32_e32 v1, v2, v1
.LBB6_1220:
	s_mov_b64 s[0:1], 0
.LBB6_1221:
	s_andn2_b64 vcc, exec, s[0:1]
	s_cbranch_vccnz .LBB6_1223
; %bb.1222:
	global_load_dword v1, v[3:4], off
	s_waitcnt vmcnt(0)
	v_cvt_f32_f16_e32 v1, v1
	v_cvt_i32_f32_e32 v1, v1
.LBB6_1223:
	s_mov_b64 s[0:1], 0
.LBB6_1224:
	s_andn2_b64 vcc, exec, s[0:1]
	s_cbranch_vccnz .LBB6_1235
; %bb.1225:
	s_cmp_lt_i32 s12, 6
	s_cbranch_scc1 .LBB6_1228
; %bb.1226:
	s_cmp_gt_i32 s12, 6
	s_cbranch_scc0 .LBB6_1229
; %bb.1227:
	global_load_dwordx2 v[1:2], v[3:4], off
	s_movk_i32 s0, 0xffe0
	s_waitcnt vmcnt(0)
	v_trunc_f64_e32 v[1:2], v[1:2]
	v_ldexp_f64 v[9:10], v[1:2], s0
	s_mov_b32 s0, 0
	s_mov_b32 s1, 0xc1f00000
	v_floor_f64_e32 v[9:10], v[9:10]
	v_fma_f64 v[1:2], v[9:10], s[0:1], v[1:2]
	s_mov_b64 s[0:1], 0
	v_cvt_u32_f64_e32 v1, v[1:2]
	s_branch .LBB6_1230
.LBB6_1228:
	s_mov_b64 s[0:1], -1
                                        ; implicit-def: $vgpr1
	s_branch .LBB6_1233
.LBB6_1229:
	s_mov_b64 s[0:1], -1
                                        ; implicit-def: $vgpr1
.LBB6_1230:
	s_andn2_b64 vcc, exec, s[0:1]
	s_cbranch_vccnz .LBB6_1232
; %bb.1231:
	global_load_dword v1, v[3:4], off
	s_mov_b32 s0, 0x2f800000
	s_waitcnt vmcnt(0)
	v_trunc_f32_e32 v1, v1
	v_mul_f32_e64 v2, |v1|, s0
	v_floor_f32_e32 v2, v2
	s_mov_b32 s0, 0xcf800000
	v_fma_f32 v2, v2, s0, |v1|
	v_cvt_u32_f32_e32 v2, v2
	v_ashrrev_i32_e32 v1, 31, v1
	v_xor_b32_e32 v2, v2, v1
	v_sub_u32_e32 v1, v2, v1
.LBB6_1232:
	s_mov_b64 s[0:1], 0
.LBB6_1233:
	s_andn2_b64 vcc, exec, s[0:1]
	s_cbranch_vccnz .LBB6_1235
; %bb.1234:
	global_load_ushort v1, v[3:4], off
	s_waitcnt vmcnt(0)
	v_cvt_f32_f16_e32 v1, v1
	v_cvt_i32_f32_e32 v1, v1
.LBB6_1235:
	s_cbranch_execnz .LBB6_1255
.LBB6_1236:
	s_cmp_lt_i32 s12, 2
	s_cbranch_scc1 .LBB6_1240
; %bb.1237:
	s_cmp_lt_i32 s12, 3
	s_cbranch_scc1 .LBB6_1241
; %bb.1238:
	s_cmp_gt_i32 s12, 3
	s_cbranch_scc0 .LBB6_1242
; %bb.1239:
	global_load_dwordx2 v[1:2], v[3:4], off
	s_mov_b64 s[0:1], 0
	s_branch .LBB6_1243
.LBB6_1240:
	s_mov_b64 s[0:1], -1
                                        ; implicit-def: $vgpr1
	s_branch .LBB6_1249
.LBB6_1241:
	s_mov_b64 s[0:1], -1
                                        ; implicit-def: $vgpr1
	s_branch .LBB6_1246
.LBB6_1242:
	s_mov_b64 s[0:1], -1
                                        ; implicit-def: $vgpr1
.LBB6_1243:
	s_andn2_b64 vcc, exec, s[0:1]
	s_cbranch_vccnz .LBB6_1245
; %bb.1244:
	global_load_dword v1, v[3:4], off
.LBB6_1245:
	s_mov_b64 s[0:1], 0
.LBB6_1246:
	s_andn2_b64 vcc, exec, s[0:1]
	s_cbranch_vccnz .LBB6_1248
; %bb.1247:
	global_load_ushort v1, v[3:4], off
.LBB6_1248:
	s_mov_b64 s[0:1], 0
.LBB6_1249:
	s_andn2_b64 vcc, exec, s[0:1]
	s_cbranch_vccnz .LBB6_1255
; %bb.1250:
	s_cmp_gt_i32 s12, 0
	s_cbranch_scc0 .LBB6_1252
; %bb.1251:
	global_load_ubyte v1, v[3:4], off
	s_mov_b64 s[0:1], 0
	s_branch .LBB6_1253
.LBB6_1252:
	s_mov_b64 s[0:1], -1
                                        ; implicit-def: $vgpr1
.LBB6_1253:
	s_andn2_b64 vcc, exec, s[0:1]
	s_cbranch_vccnz .LBB6_1255
; %bb.1254:
	global_load_ubyte v1, v[3:4], off
.LBB6_1255:
.LBB6_1256:
	v_add_u32_e32 v6, s3, v5
	s_waitcnt vmcnt(0)
	v_ashrrev_i32_e32 v2, 31, v6
	v_mov_b32_e32 v3, s11
	v_add_co_u32_e32 v4, vcc, s10, v6
	s_cmp_lt_i32 s20, 11
	v_addc_co_u32_e32 v5, vcc, v3, v2, vcc
	s_cbranch_scc1 .LBB6_1263
; %bb.1257:
	s_and_b32 s21, 0xffff, s20
	s_cmp_gt_i32 s21, 25
	s_mov_b64 s[12:13], 0
	s_cbranch_scc0 .LBB6_1265
; %bb.1258:
	s_cmp_gt_i32 s21, 28
	s_cbranch_scc0 .LBB6_1266
; %bb.1259:
	s_cmp_gt_i32 s21, 43
	;; [unrolled: 3-line block ×3, first 2 shown]
	s_cbranch_scc0 .LBB6_1269
; %bb.1261:
	s_cmp_eq_u32 s21, 46
	s_mov_b64 s[18:19], 0
	s_cbranch_scc0 .LBB6_1270
; %bb.1262:
	global_load_dword v2, v[4:5], off
	s_mov_b32 s0, 0x2f800000
	s_mov_b32 s1, 0xcf800000
	s_mov_b64 s[16:17], -1
	s_waitcnt vmcnt(0)
	v_lshlrev_b32_e32 v2, 16, v2
	v_trunc_f32_e32 v2, v2
	v_mul_f32_e64 v3, |v2|, s0
	v_floor_f32_e32 v3, v3
	v_fma_f32 v3, v3, s1, |v2|
	v_cvt_u32_f32_e32 v3, v3
	v_ashrrev_i32_e32 v2, 31, v2
	s_mov_b64 s[0:1], 0
	v_xor_b32_e32 v3, v3, v2
	v_sub_u32_e32 v2, v3, v2
	s_branch .LBB6_1271
.LBB6_1263:
	s_mov_b64 s[16:17], 0
                                        ; implicit-def: $vgpr2
	s_cbranch_execnz .LBB6_1333
.LBB6_1264:
	s_andn2_b64 vcc, exec, s[16:17]
	s_cbranch_vccnz .LBB6_1940
	s_branch .LBB6_1381
.LBB6_1265:
	s_mov_b64 s[18:19], -1
	s_mov_b64 s[16:17], 0
	s_mov_b64 s[0:1], 0
                                        ; implicit-def: $vgpr2
	s_branch .LBB6_1298
.LBB6_1266:
	s_mov_b64 s[18:19], -1
	s_mov_b64 s[16:17], 0
	s_mov_b64 s[0:1], 0
                                        ; implicit-def: $vgpr2
	s_branch .LBB6_1281
.LBB6_1267:
	s_mov_b64 s[18:19], -1
	s_mov_b64 s[16:17], 0
	s_mov_b64 s[0:1], 0
                                        ; implicit-def: $vgpr2
	s_branch .LBB6_1276
.LBB6_1268:
	s_trap 2
	s_or_b64 s[14:15], s[14:15], exec
	s_cbranch_execz .LBB6_1207
	s_branch .LBB6_1208
.LBB6_1269:
	s_mov_b64 s[18:19], -1
	s_mov_b64 s[16:17], 0
	s_mov_b64 s[0:1], 0
                                        ; implicit-def: $vgpr2
	s_branch .LBB6_1271
.LBB6_1270:
	s_mov_b64 s[0:1], -1
                                        ; implicit-def: $vgpr2
	s_mov_b64 s[16:17], 0
.LBB6_1271:
	s_and_b64 vcc, exec, s[18:19]
	s_cbranch_vccz .LBB6_1275
; %bb.1272:
	s_cmp_eq_u32 s21, 44
	s_cbranch_scc0 .LBB6_1274
; %bb.1273:
	global_load_ubyte v2, v[4:5], off
	s_mov_b32 s0, 0x2f800000
	s_mov_b32 s1, 0xcf800000
	s_mov_b64 s[16:17], -1
	s_waitcnt vmcnt(0)
	v_lshlrev_b32_e32 v3, 23, v2
	v_trunc_f32_e32 v3, v3
	v_mul_f32_e64 v9, |v3|, s0
	v_floor_f32_e32 v9, v9
	v_fma_f32 v9, v9, s1, |v3|
	v_cvt_u32_f32_e32 v9, v9
	v_ashrrev_i32_e32 v3, 31, v3
	v_cmp_ne_u32_e32 vcc, 0, v2
	s_mov_b64 s[0:1], 0
	v_xor_b32_e32 v9, v9, v3
	v_sub_u32_e32 v3, v9, v3
	v_cndmask_b32_e32 v2, 0, v3, vcc
	s_branch .LBB6_1275
.LBB6_1274:
	s_mov_b64 s[0:1], -1
                                        ; implicit-def: $vgpr2
.LBB6_1275:
	s_mov_b64 s[18:19], 0
.LBB6_1276:
	s_and_b64 vcc, exec, s[18:19]
	s_cbranch_vccz .LBB6_1280
; %bb.1277:
	s_cmp_eq_u32 s21, 29
	s_cbranch_scc0 .LBB6_1279
; %bb.1278:
	global_load_dwordx2 v[2:3], v[4:5], off
	s_mov_b64 s[0:1], 0
	s_mov_b64 s[16:17], -1
	s_branch .LBB6_1280
.LBB6_1279:
	s_mov_b64 s[0:1], -1
                                        ; implicit-def: $vgpr2
.LBB6_1280:
	s_mov_b64 s[18:19], 0
.LBB6_1281:
	s_and_b64 vcc, exec, s[18:19]
	s_cbranch_vccz .LBB6_1297
; %bb.1282:
	s_cmp_lt_i32 s21, 27
	s_cbranch_scc1 .LBB6_1285
; %bb.1283:
	s_cmp_gt_i32 s21, 27
	s_cbranch_scc0 .LBB6_1286
; %bb.1284:
	global_load_dword v2, v[4:5], off
	s_mov_b64 s[16:17], 0
	s_branch .LBB6_1287
.LBB6_1285:
	s_mov_b64 s[16:17], -1
                                        ; implicit-def: $vgpr2
	s_branch .LBB6_1290
.LBB6_1286:
	s_mov_b64 s[16:17], -1
                                        ; implicit-def: $vgpr2
.LBB6_1287:
	s_andn2_b64 vcc, exec, s[16:17]
	s_cbranch_vccnz .LBB6_1289
; %bb.1288:
	global_load_ushort v2, v[4:5], off
.LBB6_1289:
	s_mov_b64 s[16:17], 0
.LBB6_1290:
	s_andn2_b64 vcc, exec, s[16:17]
	s_cbranch_vccnz .LBB6_1296
; %bb.1291:
	global_load_ubyte v3, v[4:5], off
	s_movk_i32 s16, 0x7f
	s_mov_b64 s[18:19], 0
	s_waitcnt vmcnt(0)
	v_cmp_lt_i16_e32 vcc, s16, v3
	s_and_saveexec_b64 s[16:17], vcc
	s_xor_b64 s[16:17], exec, s[16:17]
	s_cbranch_execz .LBB6_1308
; %bb.1292:
	s_movk_i32 s18, 0x80
	v_cmp_ne_u16_e32 vcc, s18, v3
	s_and_b64 s[18:19], vcc, exec
	s_andn2_saveexec_b64 s[16:17], s[16:17]
	s_cbranch_execnz .LBB6_1309
.LBB6_1293:
	s_or_b64 exec, exec, s[16:17]
	v_mov_b32_e32 v2, 0
	s_and_saveexec_b64 s[16:17], s[18:19]
	s_cbranch_execz .LBB6_1295
.LBB6_1294:
	v_lshlrev_b32_e32 v2, 24, v3
	v_and_b32_e32 v3, 0xffff, v3
	v_and_b32_e32 v9, 7, v3
	v_ffbh_u32_e32 v11, v9
	v_min_u32_e32 v11, 32, v11
	v_subrev_u32_e32 v12, 28, v11
	v_bfe_u32 v10, v3, 3, 4
	v_lshlrev_b32_e32 v3, v12, v3
	v_sub_u32_e32 v11, 29, v11
	v_and_b32_e32 v3, 7, v3
	v_cmp_eq_u32_e32 vcc, 0, v10
	v_cndmask_b32_e32 v10, v10, v11, vcc
	v_cndmask_b32_e32 v3, v9, v3, vcc
	v_mov_b32_e32 v9, 0x3b800000
	v_lshlrev_b32_e32 v3, 20, v3
	v_and_b32_e32 v2, 0x80000000, v2
	v_lshl_add_u32 v9, v10, 23, v9
	v_or3_b32 v2, v2, v9, v3
	v_trunc_f32_e32 v2, v2
	s_mov_b32 s18, 0x2f800000
	v_mul_f32_e64 v3, |v2|, s18
	v_floor_f32_e32 v3, v3
	s_mov_b32 s18, 0xcf800000
	v_fma_f32 v3, v3, s18, |v2|
	v_cvt_u32_f32_e32 v3, v3
	v_ashrrev_i32_e32 v2, 31, v2
	v_xor_b32_e32 v3, v3, v2
	v_sub_u32_e32 v2, v3, v2
.LBB6_1295:
	s_or_b64 exec, exec, s[16:17]
.LBB6_1296:
	s_mov_b64 s[16:17], -1
.LBB6_1297:
	s_mov_b64 s[18:19], 0
.LBB6_1298:
	s_and_b64 vcc, exec, s[18:19]
	s_cbranch_vccz .LBB6_1329
; %bb.1299:
	s_cmp_gt_i32 s21, 22
	s_cbranch_scc0 .LBB6_1307
; %bb.1300:
	s_cmp_lt_i32 s21, 24
	s_cbranch_scc1 .LBB6_1310
; %bb.1301:
	s_cmp_gt_i32 s21, 24
	s_cbranch_scc0 .LBB6_1311
; %bb.1302:
	global_load_ubyte v3, v[4:5], off
	s_movk_i32 s12, 0x7f
	s_mov_b64 s[16:17], 0
	s_waitcnt vmcnt(0)
	v_cmp_lt_i16_e32 vcc, s12, v3
	s_and_saveexec_b64 s[12:13], vcc
	s_xor_b64 s[12:13], exec, s[12:13]
	s_cbranch_execz .LBB6_1323
; %bb.1303:
	s_movk_i32 s16, 0x80
	v_cmp_ne_u16_e32 vcc, s16, v3
	s_and_b64 s[16:17], vcc, exec
	s_andn2_saveexec_b64 s[12:13], s[12:13]
	s_cbranch_execnz .LBB6_1324
.LBB6_1304:
	s_or_b64 exec, exec, s[12:13]
	v_mov_b32_e32 v2, 0
	s_and_saveexec_b64 s[12:13], s[16:17]
	s_cbranch_execz .LBB6_1306
.LBB6_1305:
	v_lshlrev_b32_e32 v2, 24, v3
	v_and_b32_e32 v3, 0xffff, v3
	v_and_b32_e32 v9, 3, v3
	v_ffbh_u32_e32 v11, v9
	v_min_u32_e32 v11, 32, v11
	v_subrev_u32_e32 v12, 29, v11
	v_bfe_u32 v10, v3, 2, 5
	v_lshlrev_b32_e32 v3, v12, v3
	v_sub_u32_e32 v11, 30, v11
	v_and_b32_e32 v3, 3, v3
	v_cmp_eq_u32_e32 vcc, 0, v10
	v_cndmask_b32_e32 v10, v10, v11, vcc
	v_cndmask_b32_e32 v3, v9, v3, vcc
	v_mov_b32_e32 v9, 0x37800000
	v_lshlrev_b32_e32 v3, 21, v3
	v_and_b32_e32 v2, 0x80000000, v2
	v_lshl_add_u32 v9, v10, 23, v9
	v_or3_b32 v2, v2, v9, v3
	v_trunc_f32_e32 v2, v2
	s_mov_b32 s16, 0x2f800000
	v_mul_f32_e64 v3, |v2|, s16
	v_floor_f32_e32 v3, v3
	s_mov_b32 s16, 0xcf800000
	v_fma_f32 v3, v3, s16, |v2|
	v_cvt_u32_f32_e32 v3, v3
	v_ashrrev_i32_e32 v2, 31, v2
	v_xor_b32_e32 v3, v3, v2
	v_sub_u32_e32 v2, v3, v2
.LBB6_1306:
	s_or_b64 exec, exec, s[12:13]
	s_mov_b64 s[12:13], 0
	s_branch .LBB6_1312
.LBB6_1307:
	s_mov_b64 s[12:13], -1
                                        ; implicit-def: $vgpr2
	s_branch .LBB6_1318
.LBB6_1308:
	s_andn2_saveexec_b64 s[16:17], s[16:17]
	s_cbranch_execz .LBB6_1293
.LBB6_1309:
	v_cmp_ne_u16_e32 vcc, 0, v3
	s_andn2_b64 s[18:19], s[18:19], exec
	s_and_b64 s[22:23], vcc, exec
	s_or_b64 s[18:19], s[18:19], s[22:23]
	s_or_b64 exec, exec, s[16:17]
	v_mov_b32_e32 v2, 0
	s_and_saveexec_b64 s[16:17], s[18:19]
	s_cbranch_execnz .LBB6_1294
	s_branch .LBB6_1295
.LBB6_1310:
	s_mov_b64 s[12:13], -1
                                        ; implicit-def: $vgpr2
	s_branch .LBB6_1315
.LBB6_1311:
	s_mov_b64 s[12:13], -1
                                        ; implicit-def: $vgpr2
.LBB6_1312:
	s_and_b64 vcc, exec, s[12:13]
	s_cbranch_vccz .LBB6_1314
; %bb.1313:
	global_load_ubyte v2, v[4:5], off
	s_mov_b32 s12, 0x7f800000
	s_brev_b32 s13, 1
	s_mov_b32 s16, 0x2f800000
	s_waitcnt vmcnt(0)
	v_lshlrev_b32_e32 v2, 24, v2
	v_and_b32_e32 v3, 0x7f000000, v2
	v_ffbh_u32_e32 v9, v3
	v_min_u32_e32 v9, 32, v9
	v_sub_u32_e64 v9, v9, 4 clamp
	v_lshlrev_b32_e32 v11, v9, v3
	v_lshlrev_b32_e32 v9, 23, v9
	v_lshrrev_b32_e32 v11, 4, v11
	v_add_u32_e32 v10, 0x1000000, v3
	v_sub_u32_e32 v9, v11, v9
	v_ashrrev_i32_e32 v10, 8, v10
	v_add_u32_e32 v9, 0x3c000000, v9
	v_and_or_b32 v9, v10, s12, v9
	v_cmp_ne_u32_e32 vcc, 0, v3
	v_cndmask_b32_e32 v3, 0, v9, vcc
	v_and_or_b32 v2, v2, s13, v3
	v_trunc_f32_e32 v2, v2
	v_mul_f32_e64 v3, |v2|, s16
	v_floor_f32_e32 v3, v3
	s_mov_b32 s12, 0xcf800000
	v_fma_f32 v3, v3, s12, |v2|
	v_cvt_u32_f32_e32 v3, v3
	v_ashrrev_i32_e32 v2, 31, v2
	v_xor_b32_e32 v3, v3, v2
	v_sub_u32_e32 v2, v3, v2
.LBB6_1314:
	s_mov_b64 s[12:13], 0
.LBB6_1315:
	s_andn2_b64 vcc, exec, s[12:13]
	s_cbranch_vccnz .LBB6_1317
; %bb.1316:
	global_load_ubyte v2, v[4:5], off
	s_movk_i32 s12, 0x7f00
	s_brev_b32 s13, 16
	s_brev_b32 s16, 1
	s_mov_b32 s17, 0x2f800000
	s_waitcnt vmcnt(0)
	v_lshlrev_b16_e32 v3, 8, v2
	v_lshlrev_b32_e32 v2, 25, v2
	v_lshrrev_b32_e32 v9, 4, v2
	v_and_or_b32 v10, v3, s12, 0.5
	v_or_b32_e32 v9, 0x70000000, v9
	v_add_f32_e32 v10, -0.5, v10
	v_mul_f32_e32 v9, 0x7800000, v9
	v_cmp_gt_u32_e32 vcc, s13, v2
	v_bfe_i32 v3, v3, 0, 16
	v_cndmask_b32_e32 v2, v9, v10, vcc
	v_and_or_b32 v2, v3, s16, v2
	v_trunc_f32_e32 v2, v2
	v_mul_f32_e64 v3, |v2|, s17
	v_floor_f32_e32 v3, v3
	s_mov_b32 s12, 0xcf800000
	v_fma_f32 v3, v3, s12, |v2|
	v_cvt_u32_f32_e32 v3, v3
	v_ashrrev_i32_e32 v2, 31, v2
	v_xor_b32_e32 v3, v3, v2
	v_sub_u32_e32 v2, v3, v2
.LBB6_1317:
	s_mov_b64 s[12:13], 0
	s_mov_b64 s[16:17], -1
.LBB6_1318:
	s_andn2_b64 vcc, exec, s[12:13]
	s_mov_b64 s[12:13], 0
	s_cbranch_vccnz .LBB6_1329
; %bb.1319:
	s_cmp_gt_i32 s21, 14
	s_cbranch_scc0 .LBB6_1322
; %bb.1320:
	s_cmp_eq_u32 s21, 15
	s_cbranch_scc0 .LBB6_1325
; %bb.1321:
	global_load_ushort v2, v[4:5], off
	s_mov_b32 s0, 0x2f800000
	s_mov_b32 s1, 0xcf800000
	s_mov_b64 s[16:17], -1
	s_waitcnt vmcnt(0)
	v_lshlrev_b32_e32 v2, 16, v2
	v_trunc_f32_e32 v2, v2
	v_mul_f32_e64 v3, |v2|, s0
	v_floor_f32_e32 v3, v3
	v_fma_f32 v3, v3, s1, |v2|
	v_cvt_u32_f32_e32 v3, v3
	v_ashrrev_i32_e32 v2, 31, v2
	s_mov_b64 s[0:1], 0
	v_xor_b32_e32 v3, v3, v2
	v_sub_u32_e32 v2, v3, v2
	s_branch .LBB6_1326
.LBB6_1322:
	s_mov_b64 s[18:19], -1
                                        ; implicit-def: $vgpr2
	s_branch .LBB6_1327
.LBB6_1323:
	s_andn2_saveexec_b64 s[12:13], s[12:13]
	s_cbranch_execz .LBB6_1304
.LBB6_1324:
	v_cmp_ne_u16_e32 vcc, 0, v3
	s_andn2_b64 s[16:17], s[16:17], exec
	s_and_b64 s[18:19], vcc, exec
	s_or_b64 s[16:17], s[16:17], s[18:19]
	s_or_b64 exec, exec, s[12:13]
	v_mov_b32_e32 v2, 0
	s_and_saveexec_b64 s[12:13], s[16:17]
	s_cbranch_execnz .LBB6_1305
	s_branch .LBB6_1306
.LBB6_1325:
	s_mov_b64 s[0:1], -1
                                        ; implicit-def: $vgpr2
.LBB6_1326:
	s_mov_b64 s[18:19], 0
.LBB6_1327:
	s_and_b64 vcc, exec, s[18:19]
	s_cbranch_vccz .LBB6_1329
; %bb.1328:
	s_cmp_lg_u32 s21, 11
	s_mov_b64 s[12:13], -1
	s_cselect_b64 s[0:1], -1, 0
.LBB6_1329:
	s_and_b64 vcc, exec, s[0:1]
	s_cbranch_vccnz .LBB6_1392
; %bb.1330:
	s_andn2_b64 vcc, exec, s[12:13]
	s_cbranch_vccnz .LBB6_1332
.LBB6_1331:
	global_load_ubyte v2, v[4:5], off
	s_mov_b64 s[16:17], -1
	s_waitcnt vmcnt(0)
	v_cmp_ne_u16_e32 vcc, 0, v2
	v_cndmask_b32_e64 v2, 0, 1, vcc
.LBB6_1332:
	s_branch .LBB6_1264
.LBB6_1333:
	s_and_b32 s12, 0xffff, s20
	s_cmp_lt_i32 s12, 5
	s_cbranch_scc1 .LBB6_1338
; %bb.1334:
	s_cmp_lt_i32 s12, 8
	s_cbranch_scc1 .LBB6_1339
; %bb.1335:
	;; [unrolled: 3-line block ×3, first 2 shown]
	s_cmp_gt_i32 s12, 9
	s_cbranch_scc0 .LBB6_1341
; %bb.1337:
	global_load_dwordx2 v[2:3], v[4:5], off
	s_movk_i32 s0, 0xffe0
	s_waitcnt vmcnt(0)
	v_trunc_f64_e32 v[2:3], v[2:3]
	v_ldexp_f64 v[9:10], v[2:3], s0
	s_mov_b32 s0, 0
	s_mov_b32 s1, 0xc1f00000
	v_floor_f64_e32 v[9:10], v[9:10]
	v_fma_f64 v[2:3], v[9:10], s[0:1], v[2:3]
	s_mov_b64 s[0:1], 0
	v_cvt_u32_f64_e32 v2, v[2:3]
	s_branch .LBB6_1342
.LBB6_1338:
	s_mov_b64 s[0:1], -1
                                        ; implicit-def: $vgpr2
	s_branch .LBB6_1360
.LBB6_1339:
	s_mov_b64 s[0:1], -1
                                        ; implicit-def: $vgpr2
	s_branch .LBB6_1348
.LBB6_1340:
	s_mov_b64 s[0:1], -1
                                        ; implicit-def: $vgpr2
	s_branch .LBB6_1345
.LBB6_1341:
	s_mov_b64 s[0:1], -1
                                        ; implicit-def: $vgpr2
.LBB6_1342:
	s_andn2_b64 vcc, exec, s[0:1]
	s_cbranch_vccnz .LBB6_1344
; %bb.1343:
	global_load_dword v2, v[4:5], off
	s_mov_b32 s0, 0x2f800000
	s_waitcnt vmcnt(0)
	v_trunc_f32_e32 v2, v2
	v_mul_f32_e64 v3, |v2|, s0
	v_floor_f32_e32 v3, v3
	s_mov_b32 s0, 0xcf800000
	v_fma_f32 v3, v3, s0, |v2|
	v_cvt_u32_f32_e32 v3, v3
	v_ashrrev_i32_e32 v2, 31, v2
	v_xor_b32_e32 v3, v3, v2
	v_sub_u32_e32 v2, v3, v2
.LBB6_1344:
	s_mov_b64 s[0:1], 0
.LBB6_1345:
	s_andn2_b64 vcc, exec, s[0:1]
	s_cbranch_vccnz .LBB6_1347
; %bb.1346:
	global_load_dword v2, v[4:5], off
	s_waitcnt vmcnt(0)
	v_cvt_f32_f16_e32 v2, v2
	v_cvt_i32_f32_e32 v2, v2
.LBB6_1347:
	s_mov_b64 s[0:1], 0
.LBB6_1348:
	s_andn2_b64 vcc, exec, s[0:1]
	s_cbranch_vccnz .LBB6_1359
; %bb.1349:
	s_cmp_lt_i32 s12, 6
	s_cbranch_scc1 .LBB6_1352
; %bb.1350:
	s_cmp_gt_i32 s12, 6
	s_cbranch_scc0 .LBB6_1353
; %bb.1351:
	global_load_dwordx2 v[2:3], v[4:5], off
	s_movk_i32 s0, 0xffe0
	s_waitcnt vmcnt(0)
	v_trunc_f64_e32 v[2:3], v[2:3]
	v_ldexp_f64 v[9:10], v[2:3], s0
	s_mov_b32 s0, 0
	s_mov_b32 s1, 0xc1f00000
	v_floor_f64_e32 v[9:10], v[9:10]
	v_fma_f64 v[2:3], v[9:10], s[0:1], v[2:3]
	s_mov_b64 s[0:1], 0
	v_cvt_u32_f64_e32 v2, v[2:3]
	s_branch .LBB6_1354
.LBB6_1352:
	s_mov_b64 s[0:1], -1
                                        ; implicit-def: $vgpr2
	s_branch .LBB6_1357
.LBB6_1353:
	s_mov_b64 s[0:1], -1
                                        ; implicit-def: $vgpr2
.LBB6_1354:
	s_andn2_b64 vcc, exec, s[0:1]
	s_cbranch_vccnz .LBB6_1356
; %bb.1355:
	global_load_dword v2, v[4:5], off
	s_mov_b32 s0, 0x2f800000
	s_waitcnt vmcnt(0)
	v_trunc_f32_e32 v2, v2
	v_mul_f32_e64 v3, |v2|, s0
	v_floor_f32_e32 v3, v3
	s_mov_b32 s0, 0xcf800000
	v_fma_f32 v3, v3, s0, |v2|
	v_cvt_u32_f32_e32 v3, v3
	v_ashrrev_i32_e32 v2, 31, v2
	v_xor_b32_e32 v3, v3, v2
	v_sub_u32_e32 v2, v3, v2
.LBB6_1356:
	s_mov_b64 s[0:1], 0
.LBB6_1357:
	s_andn2_b64 vcc, exec, s[0:1]
	s_cbranch_vccnz .LBB6_1359
; %bb.1358:
	global_load_ushort v2, v[4:5], off
	s_waitcnt vmcnt(0)
	v_cvt_f32_f16_e32 v2, v2
	v_cvt_i32_f32_e32 v2, v2
.LBB6_1359:
	s_mov_b64 s[0:1], 0
.LBB6_1360:
	s_andn2_b64 vcc, exec, s[0:1]
	s_cbranch_vccnz .LBB6_1380
; %bb.1361:
	s_cmp_lt_i32 s12, 2
	s_cbranch_scc1 .LBB6_1365
; %bb.1362:
	s_cmp_lt_i32 s12, 3
	s_cbranch_scc1 .LBB6_1366
; %bb.1363:
	s_cmp_gt_i32 s12, 3
	s_cbranch_scc0 .LBB6_1367
; %bb.1364:
	global_load_dwordx2 v[2:3], v[4:5], off
	s_mov_b64 s[0:1], 0
	s_branch .LBB6_1368
.LBB6_1365:
	s_mov_b64 s[0:1], -1
                                        ; implicit-def: $vgpr2
	s_branch .LBB6_1374
.LBB6_1366:
	s_mov_b64 s[0:1], -1
                                        ; implicit-def: $vgpr2
	s_branch .LBB6_1371
.LBB6_1367:
	s_mov_b64 s[0:1], -1
                                        ; implicit-def: $vgpr2
.LBB6_1368:
	s_andn2_b64 vcc, exec, s[0:1]
	s_cbranch_vccnz .LBB6_1370
; %bb.1369:
	global_load_dword v2, v[4:5], off
.LBB6_1370:
	s_mov_b64 s[0:1], 0
.LBB6_1371:
	s_andn2_b64 vcc, exec, s[0:1]
	s_cbranch_vccnz .LBB6_1373
; %bb.1372:
	global_load_ushort v2, v[4:5], off
.LBB6_1373:
	s_mov_b64 s[0:1], 0
.LBB6_1374:
	s_andn2_b64 vcc, exec, s[0:1]
	s_cbranch_vccnz .LBB6_1380
; %bb.1375:
	s_cmp_gt_i32 s12, 0
	s_cbranch_scc0 .LBB6_1377
; %bb.1376:
	global_load_ubyte v2, v[4:5], off
	s_mov_b64 s[0:1], 0
	s_branch .LBB6_1378
.LBB6_1377:
	s_mov_b64 s[0:1], -1
                                        ; implicit-def: $vgpr2
.LBB6_1378:
	s_andn2_b64 vcc, exec, s[0:1]
	s_cbranch_vccnz .LBB6_1380
; %bb.1379:
	global_load_ubyte v2, v[4:5], off
.LBB6_1380:
.LBB6_1381:
	s_waitcnt vmcnt(0)
	v_add_u32_e32 v3, s3, v6
	v_ashrrev_i32_e32 v4, 31, v3
	v_mov_b32_e32 v6, s11
	v_add_co_u32_e32 v5, vcc, s10, v3
	s_cmp_lt_i32 s20, 11
	v_addc_co_u32_e32 v6, vcc, v6, v4, vcc
	s_cbranch_scc1 .LBB6_1388
; %bb.1382:
	s_and_b32 s3, 0xffff, s20
	s_cmp_gt_i32 s3, 25
	s_mov_b64 s[10:11], 0
	s_cbranch_scc0 .LBB6_1389
; %bb.1383:
	s_cmp_gt_i32 s3, 28
	s_cbranch_scc0 .LBB6_1390
; %bb.1384:
	s_cmp_gt_i32 s3, 43
	;; [unrolled: 3-line block ×3, first 2 shown]
	s_cbranch_scc0 .LBB6_1393
; %bb.1386:
	s_cmp_eq_u32 s3, 46
	s_mov_b64 s[16:17], 0
	s_cbranch_scc0 .LBB6_1394
; %bb.1387:
	global_load_dword v3, v[5:6], off
	s_mov_b32 s0, 0x2f800000
	s_mov_b32 s1, 0xcf800000
	s_mov_b64 s[12:13], -1
	s_waitcnt vmcnt(0)
	v_lshlrev_b32_e32 v3, 16, v3
	v_trunc_f32_e32 v3, v3
	v_mul_f32_e64 v4, |v3|, s0
	v_floor_f32_e32 v4, v4
	v_fma_f32 v4, v4, s1, |v3|
	v_cvt_u32_f32_e32 v4, v4
	v_ashrrev_i32_e32 v3, 31, v3
	s_mov_b64 s[0:1], 0
	v_xor_b32_e32 v4, v4, v3
	v_sub_u32_e32 v3, v4, v3
	s_branch .LBB6_1395
.LBB6_1388:
	s_mov_b64 s[0:1], -1
	s_mov_b64 s[12:13], 0
                                        ; implicit-def: $vgpr3
	s_branch .LBB6_1457
.LBB6_1389:
	s_mov_b64 s[16:17], -1
	s_mov_b64 s[12:13], 0
	s_mov_b64 s[0:1], 0
                                        ; implicit-def: $vgpr3
	s_branch .LBB6_1422
.LBB6_1390:
	s_mov_b64 s[16:17], -1
	s_mov_b64 s[12:13], 0
	s_mov_b64 s[0:1], 0
                                        ; implicit-def: $vgpr3
	s_branch .LBB6_1405
.LBB6_1391:
	s_mov_b64 s[16:17], -1
	s_mov_b64 s[12:13], 0
	s_mov_b64 s[0:1], 0
                                        ; implicit-def: $vgpr3
	s_branch .LBB6_1400
.LBB6_1392:
	s_trap 2
	s_or_b64 s[14:15], s[14:15], exec
	s_cbranch_execz .LBB6_1331
	s_branch .LBB6_1332
.LBB6_1393:
	s_mov_b64 s[16:17], -1
	s_mov_b64 s[12:13], 0
	s_mov_b64 s[0:1], 0
                                        ; implicit-def: $vgpr3
	s_branch .LBB6_1395
.LBB6_1394:
	s_mov_b64 s[0:1], -1
                                        ; implicit-def: $vgpr3
	s_mov_b64 s[12:13], 0
.LBB6_1395:
	s_and_b64 vcc, exec, s[16:17]
	s_cbranch_vccz .LBB6_1399
; %bb.1396:
	s_cmp_eq_u32 s3, 44
	s_cbranch_scc0 .LBB6_1398
; %bb.1397:
	global_load_ubyte v3, v[5:6], off
	s_mov_b32 s0, 0x2f800000
	s_mov_b32 s1, 0xcf800000
	s_mov_b64 s[12:13], -1
	s_waitcnt vmcnt(0)
	v_lshlrev_b32_e32 v4, 23, v3
	v_trunc_f32_e32 v4, v4
	v_mul_f32_e64 v9, |v4|, s0
	v_floor_f32_e32 v9, v9
	v_fma_f32 v9, v9, s1, |v4|
	v_cvt_u32_f32_e32 v9, v9
	v_ashrrev_i32_e32 v4, 31, v4
	v_cmp_ne_u32_e32 vcc, 0, v3
	s_mov_b64 s[0:1], 0
	v_xor_b32_e32 v9, v9, v4
	v_sub_u32_e32 v4, v9, v4
	v_cndmask_b32_e32 v3, 0, v4, vcc
	s_branch .LBB6_1399
.LBB6_1398:
	s_mov_b64 s[0:1], -1
                                        ; implicit-def: $vgpr3
.LBB6_1399:
	s_mov_b64 s[16:17], 0
.LBB6_1400:
	s_and_b64 vcc, exec, s[16:17]
	s_cbranch_vccz .LBB6_1404
; %bb.1401:
	s_cmp_eq_u32 s3, 29
	s_cbranch_scc0 .LBB6_1403
; %bb.1402:
	global_load_dwordx2 v[3:4], v[5:6], off
	s_mov_b64 s[0:1], 0
	s_mov_b64 s[12:13], -1
	s_branch .LBB6_1404
.LBB6_1403:
	s_mov_b64 s[0:1], -1
                                        ; implicit-def: $vgpr3
.LBB6_1404:
	s_mov_b64 s[16:17], 0
.LBB6_1405:
	s_and_b64 vcc, exec, s[16:17]
	s_cbranch_vccz .LBB6_1421
; %bb.1406:
	s_cmp_lt_i32 s3, 27
	s_cbranch_scc1 .LBB6_1409
; %bb.1407:
	s_cmp_gt_i32 s3, 27
	s_cbranch_scc0 .LBB6_1410
; %bb.1408:
	global_load_dword v3, v[5:6], off
	s_mov_b64 s[12:13], 0
	s_branch .LBB6_1411
.LBB6_1409:
	s_mov_b64 s[12:13], -1
                                        ; implicit-def: $vgpr3
	s_branch .LBB6_1414
.LBB6_1410:
	s_mov_b64 s[12:13], -1
                                        ; implicit-def: $vgpr3
.LBB6_1411:
	s_andn2_b64 vcc, exec, s[12:13]
	s_cbranch_vccnz .LBB6_1413
; %bb.1412:
	global_load_ushort v3, v[5:6], off
.LBB6_1413:
	s_mov_b64 s[12:13], 0
.LBB6_1414:
	s_andn2_b64 vcc, exec, s[12:13]
	s_cbranch_vccnz .LBB6_1420
; %bb.1415:
	global_load_ubyte v4, v[5:6], off
	s_movk_i32 s12, 0x7f
	s_mov_b64 s[16:17], 0
	s_waitcnt vmcnt(0)
	v_cmp_lt_i16_e32 vcc, s12, v4
	s_and_saveexec_b64 s[12:13], vcc
	s_xor_b64 s[12:13], exec, s[12:13]
	s_cbranch_execz .LBB6_1432
; %bb.1416:
	s_movk_i32 s16, 0x80
	v_cmp_ne_u16_e32 vcc, s16, v4
	s_and_b64 s[16:17], vcc, exec
	s_andn2_saveexec_b64 s[12:13], s[12:13]
	s_cbranch_execnz .LBB6_1433
.LBB6_1417:
	s_or_b64 exec, exec, s[12:13]
	v_mov_b32_e32 v3, 0
	s_and_saveexec_b64 s[12:13], s[16:17]
	s_cbranch_execz .LBB6_1419
.LBB6_1418:
	v_lshlrev_b32_e32 v3, 24, v4
	v_and_b32_e32 v4, 0xffff, v4
	v_and_b32_e32 v9, 7, v4
	v_ffbh_u32_e32 v11, v9
	v_min_u32_e32 v11, 32, v11
	v_subrev_u32_e32 v12, 28, v11
	v_bfe_u32 v10, v4, 3, 4
	v_lshlrev_b32_e32 v4, v12, v4
	v_sub_u32_e32 v11, 29, v11
	v_and_b32_e32 v4, 7, v4
	v_cmp_eq_u32_e32 vcc, 0, v10
	v_cndmask_b32_e32 v10, v10, v11, vcc
	v_cndmask_b32_e32 v4, v9, v4, vcc
	v_mov_b32_e32 v9, 0x3b800000
	v_lshlrev_b32_e32 v4, 20, v4
	v_and_b32_e32 v3, 0x80000000, v3
	v_lshl_add_u32 v9, v10, 23, v9
	v_or3_b32 v3, v3, v9, v4
	v_trunc_f32_e32 v3, v3
	s_mov_b32 s16, 0x2f800000
	v_mul_f32_e64 v4, |v3|, s16
	v_floor_f32_e32 v4, v4
	s_mov_b32 s16, 0xcf800000
	v_fma_f32 v4, v4, s16, |v3|
	v_cvt_u32_f32_e32 v4, v4
	v_ashrrev_i32_e32 v3, 31, v3
	v_xor_b32_e32 v4, v4, v3
	v_sub_u32_e32 v3, v4, v3
.LBB6_1419:
	s_or_b64 exec, exec, s[12:13]
.LBB6_1420:
	s_mov_b64 s[12:13], -1
.LBB6_1421:
	s_mov_b64 s[16:17], 0
.LBB6_1422:
	s_and_b64 vcc, exec, s[16:17]
	s_cbranch_vccz .LBB6_1453
; %bb.1423:
	s_cmp_gt_i32 s3, 22
	s_cbranch_scc0 .LBB6_1431
; %bb.1424:
	s_cmp_lt_i32 s3, 24
	s_cbranch_scc1 .LBB6_1434
; %bb.1425:
	s_cmp_gt_i32 s3, 24
	s_cbranch_scc0 .LBB6_1435
; %bb.1426:
	global_load_ubyte v4, v[5:6], off
	s_movk_i32 s10, 0x7f
	s_mov_b64 s[12:13], 0
	s_waitcnt vmcnt(0)
	v_cmp_lt_i16_e32 vcc, s10, v4
	s_and_saveexec_b64 s[10:11], vcc
	s_xor_b64 s[10:11], exec, s[10:11]
	s_cbranch_execz .LBB6_1447
; %bb.1427:
	s_movk_i32 s12, 0x80
	v_cmp_ne_u16_e32 vcc, s12, v4
	s_and_b64 s[12:13], vcc, exec
	s_andn2_saveexec_b64 s[10:11], s[10:11]
	s_cbranch_execnz .LBB6_1448
.LBB6_1428:
	s_or_b64 exec, exec, s[10:11]
	v_mov_b32_e32 v3, 0
	s_and_saveexec_b64 s[10:11], s[12:13]
	s_cbranch_execz .LBB6_1430
.LBB6_1429:
	v_lshlrev_b32_e32 v3, 24, v4
	v_and_b32_e32 v4, 0xffff, v4
	v_and_b32_e32 v9, 3, v4
	v_ffbh_u32_e32 v11, v9
	v_min_u32_e32 v11, 32, v11
	v_subrev_u32_e32 v12, 29, v11
	v_bfe_u32 v10, v4, 2, 5
	v_lshlrev_b32_e32 v4, v12, v4
	v_sub_u32_e32 v11, 30, v11
	v_and_b32_e32 v4, 3, v4
	v_cmp_eq_u32_e32 vcc, 0, v10
	v_cndmask_b32_e32 v10, v10, v11, vcc
	v_cndmask_b32_e32 v4, v9, v4, vcc
	v_mov_b32_e32 v9, 0x37800000
	v_lshlrev_b32_e32 v4, 21, v4
	v_and_b32_e32 v3, 0x80000000, v3
	v_lshl_add_u32 v9, v10, 23, v9
	v_or3_b32 v3, v3, v9, v4
	v_trunc_f32_e32 v3, v3
	s_mov_b32 s12, 0x2f800000
	v_mul_f32_e64 v4, |v3|, s12
	v_floor_f32_e32 v4, v4
	s_mov_b32 s12, 0xcf800000
	v_fma_f32 v4, v4, s12, |v3|
	v_cvt_u32_f32_e32 v4, v4
	v_ashrrev_i32_e32 v3, 31, v3
	v_xor_b32_e32 v4, v4, v3
	v_sub_u32_e32 v3, v4, v3
.LBB6_1430:
	s_or_b64 exec, exec, s[10:11]
	s_mov_b64 s[10:11], 0
	s_branch .LBB6_1436
.LBB6_1431:
	s_mov_b64 s[10:11], -1
                                        ; implicit-def: $vgpr3
	s_branch .LBB6_1442
.LBB6_1432:
	s_andn2_saveexec_b64 s[12:13], s[12:13]
	s_cbranch_execz .LBB6_1417
.LBB6_1433:
	v_cmp_ne_u16_e32 vcc, 0, v4
	s_andn2_b64 s[16:17], s[16:17], exec
	s_and_b64 s[18:19], vcc, exec
	s_or_b64 s[16:17], s[16:17], s[18:19]
	s_or_b64 exec, exec, s[12:13]
	v_mov_b32_e32 v3, 0
	s_and_saveexec_b64 s[12:13], s[16:17]
	s_cbranch_execnz .LBB6_1418
	s_branch .LBB6_1419
.LBB6_1434:
	s_mov_b64 s[10:11], -1
                                        ; implicit-def: $vgpr3
	s_branch .LBB6_1439
.LBB6_1435:
	s_mov_b64 s[10:11], -1
                                        ; implicit-def: $vgpr3
.LBB6_1436:
	s_and_b64 vcc, exec, s[10:11]
	s_cbranch_vccz .LBB6_1438
; %bb.1437:
	global_load_ubyte v3, v[5:6], off
	s_mov_b32 s10, 0x7f800000
	s_brev_b32 s11, 1
	s_mov_b32 s12, 0x2f800000
	s_waitcnt vmcnt(0)
	v_lshlrev_b32_e32 v3, 24, v3
	v_and_b32_e32 v4, 0x7f000000, v3
	v_ffbh_u32_e32 v9, v4
	v_min_u32_e32 v9, 32, v9
	v_sub_u32_e64 v9, v9, 4 clamp
	v_lshlrev_b32_e32 v11, v9, v4
	v_lshlrev_b32_e32 v9, 23, v9
	v_lshrrev_b32_e32 v11, 4, v11
	v_add_u32_e32 v10, 0x1000000, v4
	v_sub_u32_e32 v9, v11, v9
	v_ashrrev_i32_e32 v10, 8, v10
	v_add_u32_e32 v9, 0x3c000000, v9
	v_and_or_b32 v9, v10, s10, v9
	v_cmp_ne_u32_e32 vcc, 0, v4
	v_cndmask_b32_e32 v4, 0, v9, vcc
	v_and_or_b32 v3, v3, s11, v4
	v_trunc_f32_e32 v3, v3
	v_mul_f32_e64 v4, |v3|, s12
	v_floor_f32_e32 v4, v4
	s_mov_b32 s10, 0xcf800000
	v_fma_f32 v4, v4, s10, |v3|
	v_cvt_u32_f32_e32 v4, v4
	v_ashrrev_i32_e32 v3, 31, v3
	v_xor_b32_e32 v4, v4, v3
	v_sub_u32_e32 v3, v4, v3
.LBB6_1438:
	s_mov_b64 s[10:11], 0
.LBB6_1439:
	s_andn2_b64 vcc, exec, s[10:11]
	s_cbranch_vccnz .LBB6_1441
; %bb.1440:
	global_load_ubyte v3, v[5:6], off
	s_movk_i32 s10, 0x7f00
	s_brev_b32 s11, 16
	s_brev_b32 s12, 1
	s_mov_b32 s13, 0x2f800000
	s_waitcnt vmcnt(0)
	v_lshlrev_b16_e32 v4, 8, v3
	v_lshlrev_b32_e32 v3, 25, v3
	v_lshrrev_b32_e32 v9, 4, v3
	v_and_or_b32 v10, v4, s10, 0.5
	v_or_b32_e32 v9, 0x70000000, v9
	v_add_f32_e32 v10, -0.5, v10
	v_mul_f32_e32 v9, 0x7800000, v9
	v_cmp_gt_u32_e32 vcc, s11, v3
	v_bfe_i32 v4, v4, 0, 16
	v_cndmask_b32_e32 v3, v9, v10, vcc
	v_and_or_b32 v3, v4, s12, v3
	v_trunc_f32_e32 v3, v3
	v_mul_f32_e64 v4, |v3|, s13
	v_floor_f32_e32 v4, v4
	s_mov_b32 s10, 0xcf800000
	v_fma_f32 v4, v4, s10, |v3|
	v_cvt_u32_f32_e32 v4, v4
	v_ashrrev_i32_e32 v3, 31, v3
	v_xor_b32_e32 v4, v4, v3
	v_sub_u32_e32 v3, v4, v3
.LBB6_1441:
	s_mov_b64 s[10:11], 0
	s_mov_b64 s[12:13], -1
.LBB6_1442:
	s_andn2_b64 vcc, exec, s[10:11]
	s_mov_b64 s[10:11], 0
	s_cbranch_vccnz .LBB6_1453
; %bb.1443:
	s_cmp_gt_i32 s3, 14
	s_cbranch_scc0 .LBB6_1446
; %bb.1444:
	s_cmp_eq_u32 s3, 15
	s_cbranch_scc0 .LBB6_1449
; %bb.1445:
	global_load_ushort v3, v[5:6], off
	s_mov_b32 s0, 0x2f800000
	s_mov_b32 s1, 0xcf800000
	s_mov_b64 s[12:13], -1
	s_waitcnt vmcnt(0)
	v_lshlrev_b32_e32 v3, 16, v3
	v_trunc_f32_e32 v3, v3
	v_mul_f32_e64 v4, |v3|, s0
	v_floor_f32_e32 v4, v4
	v_fma_f32 v4, v4, s1, |v3|
	v_cvt_u32_f32_e32 v4, v4
	v_ashrrev_i32_e32 v3, 31, v3
	s_mov_b64 s[0:1], 0
	v_xor_b32_e32 v4, v4, v3
	v_sub_u32_e32 v3, v4, v3
	s_branch .LBB6_1450
.LBB6_1446:
	s_mov_b64 s[16:17], -1
                                        ; implicit-def: $vgpr3
	s_branch .LBB6_1451
.LBB6_1447:
	s_andn2_saveexec_b64 s[10:11], s[10:11]
	s_cbranch_execz .LBB6_1428
.LBB6_1448:
	v_cmp_ne_u16_e32 vcc, 0, v4
	s_andn2_b64 s[12:13], s[12:13], exec
	s_and_b64 s[16:17], vcc, exec
	s_or_b64 s[12:13], s[12:13], s[16:17]
	s_or_b64 exec, exec, s[10:11]
	v_mov_b32_e32 v3, 0
	s_and_saveexec_b64 s[10:11], s[12:13]
	s_cbranch_execnz .LBB6_1429
	s_branch .LBB6_1430
.LBB6_1449:
	s_mov_b64 s[0:1], -1
                                        ; implicit-def: $vgpr3
.LBB6_1450:
	s_mov_b64 s[16:17], 0
.LBB6_1451:
	s_and_b64 vcc, exec, s[16:17]
	s_cbranch_vccz .LBB6_1453
; %bb.1452:
	s_cmp_lg_u32 s3, 11
	s_mov_b64 s[10:11], -1
	s_cselect_b64 s[0:1], -1, 0
.LBB6_1453:
	s_and_b64 vcc, exec, s[0:1]
	s_cbranch_vccnz .LBB6_1986
; %bb.1454:
	s_andn2_b64 vcc, exec, s[10:11]
	s_cbranch_vccnz .LBB6_1456
.LBB6_1455:
	global_load_ubyte v3, v[5:6], off
	s_mov_b64 s[12:13], -1
	s_waitcnt vmcnt(0)
	v_cmp_ne_u16_e32 vcc, 0, v3
	v_cndmask_b32_e64 v3, 0, 1, vcc
.LBB6_1456:
	s_mov_b64 s[0:1], 0
.LBB6_1457:
	s_and_b64 vcc, exec, s[0:1]
	s_cbranch_vccz .LBB6_1506
; %bb.1458:
	s_and_b32 s3, 0xffff, s20
	s_cmp_lt_i32 s3, 5
	s_cbranch_scc1 .LBB6_1463
; %bb.1459:
	s_cmp_lt_i32 s3, 8
	s_cbranch_scc1 .LBB6_1464
; %bb.1460:
	;; [unrolled: 3-line block ×3, first 2 shown]
	s_cmp_gt_i32 s3, 9
	s_cbranch_scc0 .LBB6_1466
; %bb.1462:
	global_load_dwordx2 v[3:4], v[5:6], off
	s_movk_i32 s0, 0xffe0
	s_waitcnt vmcnt(0)
	v_trunc_f64_e32 v[3:4], v[3:4]
	v_ldexp_f64 v[9:10], v[3:4], s0
	s_mov_b32 s0, 0
	s_mov_b32 s1, 0xc1f00000
	v_floor_f64_e32 v[9:10], v[9:10]
	v_fma_f64 v[3:4], v[9:10], s[0:1], v[3:4]
	s_mov_b64 s[0:1], 0
	v_cvt_u32_f64_e32 v3, v[3:4]
	s_branch .LBB6_1467
.LBB6_1463:
	s_mov_b64 s[0:1], -1
                                        ; implicit-def: $vgpr3
	s_branch .LBB6_1485
.LBB6_1464:
	s_mov_b64 s[0:1], -1
                                        ; implicit-def: $vgpr3
	s_branch .LBB6_1473
.LBB6_1465:
	s_mov_b64 s[0:1], -1
                                        ; implicit-def: $vgpr3
	s_branch .LBB6_1470
.LBB6_1466:
	s_mov_b64 s[0:1], -1
                                        ; implicit-def: $vgpr3
.LBB6_1467:
	s_andn2_b64 vcc, exec, s[0:1]
	s_cbranch_vccnz .LBB6_1469
; %bb.1468:
	global_load_dword v3, v[5:6], off
	s_mov_b32 s0, 0x2f800000
	s_waitcnt vmcnt(0)
	v_trunc_f32_e32 v3, v3
	v_mul_f32_e64 v4, |v3|, s0
	v_floor_f32_e32 v4, v4
	s_mov_b32 s0, 0xcf800000
	v_fma_f32 v4, v4, s0, |v3|
	v_cvt_u32_f32_e32 v4, v4
	v_ashrrev_i32_e32 v3, 31, v3
	v_xor_b32_e32 v4, v4, v3
	v_sub_u32_e32 v3, v4, v3
.LBB6_1469:
	s_mov_b64 s[0:1], 0
.LBB6_1470:
	s_andn2_b64 vcc, exec, s[0:1]
	s_cbranch_vccnz .LBB6_1472
; %bb.1471:
	global_load_dword v3, v[5:6], off
	s_waitcnt vmcnt(0)
	v_cvt_f32_f16_e32 v3, v3
	v_cvt_i32_f32_e32 v3, v3
.LBB6_1472:
	s_mov_b64 s[0:1], 0
.LBB6_1473:
	s_andn2_b64 vcc, exec, s[0:1]
	s_cbranch_vccnz .LBB6_1484
; %bb.1474:
	s_cmp_lt_i32 s3, 6
	s_cbranch_scc1 .LBB6_1477
; %bb.1475:
	s_cmp_gt_i32 s3, 6
	s_cbranch_scc0 .LBB6_1478
; %bb.1476:
	global_load_dwordx2 v[3:4], v[5:6], off
	s_movk_i32 s0, 0xffe0
	s_waitcnt vmcnt(0)
	v_trunc_f64_e32 v[3:4], v[3:4]
	v_ldexp_f64 v[9:10], v[3:4], s0
	s_mov_b32 s0, 0
	s_mov_b32 s1, 0xc1f00000
	v_floor_f64_e32 v[9:10], v[9:10]
	v_fma_f64 v[3:4], v[9:10], s[0:1], v[3:4]
	s_mov_b64 s[0:1], 0
	v_cvt_u32_f64_e32 v3, v[3:4]
	s_branch .LBB6_1479
.LBB6_1477:
	s_mov_b64 s[0:1], -1
                                        ; implicit-def: $vgpr3
	s_branch .LBB6_1482
.LBB6_1478:
	s_mov_b64 s[0:1], -1
                                        ; implicit-def: $vgpr3
.LBB6_1479:
	s_andn2_b64 vcc, exec, s[0:1]
	s_cbranch_vccnz .LBB6_1481
; %bb.1480:
	global_load_dword v3, v[5:6], off
	s_mov_b32 s0, 0x2f800000
	s_waitcnt vmcnt(0)
	v_trunc_f32_e32 v3, v3
	v_mul_f32_e64 v4, |v3|, s0
	v_floor_f32_e32 v4, v4
	s_mov_b32 s0, 0xcf800000
	v_fma_f32 v4, v4, s0, |v3|
	v_cvt_u32_f32_e32 v4, v4
	v_ashrrev_i32_e32 v3, 31, v3
	v_xor_b32_e32 v4, v4, v3
	v_sub_u32_e32 v3, v4, v3
.LBB6_1481:
	s_mov_b64 s[0:1], 0
.LBB6_1482:
	s_andn2_b64 vcc, exec, s[0:1]
	s_cbranch_vccnz .LBB6_1484
; %bb.1483:
	global_load_ushort v3, v[5:6], off
	s_waitcnt vmcnt(0)
	v_cvt_f32_f16_e32 v3, v3
	v_cvt_i32_f32_e32 v3, v3
.LBB6_1484:
	s_mov_b64 s[0:1], 0
.LBB6_1485:
	s_andn2_b64 vcc, exec, s[0:1]
	s_cbranch_vccnz .LBB6_1505
; %bb.1486:
	s_cmp_lt_i32 s3, 2
	s_cbranch_scc1 .LBB6_1490
; %bb.1487:
	s_cmp_lt_i32 s3, 3
	s_cbranch_scc1 .LBB6_1491
; %bb.1488:
	s_cmp_gt_i32 s3, 3
	s_cbranch_scc0 .LBB6_1492
; %bb.1489:
	global_load_dwordx2 v[3:4], v[5:6], off
	s_mov_b64 s[0:1], 0
	s_branch .LBB6_1493
.LBB6_1490:
	s_mov_b64 s[0:1], -1
                                        ; implicit-def: $vgpr3
	s_branch .LBB6_1499
.LBB6_1491:
	s_mov_b64 s[0:1], -1
                                        ; implicit-def: $vgpr3
	s_branch .LBB6_1496
.LBB6_1492:
	s_mov_b64 s[0:1], -1
                                        ; implicit-def: $vgpr3
.LBB6_1493:
	s_andn2_b64 vcc, exec, s[0:1]
	s_cbranch_vccnz .LBB6_1495
; %bb.1494:
	global_load_dword v3, v[5:6], off
.LBB6_1495:
	s_mov_b64 s[0:1], 0
.LBB6_1496:
	s_andn2_b64 vcc, exec, s[0:1]
	s_cbranch_vccnz .LBB6_1498
; %bb.1497:
	global_load_ushort v3, v[5:6], off
.LBB6_1498:
	s_mov_b64 s[0:1], 0
.LBB6_1499:
	s_andn2_b64 vcc, exec, s[0:1]
	s_cbranch_vccnz .LBB6_1505
; %bb.1500:
	s_cmp_gt_i32 s3, 0
	s_cbranch_scc0 .LBB6_1502
; %bb.1501:
	global_load_ubyte v3, v[5:6], off
	s_mov_b64 s[0:1], 0
	s_branch .LBB6_1503
.LBB6_1502:
	s_mov_b64 s[0:1], -1
                                        ; implicit-def: $vgpr3
.LBB6_1503:
	s_andn2_b64 vcc, exec, s[0:1]
	s_cbranch_vccnz .LBB6_1505
; %bb.1504:
	global_load_ubyte v3, v[5:6], off
.LBB6_1505:
	s_mov_b64 s[12:13], -1
.LBB6_1506:
	s_andn2_b64 vcc, exec, s[12:13]
	s_cbranch_vccnz .LBB6_1940
; %bb.1507:
	v_mul_lo_u32 v6, s2, v8
	v_mov_b32_e32 v5, 8
	s_waitcnt vmcnt(0)
	v_lshlrev_b32_sdwa v4, v0, v7 dst_sel:DWORD dst_unused:UNUSED_PAD src0_sel:DWORD src1_sel:BYTE_0
	v_cmp_lt_u16_sdwa vcc, v0, v5 src0_sel:BYTE_0 src1_sel:DWORD
	v_cndmask_b32_e32 v0, 0, v4, vcc
	v_ashrrev_i32_e32 v5, 31, v6
	v_mov_b32_e32 v8, s9
	s_and_b32 s20, s33, 0xff
	v_add_co_u32_e32 v4, vcc, s8, v6
	s_cmp_lt_i32 s20, 11
	v_addc_co_u32_e32 v5, vcc, v8, v5, vcc
	s_cbranch_scc1 .LBB6_1585
; %bb.1508:
	s_and_b32 s3, 0xffff, s20
	s_mov_b64 s[16:17], -1
	s_mov_b64 s[10:11], 0
	s_cmp_gt_i32 s3, 25
	s_mov_b64 s[12:13], 0
	s_mov_b64 s[0:1], 0
	s_cbranch_scc0 .LBB6_1541
; %bb.1509:
	s_cmp_gt_i32 s3, 28
	s_cbranch_scc0 .LBB6_1524
; %bb.1510:
	s_cmp_gt_i32 s3, 43
	;; [unrolled: 3-line block ×3, first 2 shown]
	s_cbranch_scc0 .LBB6_1514
; %bb.1512:
	s_mov_b64 s[0:1], -1
	s_mov_b64 s[16:17], 0
	s_cmp_eq_u32 s3, 46
	s_cbranch_scc0 .LBB6_1514
; %bb.1513:
	v_cvt_f32_ubyte0_e32 v8, v0
	v_bfe_u32 v9, v8, 16, 1
	s_movk_i32 s0, 0x7fff
	v_add3_u32 v8, v8, v9, s0
	v_lshrrev_b32_e32 v8, 16, v8
	global_store_dword v[4:5], v8, off
	s_mov_b64 s[0:1], 0
	s_mov_b64 s[12:13], -1
.LBB6_1514:
	s_and_b64 vcc, exec, s[16:17]
	s_cbranch_vccz .LBB6_1519
; %bb.1515:
	s_cmp_eq_u32 s3, 44
	s_mov_b64 s[0:1], -1
	s_cbranch_scc0 .LBB6_1519
; %bb.1516:
	v_cvt_f32_ubyte0_e32 v9, v0
	v_lshrrev_b32_e32 v8, 23, v9
	s_movk_i32 s0, 0xff
	v_cmp_ne_u32_e32 vcc, s0, v8
	v_mov_b32_e32 v10, 0xff
	s_and_saveexec_b64 s[12:13], vcc
; %bb.1517:
	s_mov_b32 s0, 0x3fffff
	v_and_b32_e32 v10, 0x400000, v9
	v_and_or_b32 v9, v9, s0, v8
	v_cmp_ne_u32_e32 vcc, 0, v10
	v_cmp_ne_u32_e64 s[0:1], 0, v9
	s_and_b64 s[0:1], vcc, s[0:1]
	v_cndmask_b32_e64 v9, 0, 1, s[0:1]
	v_add_u32_e32 v10, v8, v9
; %bb.1518:
	s_or_b64 exec, exec, s[12:13]
	s_mov_b64 s[0:1], 0
	s_mov_b64 s[12:13], -1
	global_store_byte v[4:5], v10, off
.LBB6_1519:
	s_mov_b64 s[16:17], 0
.LBB6_1520:
	s_and_b64 vcc, exec, s[16:17]
	s_cbranch_vccz .LBB6_1523
; %bb.1521:
	s_cmp_eq_u32 s3, 29
	s_mov_b64 s[0:1], -1
	s_cbranch_scc0 .LBB6_1523
; %bb.1522:
	v_and_b32_e32 v8, 0xff, v0
	v_mov_b32_e32 v9, 0
	global_store_dwordx2 v[4:5], v[8:9], off
	s_mov_b64 s[0:1], 0
	s_mov_b64 s[12:13], -1
.LBB6_1523:
	s_mov_b64 s[16:17], 0
.LBB6_1524:
	s_and_b64 vcc, exec, s[16:17]
	s_cbranch_vccz .LBB6_1540
; %bb.1525:
	s_cmp_lt_i32 s3, 27
	s_mov_b64 s[12:13], -1
	s_cbranch_scc1 .LBB6_1531
; %bb.1526:
	s_cmp_gt_i32 s3, 27
	s_cbranch_scc0 .LBB6_1528
; %bb.1527:
	v_and_b32_e32 v8, 0xff, v0
	s_mov_b64 s[12:13], 0
	global_store_dword v[4:5], v8, off
.LBB6_1528:
	s_andn2_b64 vcc, exec, s[12:13]
	s_cbranch_vccnz .LBB6_1530
; %bb.1529:
	v_and_b32_e32 v8, 0xff, v0
	global_store_short v[4:5], v8, off
.LBB6_1530:
	s_mov_b64 s[12:13], 0
.LBB6_1531:
	s_andn2_b64 vcc, exec, s[12:13]
	s_cbranch_vccnz .LBB6_1539
; %bb.1532:
	v_cvt_f32_ubyte0_e32 v9, v0
	s_mov_b32 s12, 0x43800000
	v_cmp_gt_u32_e32 vcc, s12, v9
	v_mov_b32_e32 v10, 0x80
	s_and_saveexec_b64 s[12:13], vcc
	s_cbranch_execz .LBB6_1538
; %bb.1533:
	s_mov_b32 s16, 0x3bffffff
	v_cmp_lt_u32_e32 vcc, s16, v9
	s_mov_b64 s[16:17], 0
                                        ; implicit-def: $vgpr8
	s_and_saveexec_b64 s[18:19], vcc
	s_xor_b64 s[18:19], exec, s[18:19]
	s_cbranch_execz .LBB6_1987
; %bb.1534:
	v_bfe_u32 v8, v9, 20, 1
	s_mov_b32 s21, 0x487ffff
	v_add3_u32 v8, v9, v8, s21
	s_mov_b64 s[16:17], exec
	v_lshrrev_b32_e32 v8, 20, v8
                                        ; implicit-def: $vgpr9
	s_andn2_saveexec_b64 s[18:19], s[18:19]
	s_cbranch_execnz .LBB6_1988
.LBB6_1535:
	s_or_b64 exec, exec, s[18:19]
	v_mov_b32_e32 v10, 0
	s_and_saveexec_b64 s[18:19], s[16:17]
.LBB6_1536:
	v_mov_b32_e32 v10, v8
.LBB6_1537:
	s_or_b64 exec, exec, s[18:19]
.LBB6_1538:
	s_or_b64 exec, exec, s[12:13]
	global_store_byte v[4:5], v10, off
.LBB6_1539:
	s_mov_b64 s[12:13], -1
.LBB6_1540:
	s_mov_b64 s[16:17], 0
.LBB6_1541:
	s_and_b64 vcc, exec, s[16:17]
	s_cbranch_vccz .LBB6_1581
; %bb.1542:
	s_cmp_gt_i32 s3, 22
	s_mov_b64 s[10:11], -1
	s_cbranch_scc0 .LBB6_1574
; %bb.1543:
	s_cmp_lt_i32 s3, 24
	s_cbranch_scc1 .LBB6_1563
; %bb.1544:
	s_cmp_gt_i32 s3, 24
	s_cbranch_scc0 .LBB6_1552
; %bb.1545:
	v_cvt_f32_ubyte0_e32 v9, v0
	s_mov_b32 s10, 0x47800000
	v_cmp_gt_u32_e32 vcc, s10, v9
	v_mov_b32_e32 v10, 0x80
	s_and_saveexec_b64 s[10:11], vcc
	s_cbranch_execz .LBB6_1551
; %bb.1546:
	s_mov_b32 s12, 0x37ffffff
	v_cmp_lt_u32_e32 vcc, s12, v9
	s_mov_b64 s[12:13], 0
                                        ; implicit-def: $vgpr8
	s_and_saveexec_b64 s[16:17], vcc
	s_xor_b64 s[16:17], exec, s[16:17]
	s_cbranch_execz .LBB6_1990
; %bb.1547:
	v_bfe_u32 v8, v9, 21, 1
	s_mov_b32 s18, 0x88fffff
	v_add3_u32 v8, v9, v8, s18
	s_mov_b64 s[12:13], exec
	v_lshrrev_b32_e32 v8, 21, v8
                                        ; implicit-def: $vgpr9
	s_andn2_saveexec_b64 s[16:17], s[16:17]
	s_cbranch_execnz .LBB6_1991
.LBB6_1548:
	s_or_b64 exec, exec, s[16:17]
	v_mov_b32_e32 v10, 0
	s_and_saveexec_b64 s[16:17], s[12:13]
.LBB6_1549:
	v_mov_b32_e32 v10, v8
.LBB6_1550:
	s_or_b64 exec, exec, s[16:17]
.LBB6_1551:
	s_or_b64 exec, exec, s[10:11]
	s_mov_b64 s[10:11], 0
	global_store_byte v[4:5], v10, off
.LBB6_1552:
	s_and_b64 vcc, exec, s[10:11]
	s_cbranch_vccz .LBB6_1562
; %bb.1553:
	v_cvt_f32_ubyte0_e32 v8, v0
	s_mov_b32 s10, 0x43f00000
	v_cmp_gt_u32_e32 vcc, s10, v8
                                        ; implicit-def: $vgpr9
	s_and_saveexec_b64 s[10:11], vcc
	s_xor_b64 s[10:11], exec, s[10:11]
	s_cbranch_execz .LBB6_1559
; %bb.1554:
	s_mov_b32 s12, 0x3c7fffff
	v_cmp_lt_u32_e32 vcc, s12, v8
                                        ; implicit-def: $vgpr9
	s_and_saveexec_b64 s[12:13], vcc
	s_xor_b64 s[12:13], exec, s[12:13]
; %bb.1555:
	v_bfe_u32 v9, v8, 20, 1
	s_mov_b32 s16, 0x407ffff
	v_add3_u32 v8, v8, v9, s16
	v_lshrrev_b32_e32 v9, 20, v8
	v_and_b32_e32 v8, 0xff00000, v8
	s_mov_b32 s16, 0x7f00000
	v_mov_b32_e32 v10, 0x7e
	v_cmp_ne_u32_e32 vcc, s16, v8
	v_cndmask_b32_e32 v9, v10, v9, vcc
                                        ; implicit-def: $vgpr8
; %bb.1556:
	s_andn2_saveexec_b64 s[12:13], s[12:13]
; %bb.1557:
	v_add_f32_e32 v9, 0x46800000, v8
; %bb.1558:
	s_or_b64 exec, exec, s[12:13]
                                        ; implicit-def: $vgpr8
.LBB6_1559:
	s_andn2_saveexec_b64 s[10:11], s[10:11]
; %bb.1560:
	s_mov_b32 s12, 0x7f800000
	v_mov_b32_e32 v9, 0x7e
	v_mov_b32_e32 v10, 0x7f
	v_cmp_lt_u32_e32 vcc, s12, v8
	v_cndmask_b32_e32 v9, v9, v10, vcc
; %bb.1561:
	s_or_b64 exec, exec, s[10:11]
	global_store_byte v[4:5], v9, off
.LBB6_1562:
	s_mov_b64 s[10:11], 0
.LBB6_1563:
	s_andn2_b64 vcc, exec, s[10:11]
	s_cbranch_vccnz .LBB6_1573
; %bb.1564:
	v_cvt_f32_ubyte0_e32 v8, v0
	s_mov_b32 s10, 0x47800000
	v_cmp_gt_u32_e32 vcc, s10, v8
                                        ; implicit-def: $vgpr9
	s_and_saveexec_b64 s[10:11], vcc
	s_xor_b64 s[10:11], exec, s[10:11]
	s_cbranch_execz .LBB6_1570
; %bb.1565:
	s_mov_b32 s12, 0x387fffff
	v_cmp_lt_u32_e32 vcc, s12, v8
                                        ; implicit-def: $vgpr9
	s_and_saveexec_b64 s[12:13], vcc
	s_xor_b64 s[12:13], exec, s[12:13]
; %bb.1566:
	v_bfe_u32 v9, v8, 21, 1
	s_mov_b32 s16, 0x80fffff
	v_add3_u32 v8, v8, v9, s16
	v_lshrrev_b32_e32 v9, 21, v8
                                        ; implicit-def: $vgpr8
; %bb.1567:
	s_andn2_saveexec_b64 s[12:13], s[12:13]
; %bb.1568:
	v_add_f32_e32 v9, 0x43000000, v8
; %bb.1569:
	s_or_b64 exec, exec, s[12:13]
                                        ; implicit-def: $vgpr8
.LBB6_1570:
	s_andn2_saveexec_b64 s[10:11], s[10:11]
; %bb.1571:
	s_mov_b32 s12, 0x7f800000
	v_mov_b32_e32 v9, 0x7c
	v_mov_b32_e32 v10, 0x7f
	v_cmp_lt_u32_e32 vcc, s12, v8
	v_cndmask_b32_e32 v9, v9, v10, vcc
; %bb.1572:
	s_or_b64 exec, exec, s[10:11]
	global_store_byte v[4:5], v9, off
.LBB6_1573:
	s_mov_b64 s[10:11], 0
	s_mov_b64 s[12:13], -1
.LBB6_1574:
	s_andn2_b64 vcc, exec, s[10:11]
	s_mov_b64 s[10:11], 0
	s_cbranch_vccnz .LBB6_1581
; %bb.1575:
	s_cmp_gt_i32 s3, 14
	s_mov_b64 s[16:17], -1
	s_cbranch_scc0 .LBB6_1579
; %bb.1576:
	s_cmp_eq_u32 s3, 15
	s_mov_b64 s[0:1], -1
	s_cbranch_scc0 .LBB6_1578
; %bb.1577:
	v_cvt_f32_ubyte0_e32 v8, v0
	v_bfe_u32 v9, v8, 16, 1
	s_movk_i32 s0, 0x7fff
	v_add3_u32 v8, v8, v9, s0
	global_store_short_d16_hi v[4:5], v8, off
	s_mov_b64 s[0:1], 0
	s_mov_b64 s[12:13], -1
.LBB6_1578:
	s_mov_b64 s[16:17], 0
.LBB6_1579:
	s_and_b64 vcc, exec, s[16:17]
	s_cbranch_vccz .LBB6_1581
; %bb.1580:
	s_cmp_lg_u32 s3, 11
	s_mov_b64 s[10:11], -1
	s_cselect_b64 s[0:1], -1, 0
.LBB6_1581:
	s_and_b64 vcc, exec, s[0:1]
	s_cbranch_vccnz .LBB6_1989
; %bb.1582:
	s_andn2_b64 vcc, exec, s[10:11]
	s_cbranch_vccnz .LBB6_1584
.LBB6_1583:
	v_mov_b32_e32 v8, 0
	v_cmp_ne_u16_sdwa s[0:1], v0, v8 src0_sel:BYTE_0 src1_sel:DWORD
	v_cndmask_b32_e64 v8, 0, 1, s[0:1]
	s_mov_b64 s[12:13], -1
	global_store_byte v[4:5], v8, off
.LBB6_1584:
	s_mov_b64 s[0:1], 0
	s_branch .LBB6_1586
.LBB6_1585:
	s_mov_b64 s[0:1], -1
	s_mov_b64 s[12:13], 0
.LBB6_1586:
	s_and_b64 vcc, exec, s[0:1]
	s_cbranch_vccz .LBB6_1625
; %bb.1587:
	s_and_b32 s3, 0xffff, s20
	s_cmp_lt_i32 s3, 5
	s_mov_b64 s[0:1], -1
	s_cbranch_scc1 .LBB6_1608
; %bb.1588:
	s_cmp_lt_i32 s3, 8
	s_cbranch_scc1 .LBB6_1598
; %bb.1589:
	s_cmp_lt_i32 s3, 9
	s_cbranch_scc1 .LBB6_1595
; %bb.1590:
	s_cmp_gt_i32 s3, 9
	s_cbranch_scc0 .LBB6_1592
; %bb.1591:
	s_mov_b32 s0, 0xffff
	v_and_b32_sdwa v8, s0, v0 dst_sel:DWORD dst_unused:UNUSED_PAD src0_sel:DWORD src1_sel:BYTE_0
	v_cvt_f64_u32_e32 v[8:9], v8
	v_mov_b32_e32 v10, 0
	v_mov_b32_e32 v11, v10
	s_mov_b64 s[0:1], 0
	global_store_dwordx4 v[4:5], v[8:11], off
.LBB6_1592:
	s_andn2_b64 vcc, exec, s[0:1]
	s_cbranch_vccnz .LBB6_1594
; %bb.1593:
	v_cvt_f32_ubyte0_e32 v8, v0
	v_mov_b32_e32 v9, 0
	global_store_dwordx2 v[4:5], v[8:9], off
.LBB6_1594:
	s_mov_b64 s[0:1], 0
.LBB6_1595:
	s_andn2_b64 vcc, exec, s[0:1]
	s_cbranch_vccnz .LBB6_1597
; %bb.1596:
	v_cvt_f16_u16_sdwa v8, v0 dst_sel:DWORD dst_unused:UNUSED_PAD src0_sel:BYTE_0
	global_store_dword v[4:5], v8, off
.LBB6_1597:
	s_mov_b64 s[0:1], 0
.LBB6_1598:
	s_andn2_b64 vcc, exec, s[0:1]
	s_cbranch_vccnz .LBB6_1607
; %bb.1599:
	s_cmp_lt_i32 s3, 6
	s_mov_b64 s[0:1], -1
	s_cbranch_scc1 .LBB6_1605
; %bb.1600:
	s_cmp_gt_i32 s3, 6
	s_cbranch_scc0 .LBB6_1602
; %bb.1601:
	s_mov_b32 s0, 0xffff
	v_and_b32_sdwa v8, s0, v0 dst_sel:DWORD dst_unused:UNUSED_PAD src0_sel:DWORD src1_sel:BYTE_0
	v_cvt_f64_u32_e32 v[8:9], v8
	s_mov_b64 s[0:1], 0
	global_store_dwordx2 v[4:5], v[8:9], off
.LBB6_1602:
	s_andn2_b64 vcc, exec, s[0:1]
	s_cbranch_vccnz .LBB6_1604
; %bb.1603:
	v_cvt_f32_ubyte0_e32 v8, v0
	global_store_dword v[4:5], v8, off
.LBB6_1604:
	s_mov_b64 s[0:1], 0
.LBB6_1605:
	s_andn2_b64 vcc, exec, s[0:1]
	s_cbranch_vccnz .LBB6_1607
; %bb.1606:
	v_cvt_f16_u16_sdwa v8, v0 dst_sel:DWORD dst_unused:UNUSED_PAD src0_sel:BYTE_0
	global_store_short v[4:5], v8, off
.LBB6_1607:
	s_mov_b64 s[0:1], 0
.LBB6_1608:
	s_andn2_b64 vcc, exec, s[0:1]
	s_cbranch_vccnz .LBB6_1624
; %bb.1609:
	s_cmp_lt_i32 s3, 2
	s_mov_b64 s[0:1], -1
	s_cbranch_scc1 .LBB6_1619
; %bb.1610:
	s_cmp_lt_i32 s3, 3
	s_cbranch_scc1 .LBB6_1616
; %bb.1611:
	s_cmp_gt_i32 s3, 3
	s_cbranch_scc0 .LBB6_1613
; %bb.1612:
	v_and_b32_e32 v8, 0xff, v0
	v_mov_b32_e32 v9, 0
	global_store_dwordx2 v[4:5], v[8:9], off
	s_mov_b64 s[0:1], 0
.LBB6_1613:
	s_andn2_b64 vcc, exec, s[0:1]
	s_cbranch_vccnz .LBB6_1615
; %bb.1614:
	v_and_b32_e32 v8, 0xff, v0
	global_store_dword v[4:5], v8, off
.LBB6_1615:
	s_mov_b64 s[0:1], 0
.LBB6_1616:
	s_andn2_b64 vcc, exec, s[0:1]
	s_cbranch_vccnz .LBB6_1618
; %bb.1617:
	v_and_b32_e32 v8, 0xff, v0
	global_store_short v[4:5], v8, off
.LBB6_1618:
	s_mov_b64 s[0:1], 0
.LBB6_1619:
	s_andn2_b64 vcc, exec, s[0:1]
	s_cbranch_vccnz .LBB6_1624
; %bb.1620:
	s_cmp_gt_i32 s3, 0
	s_mov_b64 s[0:1], -1
	s_cbranch_scc0 .LBB6_1622
; %bb.1621:
	global_store_byte v[4:5], v0, off
	s_mov_b64 s[0:1], 0
.LBB6_1622:
	s_andn2_b64 vcc, exec, s[0:1]
	s_cbranch_vccnz .LBB6_1624
; %bb.1623:
	global_store_byte v[4:5], v0, off
.LBB6_1624:
	s_mov_b64 s[12:13], -1
.LBB6_1625:
	s_andn2_b64 vcc, exec, s[12:13]
	s_cbranch_vccnz .LBB6_1940
; %bb.1626:
	v_mov_b32_e32 v4, 8
	s_lshl_b32 s18, s2, 7
	v_lshlrev_b32_sdwa v0, v1, v7 dst_sel:DWORD dst_unused:UNUSED_PAD src0_sel:DWORD src1_sel:BYTE_0
	v_cmp_lt_u16_sdwa vcc, v1, v4 src0_sel:BYTE_0 src1_sel:DWORD
	v_add_u32_e32 v4, s18, v6
	v_cndmask_b32_e32 v5, 0, v0, vcc
	v_ashrrev_i32_e32 v1, 31, v4
	v_mov_b32_e32 v6, s9
	v_add_co_u32_e32 v0, vcc, s8, v4
	s_cmp_lt_i32 s20, 11
	v_addc_co_u32_e32 v1, vcc, v6, v1, vcc
	s_cbranch_scc1 .LBB6_1704
; %bb.1627:
	s_and_b32 s19, 0xffff, s20
	s_mov_b64 s[12:13], -1
	s_mov_b64 s[2:3], 0
	s_cmp_gt_i32 s19, 25
	s_mov_b64 s[10:11], 0
	s_mov_b64 s[0:1], 0
	s_cbranch_scc0 .LBB6_1660
; %bb.1628:
	s_cmp_gt_i32 s19, 28
	s_cbranch_scc0 .LBB6_1643
; %bb.1629:
	s_cmp_gt_i32 s19, 43
	;; [unrolled: 3-line block ×3, first 2 shown]
	s_cbranch_scc0 .LBB6_1633
; %bb.1631:
	s_mov_b64 s[0:1], -1
	s_mov_b64 s[12:13], 0
	s_cmp_eq_u32 s19, 46
	s_cbranch_scc0 .LBB6_1633
; %bb.1632:
	v_cvt_f32_ubyte0_e32 v6, v5
	v_bfe_u32 v8, v6, 16, 1
	s_movk_i32 s0, 0x7fff
	v_add3_u32 v6, v6, v8, s0
	v_lshrrev_b32_e32 v6, 16, v6
	global_store_dword v[0:1], v6, off
	s_mov_b64 s[0:1], 0
	s_mov_b64 s[10:11], -1
.LBB6_1633:
	s_and_b64 vcc, exec, s[12:13]
	s_cbranch_vccz .LBB6_1638
; %bb.1634:
	s_cmp_eq_u32 s19, 44
	s_mov_b64 s[0:1], -1
	s_cbranch_scc0 .LBB6_1638
; %bb.1635:
	v_cvt_f32_ubyte0_e32 v8, v5
	v_lshrrev_b32_e32 v6, 23, v8
	s_movk_i32 s0, 0xff
	v_cmp_ne_u32_e32 vcc, s0, v6
	v_mov_b32_e32 v9, 0xff
	s_and_saveexec_b64 s[10:11], vcc
; %bb.1636:
	s_mov_b32 s0, 0x3fffff
	v_and_b32_e32 v9, 0x400000, v8
	v_and_or_b32 v8, v8, s0, v6
	v_cmp_ne_u32_e32 vcc, 0, v9
	v_cmp_ne_u32_e64 s[0:1], 0, v8
	s_and_b64 s[0:1], vcc, s[0:1]
	v_cndmask_b32_e64 v8, 0, 1, s[0:1]
	v_add_u32_e32 v9, v6, v8
; %bb.1637:
	s_or_b64 exec, exec, s[10:11]
	s_mov_b64 s[0:1], 0
	s_mov_b64 s[10:11], -1
	global_store_byte v[0:1], v9, off
.LBB6_1638:
	s_mov_b64 s[12:13], 0
.LBB6_1639:
	s_and_b64 vcc, exec, s[12:13]
	s_cbranch_vccz .LBB6_1642
; %bb.1640:
	s_cmp_eq_u32 s19, 29
	s_mov_b64 s[0:1], -1
	s_cbranch_scc0 .LBB6_1642
; %bb.1641:
	v_and_b32_e32 v8, 0xff, v5
	v_mov_b32_e32 v9, 0
	global_store_dwordx2 v[0:1], v[8:9], off
	s_mov_b64 s[0:1], 0
	s_mov_b64 s[10:11], -1
.LBB6_1642:
	s_mov_b64 s[12:13], 0
.LBB6_1643:
	s_and_b64 vcc, exec, s[12:13]
	s_cbranch_vccz .LBB6_1659
; %bb.1644:
	s_cmp_lt_i32 s19, 27
	s_mov_b64 s[10:11], -1
	s_cbranch_scc1 .LBB6_1650
; %bb.1645:
	s_cmp_gt_i32 s19, 27
	s_cbranch_scc0 .LBB6_1647
; %bb.1646:
	v_and_b32_e32 v6, 0xff, v5
	s_mov_b64 s[10:11], 0
	global_store_dword v[0:1], v6, off
.LBB6_1647:
	s_andn2_b64 vcc, exec, s[10:11]
	s_cbranch_vccnz .LBB6_1649
; %bb.1648:
	v_and_b32_e32 v6, 0xff, v5
	global_store_short v[0:1], v6, off
.LBB6_1649:
	s_mov_b64 s[10:11], 0
.LBB6_1650:
	s_andn2_b64 vcc, exec, s[10:11]
	s_cbranch_vccnz .LBB6_1658
; %bb.1651:
	v_cvt_f32_ubyte0_e32 v8, v5
	s_mov_b32 s10, 0x43800000
	v_cmp_gt_u32_e32 vcc, s10, v8
	v_mov_b32_e32 v9, 0x80
	s_and_saveexec_b64 s[10:11], vcc
	s_cbranch_execz .LBB6_1657
; %bb.1652:
	s_mov_b32 s12, 0x3bffffff
	v_cmp_lt_u32_e32 vcc, s12, v8
	s_mov_b64 s[12:13], 0
                                        ; implicit-def: $vgpr6
	s_and_saveexec_b64 s[16:17], vcc
	s_xor_b64 s[16:17], exec, s[16:17]
	s_cbranch_execz .LBB6_1992
; %bb.1653:
	v_bfe_u32 v6, v8, 20, 1
	s_mov_b32 s21, 0x487ffff
	v_add3_u32 v6, v8, v6, s21
	s_mov_b64 s[12:13], exec
	v_lshrrev_b32_e32 v6, 20, v6
                                        ; implicit-def: $vgpr8
	s_andn2_saveexec_b64 s[16:17], s[16:17]
	s_cbranch_execnz .LBB6_1993
.LBB6_1654:
	s_or_b64 exec, exec, s[16:17]
	v_mov_b32_e32 v9, 0
	s_and_saveexec_b64 s[16:17], s[12:13]
.LBB6_1655:
	v_mov_b32_e32 v9, v6
.LBB6_1656:
	s_or_b64 exec, exec, s[16:17]
.LBB6_1657:
	s_or_b64 exec, exec, s[10:11]
	global_store_byte v[0:1], v9, off
.LBB6_1658:
	s_mov_b64 s[10:11], -1
.LBB6_1659:
	s_mov_b64 s[12:13], 0
.LBB6_1660:
	s_and_b64 vcc, exec, s[12:13]
	s_cbranch_vccz .LBB6_1700
; %bb.1661:
	s_cmp_gt_i32 s19, 22
	s_mov_b64 s[2:3], -1
	s_cbranch_scc0 .LBB6_1693
; %bb.1662:
	s_cmp_lt_i32 s19, 24
	s_cbranch_scc1 .LBB6_1682
; %bb.1663:
	s_cmp_gt_i32 s19, 24
	s_cbranch_scc0 .LBB6_1671
; %bb.1664:
	v_cvt_f32_ubyte0_e32 v8, v5
	s_mov_b32 s2, 0x47800000
	v_cmp_gt_u32_e32 vcc, s2, v8
	v_mov_b32_e32 v9, 0x80
	s_and_saveexec_b64 s[2:3], vcc
	s_cbranch_execz .LBB6_1670
; %bb.1665:
	s_mov_b32 s10, 0x37ffffff
	v_cmp_lt_u32_e32 vcc, s10, v8
	s_mov_b64 s[10:11], 0
                                        ; implicit-def: $vgpr6
	s_and_saveexec_b64 s[12:13], vcc
	s_xor_b64 s[12:13], exec, s[12:13]
	s_cbranch_execz .LBB6_1995
; %bb.1666:
	v_bfe_u32 v6, v8, 21, 1
	s_mov_b32 s16, 0x88fffff
	v_add3_u32 v6, v8, v6, s16
	s_mov_b64 s[10:11], exec
	v_lshrrev_b32_e32 v6, 21, v6
                                        ; implicit-def: $vgpr8
	s_andn2_saveexec_b64 s[12:13], s[12:13]
	s_cbranch_execnz .LBB6_1996
.LBB6_1667:
	s_or_b64 exec, exec, s[12:13]
	v_mov_b32_e32 v9, 0
	s_and_saveexec_b64 s[12:13], s[10:11]
.LBB6_1668:
	v_mov_b32_e32 v9, v6
.LBB6_1669:
	s_or_b64 exec, exec, s[12:13]
.LBB6_1670:
	s_or_b64 exec, exec, s[2:3]
	s_mov_b64 s[2:3], 0
	global_store_byte v[0:1], v9, off
.LBB6_1671:
	s_and_b64 vcc, exec, s[2:3]
	s_cbranch_vccz .LBB6_1681
; %bb.1672:
	v_cvt_f32_ubyte0_e32 v6, v5
	s_mov_b32 s2, 0x43f00000
	v_cmp_gt_u32_e32 vcc, s2, v6
                                        ; implicit-def: $vgpr8
	s_and_saveexec_b64 s[2:3], vcc
	s_xor_b64 s[2:3], exec, s[2:3]
	s_cbranch_execz .LBB6_1678
; %bb.1673:
	s_mov_b32 s10, 0x3c7fffff
	v_cmp_lt_u32_e32 vcc, s10, v6
                                        ; implicit-def: $vgpr8
	s_and_saveexec_b64 s[10:11], vcc
	s_xor_b64 s[10:11], exec, s[10:11]
; %bb.1674:
	v_bfe_u32 v8, v6, 20, 1
	s_mov_b32 s12, 0x407ffff
	v_add3_u32 v6, v6, v8, s12
	v_lshrrev_b32_e32 v8, 20, v6
	v_and_b32_e32 v6, 0xff00000, v6
	s_mov_b32 s12, 0x7f00000
	v_mov_b32_e32 v9, 0x7e
	v_cmp_ne_u32_e32 vcc, s12, v6
	v_cndmask_b32_e32 v8, v9, v8, vcc
                                        ; implicit-def: $vgpr6
; %bb.1675:
	s_andn2_saveexec_b64 s[10:11], s[10:11]
; %bb.1676:
	v_add_f32_e32 v8, 0x46800000, v6
; %bb.1677:
	s_or_b64 exec, exec, s[10:11]
                                        ; implicit-def: $vgpr6
.LBB6_1678:
	s_andn2_saveexec_b64 s[2:3], s[2:3]
; %bb.1679:
	s_mov_b32 s10, 0x7f800000
	v_mov_b32_e32 v8, 0x7e
	v_mov_b32_e32 v9, 0x7f
	v_cmp_lt_u32_e32 vcc, s10, v6
	v_cndmask_b32_e32 v8, v8, v9, vcc
; %bb.1680:
	s_or_b64 exec, exec, s[2:3]
	global_store_byte v[0:1], v8, off
.LBB6_1681:
	s_mov_b64 s[2:3], 0
.LBB6_1682:
	s_andn2_b64 vcc, exec, s[2:3]
	s_cbranch_vccnz .LBB6_1692
; %bb.1683:
	v_cvt_f32_ubyte0_e32 v6, v5
	s_mov_b32 s2, 0x47800000
	v_cmp_gt_u32_e32 vcc, s2, v6
                                        ; implicit-def: $vgpr8
	s_and_saveexec_b64 s[2:3], vcc
	s_xor_b64 s[2:3], exec, s[2:3]
	s_cbranch_execz .LBB6_1689
; %bb.1684:
	s_mov_b32 s10, 0x387fffff
	v_cmp_lt_u32_e32 vcc, s10, v6
                                        ; implicit-def: $vgpr8
	s_and_saveexec_b64 s[10:11], vcc
	s_xor_b64 s[10:11], exec, s[10:11]
; %bb.1685:
	v_bfe_u32 v8, v6, 21, 1
	s_mov_b32 s12, 0x80fffff
	v_add3_u32 v6, v6, v8, s12
	v_lshrrev_b32_e32 v8, 21, v6
                                        ; implicit-def: $vgpr6
; %bb.1686:
	s_andn2_saveexec_b64 s[10:11], s[10:11]
; %bb.1687:
	v_add_f32_e32 v8, 0x43000000, v6
; %bb.1688:
	s_or_b64 exec, exec, s[10:11]
                                        ; implicit-def: $vgpr6
.LBB6_1689:
	s_andn2_saveexec_b64 s[2:3], s[2:3]
; %bb.1690:
	s_mov_b32 s10, 0x7f800000
	v_mov_b32_e32 v8, 0x7c
	v_mov_b32_e32 v9, 0x7f
	v_cmp_lt_u32_e32 vcc, s10, v6
	v_cndmask_b32_e32 v8, v8, v9, vcc
; %bb.1691:
	s_or_b64 exec, exec, s[2:3]
	global_store_byte v[0:1], v8, off
.LBB6_1692:
	s_mov_b64 s[2:3], 0
	s_mov_b64 s[10:11], -1
.LBB6_1693:
	s_andn2_b64 vcc, exec, s[2:3]
	s_mov_b64 s[2:3], 0
	s_cbranch_vccnz .LBB6_1700
; %bb.1694:
	s_cmp_gt_i32 s19, 14
	s_mov_b64 s[12:13], -1
	s_cbranch_scc0 .LBB6_1698
; %bb.1695:
	s_cmp_eq_u32 s19, 15
	s_mov_b64 s[0:1], -1
	s_cbranch_scc0 .LBB6_1697
; %bb.1696:
	v_cvt_f32_ubyte0_e32 v6, v5
	v_bfe_u32 v8, v6, 16, 1
	s_movk_i32 s0, 0x7fff
	v_add3_u32 v6, v6, v8, s0
	global_store_short_d16_hi v[0:1], v6, off
	s_mov_b64 s[0:1], 0
	s_mov_b64 s[10:11], -1
.LBB6_1697:
	s_mov_b64 s[12:13], 0
.LBB6_1698:
	s_and_b64 vcc, exec, s[12:13]
	s_cbranch_vccz .LBB6_1700
; %bb.1699:
	s_cmp_lg_u32 s19, 11
	s_mov_b64 s[2:3], -1
	s_cselect_b64 s[0:1], -1, 0
.LBB6_1700:
	s_and_b64 vcc, exec, s[0:1]
	s_cbranch_vccnz .LBB6_1994
; %bb.1701:
	s_andn2_b64 vcc, exec, s[2:3]
	s_cbranch_vccnz .LBB6_1703
.LBB6_1702:
	v_mov_b32_e32 v6, 0
	v_cmp_ne_u16_sdwa s[0:1], v5, v6 src0_sel:BYTE_0 src1_sel:DWORD
	v_cndmask_b32_e64 v6, 0, 1, s[0:1]
	s_mov_b64 s[10:11], -1
	global_store_byte v[0:1], v6, off
.LBB6_1703:
	s_mov_b64 s[0:1], 0
	s_branch .LBB6_1705
.LBB6_1704:
	s_mov_b64 s[0:1], -1
	s_mov_b64 s[10:11], 0
.LBB6_1705:
	s_and_b64 vcc, exec, s[0:1]
	s_cbranch_vccz .LBB6_1744
; %bb.1706:
	s_and_b32 s2, 0xffff, s20
	s_cmp_lt_i32 s2, 5
	s_mov_b64 s[0:1], -1
	s_cbranch_scc1 .LBB6_1727
; %bb.1707:
	s_cmp_lt_i32 s2, 8
	s_cbranch_scc1 .LBB6_1717
; %bb.1708:
	s_cmp_lt_i32 s2, 9
	s_cbranch_scc1 .LBB6_1714
; %bb.1709:
	s_cmp_gt_i32 s2, 9
	s_cbranch_scc0 .LBB6_1711
; %bb.1710:
	s_mov_b32 s0, 0xffff
	v_and_b32_sdwa v6, s0, v5 dst_sel:DWORD dst_unused:UNUSED_PAD src0_sel:DWORD src1_sel:BYTE_0
	v_cvt_f64_u32_e32 v[8:9], v6
	v_mov_b32_e32 v10, 0
	v_mov_b32_e32 v11, v10
	s_mov_b64 s[0:1], 0
	global_store_dwordx4 v[0:1], v[8:11], off
.LBB6_1711:
	s_andn2_b64 vcc, exec, s[0:1]
	s_cbranch_vccnz .LBB6_1713
; %bb.1712:
	v_cvt_f32_ubyte0_e32 v8, v5
	v_mov_b32_e32 v9, 0
	global_store_dwordx2 v[0:1], v[8:9], off
.LBB6_1713:
	s_mov_b64 s[0:1], 0
.LBB6_1714:
	s_andn2_b64 vcc, exec, s[0:1]
	s_cbranch_vccnz .LBB6_1716
; %bb.1715:
	v_cvt_f16_u16_sdwa v6, v5 dst_sel:DWORD dst_unused:UNUSED_PAD src0_sel:BYTE_0
	global_store_dword v[0:1], v6, off
.LBB6_1716:
	s_mov_b64 s[0:1], 0
.LBB6_1717:
	s_andn2_b64 vcc, exec, s[0:1]
	s_cbranch_vccnz .LBB6_1726
; %bb.1718:
	s_cmp_lt_i32 s2, 6
	s_mov_b64 s[0:1], -1
	s_cbranch_scc1 .LBB6_1724
; %bb.1719:
	s_cmp_gt_i32 s2, 6
	s_cbranch_scc0 .LBB6_1721
; %bb.1720:
	s_mov_b32 s0, 0xffff
	v_and_b32_sdwa v6, s0, v5 dst_sel:DWORD dst_unused:UNUSED_PAD src0_sel:DWORD src1_sel:BYTE_0
	v_cvt_f64_u32_e32 v[8:9], v6
	s_mov_b64 s[0:1], 0
	global_store_dwordx2 v[0:1], v[8:9], off
.LBB6_1721:
	s_andn2_b64 vcc, exec, s[0:1]
	s_cbranch_vccnz .LBB6_1723
; %bb.1722:
	v_cvt_f32_ubyte0_e32 v6, v5
	global_store_dword v[0:1], v6, off
.LBB6_1723:
	s_mov_b64 s[0:1], 0
.LBB6_1724:
	s_andn2_b64 vcc, exec, s[0:1]
	s_cbranch_vccnz .LBB6_1726
; %bb.1725:
	v_cvt_f16_u16_sdwa v6, v5 dst_sel:DWORD dst_unused:UNUSED_PAD src0_sel:BYTE_0
	global_store_short v[0:1], v6, off
.LBB6_1726:
	s_mov_b64 s[0:1], 0
.LBB6_1727:
	s_andn2_b64 vcc, exec, s[0:1]
	s_cbranch_vccnz .LBB6_1743
; %bb.1728:
	s_cmp_lt_i32 s2, 2
	s_mov_b64 s[0:1], -1
	s_cbranch_scc1 .LBB6_1738
; %bb.1729:
	s_cmp_lt_i32 s2, 3
	s_cbranch_scc1 .LBB6_1735
; %bb.1730:
	s_cmp_gt_i32 s2, 3
	s_cbranch_scc0 .LBB6_1732
; %bb.1731:
	v_and_b32_e32 v8, 0xff, v5
	v_mov_b32_e32 v9, 0
	global_store_dwordx2 v[0:1], v[8:9], off
	s_mov_b64 s[0:1], 0
.LBB6_1732:
	s_andn2_b64 vcc, exec, s[0:1]
	s_cbranch_vccnz .LBB6_1734
; %bb.1733:
	v_and_b32_e32 v6, 0xff, v5
	global_store_dword v[0:1], v6, off
.LBB6_1734:
	s_mov_b64 s[0:1], 0
.LBB6_1735:
	s_andn2_b64 vcc, exec, s[0:1]
	s_cbranch_vccnz .LBB6_1737
; %bb.1736:
	v_and_b32_e32 v6, 0xff, v5
	global_store_short v[0:1], v6, off
.LBB6_1737:
	s_mov_b64 s[0:1], 0
.LBB6_1738:
	s_andn2_b64 vcc, exec, s[0:1]
	s_cbranch_vccnz .LBB6_1743
; %bb.1739:
	s_cmp_gt_i32 s2, 0
	s_mov_b64 s[0:1], -1
	s_cbranch_scc0 .LBB6_1741
; %bb.1740:
	global_store_byte v[0:1], v5, off
	s_mov_b64 s[0:1], 0
.LBB6_1741:
	s_andn2_b64 vcc, exec, s[0:1]
	s_cbranch_vccnz .LBB6_1743
; %bb.1742:
	global_store_byte v[0:1], v5, off
.LBB6_1743:
	s_mov_b64 s[10:11], -1
.LBB6_1744:
	s_andn2_b64 vcc, exec, s[10:11]
	s_cbranch_vccnz .LBB6_1940
; %bb.1745:
	v_mov_b32_e32 v1, 8
	v_lshlrev_b32_sdwa v0, v2, v7 dst_sel:DWORD dst_unused:UNUSED_PAD src0_sel:DWORD src1_sel:BYTE_0
	v_cmp_lt_u16_sdwa vcc, v2, v1 src0_sel:BYTE_0 src1_sel:DWORD
	v_add_u32_e32 v4, s18, v4
	v_cndmask_b32_e32 v2, 0, v0, vcc
	v_ashrrev_i32_e32 v1, 31, v4
	v_mov_b32_e32 v5, s9
	v_add_co_u32_e32 v0, vcc, s8, v4
	s_cmp_lt_i32 s20, 11
	v_addc_co_u32_e32 v1, vcc, v5, v1, vcc
	s_cbranch_scc1 .LBB6_1823
; %bb.1746:
	s_and_b32 s19, 0xffff, s20
	s_mov_b64 s[12:13], -1
	s_mov_b64 s[2:3], 0
	s_cmp_gt_i32 s19, 25
	s_mov_b64 s[10:11], 0
	s_mov_b64 s[0:1], 0
	s_cbranch_scc0 .LBB6_1779
; %bb.1747:
	s_cmp_gt_i32 s19, 28
	s_cbranch_scc0 .LBB6_1762
; %bb.1748:
	s_cmp_gt_i32 s19, 43
	;; [unrolled: 3-line block ×3, first 2 shown]
	s_cbranch_scc0 .LBB6_1752
; %bb.1750:
	s_mov_b64 s[0:1], -1
	s_mov_b64 s[12:13], 0
	s_cmp_eq_u32 s19, 46
	s_cbranch_scc0 .LBB6_1752
; %bb.1751:
	v_cvt_f32_ubyte0_e32 v5, v2
	v_bfe_u32 v6, v5, 16, 1
	s_movk_i32 s0, 0x7fff
	v_add3_u32 v5, v5, v6, s0
	v_lshrrev_b32_e32 v5, 16, v5
	global_store_dword v[0:1], v5, off
	s_mov_b64 s[0:1], 0
	s_mov_b64 s[10:11], -1
.LBB6_1752:
	s_and_b64 vcc, exec, s[12:13]
	s_cbranch_vccz .LBB6_1757
; %bb.1753:
	s_cmp_eq_u32 s19, 44
	s_mov_b64 s[0:1], -1
	s_cbranch_scc0 .LBB6_1757
; %bb.1754:
	v_cvt_f32_ubyte0_e32 v6, v2
	v_lshrrev_b32_e32 v5, 23, v6
	s_movk_i32 s0, 0xff
	v_cmp_ne_u32_e32 vcc, s0, v5
	v_mov_b32_e32 v8, 0xff
	s_and_saveexec_b64 s[10:11], vcc
; %bb.1755:
	s_mov_b32 s0, 0x3fffff
	v_and_b32_e32 v8, 0x400000, v6
	v_and_or_b32 v6, v6, s0, v5
	v_cmp_ne_u32_e32 vcc, 0, v8
	v_cmp_ne_u32_e64 s[0:1], 0, v6
	s_and_b64 s[0:1], vcc, s[0:1]
	v_cndmask_b32_e64 v6, 0, 1, s[0:1]
	v_add_u32_e32 v8, v5, v6
; %bb.1756:
	s_or_b64 exec, exec, s[10:11]
	s_mov_b64 s[0:1], 0
	s_mov_b64 s[10:11], -1
	global_store_byte v[0:1], v8, off
.LBB6_1757:
	s_mov_b64 s[12:13], 0
.LBB6_1758:
	s_and_b64 vcc, exec, s[12:13]
	s_cbranch_vccz .LBB6_1761
; %bb.1759:
	s_cmp_eq_u32 s19, 29
	s_mov_b64 s[0:1], -1
	s_cbranch_scc0 .LBB6_1761
; %bb.1760:
	v_and_b32_e32 v5, 0xff, v2
	v_mov_b32_e32 v6, 0
	global_store_dwordx2 v[0:1], v[5:6], off
	s_mov_b64 s[0:1], 0
	s_mov_b64 s[10:11], -1
.LBB6_1761:
	s_mov_b64 s[12:13], 0
.LBB6_1762:
	s_and_b64 vcc, exec, s[12:13]
	s_cbranch_vccz .LBB6_1778
; %bb.1763:
	s_cmp_lt_i32 s19, 27
	s_mov_b64 s[10:11], -1
	s_cbranch_scc1 .LBB6_1769
; %bb.1764:
	s_cmp_gt_i32 s19, 27
	s_cbranch_scc0 .LBB6_1766
; %bb.1765:
	v_and_b32_e32 v5, 0xff, v2
	s_mov_b64 s[10:11], 0
	global_store_dword v[0:1], v5, off
.LBB6_1766:
	s_andn2_b64 vcc, exec, s[10:11]
	s_cbranch_vccnz .LBB6_1768
; %bb.1767:
	v_and_b32_e32 v5, 0xff, v2
	global_store_short v[0:1], v5, off
.LBB6_1768:
	s_mov_b64 s[10:11], 0
.LBB6_1769:
	s_andn2_b64 vcc, exec, s[10:11]
	s_cbranch_vccnz .LBB6_1777
; %bb.1770:
	v_cvt_f32_ubyte0_e32 v6, v2
	s_mov_b32 s10, 0x43800000
	v_cmp_gt_u32_e32 vcc, s10, v6
	v_mov_b32_e32 v8, 0x80
	s_and_saveexec_b64 s[10:11], vcc
	s_cbranch_execz .LBB6_1776
; %bb.1771:
	s_mov_b32 s12, 0x3bffffff
	v_cmp_lt_u32_e32 vcc, s12, v6
	s_mov_b64 s[12:13], 0
                                        ; implicit-def: $vgpr5
	s_and_saveexec_b64 s[16:17], vcc
	s_xor_b64 s[16:17], exec, s[16:17]
	s_cbranch_execz .LBB6_1997
; %bb.1772:
	v_bfe_u32 v5, v6, 20, 1
	s_mov_b32 s21, 0x487ffff
	v_add3_u32 v5, v6, v5, s21
	s_mov_b64 s[12:13], exec
	v_lshrrev_b32_e32 v5, 20, v5
                                        ; implicit-def: $vgpr6
	s_andn2_saveexec_b64 s[16:17], s[16:17]
	s_cbranch_execnz .LBB6_1998
.LBB6_1773:
	s_or_b64 exec, exec, s[16:17]
	v_mov_b32_e32 v8, 0
	s_and_saveexec_b64 s[16:17], s[12:13]
.LBB6_1774:
	v_mov_b32_e32 v8, v5
.LBB6_1775:
	s_or_b64 exec, exec, s[16:17]
.LBB6_1776:
	s_or_b64 exec, exec, s[10:11]
	global_store_byte v[0:1], v8, off
.LBB6_1777:
	s_mov_b64 s[10:11], -1
.LBB6_1778:
	s_mov_b64 s[12:13], 0
.LBB6_1779:
	s_and_b64 vcc, exec, s[12:13]
	s_cbranch_vccz .LBB6_1819
; %bb.1780:
	s_cmp_gt_i32 s19, 22
	s_mov_b64 s[2:3], -1
	s_cbranch_scc0 .LBB6_1812
; %bb.1781:
	s_cmp_lt_i32 s19, 24
	s_cbranch_scc1 .LBB6_1801
; %bb.1782:
	s_cmp_gt_i32 s19, 24
	s_cbranch_scc0 .LBB6_1790
; %bb.1783:
	v_cvt_f32_ubyte0_e32 v6, v2
	s_mov_b32 s2, 0x47800000
	v_cmp_gt_u32_e32 vcc, s2, v6
	v_mov_b32_e32 v8, 0x80
	s_and_saveexec_b64 s[2:3], vcc
	s_cbranch_execz .LBB6_1789
; %bb.1784:
	s_mov_b32 s10, 0x37ffffff
	v_cmp_lt_u32_e32 vcc, s10, v6
	s_mov_b64 s[10:11], 0
                                        ; implicit-def: $vgpr5
	s_and_saveexec_b64 s[12:13], vcc
	s_xor_b64 s[12:13], exec, s[12:13]
	s_cbranch_execz .LBB6_2000
; %bb.1785:
	v_bfe_u32 v5, v6, 21, 1
	s_mov_b32 s16, 0x88fffff
	v_add3_u32 v5, v6, v5, s16
	s_mov_b64 s[10:11], exec
	v_lshrrev_b32_e32 v5, 21, v5
                                        ; implicit-def: $vgpr6
	s_andn2_saveexec_b64 s[12:13], s[12:13]
	s_cbranch_execnz .LBB6_2001
.LBB6_1786:
	s_or_b64 exec, exec, s[12:13]
	v_mov_b32_e32 v8, 0
	s_and_saveexec_b64 s[12:13], s[10:11]
.LBB6_1787:
	v_mov_b32_e32 v8, v5
.LBB6_1788:
	s_or_b64 exec, exec, s[12:13]
.LBB6_1789:
	s_or_b64 exec, exec, s[2:3]
	s_mov_b64 s[2:3], 0
	global_store_byte v[0:1], v8, off
.LBB6_1790:
	s_and_b64 vcc, exec, s[2:3]
	s_cbranch_vccz .LBB6_1800
; %bb.1791:
	v_cvt_f32_ubyte0_e32 v5, v2
	s_mov_b32 s2, 0x43f00000
	v_cmp_gt_u32_e32 vcc, s2, v5
                                        ; implicit-def: $vgpr6
	s_and_saveexec_b64 s[2:3], vcc
	s_xor_b64 s[2:3], exec, s[2:3]
	s_cbranch_execz .LBB6_1797
; %bb.1792:
	s_mov_b32 s10, 0x3c7fffff
	v_cmp_lt_u32_e32 vcc, s10, v5
                                        ; implicit-def: $vgpr6
	s_and_saveexec_b64 s[10:11], vcc
	s_xor_b64 s[10:11], exec, s[10:11]
; %bb.1793:
	v_bfe_u32 v6, v5, 20, 1
	s_mov_b32 s12, 0x407ffff
	v_add3_u32 v5, v5, v6, s12
	v_lshrrev_b32_e32 v6, 20, v5
	v_and_b32_e32 v5, 0xff00000, v5
	s_mov_b32 s12, 0x7f00000
	v_mov_b32_e32 v8, 0x7e
	v_cmp_ne_u32_e32 vcc, s12, v5
	v_cndmask_b32_e32 v6, v8, v6, vcc
                                        ; implicit-def: $vgpr5
; %bb.1794:
	s_andn2_saveexec_b64 s[10:11], s[10:11]
; %bb.1795:
	v_add_f32_e32 v6, 0x46800000, v5
; %bb.1796:
	s_or_b64 exec, exec, s[10:11]
                                        ; implicit-def: $vgpr5
.LBB6_1797:
	s_andn2_saveexec_b64 s[2:3], s[2:3]
; %bb.1798:
	s_mov_b32 s10, 0x7f800000
	v_mov_b32_e32 v6, 0x7e
	v_mov_b32_e32 v8, 0x7f
	v_cmp_lt_u32_e32 vcc, s10, v5
	v_cndmask_b32_e32 v6, v6, v8, vcc
; %bb.1799:
	s_or_b64 exec, exec, s[2:3]
	global_store_byte v[0:1], v6, off
.LBB6_1800:
	s_mov_b64 s[2:3], 0
.LBB6_1801:
	s_andn2_b64 vcc, exec, s[2:3]
	s_cbranch_vccnz .LBB6_1811
; %bb.1802:
	v_cvt_f32_ubyte0_e32 v5, v2
	s_mov_b32 s2, 0x47800000
	v_cmp_gt_u32_e32 vcc, s2, v5
                                        ; implicit-def: $vgpr6
	s_and_saveexec_b64 s[2:3], vcc
	s_xor_b64 s[2:3], exec, s[2:3]
	s_cbranch_execz .LBB6_1808
; %bb.1803:
	s_mov_b32 s10, 0x387fffff
	v_cmp_lt_u32_e32 vcc, s10, v5
                                        ; implicit-def: $vgpr6
	s_and_saveexec_b64 s[10:11], vcc
	s_xor_b64 s[10:11], exec, s[10:11]
; %bb.1804:
	v_bfe_u32 v6, v5, 21, 1
	s_mov_b32 s12, 0x80fffff
	v_add3_u32 v5, v5, v6, s12
	v_lshrrev_b32_e32 v6, 21, v5
                                        ; implicit-def: $vgpr5
; %bb.1805:
	s_andn2_saveexec_b64 s[10:11], s[10:11]
; %bb.1806:
	v_add_f32_e32 v6, 0x43000000, v5
; %bb.1807:
	s_or_b64 exec, exec, s[10:11]
                                        ; implicit-def: $vgpr5
.LBB6_1808:
	s_andn2_saveexec_b64 s[2:3], s[2:3]
; %bb.1809:
	s_mov_b32 s10, 0x7f800000
	v_mov_b32_e32 v6, 0x7c
	v_mov_b32_e32 v8, 0x7f
	v_cmp_lt_u32_e32 vcc, s10, v5
	v_cndmask_b32_e32 v6, v6, v8, vcc
; %bb.1810:
	s_or_b64 exec, exec, s[2:3]
	global_store_byte v[0:1], v6, off
.LBB6_1811:
	s_mov_b64 s[2:3], 0
	s_mov_b64 s[10:11], -1
.LBB6_1812:
	s_andn2_b64 vcc, exec, s[2:3]
	s_mov_b64 s[2:3], 0
	s_cbranch_vccnz .LBB6_1819
; %bb.1813:
	s_cmp_gt_i32 s19, 14
	s_mov_b64 s[12:13], -1
	s_cbranch_scc0 .LBB6_1817
; %bb.1814:
	s_cmp_eq_u32 s19, 15
	s_mov_b64 s[0:1], -1
	s_cbranch_scc0 .LBB6_1816
; %bb.1815:
	v_cvt_f32_ubyte0_e32 v5, v2
	v_bfe_u32 v6, v5, 16, 1
	s_movk_i32 s0, 0x7fff
	v_add3_u32 v5, v5, v6, s0
	global_store_short_d16_hi v[0:1], v5, off
	s_mov_b64 s[0:1], 0
	s_mov_b64 s[10:11], -1
.LBB6_1816:
	s_mov_b64 s[12:13], 0
.LBB6_1817:
	s_and_b64 vcc, exec, s[12:13]
	s_cbranch_vccz .LBB6_1819
; %bb.1818:
	s_cmp_lg_u32 s19, 11
	s_mov_b64 s[2:3], -1
	s_cselect_b64 s[0:1], -1, 0
.LBB6_1819:
	s_and_b64 vcc, exec, s[0:1]
	s_cbranch_vccnz .LBB6_1999
; %bb.1820:
	s_andn2_b64 vcc, exec, s[2:3]
	s_cbranch_vccnz .LBB6_1822
.LBB6_1821:
	v_mov_b32_e32 v5, 0
	v_cmp_ne_u16_sdwa s[0:1], v2, v5 src0_sel:BYTE_0 src1_sel:DWORD
	v_cndmask_b32_e64 v5, 0, 1, s[0:1]
	s_mov_b64 s[10:11], -1
	global_store_byte v[0:1], v5, off
.LBB6_1822:
	s_mov_b64 s[0:1], 0
	s_branch .LBB6_1824
.LBB6_1823:
	s_mov_b64 s[0:1], -1
	s_mov_b64 s[10:11], 0
.LBB6_1824:
	s_and_b64 vcc, exec, s[0:1]
	s_cbranch_vccz .LBB6_1863
; %bb.1825:
	s_and_b32 s2, 0xffff, s20
	s_cmp_lt_i32 s2, 5
	s_mov_b64 s[0:1], -1
	s_cbranch_scc1 .LBB6_1846
; %bb.1826:
	s_cmp_lt_i32 s2, 8
	s_cbranch_scc1 .LBB6_1836
; %bb.1827:
	s_cmp_lt_i32 s2, 9
	s_cbranch_scc1 .LBB6_1833
; %bb.1828:
	s_cmp_gt_i32 s2, 9
	s_cbranch_scc0 .LBB6_1830
; %bb.1829:
	s_mov_b32 s0, 0xffff
	v_and_b32_sdwa v5, s0, v2 dst_sel:DWORD dst_unused:UNUSED_PAD src0_sel:DWORD src1_sel:BYTE_0
	v_cvt_f64_u32_e32 v[8:9], v5
	v_mov_b32_e32 v10, 0
	v_mov_b32_e32 v11, v10
	s_mov_b64 s[0:1], 0
	global_store_dwordx4 v[0:1], v[8:11], off
.LBB6_1830:
	s_andn2_b64 vcc, exec, s[0:1]
	s_cbranch_vccnz .LBB6_1832
; %bb.1831:
	v_cvt_f32_ubyte0_e32 v5, v2
	v_mov_b32_e32 v6, 0
	global_store_dwordx2 v[0:1], v[5:6], off
.LBB6_1832:
	s_mov_b64 s[0:1], 0
.LBB6_1833:
	s_andn2_b64 vcc, exec, s[0:1]
	s_cbranch_vccnz .LBB6_1835
; %bb.1834:
	v_cvt_f16_u16_sdwa v5, v2 dst_sel:DWORD dst_unused:UNUSED_PAD src0_sel:BYTE_0
	global_store_dword v[0:1], v5, off
.LBB6_1835:
	s_mov_b64 s[0:1], 0
.LBB6_1836:
	s_andn2_b64 vcc, exec, s[0:1]
	s_cbranch_vccnz .LBB6_1845
; %bb.1837:
	s_cmp_lt_i32 s2, 6
	s_mov_b64 s[0:1], -1
	s_cbranch_scc1 .LBB6_1843
; %bb.1838:
	s_cmp_gt_i32 s2, 6
	s_cbranch_scc0 .LBB6_1840
; %bb.1839:
	s_mov_b32 s0, 0xffff
	v_and_b32_sdwa v5, s0, v2 dst_sel:DWORD dst_unused:UNUSED_PAD src0_sel:DWORD src1_sel:BYTE_0
	v_cvt_f64_u32_e32 v[5:6], v5
	s_mov_b64 s[0:1], 0
	global_store_dwordx2 v[0:1], v[5:6], off
.LBB6_1840:
	s_andn2_b64 vcc, exec, s[0:1]
	s_cbranch_vccnz .LBB6_1842
; %bb.1841:
	v_cvt_f32_ubyte0_e32 v5, v2
	global_store_dword v[0:1], v5, off
.LBB6_1842:
	s_mov_b64 s[0:1], 0
.LBB6_1843:
	s_andn2_b64 vcc, exec, s[0:1]
	s_cbranch_vccnz .LBB6_1845
; %bb.1844:
	v_cvt_f16_u16_sdwa v5, v2 dst_sel:DWORD dst_unused:UNUSED_PAD src0_sel:BYTE_0
	global_store_short v[0:1], v5, off
.LBB6_1845:
	s_mov_b64 s[0:1], 0
.LBB6_1846:
	s_andn2_b64 vcc, exec, s[0:1]
	s_cbranch_vccnz .LBB6_1862
; %bb.1847:
	s_cmp_lt_i32 s2, 2
	s_mov_b64 s[0:1], -1
	s_cbranch_scc1 .LBB6_1857
; %bb.1848:
	s_cmp_lt_i32 s2, 3
	s_cbranch_scc1 .LBB6_1854
; %bb.1849:
	s_cmp_gt_i32 s2, 3
	s_cbranch_scc0 .LBB6_1851
; %bb.1850:
	v_and_b32_e32 v5, 0xff, v2
	v_mov_b32_e32 v6, 0
	global_store_dwordx2 v[0:1], v[5:6], off
	s_mov_b64 s[0:1], 0
.LBB6_1851:
	s_andn2_b64 vcc, exec, s[0:1]
	s_cbranch_vccnz .LBB6_1853
; %bb.1852:
	v_and_b32_e32 v5, 0xff, v2
	global_store_dword v[0:1], v5, off
.LBB6_1853:
	s_mov_b64 s[0:1], 0
.LBB6_1854:
	s_andn2_b64 vcc, exec, s[0:1]
	s_cbranch_vccnz .LBB6_1856
; %bb.1855:
	v_and_b32_e32 v5, 0xff, v2
	global_store_short v[0:1], v5, off
.LBB6_1856:
	s_mov_b64 s[0:1], 0
.LBB6_1857:
	s_andn2_b64 vcc, exec, s[0:1]
	s_cbranch_vccnz .LBB6_1862
; %bb.1858:
	s_cmp_gt_i32 s2, 0
	s_mov_b64 s[0:1], -1
	s_cbranch_scc0 .LBB6_1860
; %bb.1859:
	global_store_byte v[0:1], v2, off
	s_mov_b64 s[0:1], 0
.LBB6_1860:
	s_andn2_b64 vcc, exec, s[0:1]
	s_cbranch_vccnz .LBB6_1862
; %bb.1861:
	global_store_byte v[0:1], v2, off
.LBB6_1862:
	s_mov_b64 s[10:11], -1
.LBB6_1863:
	s_andn2_b64 vcc, exec, s[10:11]
	s_cbranch_vccnz .LBB6_1940
; %bb.1864:
	v_mov_b32_e32 v1, 8
	v_lshlrev_b32_sdwa v0, v3, v7 dst_sel:DWORD dst_unused:UNUSED_PAD src0_sel:DWORD src1_sel:BYTE_0
	v_cmp_lt_u16_sdwa vcc, v3, v1 src0_sel:BYTE_0 src1_sel:DWORD
	v_cndmask_b32_e32 v2, 0, v0, vcc
	v_add_u32_e32 v0, s18, v4
	v_ashrrev_i32_e32 v1, 31, v0
	v_mov_b32_e32 v3, s9
	v_add_co_u32_e32 v0, vcc, s8, v0
	s_cmp_lt_i32 s20, 11
	v_addc_co_u32_e32 v1, vcc, v3, v1, vcc
	s_cbranch_scc1 .LBB6_1985
; %bb.1865:
	s_and_b32 s16, 0xffff, s20
	s_mov_b64 s[8:9], -1
	s_mov_b64 s[2:3], 0
	s_cmp_gt_i32 s16, 25
	s_mov_b64 s[0:1], 0
	s_cbranch_scc0 .LBB6_1898
; %bb.1866:
	s_cmp_gt_i32 s16, 28
	s_cbranch_scc0 .LBB6_1882
; %bb.1867:
	s_cmp_gt_i32 s16, 43
	;; [unrolled: 3-line block ×3, first 2 shown]
	s_cbranch_scc0 .LBB6_1872
; %bb.1869:
	s_cmp_eq_u32 s16, 46
	s_mov_b64 s[0:1], -1
	s_cbranch_scc0 .LBB6_1871
; %bb.1870:
	v_cvt_f32_ubyte0_e32 v3, v2
	v_bfe_u32 v4, v3, 16, 1
	s_movk_i32 s0, 0x7fff
	v_add3_u32 v3, v3, v4, s0
	v_lshrrev_b32_e32 v3, 16, v3
	global_store_dword v[0:1], v3, off
	s_mov_b64 s[0:1], 0
.LBB6_1871:
	s_mov_b64 s[8:9], 0
.LBB6_1872:
	s_and_b64 vcc, exec, s[8:9]
	s_cbranch_vccz .LBB6_1877
; %bb.1873:
	s_cmp_eq_u32 s16, 44
	s_mov_b64 s[0:1], -1
	s_cbranch_scc0 .LBB6_1877
; %bb.1874:
	v_cvt_f32_ubyte0_e32 v4, v2
	v_lshrrev_b32_e32 v3, 23, v4
	s_movk_i32 s0, 0xff
	v_cmp_ne_u32_e32 vcc, s0, v3
	v_mov_b32_e32 v5, 0xff
	s_and_saveexec_b64 s[8:9], vcc
; %bb.1875:
	s_mov_b32 s0, 0x3fffff
	v_and_b32_e32 v5, 0x400000, v4
	v_and_or_b32 v4, v4, s0, v3
	v_cmp_ne_u32_e32 vcc, 0, v5
	v_cmp_ne_u32_e64 s[0:1], 0, v4
	s_and_b64 s[0:1], vcc, s[0:1]
	v_cndmask_b32_e64 v4, 0, 1, s[0:1]
	v_add_u32_e32 v5, v3, v4
; %bb.1876:
	s_or_b64 exec, exec, s[8:9]
	s_mov_b64 s[0:1], 0
	global_store_byte v[0:1], v5, off
.LBB6_1877:
	s_mov_b64 s[8:9], 0
.LBB6_1878:
	s_and_b64 vcc, exec, s[8:9]
	s_cbranch_vccz .LBB6_1881
; %bb.1879:
	s_cmp_eq_u32 s16, 29
	s_mov_b64 s[0:1], -1
	s_cbranch_scc0 .LBB6_1881
; %bb.1880:
	v_and_b32_e32 v3, 0xff, v2
	v_mov_b32_e32 v4, 0
	global_store_dwordx2 v[0:1], v[3:4], off
	s_mov_b64 s[0:1], 0
.LBB6_1881:
	s_mov_b64 s[8:9], 0
.LBB6_1882:
	s_and_b64 vcc, exec, s[8:9]
	s_cbranch_vccz .LBB6_1897
; %bb.1883:
	s_cmp_lt_i32 s16, 27
	s_mov_b64 s[8:9], -1
	s_cbranch_scc1 .LBB6_1889
; %bb.1884:
	s_cmp_gt_i32 s16, 27
	s_cbranch_scc0 .LBB6_1886
; %bb.1885:
	v_and_b32_e32 v3, 0xff, v2
	global_store_dword v[0:1], v3, off
	s_mov_b64 s[8:9], 0
.LBB6_1886:
	s_andn2_b64 vcc, exec, s[8:9]
	s_cbranch_vccnz .LBB6_1888
; %bb.1887:
	v_and_b32_e32 v3, 0xff, v2
	global_store_short v[0:1], v3, off
.LBB6_1888:
	s_mov_b64 s[8:9], 0
.LBB6_1889:
	s_andn2_b64 vcc, exec, s[8:9]
	s_cbranch_vccnz .LBB6_1897
; %bb.1890:
	v_cvt_f32_ubyte0_e32 v4, v2
	s_mov_b32 s8, 0x43800000
	v_cmp_gt_u32_e32 vcc, s8, v4
	v_mov_b32_e32 v5, 0x80
	s_and_saveexec_b64 s[8:9], vcc
	s_cbranch_execz .LBB6_1896
; %bb.1891:
	s_mov_b32 s10, 0x3bffffff
	v_cmp_lt_u32_e32 vcc, s10, v4
	s_mov_b64 s[10:11], 0
                                        ; implicit-def: $vgpr3
	s_and_saveexec_b64 s[12:13], vcc
	s_xor_b64 s[12:13], exec, s[12:13]
	s_cbranch_execz .LBB6_2002
; %bb.1892:
	v_bfe_u32 v3, v4, 20, 1
	s_mov_b32 s17, 0x487ffff
	v_add3_u32 v3, v4, v3, s17
	s_mov_b64 s[10:11], exec
	v_lshrrev_b32_e32 v3, 20, v3
                                        ; implicit-def: $vgpr4
	s_andn2_saveexec_b64 s[12:13], s[12:13]
	s_cbranch_execnz .LBB6_2003
.LBB6_1893:
	s_or_b64 exec, exec, s[12:13]
	v_mov_b32_e32 v5, 0
	s_and_saveexec_b64 s[12:13], s[10:11]
.LBB6_1894:
	v_mov_b32_e32 v5, v3
.LBB6_1895:
	s_or_b64 exec, exec, s[12:13]
.LBB6_1896:
	s_or_b64 exec, exec, s[8:9]
	global_store_byte v[0:1], v5, off
.LBB6_1897:
	s_mov_b64 s[8:9], 0
.LBB6_1898:
	s_and_b64 vcc, exec, s[8:9]
	s_cbranch_vccz .LBB6_1938
; %bb.1899:
	s_cmp_gt_i32 s16, 22
	s_mov_b64 s[2:3], -1
	s_cbranch_scc0 .LBB6_1931
; %bb.1900:
	s_cmp_lt_i32 s16, 24
	s_cbranch_scc1 .LBB6_1920
; %bb.1901:
	s_cmp_gt_i32 s16, 24
	s_cbranch_scc0 .LBB6_1909
; %bb.1902:
	v_cvt_f32_ubyte0_e32 v4, v2
	s_mov_b32 s2, 0x47800000
	v_cmp_gt_u32_e32 vcc, s2, v4
	v_mov_b32_e32 v5, 0x80
	s_and_saveexec_b64 s[2:3], vcc
	s_cbranch_execz .LBB6_1908
; %bb.1903:
	s_mov_b32 s8, 0x37ffffff
	v_cmp_lt_u32_e32 vcc, s8, v4
	s_mov_b64 s[8:9], 0
                                        ; implicit-def: $vgpr3
	s_and_saveexec_b64 s[10:11], vcc
	s_xor_b64 s[10:11], exec, s[10:11]
	s_cbranch_execz .LBB6_2005
; %bb.1904:
	v_bfe_u32 v3, v4, 21, 1
	s_mov_b32 s12, 0x88fffff
	v_add3_u32 v3, v4, v3, s12
	s_mov_b64 s[8:9], exec
	v_lshrrev_b32_e32 v3, 21, v3
                                        ; implicit-def: $vgpr4
	s_andn2_saveexec_b64 s[10:11], s[10:11]
	s_cbranch_execnz .LBB6_2006
.LBB6_1905:
	s_or_b64 exec, exec, s[10:11]
	v_mov_b32_e32 v5, 0
	s_and_saveexec_b64 s[10:11], s[8:9]
.LBB6_1906:
	v_mov_b32_e32 v5, v3
.LBB6_1907:
	s_or_b64 exec, exec, s[10:11]
.LBB6_1908:
	s_or_b64 exec, exec, s[2:3]
	s_mov_b64 s[2:3], 0
	global_store_byte v[0:1], v5, off
.LBB6_1909:
	s_and_b64 vcc, exec, s[2:3]
	s_cbranch_vccz .LBB6_1919
; %bb.1910:
	v_cvt_f32_ubyte0_e32 v3, v2
	s_mov_b32 s2, 0x43f00000
	v_cmp_gt_u32_e32 vcc, s2, v3
                                        ; implicit-def: $vgpr4
	s_and_saveexec_b64 s[2:3], vcc
	s_xor_b64 s[2:3], exec, s[2:3]
	s_cbranch_execz .LBB6_1916
; %bb.1911:
	s_mov_b32 s8, 0x3c7fffff
	v_cmp_lt_u32_e32 vcc, s8, v3
                                        ; implicit-def: $vgpr4
	s_and_saveexec_b64 s[8:9], vcc
	s_xor_b64 s[8:9], exec, s[8:9]
; %bb.1912:
	v_bfe_u32 v4, v3, 20, 1
	s_mov_b32 s10, 0x407ffff
	v_add3_u32 v3, v3, v4, s10
	v_lshrrev_b32_e32 v4, 20, v3
	v_and_b32_e32 v3, 0xff00000, v3
	s_mov_b32 s10, 0x7f00000
	v_mov_b32_e32 v5, 0x7e
	v_cmp_ne_u32_e32 vcc, s10, v3
	v_cndmask_b32_e32 v4, v5, v4, vcc
                                        ; implicit-def: $vgpr3
; %bb.1913:
	s_andn2_saveexec_b64 s[8:9], s[8:9]
; %bb.1914:
	v_add_f32_e32 v4, 0x46800000, v3
; %bb.1915:
	s_or_b64 exec, exec, s[8:9]
                                        ; implicit-def: $vgpr3
.LBB6_1916:
	s_andn2_saveexec_b64 s[2:3], s[2:3]
; %bb.1917:
	s_mov_b32 s8, 0x7f800000
	v_mov_b32_e32 v4, 0x7e
	v_mov_b32_e32 v5, 0x7f
	v_cmp_lt_u32_e32 vcc, s8, v3
	v_cndmask_b32_e32 v4, v4, v5, vcc
; %bb.1918:
	s_or_b64 exec, exec, s[2:3]
	global_store_byte v[0:1], v4, off
.LBB6_1919:
	s_mov_b64 s[2:3], 0
.LBB6_1920:
	s_andn2_b64 vcc, exec, s[2:3]
	s_cbranch_vccnz .LBB6_1930
; %bb.1921:
	v_cvt_f32_ubyte0_e32 v3, v2
	s_mov_b32 s2, 0x47800000
	v_cmp_gt_u32_e32 vcc, s2, v3
                                        ; implicit-def: $vgpr4
	s_and_saveexec_b64 s[2:3], vcc
	s_xor_b64 s[2:3], exec, s[2:3]
	s_cbranch_execz .LBB6_1927
; %bb.1922:
	s_mov_b32 s8, 0x387fffff
	v_cmp_lt_u32_e32 vcc, s8, v3
                                        ; implicit-def: $vgpr4
	s_and_saveexec_b64 s[8:9], vcc
	s_xor_b64 s[8:9], exec, s[8:9]
; %bb.1923:
	v_bfe_u32 v4, v3, 21, 1
	s_mov_b32 s10, 0x80fffff
	v_add3_u32 v3, v3, v4, s10
	v_lshrrev_b32_e32 v4, 21, v3
                                        ; implicit-def: $vgpr3
; %bb.1924:
	s_andn2_saveexec_b64 s[8:9], s[8:9]
; %bb.1925:
	v_add_f32_e32 v4, 0x43000000, v3
; %bb.1926:
	s_or_b64 exec, exec, s[8:9]
                                        ; implicit-def: $vgpr3
.LBB6_1927:
	s_andn2_saveexec_b64 s[2:3], s[2:3]
; %bb.1928:
	s_mov_b32 s8, 0x7f800000
	v_mov_b32_e32 v4, 0x7c
	v_mov_b32_e32 v5, 0x7f
	v_cmp_lt_u32_e32 vcc, s8, v3
	v_cndmask_b32_e32 v4, v4, v5, vcc
; %bb.1929:
	s_or_b64 exec, exec, s[2:3]
	global_store_byte v[0:1], v4, off
.LBB6_1930:
	s_mov_b64 s[2:3], 0
.LBB6_1931:
	s_andn2_b64 vcc, exec, s[2:3]
	s_mov_b64 s[2:3], 0
	s_cbranch_vccnz .LBB6_1938
; %bb.1932:
	s_cmp_gt_i32 s16, 14
	s_mov_b64 s[8:9], -1
	s_cbranch_scc0 .LBB6_1936
; %bb.1933:
	s_cmp_eq_u32 s16, 15
	s_mov_b64 s[0:1], -1
	s_cbranch_scc0 .LBB6_1935
; %bb.1934:
	v_cvt_f32_ubyte0_e32 v3, v2
	v_bfe_u32 v4, v3, 16, 1
	s_movk_i32 s0, 0x7fff
	v_add3_u32 v3, v3, v4, s0
	global_store_short_d16_hi v[0:1], v3, off
	s_mov_b64 s[0:1], 0
.LBB6_1935:
	s_mov_b64 s[8:9], 0
.LBB6_1936:
	s_and_b64 vcc, exec, s[8:9]
	s_cbranch_vccz .LBB6_1938
; %bb.1937:
	s_cmp_lg_u32 s16, 11
	s_mov_b64 s[2:3], -1
	s_cselect_b64 s[0:1], -1, 0
.LBB6_1938:
	s_and_b64 vcc, exec, s[0:1]
	s_cbranch_vccnz .LBB6_2004
.LBB6_1939:
	s_mov_b64 s[0:1], 0
	s_branch .LBB6_1941
.LBB6_1940:
	s_mov_b64 s[0:1], 0
	s_mov_b64 s[2:3], 0
                                        ; implicit-def: $sgpr20
                                        ; implicit-def: $vgpr0_vgpr1
                                        ; implicit-def: $vgpr2
.LBB6_1941:
	s_and_b64 s[12:13], s[2:3], exec
	s_andn2_b64 s[2:3], s[6:7], exec
	s_and_b64 s[6:7], s[14:15], exec
	s_and_b64 s[0:1], s[0:1], exec
	s_or_b64 s[6:7], s[2:3], s[6:7]
.LBB6_1942:
	s_or_b64 exec, exec, s[4:5]
	s_and_saveexec_b64 s[2:3], s[6:7]
	s_cbranch_execz .LBB6_1945
; %bb.1943:
	; divergent unreachable
	s_or_b64 exec, exec, s[2:3]
	s_and_saveexec_b64 s[2:3], s[12:13]
	s_xor_b64 s[2:3], exec, s[2:3]
	s_cbranch_execnz .LBB6_1946
.LBB6_1944:
	s_or_b64 exec, exec, s[2:3]
	s_and_saveexec_b64 s[2:3], s[0:1]
	s_cbranch_execnz .LBB6_1947
	s_branch .LBB6_1984
.LBB6_1945:
	s_or_b64 exec, exec, s[2:3]
	s_and_saveexec_b64 s[2:3], s[12:13]
	s_xor_b64 s[2:3], exec, s[2:3]
	s_cbranch_execz .LBB6_1944
.LBB6_1946:
	s_waitcnt vmcnt(0)
	v_mov_b32_e32 v3, 0
	v_cmp_ne_u16_sdwa s[4:5], v2, v3 src0_sel:BYTE_0 src1_sel:DWORD
	v_cndmask_b32_e64 v3, 0, 1, s[4:5]
	global_store_byte v[0:1], v3, off
	s_or_b64 exec, exec, s[2:3]
	s_and_saveexec_b64 s[2:3], s[0:1]
	s_cbranch_execz .LBB6_1984
.LBB6_1947:
	s_sext_i32_i16 s2, s20
	s_cmp_lt_i32 s2, 5
	s_mov_b64 s[0:1], -1
	s_cbranch_scc1 .LBB6_1968
; %bb.1948:
	s_cmp_lt_i32 s2, 8
	s_cbranch_scc1 .LBB6_1958
; %bb.1949:
	s_cmp_lt_i32 s2, 9
	s_cbranch_scc1 .LBB6_1955
; %bb.1950:
	s_cmp_gt_i32 s2, 9
	s_cbranch_scc0 .LBB6_1952
; %bb.1951:
	s_mov_b32 s0, 0xffff
	s_waitcnt vmcnt(0)
	v_and_b32_sdwa v3, s0, v2 dst_sel:DWORD dst_unused:UNUSED_PAD src0_sel:DWORD src1_sel:BYTE_0
	v_cvt_f64_u32_e32 v[3:4], v3
	v_mov_b32_e32 v5, 0
	v_mov_b32_e32 v6, v5
	s_mov_b64 s[0:1], 0
	global_store_dwordx4 v[0:1], v[3:6], off
.LBB6_1952:
	s_andn2_b64 vcc, exec, s[0:1]
	s_cbranch_vccnz .LBB6_1954
; %bb.1953:
	s_waitcnt vmcnt(0)
	v_cvt_f32_ubyte0_e32 v3, v2
	v_mov_b32_e32 v4, 0
	global_store_dwordx2 v[0:1], v[3:4], off
.LBB6_1954:
	s_mov_b64 s[0:1], 0
.LBB6_1955:
	s_andn2_b64 vcc, exec, s[0:1]
	s_cbranch_vccnz .LBB6_1957
; %bb.1956:
	s_waitcnt vmcnt(0)
	v_cvt_f16_u16_sdwa v3, v2 dst_sel:DWORD dst_unused:UNUSED_PAD src0_sel:BYTE_0
	global_store_dword v[0:1], v3, off
.LBB6_1957:
	s_mov_b64 s[0:1], 0
.LBB6_1958:
	s_andn2_b64 vcc, exec, s[0:1]
	s_cbranch_vccnz .LBB6_1967
; %bb.1959:
	s_sext_i32_i16 s2, s20
	s_cmp_lt_i32 s2, 6
	s_mov_b64 s[0:1], -1
	s_cbranch_scc1 .LBB6_1965
; %bb.1960:
	s_cmp_gt_i32 s2, 6
	s_cbranch_scc0 .LBB6_1962
; %bb.1961:
	s_mov_b32 s0, 0xffff
	s_waitcnt vmcnt(0)
	v_and_b32_sdwa v3, s0, v2 dst_sel:DWORD dst_unused:UNUSED_PAD src0_sel:DWORD src1_sel:BYTE_0
	v_cvt_f64_u32_e32 v[3:4], v3
	s_mov_b64 s[0:1], 0
	global_store_dwordx2 v[0:1], v[3:4], off
.LBB6_1962:
	s_andn2_b64 vcc, exec, s[0:1]
	s_cbranch_vccnz .LBB6_1964
; %bb.1963:
	s_waitcnt vmcnt(0)
	v_cvt_f32_ubyte0_e32 v3, v2
	global_store_dword v[0:1], v3, off
.LBB6_1964:
	s_mov_b64 s[0:1], 0
.LBB6_1965:
	s_andn2_b64 vcc, exec, s[0:1]
	s_cbranch_vccnz .LBB6_1967
; %bb.1966:
	s_waitcnt vmcnt(0)
	v_cvt_f16_u16_sdwa v3, v2 dst_sel:DWORD dst_unused:UNUSED_PAD src0_sel:BYTE_0
	global_store_short v[0:1], v3, off
.LBB6_1967:
	s_mov_b64 s[0:1], 0
.LBB6_1968:
	s_andn2_b64 vcc, exec, s[0:1]
	s_cbranch_vccnz .LBB6_1984
; %bb.1969:
	s_sext_i32_i16 s2, s20
	s_cmp_lt_i32 s2, 2
	s_mov_b64 s[0:1], -1
	s_cbranch_scc1 .LBB6_1979
; %bb.1970:
	s_cmp_lt_i32 s2, 3
	s_cbranch_scc1 .LBB6_1976
; %bb.1971:
	s_cmp_gt_i32 s2, 3
	s_cbranch_scc0 .LBB6_1973
; %bb.1972:
	s_waitcnt vmcnt(0)
	v_and_b32_e32 v3, 0xff, v2
	v_mov_b32_e32 v4, 0
	global_store_dwordx2 v[0:1], v[3:4], off
	s_mov_b64 s[0:1], 0
.LBB6_1973:
	s_andn2_b64 vcc, exec, s[0:1]
	s_cbranch_vccnz .LBB6_1975
; %bb.1974:
	s_waitcnt vmcnt(0)
	v_and_b32_e32 v3, 0xff, v2
	global_store_dword v[0:1], v3, off
.LBB6_1975:
	s_mov_b64 s[0:1], 0
.LBB6_1976:
	s_andn2_b64 vcc, exec, s[0:1]
	s_cbranch_vccnz .LBB6_1978
; %bb.1977:
	s_waitcnt vmcnt(0)
	v_and_b32_e32 v3, 0xff, v2
	global_store_short v[0:1], v3, off
.LBB6_1978:
	s_mov_b64 s[0:1], 0
.LBB6_1979:
	s_andn2_b64 vcc, exec, s[0:1]
	s_cbranch_vccnz .LBB6_1984
; %bb.1980:
	s_sext_i32_i16 s0, s20
	s_cmp_gt_i32 s0, 0
	s_mov_b64 s[0:1], -1
	s_cbranch_scc0 .LBB6_1982
; %bb.1981:
	s_waitcnt vmcnt(0)
	global_store_byte v[0:1], v2, off
	s_mov_b64 s[0:1], 0
.LBB6_1982:
	s_andn2_b64 vcc, exec, s[0:1]
	s_cbranch_vccnz .LBB6_1984
; %bb.1983:
	s_waitcnt vmcnt(0)
	global_store_byte v[0:1], v2, off
	s_endpgm
.LBB6_1984:
	s_endpgm
.LBB6_1985:
	s_mov_b64 s[2:3], 0
	s_mov_b64 s[0:1], -1
	s_branch .LBB6_1941
.LBB6_1986:
	s_trap 2
	s_or_b64 s[14:15], s[14:15], exec
	s_cbranch_execz .LBB6_1455
	s_branch .LBB6_1456
.LBB6_1987:
	s_andn2_saveexec_b64 s[18:19], s[18:19]
	s_cbranch_execz .LBB6_1535
.LBB6_1988:
	v_add_f32_e32 v8, 0x46000000, v9
	v_and_b32_e32 v8, 0xff, v8
	v_cmp_ne_u32_e32 vcc, 0, v8
	s_andn2_b64 s[16:17], s[16:17], exec
	s_and_b64 s[22:23], vcc, exec
	s_or_b64 s[16:17], s[16:17], s[22:23]
	s_or_b64 exec, exec, s[18:19]
	v_mov_b32_e32 v10, 0
	s_and_saveexec_b64 s[18:19], s[16:17]
	s_cbranch_execnz .LBB6_1536
	s_branch .LBB6_1537
.LBB6_1989:
	s_trap 2
	s_or_b64 s[14:15], s[14:15], exec
	s_cbranch_execz .LBB6_1583
	s_branch .LBB6_1584
.LBB6_1990:
	s_andn2_saveexec_b64 s[16:17], s[16:17]
	s_cbranch_execz .LBB6_1548
.LBB6_1991:
	v_add_f32_e32 v8, 0x42800000, v9
	v_and_b32_e32 v8, 0xff, v8
	v_cmp_ne_u32_e32 vcc, 0, v8
	s_andn2_b64 s[12:13], s[12:13], exec
	s_and_b64 s[18:19], vcc, exec
	s_or_b64 s[12:13], s[12:13], s[18:19]
	s_or_b64 exec, exec, s[16:17]
	v_mov_b32_e32 v10, 0
	s_and_saveexec_b64 s[16:17], s[12:13]
	s_cbranch_execnz .LBB6_1549
	s_branch .LBB6_1550
.LBB6_1992:
	s_andn2_saveexec_b64 s[16:17], s[16:17]
	s_cbranch_execz .LBB6_1654
.LBB6_1993:
	v_add_f32_e32 v6, 0x46000000, v8
	v_and_b32_e32 v6, 0xff, v6
	v_cmp_ne_u32_e32 vcc, 0, v6
	s_andn2_b64 s[12:13], s[12:13], exec
	s_and_b64 s[22:23], vcc, exec
	s_or_b64 s[12:13], s[12:13], s[22:23]
	s_or_b64 exec, exec, s[16:17]
	v_mov_b32_e32 v9, 0
	s_and_saveexec_b64 s[16:17], s[12:13]
	s_cbranch_execnz .LBB6_1655
	s_branch .LBB6_1656
.LBB6_1994:
	s_trap 2
	s_or_b64 s[14:15], s[14:15], exec
	s_cbranch_execz .LBB6_1702
	s_branch .LBB6_1703
.LBB6_1995:
	s_andn2_saveexec_b64 s[12:13], s[12:13]
	s_cbranch_execz .LBB6_1667
.LBB6_1996:
	v_add_f32_e32 v6, 0x42800000, v8
	v_and_b32_e32 v6, 0xff, v6
	v_cmp_ne_u32_e32 vcc, 0, v6
	s_andn2_b64 s[10:11], s[10:11], exec
	s_and_b64 s[16:17], vcc, exec
	s_or_b64 s[10:11], s[10:11], s[16:17]
	s_or_b64 exec, exec, s[12:13]
	v_mov_b32_e32 v9, 0
	s_and_saveexec_b64 s[12:13], s[10:11]
	s_cbranch_execnz .LBB6_1668
	s_branch .LBB6_1669
.LBB6_1997:
	s_andn2_saveexec_b64 s[16:17], s[16:17]
	s_cbranch_execz .LBB6_1773
.LBB6_1998:
	v_add_f32_e32 v5, 0x46000000, v6
	v_and_b32_e32 v5, 0xff, v5
	v_cmp_ne_u32_e32 vcc, 0, v5
	s_andn2_b64 s[12:13], s[12:13], exec
	s_and_b64 s[22:23], vcc, exec
	s_or_b64 s[12:13], s[12:13], s[22:23]
	s_or_b64 exec, exec, s[16:17]
	v_mov_b32_e32 v8, 0
	s_and_saveexec_b64 s[16:17], s[12:13]
	s_cbranch_execnz .LBB6_1774
	s_branch .LBB6_1775
.LBB6_1999:
	s_trap 2
	s_or_b64 s[14:15], s[14:15], exec
	s_cbranch_execz .LBB6_1821
	s_branch .LBB6_1822
.LBB6_2000:
	s_andn2_saveexec_b64 s[12:13], s[12:13]
	s_cbranch_execz .LBB6_1786
.LBB6_2001:
	v_add_f32_e32 v5, 0x42800000, v6
	v_and_b32_e32 v5, 0xff, v5
	v_cmp_ne_u32_e32 vcc, 0, v5
	s_andn2_b64 s[10:11], s[10:11], exec
	s_and_b64 s[16:17], vcc, exec
	s_or_b64 s[10:11], s[10:11], s[16:17]
	s_or_b64 exec, exec, s[12:13]
	v_mov_b32_e32 v8, 0
	s_and_saveexec_b64 s[12:13], s[10:11]
	s_cbranch_execnz .LBB6_1787
	s_branch .LBB6_1788
.LBB6_2002:
	s_andn2_saveexec_b64 s[12:13], s[12:13]
	s_cbranch_execz .LBB6_1893
.LBB6_2003:
	v_add_f32_e32 v3, 0x46000000, v4
	v_and_b32_e32 v3, 0xff, v3
	v_cmp_ne_u32_e32 vcc, 0, v3
	s_andn2_b64 s[10:11], s[10:11], exec
	s_and_b64 s[18:19], vcc, exec
	s_or_b64 s[10:11], s[10:11], s[18:19]
	s_or_b64 exec, exec, s[12:13]
	v_mov_b32_e32 v5, 0
	s_and_saveexec_b64 s[12:13], s[10:11]
	s_cbranch_execnz .LBB6_1894
	s_branch .LBB6_1895
.LBB6_2004:
	s_mov_b64 s[2:3], 0
	s_or_b64 s[14:15], s[14:15], exec
	s_trap 2
	s_branch .LBB6_1939
.LBB6_2005:
	s_andn2_saveexec_b64 s[10:11], s[10:11]
	s_cbranch_execz .LBB6_1905
.LBB6_2006:
	v_add_f32_e32 v3, 0x42800000, v4
	v_and_b32_e32 v3, 0xff, v3
	v_cmp_ne_u32_e32 vcc, 0, v3
	s_andn2_b64 s[8:9], s[8:9], exec
	s_and_b64 s[12:13], vcc, exec
	s_or_b64 s[8:9], s[8:9], s[12:13]
	s_or_b64 exec, exec, s[10:11]
	v_mov_b32_e32 v5, 0
	s_and_saveexec_b64 s[10:11], s[8:9]
	s_cbranch_execnz .LBB6_1906
	s_branch .LBB6_1907
	.section	.rodata,"a",@progbits
	.p2align	6, 0x0
	.amdhsa_kernel _ZN2at6native32elementwise_kernel_manual_unrollILi128ELi4EZNS0_15gpu_kernel_implINS0_13AUnaryFunctorIhhhZZZNS0_18lshift_kernel_cudaERNS_18TensorIteratorBaseEENKUlvE_clEvENKUlvE_clEvEUlhhE_EEEEvS5_RKT_EUlibE_EEviT1_
		.amdhsa_group_segment_fixed_size 0
		.amdhsa_private_segment_fixed_size 0
		.amdhsa_kernarg_size 40
		.amdhsa_user_sgpr_count 6
		.amdhsa_user_sgpr_private_segment_buffer 1
		.amdhsa_user_sgpr_dispatch_ptr 0
		.amdhsa_user_sgpr_queue_ptr 0
		.amdhsa_user_sgpr_kernarg_segment_ptr 1
		.amdhsa_user_sgpr_dispatch_id 0
		.amdhsa_user_sgpr_flat_scratch_init 0
		.amdhsa_user_sgpr_private_segment_size 0
		.amdhsa_uses_dynamic_stack 0
		.amdhsa_system_sgpr_private_segment_wavefront_offset 0
		.amdhsa_system_sgpr_workgroup_id_x 1
		.amdhsa_system_sgpr_workgroup_id_y 0
		.amdhsa_system_sgpr_workgroup_id_z 0
		.amdhsa_system_sgpr_workgroup_info 0
		.amdhsa_system_vgpr_workitem_id 0
		.amdhsa_next_free_vgpr 13
		.amdhsa_next_free_sgpr 46
		.amdhsa_reserve_vcc 1
		.amdhsa_reserve_flat_scratch 0
		.amdhsa_float_round_mode_32 0
		.amdhsa_float_round_mode_16_64 0
		.amdhsa_float_denorm_mode_32 3
		.amdhsa_float_denorm_mode_16_64 3
		.amdhsa_dx10_clamp 1
		.amdhsa_ieee_mode 1
		.amdhsa_fp16_overflow 0
		.amdhsa_exception_fp_ieee_invalid_op 0
		.amdhsa_exception_fp_denorm_src 0
		.amdhsa_exception_fp_ieee_div_zero 0
		.amdhsa_exception_fp_ieee_overflow 0
		.amdhsa_exception_fp_ieee_underflow 0
		.amdhsa_exception_fp_ieee_inexact 0
		.amdhsa_exception_int_div_zero 0
	.end_amdhsa_kernel
	.section	.text._ZN2at6native32elementwise_kernel_manual_unrollILi128ELi4EZNS0_15gpu_kernel_implINS0_13AUnaryFunctorIhhhZZZNS0_18lshift_kernel_cudaERNS_18TensorIteratorBaseEENKUlvE_clEvENKUlvE_clEvEUlhhE_EEEEvS5_RKT_EUlibE_EEviT1_,"axG",@progbits,_ZN2at6native32elementwise_kernel_manual_unrollILi128ELi4EZNS0_15gpu_kernel_implINS0_13AUnaryFunctorIhhhZZZNS0_18lshift_kernel_cudaERNS_18TensorIteratorBaseEENKUlvE_clEvENKUlvE_clEvEUlhhE_EEEEvS5_RKT_EUlibE_EEviT1_,comdat
.Lfunc_end6:
	.size	_ZN2at6native32elementwise_kernel_manual_unrollILi128ELi4EZNS0_15gpu_kernel_implINS0_13AUnaryFunctorIhhhZZZNS0_18lshift_kernel_cudaERNS_18TensorIteratorBaseEENKUlvE_clEvENKUlvE_clEvEUlhhE_EEEEvS5_RKT_EUlibE_EEviT1_, .Lfunc_end6-_ZN2at6native32elementwise_kernel_manual_unrollILi128ELi4EZNS0_15gpu_kernel_implINS0_13AUnaryFunctorIhhhZZZNS0_18lshift_kernel_cudaERNS_18TensorIteratorBaseEENKUlvE_clEvENKUlvE_clEvEUlhhE_EEEEvS5_RKT_EUlibE_EEviT1_
                                        ; -- End function
	.set _ZN2at6native32elementwise_kernel_manual_unrollILi128ELi4EZNS0_15gpu_kernel_implINS0_13AUnaryFunctorIhhhZZZNS0_18lshift_kernel_cudaERNS_18TensorIteratorBaseEENKUlvE_clEvENKUlvE_clEvEUlhhE_EEEEvS5_RKT_EUlibE_EEviT1_.num_vgpr, 13
	.set _ZN2at6native32elementwise_kernel_manual_unrollILi128ELi4EZNS0_15gpu_kernel_implINS0_13AUnaryFunctorIhhhZZZNS0_18lshift_kernel_cudaERNS_18TensorIteratorBaseEENKUlvE_clEvENKUlvE_clEvEUlhhE_EEEEvS5_RKT_EUlibE_EEviT1_.num_agpr, 0
	.set _ZN2at6native32elementwise_kernel_manual_unrollILi128ELi4EZNS0_15gpu_kernel_implINS0_13AUnaryFunctorIhhhZZZNS0_18lshift_kernel_cudaERNS_18TensorIteratorBaseEENKUlvE_clEvENKUlvE_clEvEUlhhE_EEEEvS5_RKT_EUlibE_EEviT1_.numbered_sgpr, 46
	.set _ZN2at6native32elementwise_kernel_manual_unrollILi128ELi4EZNS0_15gpu_kernel_implINS0_13AUnaryFunctorIhhhZZZNS0_18lshift_kernel_cudaERNS_18TensorIteratorBaseEENKUlvE_clEvENKUlvE_clEvEUlhhE_EEEEvS5_RKT_EUlibE_EEviT1_.num_named_barrier, 0
	.set _ZN2at6native32elementwise_kernel_manual_unrollILi128ELi4EZNS0_15gpu_kernel_implINS0_13AUnaryFunctorIhhhZZZNS0_18lshift_kernel_cudaERNS_18TensorIteratorBaseEENKUlvE_clEvENKUlvE_clEvEUlhhE_EEEEvS5_RKT_EUlibE_EEviT1_.private_seg_size, 0
	.set _ZN2at6native32elementwise_kernel_manual_unrollILi128ELi4EZNS0_15gpu_kernel_implINS0_13AUnaryFunctorIhhhZZZNS0_18lshift_kernel_cudaERNS_18TensorIteratorBaseEENKUlvE_clEvENKUlvE_clEvEUlhhE_EEEEvS5_RKT_EUlibE_EEviT1_.uses_vcc, 1
	.set _ZN2at6native32elementwise_kernel_manual_unrollILi128ELi4EZNS0_15gpu_kernel_implINS0_13AUnaryFunctorIhhhZZZNS0_18lshift_kernel_cudaERNS_18TensorIteratorBaseEENKUlvE_clEvENKUlvE_clEvEUlhhE_EEEEvS5_RKT_EUlibE_EEviT1_.uses_flat_scratch, 0
	.set _ZN2at6native32elementwise_kernel_manual_unrollILi128ELi4EZNS0_15gpu_kernel_implINS0_13AUnaryFunctorIhhhZZZNS0_18lshift_kernel_cudaERNS_18TensorIteratorBaseEENKUlvE_clEvENKUlvE_clEvEUlhhE_EEEEvS5_RKT_EUlibE_EEviT1_.has_dyn_sized_stack, 0
	.set _ZN2at6native32elementwise_kernel_manual_unrollILi128ELi4EZNS0_15gpu_kernel_implINS0_13AUnaryFunctorIhhhZZZNS0_18lshift_kernel_cudaERNS_18TensorIteratorBaseEENKUlvE_clEvENKUlvE_clEvEUlhhE_EEEEvS5_RKT_EUlibE_EEviT1_.has_recursion, 0
	.set _ZN2at6native32elementwise_kernel_manual_unrollILi128ELi4EZNS0_15gpu_kernel_implINS0_13AUnaryFunctorIhhhZZZNS0_18lshift_kernel_cudaERNS_18TensorIteratorBaseEENKUlvE_clEvENKUlvE_clEvEUlhhE_EEEEvS5_RKT_EUlibE_EEviT1_.has_indirect_call, 0
	.section	.AMDGPU.csdata,"",@progbits
; Kernel info:
; codeLenInByte = 33676
; TotalNumSgprs: 50
; NumVgprs: 13
; ScratchSize: 0
; MemoryBound: 1
; FloatMode: 240
; IeeeMode: 1
; LDSByteSize: 0 bytes/workgroup (compile time only)
; SGPRBlocks: 6
; VGPRBlocks: 3
; NumSGPRsForWavesPerEU: 50
; NumVGPRsForWavesPerEU: 13
; Occupancy: 10
; WaveLimiterHint : 0
; COMPUTE_PGM_RSRC2:SCRATCH_EN: 0
; COMPUTE_PGM_RSRC2:USER_SGPR: 6
; COMPUTE_PGM_RSRC2:TRAP_HANDLER: 0
; COMPUTE_PGM_RSRC2:TGID_X_EN: 1
; COMPUTE_PGM_RSRC2:TGID_Y_EN: 0
; COMPUTE_PGM_RSRC2:TGID_Z_EN: 0
; COMPUTE_PGM_RSRC2:TIDIG_COMP_CNT: 0
	.section	.text._ZN2at6native32elementwise_kernel_manual_unrollILi128ELi4EZNS0_15gpu_kernel_implINS0_13AUnaryFunctorIhhhZZZNS0_18lshift_kernel_cudaERNS_18TensorIteratorBaseEENKUlvE_clEvENKUlvE_clEvEUlhhE_EEEEvS5_RKT_EUlibE0_EEviT1_,"axG",@progbits,_ZN2at6native32elementwise_kernel_manual_unrollILi128ELi4EZNS0_15gpu_kernel_implINS0_13AUnaryFunctorIhhhZZZNS0_18lshift_kernel_cudaERNS_18TensorIteratorBaseEENKUlvE_clEvENKUlvE_clEvEUlhhE_EEEEvS5_RKT_EUlibE0_EEviT1_,comdat
	.globl	_ZN2at6native32elementwise_kernel_manual_unrollILi128ELi4EZNS0_15gpu_kernel_implINS0_13AUnaryFunctorIhhhZZZNS0_18lshift_kernel_cudaERNS_18TensorIteratorBaseEENKUlvE_clEvENKUlvE_clEvEUlhhE_EEEEvS5_RKT_EUlibE0_EEviT1_ ; -- Begin function _ZN2at6native32elementwise_kernel_manual_unrollILi128ELi4EZNS0_15gpu_kernel_implINS0_13AUnaryFunctorIhhhZZZNS0_18lshift_kernel_cudaERNS_18TensorIteratorBaseEENKUlvE_clEvENKUlvE_clEvEUlhhE_EEEEvS5_RKT_EUlibE0_EEviT1_
	.p2align	8
	.type	_ZN2at6native32elementwise_kernel_manual_unrollILi128ELi4EZNS0_15gpu_kernel_implINS0_13AUnaryFunctorIhhhZZZNS0_18lshift_kernel_cudaERNS_18TensorIteratorBaseEENKUlvE_clEvENKUlvE_clEvEUlhhE_EEEEvS5_RKT_EUlibE0_EEviT1_,@function
_ZN2at6native32elementwise_kernel_manual_unrollILi128ELi4EZNS0_15gpu_kernel_implINS0_13AUnaryFunctorIhhhZZZNS0_18lshift_kernel_cudaERNS_18TensorIteratorBaseEENKUlvE_clEvENKUlvE_clEvEUlhhE_EEEEvS5_RKT_EUlibE0_EEviT1_: ; @_ZN2at6native32elementwise_kernel_manual_unrollILi128ELi4EZNS0_15gpu_kernel_implINS0_13AUnaryFunctorIhhhZZZNS0_18lshift_kernel_cudaERNS_18TensorIteratorBaseEENKUlvE_clEvENKUlvE_clEvEUlhhE_EEEEvS5_RKT_EUlibE0_EEviT1_
; %bb.0:
	s_load_dword s70, s[4:5], 0x0
	s_load_dword s33, s[4:5], 0x8
	s_add_u32 s34, s4, 8
	s_addc_u32 s35, s5, 0
	v_lshl_or_b32 v11, s6, 9, v0
	v_or_b32_e32 v13, 0x180, v11
	s_waitcnt lgkmcnt(0)
	s_add_i32 s72, s33, -1
	s_cmp_gt_u32 s72, 1
	v_cmp_le_i32_e32 vcc, s70, v13
	s_cselect_b64 s[40:41], -1, 0
	s_mov_b64 s[6:7], 0
	s_mov_b64 s[28:29], 0
	s_and_saveexec_b64 s[0:1], vcc
	s_xor_b64 s[42:43], exec, s[0:1]
	s_cbranch_execz .LBB7_1070
; %bb.1:
	v_mov_b32_e32 v0, 0
	global_load_ushort v5, v0, s[34:35] offset:345
	global_load_sbyte v1, v0, s[34:35] offset:347
	s_load_dwordx4 s[36:39], s[34:35], 0x4
	s_load_dwordx2 s[44:45], s[34:35], 0x14
	s_load_dwordx4 s[28:31], s[34:35], 0xc4
	s_load_dwordx4 s[24:27], s[34:35], 0x148
	s_cmp_lg_u32 s33, 0
	s_cselect_b64 s[50:51], -1, 0
	s_add_u32 s48, s34, 0xc4
	s_addc_u32 s49, s35, 0
	s_min_u32 s75, s72, 15
	s_cmp_gt_u32 s33, 1
	v_cmp_gt_i32_e32 vcc, s70, v11
	s_mov_b64 s[2:3], -1
	s_mov_b64 s[60:61], 0
	s_mov_b64 s[54:55], 0
	s_cselect_b64 s[46:47], -1, 0
	s_mov_b64 s[52:53], 0
	s_waitcnt vmcnt(1)
	v_readfirstlane_b32 s0, v5
	s_waitcnt vmcnt(0)
	v_readfirstlane_b32 s74, v1
	s_lshr_b32 s73, s0, 8
	s_and_saveexec_b64 s[56:57], vcc
	s_cbranch_execz .LBB7_262
; %bb.2:
	s_andn2_b64 vcc, exec, s[40:41]
	s_cbranch_vccnz .LBB7_7
; %bb.3:
	s_andn2_b64 vcc, exec, s[50:51]
	s_cbranch_vccnz .LBB7_8
; %bb.4:
	s_add_i32 s59, s75, 1
	s_cmp_eq_u32 s72, 2
	s_cbranch_scc1 .LBB7_9
; %bb.5:
	s_and_b32 s58, s59, 28
	v_mov_b32_e32 v2, 0
	s_mov_b32 s62, 0
	s_mov_b64 s[52:53], s[34:35]
	s_mov_b64 s[54:55], s[48:49]
	v_mov_b32_e32 v0, 0
	v_mov_b32_e32 v1, v11
.LBB7_6:                                ; =>This Inner Loop Header: Depth=1
	s_load_dwordx8 s[16:23], s[52:53], 0x4
	s_load_dwordx4 s[0:3], s[52:53], 0x24
	s_load_dwordx8 s[8:15], s[54:55], 0x0
	s_add_u32 s52, s52, 48
	s_addc_u32 s53, s53, 0
	s_waitcnt lgkmcnt(0)
	v_mul_hi_u32 v3, s17, v1
	s_add_i32 s62, s62, 4
	s_add_u32 s54, s54, 32
	s_addc_u32 s55, s55, 0
	v_add_u32_e32 v3, v1, v3
	v_lshrrev_b32_e32 v3, s18, v3
	v_mul_lo_u32 v4, v3, s16
	v_mul_hi_u32 v6, s20, v3
	s_cmp_lg_u32 s58, s62
	v_sub_u32_e32 v1, v1, v4
	v_add_u32_e32 v4, v3, v6
	v_mul_lo_u32 v6, v1, s8
	v_mul_lo_u32 v7, v1, s9
	v_lshrrev_b32_e32 v1, s21, v4
	v_mul_lo_u32 v4, v1, s19
	v_mul_hi_u32 v8, s23, v1
	v_sub_u32_e32 v3, v3, v4
	v_add_u32_e32 v4, v1, v8
	v_lshrrev_b32_e32 v4, s0, v4
	v_mul_hi_u32 v9, s2, v4
	v_mul_lo_u32 v10, v4, s22
	v_mul_lo_u32 v8, v3, s10
	;; [unrolled: 1-line block ×3, first 2 shown]
	v_sub_u32_e32 v10, v1, v10
	v_add_u32_e32 v1, v4, v9
	v_lshrrev_b32_e32 v1, s3, v1
	v_mul_lo_u32 v9, v1, s1
	v_mul_lo_u32 v12, v10, s12
	;; [unrolled: 1-line block ×3, first 2 shown]
	v_add3_u32 v0, v6, v0, v8
	v_sub_u32_e32 v4, v4, v9
	v_mul_lo_u32 v9, v4, s14
	v_mul_lo_u32 v4, v4, s15
	v_add3_u32 v2, v7, v2, v3
	v_add3_u32 v0, v12, v0, v9
	;; [unrolled: 1-line block ×3, first 2 shown]
	s_cbranch_scc1 .LBB7_6
	s_branch .LBB7_10
.LBB7_7:
                                        ; implicit-def: $vgpr0
                                        ; implicit-def: $vgpr2
	s_branch .LBB7_14
.LBB7_8:
	v_mov_b32_e32 v0, 0
	v_mov_b32_e32 v2, 0
	s_branch .LBB7_13
.LBB7_9:
	s_mov_b32 s58, 0
	v_mov_b32_e32 v0, 0
	v_mov_b32_e32 v2, 0
	;; [unrolled: 1-line block ×3, first 2 shown]
.LBB7_10:
	s_and_b32 s8, s59, 3
	s_cmp_eq_u32 s8, 0
	s_cbranch_scc1 .LBB7_13
; %bb.11:
	s_lshl_b32 s0, s58, 3
	s_add_u32 s0, s34, s0
	s_addc_u32 s1, s35, 0
	s_add_u32 s0, s0, 0xc4
	s_addc_u32 s1, s1, 0
	s_mul_i32 s2, s58, 12
	s_add_u32 s2, s34, s2
	s_addc_u32 s3, s35, 0
.LBB7_12:                               ; =>This Inner Loop Header: Depth=1
	s_load_dwordx2 s[10:11], s[2:3], 0x4
	s_load_dword s9, s[2:3], 0xc
	s_load_dwordx2 s[12:13], s[0:1], 0x0
	s_add_u32 s2, s2, 12
	s_addc_u32 s3, s3, 0
	s_waitcnt lgkmcnt(0)
	v_mul_hi_u32 v3, s11, v1
	s_add_u32 s0, s0, 8
	s_addc_u32 s1, s1, 0
	s_add_i32 s8, s8, -1
	v_add_u32_e32 v3, v1, v3
	v_lshrrev_b32_e32 v4, s9, v3
	v_mul_lo_u32 v3, v4, s10
	s_cmp_lg_u32 s8, 0
	v_sub_u32_e32 v3, v1, v3
	v_mad_u64_u32 v[0:1], s[10:11], v3, s12, v[0:1]
	v_mad_u64_u32 v[2:3], s[10:11], v3, s13, v[2:3]
	v_mov_b32_e32 v1, v4
	s_cbranch_scc1 .LBB7_12
.LBB7_13:
	s_cbranch_execnz .LBB7_16
.LBB7_14:
	s_waitcnt lgkmcnt(0)
	v_mul_hi_u32 v0, s37, v11
	s_andn2_b64 vcc, exec, s[46:47]
	v_add_u32_e32 v0, v11, v0
	v_lshrrev_b32_e32 v1, s38, v0
	v_mul_lo_u32 v0, v1, s36
	v_sub_u32_e32 v2, v11, v0
	v_mul_lo_u32 v0, v2, s28
	v_mul_lo_u32 v2, v2, s29
	s_cbranch_vccnz .LBB7_16
; %bb.15:
	v_mul_hi_u32 v3, s44, v1
	v_add_u32_e32 v3, v1, v3
	v_lshrrev_b32_e32 v3, s45, v3
	v_mul_lo_u32 v3, v3, s39
	v_sub_u32_e32 v3, v1, v3
	v_mad_u64_u32 v[0:1], s[0:1], v3, s30, v[0:1]
	v_mad_u64_u32 v[2:3], s[0:1], v3, s31, v[2:3]
.LBB7_16:
	s_waitcnt lgkmcnt(0)
	v_mov_b32_e32 v3, s27
	s_and_b32 s10, s74, 0xff
	v_add_co_u32_e32 v1, vcc, s26, v2
	s_cmp_lt_i32 s10, 11
	v_addc_co_u32_e32 v2, vcc, 0, v3, vcc
	s_cbranch_scc1 .LBB7_23
; %bb.17:
	s_and_b32 s11, 0xffff, s10
	s_cmp_gt_i32 s11, 25
	s_cbranch_scc0 .LBB7_32
; %bb.18:
	s_cmp_gt_i32 s11, 28
	s_cbranch_scc0 .LBB7_35
; %bb.19:
	s_cmp_gt_i32 s11, 43
	s_cbranch_scc0 .LBB7_37
; %bb.20:
	s_cmp_gt_i32 s11, 45
	s_cbranch_scc0 .LBB7_39
; %bb.21:
	s_cmp_eq_u32 s11, 46
	s_mov_b64 s[8:9], 0
	s_cbranch_scc0 .LBB7_41
; %bb.22:
	global_load_dword v3, v[1:2], off
	s_mov_b32 s0, 0x2f800000
	s_mov_b32 s1, 0xcf800000
	s_mov_b64 s[2:3], 0
	s_waitcnt vmcnt(0)
	v_lshlrev_b32_e32 v3, 16, v3
	v_trunc_f32_e32 v3, v3
	v_mul_f32_e64 v4, |v3|, s0
	v_floor_f32_e32 v4, v4
	v_fma_f32 v4, v4, s1, |v3|
	v_cvt_u32_f32_e32 v4, v4
	v_ashrrev_i32_e32 v3, 31, v3
	s_mov_b64 s[0:1], -1
	v_xor_b32_e32 v4, v4, v3
	v_sub_u32_e32 v3, v4, v3
	s_branch .LBB7_43
.LBB7_23:
	s_mov_b64 s[2:3], 0
                                        ; implicit-def: $vgpr3
	s_mov_b64 s[0:1], 0
	s_cbranch_execnz .LBB7_212
.LBB7_24:
	s_andn2_b64 vcc, exec, s[0:1]
	s_cbranch_vccnz .LBB7_259
.LBB7_25:
	v_mov_b32_e32 v2, 8
	s_waitcnt vmcnt(0)
	v_lshlrev_b32_sdwa v1, v3, v5 dst_sel:DWORD dst_unused:UNUSED_PAD src0_sel:DWORD src1_sel:BYTE_0
	v_cmp_lt_u16_sdwa vcc, v3, v2 src0_sel:BYTE_0 src1_sel:DWORD
	v_cndmask_b32_e32 v2, 0, v1, vcc
	v_mov_b32_e32 v1, s25
	s_and_b32 s14, 0xffff, s73
	v_add_co_u32_e32 v0, vcc, s24, v0
	s_cmp_lt_i32 s14, 11
	v_addc_co_u32_e32 v1, vcc, 0, v1, vcc
	s_cbranch_scc1 .LBB7_33
; %bb.26:
	s_cmp_gt_i32 s14, 25
	s_cbranch_scc0 .LBB7_36
; %bb.27:
	s_cmp_gt_i32 s14, 28
	s_cbranch_scc0 .LBB7_38
	;; [unrolled: 3-line block ×4, first 2 shown]
; %bb.30:
	s_mov_b64 s[10:11], 0
	s_mov_b64 s[0:1], -1
	s_cmp_eq_u32 s14, 46
	s_mov_b64 s[8:9], 0
	s_cbranch_scc0 .LBB7_47
; %bb.31:
	v_cvt_f32_ubyte0_e32 v3, v2
	v_bfe_u32 v4, v3, 16, 1
	s_movk_i32 s0, 0x7fff
	v_add3_u32 v3, v3, v4, s0
	v_lshrrev_b32_e32 v3, 16, v3
	global_store_dword v[0:1], v3, off
	s_mov_b64 s[8:9], -1
	s_mov_b64 s[0:1], 0
	s_branch .LBB7_47
.LBB7_32:
	s_mov_b64 s[2:3], 0
	s_mov_b64 s[0:1], 0
                                        ; implicit-def: $vgpr3
	s_cbranch_execnz .LBB7_179
	s_branch .LBB7_211
.LBB7_33:
	s_mov_b64 s[0:1], 0
	s_mov_b64 s[8:9], 0
	s_cbranch_execnz .LBB7_116
.LBB7_34:
	s_andn2_b64 vcc, exec, s[8:9]
	s_cbranch_vccnz .LBB7_260
	s_branch .LBB7_154
.LBB7_35:
	s_mov_b64 s[8:9], -1
	s_mov_b64 s[2:3], 0
	s_mov_b64 s[0:1], 0
                                        ; implicit-def: $vgpr3
	s_branch .LBB7_162
.LBB7_36:
	s_mov_b64 s[10:11], -1
	s_mov_b64 s[0:1], 0
	s_mov_b64 s[8:9], 0
	s_branch .LBB7_74
.LBB7_37:
	s_mov_b64 s[8:9], -1
	s_mov_b64 s[2:3], 0
	s_mov_b64 s[0:1], 0
                                        ; implicit-def: $vgpr3
	s_branch .LBB7_157
.LBB7_38:
	s_mov_b64 s[10:11], -1
	s_mov_b64 s[0:1], 0
	s_mov_b64 s[8:9], 0
	s_branch .LBB7_57
.LBB7_39:
	s_mov_b64 s[8:9], -1
	s_mov_b64 s[2:3], 0
	s_branch .LBB7_42
.LBB7_40:
	s_mov_b64 s[10:11], -1
	s_mov_b64 s[0:1], 0
	s_mov_b64 s[8:9], 0
	s_branch .LBB7_53
.LBB7_41:
	s_mov_b64 s[2:3], -1
.LBB7_42:
	s_mov_b64 s[0:1], 0
                                        ; implicit-def: $vgpr3
.LBB7_43:
	s_and_b64 vcc, exec, s[8:9]
	s_cbranch_vccz .LBB7_156
; %bb.44:
	s_cmp_eq_u32 s11, 44
	s_cbranch_scc0 .LBB7_155
; %bb.45:
	global_load_ubyte v3, v[1:2], off
	s_mov_b32 s0, 0x2f800000
	s_mov_b32 s1, 0xcf800000
	s_mov_b64 s[2:3], 0
	s_waitcnt vmcnt(0)
	v_lshlrev_b32_e32 v4, 23, v3
	v_trunc_f32_e32 v4, v4
	v_mul_f32_e64 v6, |v4|, s0
	v_floor_f32_e32 v6, v6
	v_fma_f32 v6, v6, s1, |v4|
	v_cvt_u32_f32_e32 v6, v6
	v_ashrrev_i32_e32 v4, 31, v4
	v_cmp_ne_u32_e32 vcc, 0, v3
	s_mov_b64 s[0:1], -1
	v_xor_b32_e32 v6, v6, v4
	v_sub_u32_e32 v4, v6, v4
	v_cndmask_b32_e32 v3, 0, v4, vcc
	s_branch .LBB7_156
.LBB7_46:
	s_mov_b64 s[10:11], -1
	s_mov_b64 s[0:1], 0
	s_mov_b64 s[8:9], 0
.LBB7_47:
	s_and_b64 vcc, exec, s[10:11]
	s_cbranch_vccz .LBB7_52
; %bb.48:
	s_cmp_eq_u32 s14, 44
	s_mov_b64 s[0:1], -1
	s_cbranch_scc0 .LBB7_52
; %bb.49:
	v_cvt_f32_ubyte0_e32 v4, v2
	v_lshrrev_b32_e32 v3, 23, v4
	s_movk_i32 s0, 0xff
	v_cmp_ne_u32_e32 vcc, s0, v3
	v_mov_b32_e32 v6, 0xff
	s_and_saveexec_b64 s[8:9], vcc
; %bb.50:
	s_mov_b32 s0, 0x3fffff
	v_and_b32_e32 v6, 0x400000, v4
	v_and_or_b32 v4, v4, s0, v3
	v_cmp_ne_u32_e32 vcc, 0, v6
	v_cmp_ne_u32_e64 s[0:1], 0, v4
	s_and_b64 s[0:1], vcc, s[0:1]
	v_cndmask_b32_e64 v4, 0, 1, s[0:1]
	v_add_u32_e32 v6, v3, v4
; %bb.51:
	s_or_b64 exec, exec, s[8:9]
	s_mov_b64 s[8:9], -1
	s_mov_b64 s[0:1], 0
	global_store_byte v[0:1], v6, off
.LBB7_52:
	s_mov_b64 s[10:11], 0
.LBB7_53:
	s_and_b64 vcc, exec, s[10:11]
	s_cbranch_vccz .LBB7_56
; %bb.54:
	s_cmp_eq_u32 s14, 29
	s_mov_b64 s[0:1], -1
	s_cbranch_scc0 .LBB7_56
; %bb.55:
	v_and_b32_e32 v3, 0xff, v2
	v_mov_b32_e32 v4, 0
	global_store_dwordx2 v[0:1], v[3:4], off
	s_mov_b64 s[8:9], -1
	s_mov_b64 s[0:1], 0
.LBB7_56:
	s_mov_b64 s[10:11], 0
.LBB7_57:
	s_and_b64 vcc, exec, s[10:11]
	s_cbranch_vccz .LBB7_73
; %bb.58:
	s_cmp_lt_i32 s14, 27
	s_mov_b64 s[8:9], -1
	s_cbranch_scc1 .LBB7_64
; %bb.59:
	s_cmp_gt_i32 s14, 27
	s_cbranch_scc0 .LBB7_61
; %bb.60:
	v_and_b32_e32 v3, 0xff, v2
	s_mov_b64 s[8:9], 0
	global_store_dword v[0:1], v3, off
.LBB7_61:
	s_andn2_b64 vcc, exec, s[8:9]
	s_cbranch_vccnz .LBB7_63
; %bb.62:
	v_and_b32_e32 v3, 0xff, v2
	global_store_short v[0:1], v3, off
.LBB7_63:
	s_mov_b64 s[8:9], 0
.LBB7_64:
	s_andn2_b64 vcc, exec, s[8:9]
	s_cbranch_vccnz .LBB7_72
; %bb.65:
	v_cvt_f32_ubyte0_e32 v4, v2
	s_mov_b32 s8, 0x43800000
	v_cmp_gt_u32_e32 vcc, s8, v4
	v_mov_b32_e32 v6, 0x80
	s_and_saveexec_b64 s[8:9], vcc
	s_cbranch_execz .LBB7_71
; %bb.66:
	s_mov_b32 s10, 0x3bffffff
	v_cmp_lt_u32_e32 vcc, s10, v4
	s_mov_b64 s[10:11], 0
                                        ; implicit-def: $vgpr3
	s_and_saveexec_b64 s[12:13], vcc
	s_xor_b64 s[12:13], exec, s[12:13]
	s_cbranch_execz .LBB7_303
; %bb.67:
	v_bfe_u32 v3, v4, 20, 1
	s_mov_b32 s15, 0x487ffff
	v_add3_u32 v3, v4, v3, s15
	s_mov_b64 s[10:11], exec
	v_lshrrev_b32_e32 v3, 20, v3
                                        ; implicit-def: $vgpr4
	s_andn2_saveexec_b64 s[12:13], s[12:13]
	s_cbranch_execnz .LBB7_304
.LBB7_68:
	s_or_b64 exec, exec, s[12:13]
	v_mov_b32_e32 v6, 0
	s_and_saveexec_b64 s[12:13], s[10:11]
.LBB7_69:
	v_mov_b32_e32 v6, v3
.LBB7_70:
	s_or_b64 exec, exec, s[12:13]
.LBB7_71:
	s_or_b64 exec, exec, s[8:9]
	global_store_byte v[0:1], v6, off
.LBB7_72:
	s_mov_b64 s[8:9], -1
.LBB7_73:
	s_mov_b64 s[10:11], 0
.LBB7_74:
	s_and_b64 vcc, exec, s[10:11]
	s_cbranch_vccz .LBB7_115
; %bb.75:
	s_cmp_gt_i32 s14, 22
	s_mov_b64 s[10:11], -1
	s_cbranch_scc0 .LBB7_107
; %bb.76:
	s_cmp_lt_i32 s14, 24
	s_mov_b64 s[8:9], -1
	s_cbranch_scc1 .LBB7_96
; %bb.77:
	s_cmp_gt_i32 s14, 24
	s_cbranch_scc0 .LBB7_85
; %bb.78:
	v_cvt_f32_ubyte0_e32 v4, v2
	s_mov_b32 s8, 0x47800000
	v_cmp_gt_u32_e32 vcc, s8, v4
	v_mov_b32_e32 v6, 0x80
	s_and_saveexec_b64 s[8:9], vcc
	s_cbranch_execz .LBB7_84
; %bb.79:
	s_mov_b32 s10, 0x37ffffff
	v_cmp_lt_u32_e32 vcc, s10, v4
	s_mov_b64 s[10:11], 0
                                        ; implicit-def: $vgpr3
	s_and_saveexec_b64 s[12:13], vcc
	s_xor_b64 s[12:13], exec, s[12:13]
	s_cbranch_execz .LBB7_307
; %bb.80:
	v_bfe_u32 v3, v4, 21, 1
	s_mov_b32 s15, 0x88fffff
	v_add3_u32 v3, v4, v3, s15
	s_mov_b64 s[10:11], exec
	v_lshrrev_b32_e32 v3, 21, v3
                                        ; implicit-def: $vgpr4
	s_andn2_saveexec_b64 s[12:13], s[12:13]
	s_cbranch_execnz .LBB7_308
.LBB7_81:
	s_or_b64 exec, exec, s[12:13]
	v_mov_b32_e32 v6, 0
	s_and_saveexec_b64 s[12:13], s[10:11]
.LBB7_82:
	v_mov_b32_e32 v6, v3
.LBB7_83:
	s_or_b64 exec, exec, s[12:13]
.LBB7_84:
	s_or_b64 exec, exec, s[8:9]
	s_mov_b64 s[8:9], 0
	global_store_byte v[0:1], v6, off
.LBB7_85:
	s_and_b64 vcc, exec, s[8:9]
	s_cbranch_vccz .LBB7_95
; %bb.86:
	v_cvt_f32_ubyte0_e32 v3, v2
	s_mov_b32 s8, 0x43f00000
	v_cmp_gt_u32_e32 vcc, s8, v3
                                        ; implicit-def: $vgpr4
	s_and_saveexec_b64 s[8:9], vcc
	s_xor_b64 s[8:9], exec, s[8:9]
	s_cbranch_execz .LBB7_92
; %bb.87:
	s_mov_b32 s10, 0x3c7fffff
	v_cmp_lt_u32_e32 vcc, s10, v3
                                        ; implicit-def: $vgpr4
	s_and_saveexec_b64 s[10:11], vcc
	s_xor_b64 s[10:11], exec, s[10:11]
; %bb.88:
	v_bfe_u32 v4, v3, 20, 1
	s_mov_b32 s12, 0x407ffff
	v_add3_u32 v3, v3, v4, s12
	v_lshrrev_b32_e32 v4, 20, v3
	v_and_b32_e32 v3, 0xff00000, v3
	s_mov_b32 s12, 0x7f00000
	v_mov_b32_e32 v6, 0x7e
	v_cmp_ne_u32_e32 vcc, s12, v3
	v_cndmask_b32_e32 v4, v6, v4, vcc
                                        ; implicit-def: $vgpr3
; %bb.89:
	s_andn2_saveexec_b64 s[10:11], s[10:11]
; %bb.90:
	v_add_f32_e32 v4, 0x46800000, v3
; %bb.91:
	s_or_b64 exec, exec, s[10:11]
                                        ; implicit-def: $vgpr3
.LBB7_92:
	s_andn2_saveexec_b64 s[8:9], s[8:9]
; %bb.93:
	s_mov_b32 s10, 0x7f800000
	v_mov_b32_e32 v4, 0x7e
	v_mov_b32_e32 v6, 0x7f
	v_cmp_lt_u32_e32 vcc, s10, v3
	v_cndmask_b32_e32 v4, v4, v6, vcc
; %bb.94:
	s_or_b64 exec, exec, s[8:9]
	global_store_byte v[0:1], v4, off
.LBB7_95:
	s_mov_b64 s[8:9], 0
.LBB7_96:
	s_andn2_b64 vcc, exec, s[8:9]
	s_cbranch_vccnz .LBB7_106
; %bb.97:
	v_cvt_f32_ubyte0_e32 v3, v2
	s_mov_b32 s8, 0x47800000
	v_cmp_gt_u32_e32 vcc, s8, v3
                                        ; implicit-def: $vgpr4
	s_and_saveexec_b64 s[8:9], vcc
	s_xor_b64 s[8:9], exec, s[8:9]
	s_cbranch_execz .LBB7_103
; %bb.98:
	s_mov_b32 s10, 0x387fffff
	v_cmp_lt_u32_e32 vcc, s10, v3
                                        ; implicit-def: $vgpr4
	s_and_saveexec_b64 s[10:11], vcc
	s_xor_b64 s[10:11], exec, s[10:11]
; %bb.99:
	v_bfe_u32 v4, v3, 21, 1
	s_mov_b32 s12, 0x80fffff
	v_add3_u32 v3, v3, v4, s12
	v_lshrrev_b32_e32 v4, 21, v3
                                        ; implicit-def: $vgpr3
; %bb.100:
	s_andn2_saveexec_b64 s[10:11], s[10:11]
; %bb.101:
	v_add_f32_e32 v4, 0x43000000, v3
; %bb.102:
	s_or_b64 exec, exec, s[10:11]
                                        ; implicit-def: $vgpr3
.LBB7_103:
	s_andn2_saveexec_b64 s[8:9], s[8:9]
; %bb.104:
	s_mov_b32 s10, 0x7f800000
	v_mov_b32_e32 v4, 0x7c
	v_mov_b32_e32 v6, 0x7f
	v_cmp_lt_u32_e32 vcc, s10, v3
	v_cndmask_b32_e32 v4, v4, v6, vcc
; %bb.105:
	s_or_b64 exec, exec, s[8:9]
	global_store_byte v[0:1], v4, off
.LBB7_106:
	s_mov_b64 s[10:11], 0
	s_mov_b64 s[8:9], -1
.LBB7_107:
	s_andn2_b64 vcc, exec, s[10:11]
	s_cbranch_vccnz .LBB7_115
; %bb.108:
	s_cmp_gt_i32 s14, 14
	s_mov_b64 s[10:11], -1
	s_cbranch_scc0 .LBB7_112
; %bb.109:
	s_cmp_eq_u32 s14, 15
	s_mov_b64 s[0:1], -1
	s_cbranch_scc0 .LBB7_111
; %bb.110:
	v_cvt_f32_ubyte0_e32 v3, v2
	v_bfe_u32 v4, v3, 16, 1
	s_movk_i32 s0, 0x7fff
	v_add3_u32 v3, v3, v4, s0
	global_store_short_d16_hi v[0:1], v3, off
	s_mov_b64 s[8:9], -1
	s_mov_b64 s[0:1], 0
.LBB7_111:
	s_mov_b64 s[10:11], 0
.LBB7_112:
	s_and_b64 vcc, exec, s[10:11]
	s_cbranch_vccz .LBB7_115
; %bb.113:
	s_cmp_eq_u32 s14, 11
	s_mov_b64 s[0:1], -1
	s_cbranch_scc0 .LBB7_115
; %bb.114:
	v_mov_b32_e32 v3, 0
	v_cmp_ne_u16_sdwa s[0:1], v2, v3 src0_sel:BYTE_0 src1_sel:DWORD
	v_cndmask_b32_e64 v3, 0, 1, s[0:1]
	s_mov_b64 s[8:9], -1
	s_mov_b64 s[0:1], 0
	global_store_byte v[0:1], v3, off
.LBB7_115:
	s_branch .LBB7_34
.LBB7_116:
	s_cmp_lt_i32 s14, 5
	s_mov_b64 s[8:9], -1
	s_cbranch_scc1 .LBB7_137
; %bb.117:
	s_cmp_lt_i32 s14, 8
	s_cbranch_scc1 .LBB7_127
; %bb.118:
	s_cmp_lt_i32 s14, 9
	s_cbranch_scc1 .LBB7_124
; %bb.119:
	s_cmp_gt_i32 s14, 9
	s_cbranch_scc0 .LBB7_121
; %bb.120:
	s_mov_b32 s8, 0xffff
	v_and_b32_sdwa v3, s8, v2 dst_sel:DWORD dst_unused:UNUSED_PAD src0_sel:DWORD src1_sel:BYTE_0
	v_cvt_f64_u32_e32 v[6:7], v3
	v_mov_b32_e32 v8, 0
	v_mov_b32_e32 v9, v8
	s_mov_b64 s[8:9], 0
	global_store_dwordx4 v[0:1], v[6:9], off
.LBB7_121:
	s_andn2_b64 vcc, exec, s[8:9]
	s_cbranch_vccnz .LBB7_123
; %bb.122:
	v_cvt_f32_ubyte0_e32 v3, v2
	v_mov_b32_e32 v4, 0
	global_store_dwordx2 v[0:1], v[3:4], off
.LBB7_123:
	s_mov_b64 s[8:9], 0
.LBB7_124:
	s_andn2_b64 vcc, exec, s[8:9]
	s_cbranch_vccnz .LBB7_126
; %bb.125:
	v_cvt_f16_u16_sdwa v3, v2 dst_sel:DWORD dst_unused:UNUSED_PAD src0_sel:BYTE_0
	global_store_dword v[0:1], v3, off
.LBB7_126:
	s_mov_b64 s[8:9], 0
.LBB7_127:
	s_andn2_b64 vcc, exec, s[8:9]
	s_cbranch_vccnz .LBB7_136
; %bb.128:
	s_cmp_lt_i32 s14, 6
	s_mov_b64 s[8:9], -1
	s_cbranch_scc1 .LBB7_134
; %bb.129:
	s_cmp_gt_i32 s14, 6
	s_cbranch_scc0 .LBB7_131
; %bb.130:
	s_mov_b32 s8, 0xffff
	v_and_b32_sdwa v3, s8, v2 dst_sel:DWORD dst_unused:UNUSED_PAD src0_sel:DWORD src1_sel:BYTE_0
	v_cvt_f64_u32_e32 v[3:4], v3
	s_mov_b64 s[8:9], 0
	global_store_dwordx2 v[0:1], v[3:4], off
.LBB7_131:
	s_andn2_b64 vcc, exec, s[8:9]
	s_cbranch_vccnz .LBB7_133
; %bb.132:
	v_cvt_f32_ubyte0_e32 v3, v2
	global_store_dword v[0:1], v3, off
.LBB7_133:
	s_mov_b64 s[8:9], 0
.LBB7_134:
	s_andn2_b64 vcc, exec, s[8:9]
	s_cbranch_vccnz .LBB7_136
; %bb.135:
	v_cvt_f16_u16_sdwa v3, v2 dst_sel:DWORD dst_unused:UNUSED_PAD src0_sel:BYTE_0
	global_store_short v[0:1], v3, off
.LBB7_136:
	s_mov_b64 s[8:9], 0
.LBB7_137:
	s_andn2_b64 vcc, exec, s[8:9]
	s_cbranch_vccnz .LBB7_153
; %bb.138:
	s_cmp_lt_i32 s14, 2
	s_mov_b64 s[8:9], -1
	s_cbranch_scc1 .LBB7_148
; %bb.139:
	s_cmp_lt_i32 s14, 3
	s_cbranch_scc1 .LBB7_145
; %bb.140:
	s_cmp_gt_i32 s14, 3
	s_cbranch_scc0 .LBB7_142
; %bb.141:
	v_and_b32_e32 v3, 0xff, v2
	v_mov_b32_e32 v4, 0
	global_store_dwordx2 v[0:1], v[3:4], off
	s_mov_b64 s[8:9], 0
.LBB7_142:
	s_andn2_b64 vcc, exec, s[8:9]
	s_cbranch_vccnz .LBB7_144
; %bb.143:
	v_and_b32_e32 v3, 0xff, v2
	global_store_dword v[0:1], v3, off
.LBB7_144:
	s_mov_b64 s[8:9], 0
.LBB7_145:
	s_andn2_b64 vcc, exec, s[8:9]
	s_cbranch_vccnz .LBB7_147
; %bb.146:
	v_and_b32_e32 v3, 0xff, v2
	global_store_short v[0:1], v3, off
.LBB7_147:
	s_mov_b64 s[8:9], 0
.LBB7_148:
	s_andn2_b64 vcc, exec, s[8:9]
	s_cbranch_vccnz .LBB7_153
; %bb.149:
	s_cmp_gt_i32 s14, 0
	s_mov_b64 s[8:9], -1
	s_cbranch_scc0 .LBB7_151
; %bb.150:
	global_store_byte v[0:1], v2, off
	s_mov_b64 s[8:9], 0
.LBB7_151:
	s_andn2_b64 vcc, exec, s[8:9]
	s_cbranch_vccnz .LBB7_153
; %bb.152:
	global_store_byte v[0:1], v2, off
.LBB7_153:
.LBB7_154:
	v_add_u32_e32 v11, 0x80, v11
	s_mov_b64 s[8:9], -1
	s_branch .LBB7_261
.LBB7_155:
	s_mov_b64 s[2:3], -1
                                        ; implicit-def: $vgpr3
.LBB7_156:
	s_mov_b64 s[8:9], 0
.LBB7_157:
	s_and_b64 vcc, exec, s[8:9]
	s_cbranch_vccz .LBB7_161
; %bb.158:
	s_cmp_eq_u32 s11, 29
	s_cbranch_scc0 .LBB7_160
; %bb.159:
	global_load_dwordx2 v[3:4], v[1:2], off
	s_mov_b64 s[0:1], -1
	s_mov_b64 s[2:3], 0
	s_branch .LBB7_161
.LBB7_160:
	s_mov_b64 s[2:3], -1
                                        ; implicit-def: $vgpr3
.LBB7_161:
	s_mov_b64 s[8:9], 0
.LBB7_162:
	s_and_b64 vcc, exec, s[8:9]
	s_cbranch_vccz .LBB7_178
; %bb.163:
	s_cmp_lt_i32 s11, 27
	s_cbranch_scc1 .LBB7_166
; %bb.164:
	s_cmp_gt_i32 s11, 27
	s_cbranch_scc0 .LBB7_167
; %bb.165:
	global_load_dword v3, v[1:2], off
	s_mov_b64 s[0:1], 0
	s_branch .LBB7_168
.LBB7_166:
	s_mov_b64 s[0:1], -1
                                        ; implicit-def: $vgpr3
	s_branch .LBB7_171
.LBB7_167:
	s_mov_b64 s[0:1], -1
                                        ; implicit-def: $vgpr3
.LBB7_168:
	s_andn2_b64 vcc, exec, s[0:1]
	s_cbranch_vccnz .LBB7_170
; %bb.169:
	global_load_ushort v3, v[1:2], off
.LBB7_170:
	s_mov_b64 s[0:1], 0
.LBB7_171:
	s_andn2_b64 vcc, exec, s[0:1]
	s_cbranch_vccnz .LBB7_177
; %bb.172:
	global_load_ubyte v4, v[1:2], off
	s_movk_i32 s0, 0x7f
	s_mov_b64 s[8:9], 0
	s_waitcnt vmcnt(0)
	v_cmp_lt_i16_e32 vcc, s0, v4
	s_and_saveexec_b64 s[0:1], vcc
	s_xor_b64 s[0:1], exec, s[0:1]
	s_cbranch_execz .LBB7_188
; %bb.173:
	s_movk_i32 s8, 0x80
	v_cmp_ne_u16_e32 vcc, s8, v4
	s_and_b64 s[8:9], vcc, exec
	s_andn2_saveexec_b64 s[0:1], s[0:1]
	s_cbranch_execnz .LBB7_189
.LBB7_174:
	s_or_b64 exec, exec, s[0:1]
	v_mov_b32_e32 v3, 0
	s_and_saveexec_b64 s[0:1], s[8:9]
	s_cbranch_execz .LBB7_176
.LBB7_175:
	v_lshlrev_b32_e32 v3, 24, v4
	v_and_b32_e32 v4, 0xffff, v4
	v_and_b32_e32 v6, 7, v4
	v_ffbh_u32_e32 v8, v6
	v_min_u32_e32 v8, 32, v8
	v_subrev_u32_e32 v9, 28, v8
	v_bfe_u32 v7, v4, 3, 4
	v_lshlrev_b32_e32 v4, v9, v4
	v_sub_u32_e32 v8, 29, v8
	v_and_b32_e32 v4, 7, v4
	v_cmp_eq_u32_e32 vcc, 0, v7
	v_cndmask_b32_e32 v7, v7, v8, vcc
	v_cndmask_b32_e32 v4, v6, v4, vcc
	v_mov_b32_e32 v6, 0x3b800000
	v_lshlrev_b32_e32 v4, 20, v4
	v_and_b32_e32 v3, 0x80000000, v3
	v_lshl_add_u32 v6, v7, 23, v6
	v_or3_b32 v3, v3, v6, v4
	v_trunc_f32_e32 v3, v3
	s_mov_b32 s8, 0x2f800000
	v_mul_f32_e64 v4, |v3|, s8
	v_floor_f32_e32 v4, v4
	s_mov_b32 s8, 0xcf800000
	v_fma_f32 v4, v4, s8, |v3|
	v_cvt_u32_f32_e32 v4, v4
	v_ashrrev_i32_e32 v3, 31, v3
	v_xor_b32_e32 v4, v4, v3
	v_sub_u32_e32 v3, v4, v3
.LBB7_176:
	s_or_b64 exec, exec, s[0:1]
.LBB7_177:
	s_mov_b64 s[0:1], -1
.LBB7_178:
	s_branch .LBB7_211
.LBB7_179:
	s_cmp_gt_i32 s11, 22
	s_cbranch_scc0 .LBB7_187
; %bb.180:
	s_cmp_lt_i32 s11, 24
	s_cbranch_scc1 .LBB7_190
; %bb.181:
	s_cmp_gt_i32 s11, 24
	s_cbranch_scc0 .LBB7_191
; %bb.182:
	global_load_ubyte v4, v[1:2], off
	s_movk_i32 s0, 0x7f
	s_mov_b64 s[8:9], 0
	s_waitcnt vmcnt(0)
	v_cmp_lt_i16_e32 vcc, s0, v4
	s_and_saveexec_b64 s[0:1], vcc
	s_xor_b64 s[0:1], exec, s[0:1]
	s_cbranch_execz .LBB7_203
; %bb.183:
	s_movk_i32 s8, 0x80
	v_cmp_ne_u16_e32 vcc, s8, v4
	s_and_b64 s[8:9], vcc, exec
	s_andn2_saveexec_b64 s[0:1], s[0:1]
	s_cbranch_execnz .LBB7_204
.LBB7_184:
	s_or_b64 exec, exec, s[0:1]
	v_mov_b32_e32 v3, 0
	s_and_saveexec_b64 s[0:1], s[8:9]
	s_cbranch_execz .LBB7_186
.LBB7_185:
	v_lshlrev_b32_e32 v3, 24, v4
	v_and_b32_e32 v4, 0xffff, v4
	v_and_b32_e32 v6, 3, v4
	v_ffbh_u32_e32 v8, v6
	v_min_u32_e32 v8, 32, v8
	v_subrev_u32_e32 v9, 29, v8
	v_bfe_u32 v7, v4, 2, 5
	v_lshlrev_b32_e32 v4, v9, v4
	v_sub_u32_e32 v8, 30, v8
	v_and_b32_e32 v4, 3, v4
	v_cmp_eq_u32_e32 vcc, 0, v7
	v_cndmask_b32_e32 v7, v7, v8, vcc
	v_cndmask_b32_e32 v4, v6, v4, vcc
	v_mov_b32_e32 v6, 0x37800000
	v_lshlrev_b32_e32 v4, 21, v4
	v_and_b32_e32 v3, 0x80000000, v3
	v_lshl_add_u32 v6, v7, 23, v6
	v_or3_b32 v3, v3, v6, v4
	v_trunc_f32_e32 v3, v3
	s_mov_b32 s8, 0x2f800000
	v_mul_f32_e64 v4, |v3|, s8
	v_floor_f32_e32 v4, v4
	s_mov_b32 s8, 0xcf800000
	v_fma_f32 v4, v4, s8, |v3|
	v_cvt_u32_f32_e32 v4, v4
	v_ashrrev_i32_e32 v3, 31, v3
	v_xor_b32_e32 v4, v4, v3
	v_sub_u32_e32 v3, v4, v3
.LBB7_186:
	s_or_b64 exec, exec, s[0:1]
	s_mov_b64 s[0:1], 0
	s_branch .LBB7_192
.LBB7_187:
	s_mov_b64 s[8:9], -1
                                        ; implicit-def: $vgpr3
	s_branch .LBB7_198
.LBB7_188:
	s_andn2_saveexec_b64 s[0:1], s[0:1]
	s_cbranch_execz .LBB7_174
.LBB7_189:
	v_cmp_ne_u16_e32 vcc, 0, v4
	s_andn2_b64 s[8:9], s[8:9], exec
	s_and_b64 s[12:13], vcc, exec
	s_or_b64 s[8:9], s[8:9], s[12:13]
	s_or_b64 exec, exec, s[0:1]
	v_mov_b32_e32 v3, 0
	s_and_saveexec_b64 s[0:1], s[8:9]
	s_cbranch_execnz .LBB7_175
	s_branch .LBB7_176
.LBB7_190:
	s_mov_b64 s[0:1], -1
                                        ; implicit-def: $vgpr3
	s_branch .LBB7_195
.LBB7_191:
	s_mov_b64 s[0:1], -1
                                        ; implicit-def: $vgpr3
.LBB7_192:
	s_and_b64 vcc, exec, s[0:1]
	s_cbranch_vccz .LBB7_194
; %bb.193:
	global_load_ubyte v3, v[1:2], off
	s_mov_b32 s0, 0x7f800000
	s_brev_b32 s1, 1
	s_mov_b32 s8, 0x2f800000
	s_waitcnt vmcnt(0)
	v_lshlrev_b32_e32 v3, 24, v3
	v_and_b32_e32 v4, 0x7f000000, v3
	v_ffbh_u32_e32 v6, v4
	v_min_u32_e32 v6, 32, v6
	v_sub_u32_e64 v6, v6, 4 clamp
	v_lshlrev_b32_e32 v8, v6, v4
	v_lshlrev_b32_e32 v6, 23, v6
	v_lshrrev_b32_e32 v8, 4, v8
	v_add_u32_e32 v7, 0x1000000, v4
	v_sub_u32_e32 v6, v8, v6
	v_ashrrev_i32_e32 v7, 8, v7
	v_add_u32_e32 v6, 0x3c000000, v6
	v_and_or_b32 v6, v7, s0, v6
	v_cmp_ne_u32_e32 vcc, 0, v4
	v_cndmask_b32_e32 v4, 0, v6, vcc
	v_and_or_b32 v3, v3, s1, v4
	v_trunc_f32_e32 v3, v3
	v_mul_f32_e64 v4, |v3|, s8
	v_floor_f32_e32 v4, v4
	s_mov_b32 s0, 0xcf800000
	v_fma_f32 v4, v4, s0, |v3|
	v_cvt_u32_f32_e32 v4, v4
	v_ashrrev_i32_e32 v3, 31, v3
	v_xor_b32_e32 v4, v4, v3
	v_sub_u32_e32 v3, v4, v3
.LBB7_194:
	s_mov_b64 s[0:1], 0
.LBB7_195:
	s_andn2_b64 vcc, exec, s[0:1]
	s_cbranch_vccnz .LBB7_197
; %bb.196:
	global_load_ubyte v3, v[1:2], off
	s_movk_i32 s0, 0x7f00
	s_brev_b32 s1, 16
	s_brev_b32 s8, 1
	s_mov_b32 s9, 0x2f800000
	s_waitcnt vmcnt(0)
	v_lshlrev_b16_e32 v4, 8, v3
	v_lshlrev_b32_e32 v3, 25, v3
	v_lshrrev_b32_e32 v6, 4, v3
	v_and_or_b32 v7, v4, s0, 0.5
	v_or_b32_e32 v6, 0x70000000, v6
	v_add_f32_e32 v7, -0.5, v7
	v_mul_f32_e32 v6, 0x7800000, v6
	v_cmp_gt_u32_e32 vcc, s1, v3
	v_bfe_i32 v4, v4, 0, 16
	v_cndmask_b32_e32 v3, v6, v7, vcc
	v_and_or_b32 v3, v4, s8, v3
	v_trunc_f32_e32 v3, v3
	v_mul_f32_e64 v4, |v3|, s9
	v_floor_f32_e32 v4, v4
	s_mov_b32 s0, 0xcf800000
	v_fma_f32 v4, v4, s0, |v3|
	v_cvt_u32_f32_e32 v4, v4
	v_ashrrev_i32_e32 v3, 31, v3
	v_xor_b32_e32 v4, v4, v3
	v_sub_u32_e32 v3, v4, v3
.LBB7_197:
	s_mov_b64 s[8:9], 0
	s_mov_b64 s[0:1], -1
.LBB7_198:
	s_andn2_b64 vcc, exec, s[8:9]
	s_cbranch_vccnz .LBB7_211
; %bb.199:
	s_cmp_gt_i32 s11, 14
	s_cbranch_scc0 .LBB7_202
; %bb.200:
	s_cmp_eq_u32 s11, 15
	s_cbranch_scc0 .LBB7_205
; %bb.201:
	global_load_ushort v3, v[1:2], off
	s_mov_b32 s0, 0x2f800000
	s_mov_b32 s1, 0xcf800000
	s_mov_b64 s[2:3], 0
	s_waitcnt vmcnt(0)
	v_lshlrev_b32_e32 v3, 16, v3
	v_trunc_f32_e32 v3, v3
	v_mul_f32_e64 v4, |v3|, s0
	v_floor_f32_e32 v4, v4
	v_fma_f32 v4, v4, s1, |v3|
	v_cvt_u32_f32_e32 v4, v4
	v_ashrrev_i32_e32 v3, 31, v3
	s_mov_b64 s[0:1], -1
	v_xor_b32_e32 v4, v4, v3
	v_sub_u32_e32 v3, v4, v3
	s_branch .LBB7_206
.LBB7_202:
	s_mov_b64 s[8:9], -1
                                        ; implicit-def: $vgpr3
	s_branch .LBB7_207
.LBB7_203:
	s_andn2_saveexec_b64 s[0:1], s[0:1]
	s_cbranch_execz .LBB7_184
.LBB7_204:
	v_cmp_ne_u16_e32 vcc, 0, v4
	s_andn2_b64 s[8:9], s[8:9], exec
	s_and_b64 s[12:13], vcc, exec
	s_or_b64 s[8:9], s[8:9], s[12:13]
	s_or_b64 exec, exec, s[0:1]
	v_mov_b32_e32 v3, 0
	s_and_saveexec_b64 s[0:1], s[8:9]
	s_cbranch_execnz .LBB7_185
	s_branch .LBB7_186
.LBB7_205:
	s_mov_b64 s[2:3], -1
                                        ; implicit-def: $vgpr3
.LBB7_206:
	s_mov_b64 s[8:9], 0
.LBB7_207:
	s_and_b64 vcc, exec, s[8:9]
	s_cbranch_vccz .LBB7_211
; %bb.208:
	s_cmp_eq_u32 s11, 11
	s_cbranch_scc0 .LBB7_210
; %bb.209:
	global_load_ubyte v3, v[1:2], off
	s_mov_b64 s[0:1], -1
	s_mov_b64 s[2:3], 0
	s_waitcnt vmcnt(0)
	v_cmp_ne_u16_e32 vcc, 0, v3
	v_cndmask_b32_e64 v3, 0, 1, vcc
	s_branch .LBB7_211
.LBB7_210:
	s_mov_b64 s[2:3], -1
                                        ; implicit-def: $vgpr3
.LBB7_211:
	s_branch .LBB7_24
.LBB7_212:
	s_and_b32 s8, 0xffff, s10
	s_cmp_lt_i32 s8, 5
	s_cbranch_scc1 .LBB7_217
; %bb.213:
	s_cmp_lt_i32 s8, 8
	s_cbranch_scc1 .LBB7_218
; %bb.214:
	;; [unrolled: 3-line block ×3, first 2 shown]
	s_cmp_gt_i32 s8, 9
	s_cbranch_scc0 .LBB7_220
; %bb.216:
	global_load_dwordx2 v[3:4], v[1:2], off
	s_movk_i32 s0, 0xffe0
	s_waitcnt vmcnt(0)
	v_trunc_f64_e32 v[3:4], v[3:4]
	v_ldexp_f64 v[6:7], v[3:4], s0
	s_mov_b32 s0, 0
	s_mov_b32 s1, 0xc1f00000
	v_floor_f64_e32 v[6:7], v[6:7]
	v_fma_f64 v[3:4], v[6:7], s[0:1], v[3:4]
	s_mov_b64 s[0:1], 0
	v_cvt_u32_f64_e32 v3, v[3:4]
	s_branch .LBB7_221
.LBB7_217:
                                        ; implicit-def: $vgpr3
	s_branch .LBB7_239
.LBB7_218:
	s_mov_b64 s[0:1], -1
                                        ; implicit-def: $vgpr3
	s_branch .LBB7_227
.LBB7_219:
	s_mov_b64 s[0:1], -1
                                        ; implicit-def: $vgpr3
	s_branch .LBB7_224
.LBB7_220:
	s_mov_b64 s[0:1], -1
                                        ; implicit-def: $vgpr3
.LBB7_221:
	s_andn2_b64 vcc, exec, s[0:1]
	s_cbranch_vccnz .LBB7_223
; %bb.222:
	global_load_dword v3, v[1:2], off
	s_mov_b32 s0, 0x2f800000
	s_waitcnt vmcnt(0)
	v_trunc_f32_e32 v3, v3
	v_mul_f32_e64 v4, |v3|, s0
	v_floor_f32_e32 v4, v4
	s_mov_b32 s0, 0xcf800000
	v_fma_f32 v4, v4, s0, |v3|
	v_cvt_u32_f32_e32 v4, v4
	v_ashrrev_i32_e32 v3, 31, v3
	v_xor_b32_e32 v4, v4, v3
	v_sub_u32_e32 v3, v4, v3
.LBB7_223:
	s_mov_b64 s[0:1], 0
.LBB7_224:
	s_andn2_b64 vcc, exec, s[0:1]
	s_cbranch_vccnz .LBB7_226
; %bb.225:
	global_load_dword v3, v[1:2], off
	s_waitcnt vmcnt(0)
	v_cvt_f32_f16_e32 v3, v3
	v_cvt_i32_f32_e32 v3, v3
.LBB7_226:
	s_mov_b64 s[0:1], 0
.LBB7_227:
	s_andn2_b64 vcc, exec, s[0:1]
	s_cbranch_vccnz .LBB7_238
; %bb.228:
	s_cmp_lt_i32 s8, 6
	s_cbranch_scc1 .LBB7_231
; %bb.229:
	s_cmp_gt_i32 s8, 6
	s_cbranch_scc0 .LBB7_232
; %bb.230:
	global_load_dwordx2 v[3:4], v[1:2], off
	s_movk_i32 s0, 0xffe0
	s_waitcnt vmcnt(0)
	v_trunc_f64_e32 v[3:4], v[3:4]
	v_ldexp_f64 v[6:7], v[3:4], s0
	s_mov_b32 s0, 0
	s_mov_b32 s1, 0xc1f00000
	v_floor_f64_e32 v[6:7], v[6:7]
	v_fma_f64 v[3:4], v[6:7], s[0:1], v[3:4]
	s_mov_b64 s[0:1], 0
	v_cvt_u32_f64_e32 v3, v[3:4]
	s_branch .LBB7_233
.LBB7_231:
	s_mov_b64 s[0:1], -1
                                        ; implicit-def: $vgpr3
	s_branch .LBB7_236
.LBB7_232:
	s_mov_b64 s[0:1], -1
                                        ; implicit-def: $vgpr3
.LBB7_233:
	s_andn2_b64 vcc, exec, s[0:1]
	s_cbranch_vccnz .LBB7_235
; %bb.234:
	global_load_dword v3, v[1:2], off
	s_mov_b32 s0, 0x2f800000
	s_waitcnt vmcnt(0)
	v_trunc_f32_e32 v3, v3
	v_mul_f32_e64 v4, |v3|, s0
	v_floor_f32_e32 v4, v4
	s_mov_b32 s0, 0xcf800000
	v_fma_f32 v4, v4, s0, |v3|
	v_cvt_u32_f32_e32 v4, v4
	v_ashrrev_i32_e32 v3, 31, v3
	v_xor_b32_e32 v4, v4, v3
	v_sub_u32_e32 v3, v4, v3
.LBB7_235:
	s_mov_b64 s[0:1], 0
.LBB7_236:
	s_andn2_b64 vcc, exec, s[0:1]
	s_cbranch_vccnz .LBB7_238
; %bb.237:
	global_load_ushort v3, v[1:2], off
	s_waitcnt vmcnt(0)
	v_cvt_f32_f16_e32 v3, v3
	v_cvt_i32_f32_e32 v3, v3
.LBB7_238:
	s_cbranch_execnz .LBB7_258
.LBB7_239:
	s_cmp_lt_i32 s8, 2
	s_cbranch_scc1 .LBB7_243
; %bb.240:
	s_cmp_lt_i32 s8, 3
	s_cbranch_scc1 .LBB7_244
; %bb.241:
	s_cmp_gt_i32 s8, 3
	s_cbranch_scc0 .LBB7_245
; %bb.242:
	global_load_dwordx2 v[3:4], v[1:2], off
	s_mov_b64 s[0:1], 0
	s_branch .LBB7_246
.LBB7_243:
	s_mov_b64 s[0:1], -1
                                        ; implicit-def: $vgpr3
	s_branch .LBB7_252
.LBB7_244:
	s_mov_b64 s[0:1], -1
                                        ; implicit-def: $vgpr3
	s_branch .LBB7_249
.LBB7_245:
	s_mov_b64 s[0:1], -1
                                        ; implicit-def: $vgpr3
.LBB7_246:
	s_andn2_b64 vcc, exec, s[0:1]
	s_cbranch_vccnz .LBB7_248
; %bb.247:
	global_load_dword v3, v[1:2], off
.LBB7_248:
	s_mov_b64 s[0:1], 0
.LBB7_249:
	s_andn2_b64 vcc, exec, s[0:1]
	s_cbranch_vccnz .LBB7_251
; %bb.250:
	global_load_ushort v3, v[1:2], off
.LBB7_251:
	s_mov_b64 s[0:1], 0
.LBB7_252:
	s_andn2_b64 vcc, exec, s[0:1]
	s_cbranch_vccnz .LBB7_258
; %bb.253:
	s_cmp_gt_i32 s8, 0
	s_cbranch_scc0 .LBB7_255
; %bb.254:
	global_load_ubyte v3, v[1:2], off
	s_mov_b64 s[0:1], 0
	s_branch .LBB7_256
.LBB7_255:
	s_mov_b64 s[0:1], -1
                                        ; implicit-def: $vgpr3
.LBB7_256:
	s_andn2_b64 vcc, exec, s[0:1]
	s_cbranch_vccnz .LBB7_258
; %bb.257:
	global_load_ubyte v3, v[1:2], off
.LBB7_258:
	s_branch .LBB7_25
.LBB7_259:
	s_mov_b64 s[0:1], 0
.LBB7_260:
	s_mov_b64 s[8:9], 0
                                        ; implicit-def: $vgpr11
.LBB7_261:
	s_and_b64 s[52:53], s[0:1], exec
	s_and_b64 s[54:55], s[2:3], exec
	s_orn2_b64 s[2:3], s[8:9], exec
.LBB7_262:
	s_or_b64 exec, exec, s[56:57]
	s_mov_b64 s[10:11], 0
	s_mov_b64 s[0:1], 0
                                        ; implicit-def: $sgpr14
                                        ; implicit-def: $vgpr1_vgpr2
                                        ; implicit-def: $vgpr0
                                        ; implicit-def: $vgpr3
	s_and_saveexec_b64 s[56:57], s[2:3]
	s_cbranch_execz .LBB7_269
; %bb.263:
	v_cmp_gt_i32_e32 vcc, s70, v11
	s_mov_b64 s[0:1], -1
	s_mov_b64 s[58:59], s[54:55]
	s_mov_b64 s[60:61], s[52:53]
	s_and_saveexec_b64 s[62:63], vcc
	s_cbranch_execz .LBB7_534
; %bb.264:
	s_andn2_b64 vcc, exec, s[40:41]
	s_cbranch_vccnz .LBB7_272
; %bb.265:
	s_andn2_b64 vcc, exec, s[50:51]
	s_cbranch_vccnz .LBB7_273
; %bb.266:
	s_add_i32 s65, s75, 1
	s_cmp_eq_u32 s72, 2
	s_cbranch_scc1 .LBB7_274
; %bb.267:
	s_and_b32 s64, s65, 28
	v_mov_b32_e32 v2, 0
	s_mov_b32 s66, 0
	s_mov_b64 s[58:59], s[34:35]
	s_mov_b64 s[60:61], s[48:49]
	v_mov_b32_e32 v0, 0
	v_mov_b32_e32 v1, v11
.LBB7_268:                              ; =>This Inner Loop Header: Depth=1
	s_load_dwordx8 s[16:23], s[58:59], 0x4
	s_load_dwordx4 s[0:3], s[58:59], 0x24
	s_load_dwordx8 s[8:15], s[60:61], 0x0
	s_add_u32 s58, s58, 48
	s_addc_u32 s59, s59, 0
	s_waitcnt vmcnt(0) lgkmcnt(0)
	v_mul_hi_u32 v3, s17, v1
	s_add_i32 s66, s66, 4
	s_add_u32 s60, s60, 32
	s_addc_u32 s61, s61, 0
	v_add_u32_e32 v3, v1, v3
	v_lshrrev_b32_e32 v3, s18, v3
	v_mul_lo_u32 v4, v3, s16
	v_mul_hi_u32 v6, s20, v3
	s_cmp_eq_u32 s64, s66
	v_sub_u32_e32 v1, v1, v4
	v_add_u32_e32 v4, v3, v6
	v_mul_lo_u32 v6, v1, s8
	v_mul_lo_u32 v7, v1, s9
	v_lshrrev_b32_e32 v1, s21, v4
	v_mul_lo_u32 v4, v1, s19
	v_mul_hi_u32 v8, s23, v1
	v_sub_u32_e32 v3, v3, v4
	v_add_u32_e32 v4, v1, v8
	v_lshrrev_b32_e32 v4, s0, v4
	v_mul_hi_u32 v9, s2, v4
	v_mul_lo_u32 v10, v4, s22
	v_mul_lo_u32 v8, v3, s10
	;; [unrolled: 1-line block ×3, first 2 shown]
	v_sub_u32_e32 v10, v1, v10
	v_add_u32_e32 v1, v4, v9
	v_lshrrev_b32_e32 v1, s3, v1
	v_mul_lo_u32 v9, v1, s1
	v_mul_lo_u32 v12, v10, s12
	;; [unrolled: 1-line block ×3, first 2 shown]
	v_add3_u32 v0, v6, v0, v8
	v_sub_u32_e32 v4, v4, v9
	v_mul_lo_u32 v9, v4, s14
	v_mul_lo_u32 v4, v4, s15
	v_add3_u32 v2, v7, v2, v3
	v_add3_u32 v0, v12, v0, v9
	;; [unrolled: 1-line block ×3, first 2 shown]
	s_cbranch_scc0 .LBB7_268
	s_branch .LBB7_275
.LBB7_269:
	s_or_b64 exec, exec, s[56:57]
	s_mov_b64 s[2:3], 0
	s_and_saveexec_b64 s[8:9], s[54:55]
	s_cbranch_execnz .LBB7_902
.LBB7_270:
	s_or_b64 exec, exec, s[8:9]
	s_and_saveexec_b64 s[8:9], s[60:61]
	s_xor_b64 s[8:9], exec, s[8:9]
	s_cbranch_execz .LBB7_903
.LBB7_271:
	global_load_ubyte v3, v[1:2], off
	s_or_b64 s[0:1], s[0:1], exec
	s_waitcnt vmcnt(0)
	v_cmp_ne_u16_e32 vcc, 0, v3
	v_cndmask_b32_e64 v3, 0, 1, vcc
	s_or_b64 exec, exec, s[8:9]
	s_and_saveexec_b64 s[8:9], s[10:11]
	s_cbranch_execz .LBB7_949
	s_branch .LBB7_904
.LBB7_272:
                                        ; implicit-def: $vgpr0
                                        ; implicit-def: $vgpr2
	s_andn2_b64 vcc, exec, s[0:1]
	s_cbranch_vccz .LBB7_279
	s_branch .LBB7_281
.LBB7_273:
	v_mov_b32_e32 v0, 0
	v_mov_b32_e32 v2, 0
	s_branch .LBB7_278
.LBB7_274:
	s_mov_b32 s64, 0
	v_mov_b32_e32 v0, 0
	v_mov_b32_e32 v2, 0
	;; [unrolled: 1-line block ×3, first 2 shown]
.LBB7_275:
	s_and_b32 s8, s65, 3
	s_cmp_eq_u32 s8, 0
	s_cbranch_scc1 .LBB7_278
; %bb.276:
	s_lshl_b32 s0, s64, 3
	s_add_u32 s0, s34, s0
	s_addc_u32 s1, s35, 0
	s_add_u32 s0, s0, 0xc4
	s_addc_u32 s1, s1, 0
	s_mul_i32 s2, s64, 12
	s_add_u32 s2, s34, s2
	s_addc_u32 s3, s35, 0
.LBB7_277:                              ; =>This Inner Loop Header: Depth=1
	s_load_dwordx2 s[10:11], s[2:3], 0x4
	s_load_dword s9, s[2:3], 0xc
	s_load_dwordx2 s[12:13], s[0:1], 0x0
	s_add_u32 s2, s2, 12
	s_addc_u32 s3, s3, 0
	s_waitcnt vmcnt(0) lgkmcnt(0)
	v_mul_hi_u32 v3, s11, v1
	s_add_u32 s0, s0, 8
	s_addc_u32 s1, s1, 0
	s_add_i32 s8, s8, -1
	v_add_u32_e32 v3, v1, v3
	v_lshrrev_b32_e32 v4, s9, v3
	v_mul_lo_u32 v3, v4, s10
	s_cmp_lg_u32 s8, 0
	v_sub_u32_e32 v3, v1, v3
	v_mad_u64_u32 v[0:1], s[10:11], v3, s12, v[0:1]
	v_mad_u64_u32 v[2:3], s[10:11], v3, s13, v[2:3]
	v_mov_b32_e32 v1, v4
	s_cbranch_scc1 .LBB7_277
.LBB7_278:
	s_cbranch_execnz .LBB7_281
.LBB7_279:
	s_waitcnt lgkmcnt(0)
	v_mul_hi_u32 v0, s37, v11
	s_andn2_b64 vcc, exec, s[46:47]
	v_add_u32_e32 v0, v11, v0
	v_lshrrev_b32_e32 v1, s38, v0
	v_mul_lo_u32 v0, v1, s36
	v_sub_u32_e32 v2, v11, v0
	v_mul_lo_u32 v0, v2, s28
	v_mul_lo_u32 v2, v2, s29
	s_cbranch_vccnz .LBB7_281
; %bb.280:
	s_waitcnt vmcnt(0)
	v_mul_hi_u32 v3, s44, v1
	v_add_u32_e32 v3, v1, v3
	v_lshrrev_b32_e32 v3, s45, v3
	v_mul_lo_u32 v3, v3, s39
	v_sub_u32_e32 v3, v1, v3
	v_mad_u64_u32 v[0:1], s[0:1], v3, s30, v[0:1]
	v_mad_u64_u32 v[2:3], s[0:1], v3, s31, v[2:3]
.LBB7_281:
	s_waitcnt vmcnt(0) lgkmcnt(0)
	v_mov_b32_e32 v3, s27
	s_and_b32 s10, s74, 0xff
	v_add_co_u32_e32 v1, vcc, s26, v2
	s_cmp_lt_i32 s10, 11
	v_addc_co_u32_e32 v2, vcc, 0, v3, vcc
	s_cbranch_scc1 .LBB7_288
; %bb.282:
	s_and_b32 s11, 0xffff, s10
	s_cmp_gt_i32 s11, 25
	s_cbranch_scc0 .LBB7_297
; %bb.283:
	s_cmp_gt_i32 s11, 28
	s_cbranch_scc0 .LBB7_299
; %bb.284:
	;; [unrolled: 3-line block ×4, first 2 shown]
	s_cmp_eq_u32 s11, 46
	s_mov_b64 s[8:9], 0
	s_cbranch_scc0 .LBB7_309
; %bb.287:
	global_load_dword v3, v[1:2], off
	s_mov_b32 s0, 0x2f800000
	s_mov_b32 s1, 0xcf800000
	s_mov_b64 s[2:3], 0
	s_waitcnt vmcnt(0)
	v_lshlrev_b32_e32 v3, 16, v3
	v_trunc_f32_e32 v3, v3
	v_mul_f32_e64 v4, |v3|, s0
	v_floor_f32_e32 v4, v4
	v_fma_f32 v4, v4, s1, |v3|
	v_cvt_u32_f32_e32 v4, v4
	v_ashrrev_i32_e32 v3, 31, v3
	s_mov_b64 s[0:1], -1
	v_xor_b32_e32 v4, v4, v3
	v_sub_u32_e32 v3, v4, v3
	s_branch .LBB7_310
.LBB7_288:
	s_mov_b64 s[0:1], 0
                                        ; implicit-def: $vgpr3
	s_mov_b64 s[2:3], s[54:55]
	s_cbranch_execnz .LBB7_483
.LBB7_289:
	s_andn2_b64 vcc, exec, s[0:1]
	s_cbranch_vccnz .LBB7_531
.LBB7_290:
	v_mov_b32_e32 v2, 8
	s_waitcnt vmcnt(0)
	v_lshlrev_b32_sdwa v1, v3, v5 dst_sel:DWORD dst_unused:UNUSED_PAD src0_sel:DWORD src1_sel:BYTE_0
	v_cmp_lt_u16_sdwa vcc, v3, v2 src0_sel:BYTE_0 src1_sel:DWORD
	v_cndmask_b32_e32 v2, 0, v1, vcc
	v_mov_b32_e32 v1, s25
	s_and_b32 s14, 0xffff, s73
	v_add_co_u32_e32 v0, vcc, s24, v0
	s_cmp_lt_i32 s14, 11
	v_addc_co_u32_e32 v1, vcc, 0, v1, vcc
	s_cbranch_scc1 .LBB7_298
; %bb.291:
	s_cmp_gt_i32 s14, 25
	s_cbranch_scc0 .LBB7_300
; %bb.292:
	s_cmp_gt_i32 s14, 28
	s_cbranch_scc0 .LBB7_302
	;; [unrolled: 3-line block ×4, first 2 shown]
; %bb.295:
	s_mov_b64 s[10:11], 0
	s_mov_b64 s[0:1], -1
	s_cmp_eq_u32 s14, 46
	s_mov_b64 s[8:9], 0
	s_cbranch_scc0 .LBB7_314
; %bb.296:
	v_cvt_f32_ubyte0_e32 v3, v2
	v_bfe_u32 v4, v3, 16, 1
	s_movk_i32 s0, 0x7fff
	v_add3_u32 v3, v3, v4, s0
	v_lshrrev_b32_e32 v3, 16, v3
	global_store_dword v[0:1], v3, off
	s_mov_b64 s[8:9], -1
	s_mov_b64 s[0:1], 0
	s_branch .LBB7_314
.LBB7_297:
	s_mov_b64 s[8:9], -1
	s_mov_b64 s[0:1], 0
	s_mov_b64 s[2:3], s[54:55]
                                        ; implicit-def: $vgpr3
	s_branch .LBB7_449
.LBB7_298:
	s_mov_b64 s[10:11], -1
	s_mov_b64 s[8:9], 0
	s_mov_b64 s[0:1], s[52:53]
	s_branch .LBB7_383
.LBB7_299:
	s_mov_b64 s[8:9], -1
	s_mov_b64 s[0:1], 0
	s_mov_b64 s[2:3], s[54:55]
                                        ; implicit-def: $vgpr3
	s_branch .LBB7_432
.LBB7_300:
	s_mov_b64 s[10:11], -1
	s_mov_b64 s[8:9], 0
	s_mov_b64 s[0:1], s[52:53]
	s_branch .LBB7_341
.LBB7_301:
	s_mov_b64 s[8:9], -1
	s_mov_b64 s[0:1], 0
	s_mov_b64 s[2:3], s[54:55]
                                        ; implicit-def: $vgpr3
	s_branch .LBB7_427
.LBB7_302:
	s_mov_b64 s[10:11], -1
	s_mov_b64 s[8:9], 0
	s_mov_b64 s[0:1], s[52:53]
	s_branch .LBB7_324
.LBB7_303:
	s_andn2_saveexec_b64 s[12:13], s[12:13]
	s_cbranch_execz .LBB7_68
.LBB7_304:
	v_add_f32_e32 v3, 0x46000000, v4
	v_and_b32_e32 v3, 0xff, v3
	v_cmp_ne_u32_e32 vcc, 0, v3
	s_andn2_b64 s[10:11], s[10:11], exec
	s_and_b64 s[16:17], vcc, exec
	s_or_b64 s[10:11], s[10:11], s[16:17]
	s_or_b64 exec, exec, s[12:13]
	v_mov_b32_e32 v6, 0
	s_and_saveexec_b64 s[12:13], s[10:11]
	s_cbranch_execnz .LBB7_69
	s_branch .LBB7_70
.LBB7_305:
	s_mov_b64 s[8:9], -1
	s_mov_b64 s[0:1], 0
	s_mov_b64 s[2:3], s[54:55]
                                        ; implicit-def: $vgpr3
	s_branch .LBB7_310
.LBB7_306:
	s_mov_b64 s[10:11], -1
	s_mov_b64 s[8:9], 0
	s_mov_b64 s[0:1], s[52:53]
	s_branch .LBB7_320
.LBB7_307:
	s_andn2_saveexec_b64 s[12:13], s[12:13]
	s_cbranch_execz .LBB7_81
.LBB7_308:
	v_add_f32_e32 v3, 0x42800000, v4
	v_and_b32_e32 v3, 0xff, v3
	v_cmp_ne_u32_e32 vcc, 0, v3
	s_andn2_b64 s[10:11], s[10:11], exec
	s_and_b64 s[16:17], vcc, exec
	s_or_b64 s[10:11], s[10:11], s[16:17]
	s_or_b64 exec, exec, s[12:13]
	v_mov_b32_e32 v6, 0
	s_and_saveexec_b64 s[12:13], s[10:11]
	s_cbranch_execnz .LBB7_82
	s_branch .LBB7_83
.LBB7_309:
	s_mov_b64 s[2:3], -1
                                        ; implicit-def: $vgpr3
	s_mov_b64 s[0:1], 0
.LBB7_310:
	s_and_b64 vcc, exec, s[8:9]
	s_cbranch_vccz .LBB7_426
; %bb.311:
	s_cmp_eq_u32 s11, 44
	s_cbranch_scc0 .LBB7_425
; %bb.312:
	global_load_ubyte v3, v[1:2], off
	s_mov_b32 s0, 0x2f800000
	s_mov_b32 s1, 0xcf800000
	s_mov_b64 s[2:3], 0
	s_waitcnt vmcnt(0)
	v_lshlrev_b32_e32 v4, 23, v3
	v_trunc_f32_e32 v4, v4
	v_mul_f32_e64 v6, |v4|, s0
	v_floor_f32_e32 v6, v6
	v_fma_f32 v6, v6, s1, |v4|
	v_cvt_u32_f32_e32 v6, v6
	v_ashrrev_i32_e32 v4, 31, v4
	v_cmp_ne_u32_e32 vcc, 0, v3
	s_mov_b64 s[0:1], -1
	v_xor_b32_e32 v6, v6, v4
	v_sub_u32_e32 v4, v6, v4
	v_cndmask_b32_e32 v3, 0, v4, vcc
	s_branch .LBB7_426
.LBB7_313:
	s_mov_b64 s[10:11], -1
	s_mov_b64 s[8:9], 0
	s_mov_b64 s[0:1], s[52:53]
.LBB7_314:
	s_and_b64 vcc, exec, s[10:11]
	s_cbranch_vccz .LBB7_319
; %bb.315:
	s_cmp_eq_u32 s14, 44
	s_mov_b64 s[0:1], -1
	s_cbranch_scc0 .LBB7_319
; %bb.316:
	v_cvt_f32_ubyte0_e32 v4, v2
	v_lshrrev_b32_e32 v3, 23, v4
	s_movk_i32 s0, 0xff
	v_cmp_ne_u32_e32 vcc, s0, v3
	v_mov_b32_e32 v6, 0xff
	s_and_saveexec_b64 s[8:9], vcc
; %bb.317:
	s_mov_b32 s0, 0x3fffff
	v_and_b32_e32 v6, 0x400000, v4
	v_and_or_b32 v4, v4, s0, v3
	v_cmp_ne_u32_e32 vcc, 0, v6
	v_cmp_ne_u32_e64 s[0:1], 0, v4
	s_and_b64 s[0:1], vcc, s[0:1]
	v_cndmask_b32_e64 v4, 0, 1, s[0:1]
	v_add_u32_e32 v6, v3, v4
; %bb.318:
	s_or_b64 exec, exec, s[8:9]
	s_mov_b64 s[8:9], -1
	s_mov_b64 s[0:1], 0
	global_store_byte v[0:1], v6, off
.LBB7_319:
	s_mov_b64 s[10:11], 0
.LBB7_320:
	s_and_b64 vcc, exec, s[10:11]
	s_cbranch_vccz .LBB7_323
; %bb.321:
	s_cmp_eq_u32 s14, 29
	s_mov_b64 s[0:1], -1
	s_cbranch_scc0 .LBB7_323
; %bb.322:
	v_and_b32_e32 v3, 0xff, v2
	v_mov_b32_e32 v4, 0
	global_store_dwordx2 v[0:1], v[3:4], off
	s_mov_b64 s[8:9], -1
	s_mov_b64 s[0:1], 0
.LBB7_323:
	s_mov_b64 s[10:11], 0
.LBB7_324:
	s_and_b64 vcc, exec, s[10:11]
	s_cbranch_vccz .LBB7_340
; %bb.325:
	s_cmp_lt_i32 s14, 27
	s_mov_b64 s[8:9], -1
	s_cbranch_scc1 .LBB7_331
; %bb.326:
	s_cmp_gt_i32 s14, 27
	s_cbranch_scc0 .LBB7_328
; %bb.327:
	v_and_b32_e32 v3, 0xff, v2
	s_mov_b64 s[8:9], 0
	global_store_dword v[0:1], v3, off
.LBB7_328:
	s_andn2_b64 vcc, exec, s[8:9]
	s_cbranch_vccnz .LBB7_330
; %bb.329:
	v_and_b32_e32 v3, 0xff, v2
	global_store_short v[0:1], v3, off
.LBB7_330:
	s_mov_b64 s[8:9], 0
.LBB7_331:
	s_andn2_b64 vcc, exec, s[8:9]
	s_cbranch_vccnz .LBB7_339
; %bb.332:
	v_cvt_f32_ubyte0_e32 v4, v2
	s_mov_b32 s8, 0x43800000
	v_cmp_gt_u32_e32 vcc, s8, v4
	v_mov_b32_e32 v6, 0x80
	s_and_saveexec_b64 s[8:9], vcc
	s_cbranch_execz .LBB7_338
; %bb.333:
	s_mov_b32 s10, 0x3bffffff
	v_cmp_lt_u32_e32 vcc, s10, v4
	s_mov_b64 s[10:11], 0
                                        ; implicit-def: $vgpr3
	s_and_saveexec_b64 s[12:13], vcc
	s_xor_b64 s[12:13], exec, s[12:13]
	s_cbranch_execz .LBB7_562
; %bb.334:
	v_bfe_u32 v3, v4, 20, 1
	s_mov_b32 s15, 0x487ffff
	v_add3_u32 v3, v4, v3, s15
	s_mov_b64 s[10:11], exec
	v_lshrrev_b32_e32 v3, 20, v3
                                        ; implicit-def: $vgpr4
	s_andn2_saveexec_b64 s[12:13], s[12:13]
	s_cbranch_execnz .LBB7_563
.LBB7_335:
	s_or_b64 exec, exec, s[12:13]
	v_mov_b32_e32 v6, 0
	s_and_saveexec_b64 s[12:13], s[10:11]
.LBB7_336:
	v_mov_b32_e32 v6, v3
.LBB7_337:
	s_or_b64 exec, exec, s[12:13]
.LBB7_338:
	s_or_b64 exec, exec, s[8:9]
	global_store_byte v[0:1], v6, off
.LBB7_339:
	s_mov_b64 s[8:9], -1
.LBB7_340:
	s_mov_b64 s[10:11], 0
.LBB7_341:
	s_and_b64 vcc, exec, s[10:11]
	s_cbranch_vccz .LBB7_382
; %bb.342:
	s_cmp_gt_i32 s14, 22
	s_mov_b64 s[10:11], -1
	s_cbranch_scc0 .LBB7_374
; %bb.343:
	s_cmp_lt_i32 s14, 24
	s_mov_b64 s[8:9], -1
	s_cbranch_scc1 .LBB7_363
; %bb.344:
	s_cmp_gt_i32 s14, 24
	s_cbranch_scc0 .LBB7_352
; %bb.345:
	v_cvt_f32_ubyte0_e32 v4, v2
	s_mov_b32 s8, 0x47800000
	v_cmp_gt_u32_e32 vcc, s8, v4
	v_mov_b32_e32 v6, 0x80
	s_and_saveexec_b64 s[8:9], vcc
	s_cbranch_execz .LBB7_351
; %bb.346:
	s_mov_b32 s10, 0x37ffffff
	v_cmp_lt_u32_e32 vcc, s10, v4
	s_mov_b64 s[10:11], 0
                                        ; implicit-def: $vgpr3
	s_and_saveexec_b64 s[12:13], vcc
	s_xor_b64 s[12:13], exec, s[12:13]
	s_cbranch_execz .LBB7_565
; %bb.347:
	v_bfe_u32 v3, v4, 21, 1
	s_mov_b32 s15, 0x88fffff
	v_add3_u32 v3, v4, v3, s15
	s_mov_b64 s[10:11], exec
	v_lshrrev_b32_e32 v3, 21, v3
                                        ; implicit-def: $vgpr4
	s_andn2_saveexec_b64 s[12:13], s[12:13]
	s_cbranch_execnz .LBB7_566
.LBB7_348:
	s_or_b64 exec, exec, s[12:13]
	v_mov_b32_e32 v6, 0
	s_and_saveexec_b64 s[12:13], s[10:11]
.LBB7_349:
	v_mov_b32_e32 v6, v3
.LBB7_350:
	s_or_b64 exec, exec, s[12:13]
.LBB7_351:
	s_or_b64 exec, exec, s[8:9]
	s_mov_b64 s[8:9], 0
	global_store_byte v[0:1], v6, off
.LBB7_352:
	s_and_b64 vcc, exec, s[8:9]
	s_cbranch_vccz .LBB7_362
; %bb.353:
	v_cvt_f32_ubyte0_e32 v3, v2
	s_mov_b32 s8, 0x43f00000
	v_cmp_gt_u32_e32 vcc, s8, v3
                                        ; implicit-def: $vgpr4
	s_and_saveexec_b64 s[8:9], vcc
	s_xor_b64 s[8:9], exec, s[8:9]
	s_cbranch_execz .LBB7_359
; %bb.354:
	s_mov_b32 s10, 0x3c7fffff
	v_cmp_lt_u32_e32 vcc, s10, v3
                                        ; implicit-def: $vgpr4
	s_and_saveexec_b64 s[10:11], vcc
	s_xor_b64 s[10:11], exec, s[10:11]
; %bb.355:
	v_bfe_u32 v4, v3, 20, 1
	s_mov_b32 s12, 0x407ffff
	v_add3_u32 v3, v3, v4, s12
	v_lshrrev_b32_e32 v4, 20, v3
	v_and_b32_e32 v3, 0xff00000, v3
	s_mov_b32 s12, 0x7f00000
	v_mov_b32_e32 v6, 0x7e
	v_cmp_ne_u32_e32 vcc, s12, v3
	v_cndmask_b32_e32 v4, v6, v4, vcc
                                        ; implicit-def: $vgpr3
; %bb.356:
	s_andn2_saveexec_b64 s[10:11], s[10:11]
; %bb.357:
	v_add_f32_e32 v4, 0x46800000, v3
; %bb.358:
	s_or_b64 exec, exec, s[10:11]
                                        ; implicit-def: $vgpr3
.LBB7_359:
	s_andn2_saveexec_b64 s[8:9], s[8:9]
; %bb.360:
	s_mov_b32 s10, 0x7f800000
	v_mov_b32_e32 v4, 0x7e
	v_mov_b32_e32 v6, 0x7f
	v_cmp_lt_u32_e32 vcc, s10, v3
	v_cndmask_b32_e32 v4, v4, v6, vcc
; %bb.361:
	s_or_b64 exec, exec, s[8:9]
	global_store_byte v[0:1], v4, off
.LBB7_362:
	s_mov_b64 s[8:9], 0
.LBB7_363:
	s_andn2_b64 vcc, exec, s[8:9]
	s_cbranch_vccnz .LBB7_373
; %bb.364:
	v_cvt_f32_ubyte0_e32 v3, v2
	s_mov_b32 s8, 0x47800000
	v_cmp_gt_u32_e32 vcc, s8, v3
                                        ; implicit-def: $vgpr4
	s_and_saveexec_b64 s[8:9], vcc
	s_xor_b64 s[8:9], exec, s[8:9]
	s_cbranch_execz .LBB7_370
; %bb.365:
	s_mov_b32 s10, 0x387fffff
	v_cmp_lt_u32_e32 vcc, s10, v3
                                        ; implicit-def: $vgpr4
	s_and_saveexec_b64 s[10:11], vcc
	s_xor_b64 s[10:11], exec, s[10:11]
; %bb.366:
	v_bfe_u32 v4, v3, 21, 1
	s_mov_b32 s12, 0x80fffff
	v_add3_u32 v3, v3, v4, s12
	v_lshrrev_b32_e32 v4, 21, v3
                                        ; implicit-def: $vgpr3
; %bb.367:
	s_andn2_saveexec_b64 s[10:11], s[10:11]
; %bb.368:
	v_add_f32_e32 v4, 0x43000000, v3
; %bb.369:
	s_or_b64 exec, exec, s[10:11]
                                        ; implicit-def: $vgpr3
.LBB7_370:
	s_andn2_saveexec_b64 s[8:9], s[8:9]
; %bb.371:
	s_mov_b32 s10, 0x7f800000
	v_mov_b32_e32 v4, 0x7c
	v_mov_b32_e32 v6, 0x7f
	v_cmp_lt_u32_e32 vcc, s10, v3
	v_cndmask_b32_e32 v4, v4, v6, vcc
; %bb.372:
	s_or_b64 exec, exec, s[8:9]
	global_store_byte v[0:1], v4, off
.LBB7_373:
	s_mov_b64 s[10:11], 0
	s_mov_b64 s[8:9], -1
.LBB7_374:
	s_andn2_b64 vcc, exec, s[10:11]
	s_cbranch_vccnz .LBB7_382
; %bb.375:
	s_cmp_gt_i32 s14, 14
	s_mov_b64 s[10:11], -1
	s_cbranch_scc0 .LBB7_379
; %bb.376:
	s_cmp_eq_u32 s14, 15
	s_mov_b64 s[0:1], -1
	s_cbranch_scc0 .LBB7_378
; %bb.377:
	v_cvt_f32_ubyte0_e32 v3, v2
	v_bfe_u32 v4, v3, 16, 1
	s_movk_i32 s0, 0x7fff
	v_add3_u32 v3, v3, v4, s0
	global_store_short_d16_hi v[0:1], v3, off
	s_mov_b64 s[8:9], -1
	s_mov_b64 s[0:1], 0
.LBB7_378:
	s_mov_b64 s[10:11], 0
.LBB7_379:
	s_and_b64 vcc, exec, s[10:11]
	s_cbranch_vccz .LBB7_382
; %bb.380:
	s_cmp_eq_u32 s14, 11
	s_mov_b64 s[0:1], -1
	s_cbranch_scc0 .LBB7_382
; %bb.381:
	v_mov_b32_e32 v3, 0
	v_cmp_ne_u16_sdwa s[0:1], v2, v3 src0_sel:BYTE_0 src1_sel:DWORD
	v_cndmask_b32_e64 v3, 0, 1, s[0:1]
	s_mov_b64 s[8:9], -1
	s_mov_b64 s[0:1], 0
	global_store_byte v[0:1], v3, off
.LBB7_382:
	s_mov_b64 s[10:11], 0
.LBB7_383:
	s_and_b64 vcc, exec, s[10:11]
	s_cbranch_vccz .LBB7_422
; %bb.384:
	s_cmp_lt_i32 s14, 5
	s_mov_b64 s[8:9], -1
	s_cbranch_scc1 .LBB7_405
; %bb.385:
	s_cmp_lt_i32 s14, 8
	s_cbranch_scc1 .LBB7_395
; %bb.386:
	s_cmp_lt_i32 s14, 9
	s_cbranch_scc1 .LBB7_392
; %bb.387:
	s_cmp_gt_i32 s14, 9
	s_cbranch_scc0 .LBB7_389
; %bb.388:
	s_mov_b32 s8, 0xffff
	v_and_b32_sdwa v3, s8, v2 dst_sel:DWORD dst_unused:UNUSED_PAD src0_sel:DWORD src1_sel:BYTE_0
	v_cvt_f64_u32_e32 v[6:7], v3
	v_mov_b32_e32 v8, 0
	v_mov_b32_e32 v9, v8
	s_mov_b64 s[8:9], 0
	global_store_dwordx4 v[0:1], v[6:9], off
.LBB7_389:
	s_andn2_b64 vcc, exec, s[8:9]
	s_cbranch_vccnz .LBB7_391
; %bb.390:
	v_cvt_f32_ubyte0_e32 v3, v2
	v_mov_b32_e32 v4, 0
	global_store_dwordx2 v[0:1], v[3:4], off
.LBB7_391:
	s_mov_b64 s[8:9], 0
.LBB7_392:
	s_andn2_b64 vcc, exec, s[8:9]
	s_cbranch_vccnz .LBB7_394
; %bb.393:
	v_cvt_f16_u16_sdwa v3, v2 dst_sel:DWORD dst_unused:UNUSED_PAD src0_sel:BYTE_0
	global_store_dword v[0:1], v3, off
.LBB7_394:
	s_mov_b64 s[8:9], 0
.LBB7_395:
	s_andn2_b64 vcc, exec, s[8:9]
	s_cbranch_vccnz .LBB7_404
; %bb.396:
	s_cmp_lt_i32 s14, 6
	s_mov_b64 s[8:9], -1
	s_cbranch_scc1 .LBB7_402
; %bb.397:
	s_cmp_gt_i32 s14, 6
	s_cbranch_scc0 .LBB7_399
; %bb.398:
	s_mov_b32 s8, 0xffff
	v_and_b32_sdwa v3, s8, v2 dst_sel:DWORD dst_unused:UNUSED_PAD src0_sel:DWORD src1_sel:BYTE_0
	v_cvt_f64_u32_e32 v[3:4], v3
	s_mov_b64 s[8:9], 0
	global_store_dwordx2 v[0:1], v[3:4], off
.LBB7_399:
	s_andn2_b64 vcc, exec, s[8:9]
	s_cbranch_vccnz .LBB7_401
; %bb.400:
	v_cvt_f32_ubyte0_e32 v3, v2
	global_store_dword v[0:1], v3, off
.LBB7_401:
	s_mov_b64 s[8:9], 0
.LBB7_402:
	s_andn2_b64 vcc, exec, s[8:9]
	s_cbranch_vccnz .LBB7_404
; %bb.403:
	v_cvt_f16_u16_sdwa v3, v2 dst_sel:DWORD dst_unused:UNUSED_PAD src0_sel:BYTE_0
	global_store_short v[0:1], v3, off
.LBB7_404:
	s_mov_b64 s[8:9], 0
.LBB7_405:
	s_andn2_b64 vcc, exec, s[8:9]
	s_cbranch_vccnz .LBB7_421
; %bb.406:
	s_cmp_lt_i32 s14, 2
	s_mov_b64 s[8:9], -1
	s_cbranch_scc1 .LBB7_416
; %bb.407:
	s_cmp_lt_i32 s14, 3
	s_cbranch_scc1 .LBB7_413
; %bb.408:
	s_cmp_gt_i32 s14, 3
	s_cbranch_scc0 .LBB7_410
; %bb.409:
	v_and_b32_e32 v3, 0xff, v2
	v_mov_b32_e32 v4, 0
	s_mov_b64 s[8:9], 0
	global_store_dwordx2 v[0:1], v[3:4], off
.LBB7_410:
	s_andn2_b64 vcc, exec, s[8:9]
	s_cbranch_vccnz .LBB7_412
; %bb.411:
	v_and_b32_e32 v3, 0xff, v2
	global_store_dword v[0:1], v3, off
.LBB7_412:
	s_mov_b64 s[8:9], 0
.LBB7_413:
	s_andn2_b64 vcc, exec, s[8:9]
	s_cbranch_vccnz .LBB7_415
; %bb.414:
	v_and_b32_e32 v3, 0xff, v2
	global_store_short v[0:1], v3, off
.LBB7_415:
	s_mov_b64 s[8:9], 0
.LBB7_416:
	s_andn2_b64 vcc, exec, s[8:9]
	s_cbranch_vccnz .LBB7_421
; %bb.417:
	s_cmp_gt_i32 s14, 0
	s_mov_b64 s[8:9], -1
	s_cbranch_scc0 .LBB7_419
; %bb.418:
	s_mov_b64 s[8:9], 0
	global_store_byte v[0:1], v2, off
.LBB7_419:
	s_andn2_b64 vcc, exec, s[8:9]
	s_cbranch_vccnz .LBB7_421
; %bb.420:
	global_store_byte v[0:1], v2, off
.LBB7_421:
	s_mov_b64 s[8:9], -1
.LBB7_422:
	s_andn2_b64 vcc, exec, s[8:9]
	s_cbranch_vccnz .LBB7_424
; %bb.423:
	v_add_u32_e32 v11, 0x80, v11
	s_mov_b64 s[8:9], -1
	s_branch .LBB7_533
.LBB7_424:
	s_mov_b64 s[8:9], 0
	s_branch .LBB7_532
.LBB7_425:
	s_mov_b64 s[2:3], -1
                                        ; implicit-def: $vgpr3
.LBB7_426:
	s_mov_b64 s[8:9], 0
.LBB7_427:
	s_and_b64 vcc, exec, s[8:9]
	s_cbranch_vccz .LBB7_431
; %bb.428:
	s_cmp_eq_u32 s11, 29
	s_cbranch_scc0 .LBB7_430
; %bb.429:
	global_load_dwordx2 v[3:4], v[1:2], off
	s_mov_b64 s[0:1], -1
	s_mov_b64 s[2:3], 0
	s_branch .LBB7_431
.LBB7_430:
	s_mov_b64 s[2:3], -1
                                        ; implicit-def: $vgpr3
.LBB7_431:
	s_mov_b64 s[8:9], 0
.LBB7_432:
	s_and_b64 vcc, exec, s[8:9]
	s_cbranch_vccz .LBB7_448
; %bb.433:
	s_cmp_lt_i32 s11, 27
	s_cbranch_scc1 .LBB7_436
; %bb.434:
	s_cmp_gt_i32 s11, 27
	s_cbranch_scc0 .LBB7_437
; %bb.435:
	global_load_dword v3, v[1:2], off
	s_mov_b64 s[0:1], 0
	s_branch .LBB7_438
.LBB7_436:
	s_mov_b64 s[0:1], -1
                                        ; implicit-def: $vgpr3
	s_branch .LBB7_441
.LBB7_437:
	s_mov_b64 s[0:1], -1
                                        ; implicit-def: $vgpr3
.LBB7_438:
	s_andn2_b64 vcc, exec, s[0:1]
	s_cbranch_vccnz .LBB7_440
; %bb.439:
	global_load_ushort v3, v[1:2], off
.LBB7_440:
	s_mov_b64 s[0:1], 0
.LBB7_441:
	s_andn2_b64 vcc, exec, s[0:1]
	s_cbranch_vccnz .LBB7_447
; %bb.442:
	global_load_ubyte v4, v[1:2], off
	s_movk_i32 s0, 0x7f
	s_mov_b64 s[8:9], 0
	s_waitcnt vmcnt(0)
	v_cmp_lt_i16_e32 vcc, s0, v4
	s_and_saveexec_b64 s[0:1], vcc
	s_xor_b64 s[0:1], exec, s[0:1]
	s_cbranch_execz .LBB7_459
; %bb.443:
	s_movk_i32 s8, 0x80
	v_cmp_ne_u16_e32 vcc, s8, v4
	s_and_b64 s[8:9], vcc, exec
	s_andn2_saveexec_b64 s[0:1], s[0:1]
	s_cbranch_execnz .LBB7_460
.LBB7_444:
	s_or_b64 exec, exec, s[0:1]
	v_mov_b32_e32 v3, 0
	s_and_saveexec_b64 s[0:1], s[8:9]
	s_cbranch_execz .LBB7_446
.LBB7_445:
	v_lshlrev_b32_e32 v3, 24, v4
	v_and_b32_e32 v4, 0xffff, v4
	v_and_b32_e32 v6, 7, v4
	v_ffbh_u32_e32 v8, v6
	v_min_u32_e32 v8, 32, v8
	v_subrev_u32_e32 v9, 28, v8
	v_bfe_u32 v7, v4, 3, 4
	v_lshlrev_b32_e32 v4, v9, v4
	v_sub_u32_e32 v8, 29, v8
	v_and_b32_e32 v4, 7, v4
	v_cmp_eq_u32_e32 vcc, 0, v7
	v_cndmask_b32_e32 v7, v7, v8, vcc
	v_cndmask_b32_e32 v4, v6, v4, vcc
	v_mov_b32_e32 v6, 0x3b800000
	v_lshlrev_b32_e32 v4, 20, v4
	v_and_b32_e32 v3, 0x80000000, v3
	v_lshl_add_u32 v6, v7, 23, v6
	v_or3_b32 v3, v3, v6, v4
	v_trunc_f32_e32 v3, v3
	s_mov_b32 s8, 0x2f800000
	v_mul_f32_e64 v4, |v3|, s8
	v_floor_f32_e32 v4, v4
	s_mov_b32 s8, 0xcf800000
	v_fma_f32 v4, v4, s8, |v3|
	v_cvt_u32_f32_e32 v4, v4
	v_ashrrev_i32_e32 v3, 31, v3
	v_xor_b32_e32 v4, v4, v3
	v_sub_u32_e32 v3, v4, v3
.LBB7_446:
	s_or_b64 exec, exec, s[0:1]
.LBB7_447:
	s_mov_b64 s[0:1], -1
.LBB7_448:
	s_mov_b64 s[8:9], 0
.LBB7_449:
	s_and_b64 vcc, exec, s[8:9]
	s_cbranch_vccz .LBB7_482
; %bb.450:
	s_cmp_gt_i32 s11, 22
	s_cbranch_scc0 .LBB7_458
; %bb.451:
	s_cmp_lt_i32 s11, 24
	s_cbranch_scc1 .LBB7_461
; %bb.452:
	s_cmp_gt_i32 s11, 24
	s_cbranch_scc0 .LBB7_462
; %bb.453:
	global_load_ubyte v4, v[1:2], off
	s_movk_i32 s0, 0x7f
	s_mov_b64 s[8:9], 0
	s_waitcnt vmcnt(0)
	v_cmp_lt_i16_e32 vcc, s0, v4
	s_and_saveexec_b64 s[0:1], vcc
	s_xor_b64 s[0:1], exec, s[0:1]
	s_cbranch_execz .LBB7_474
; %bb.454:
	s_movk_i32 s8, 0x80
	v_cmp_ne_u16_e32 vcc, s8, v4
	s_and_b64 s[8:9], vcc, exec
	s_andn2_saveexec_b64 s[0:1], s[0:1]
	s_cbranch_execnz .LBB7_475
.LBB7_455:
	s_or_b64 exec, exec, s[0:1]
	v_mov_b32_e32 v3, 0
	s_and_saveexec_b64 s[0:1], s[8:9]
	s_cbranch_execz .LBB7_457
.LBB7_456:
	v_lshlrev_b32_e32 v3, 24, v4
	v_and_b32_e32 v4, 0xffff, v4
	v_and_b32_e32 v6, 3, v4
	v_ffbh_u32_e32 v8, v6
	v_min_u32_e32 v8, 32, v8
	v_subrev_u32_e32 v9, 29, v8
	v_bfe_u32 v7, v4, 2, 5
	v_lshlrev_b32_e32 v4, v9, v4
	v_sub_u32_e32 v8, 30, v8
	v_and_b32_e32 v4, 3, v4
	v_cmp_eq_u32_e32 vcc, 0, v7
	v_cndmask_b32_e32 v7, v7, v8, vcc
	v_cndmask_b32_e32 v4, v6, v4, vcc
	v_mov_b32_e32 v6, 0x37800000
	v_lshlrev_b32_e32 v4, 21, v4
	v_and_b32_e32 v3, 0x80000000, v3
	v_lshl_add_u32 v6, v7, 23, v6
	v_or3_b32 v3, v3, v6, v4
	v_trunc_f32_e32 v3, v3
	s_mov_b32 s8, 0x2f800000
	v_mul_f32_e64 v4, |v3|, s8
	v_floor_f32_e32 v4, v4
	s_mov_b32 s8, 0xcf800000
	v_fma_f32 v4, v4, s8, |v3|
	v_cvt_u32_f32_e32 v4, v4
	v_ashrrev_i32_e32 v3, 31, v3
	v_xor_b32_e32 v4, v4, v3
	v_sub_u32_e32 v3, v4, v3
.LBB7_457:
	s_or_b64 exec, exec, s[0:1]
	s_mov_b64 s[0:1], 0
	s_branch .LBB7_463
.LBB7_458:
	s_mov_b64 s[8:9], -1
                                        ; implicit-def: $vgpr3
	s_branch .LBB7_469
.LBB7_459:
	s_andn2_saveexec_b64 s[0:1], s[0:1]
	s_cbranch_execz .LBB7_444
.LBB7_460:
	v_cmp_ne_u16_e32 vcc, 0, v4
	s_andn2_b64 s[8:9], s[8:9], exec
	s_and_b64 s[12:13], vcc, exec
	s_or_b64 s[8:9], s[8:9], s[12:13]
	s_or_b64 exec, exec, s[0:1]
	v_mov_b32_e32 v3, 0
	s_and_saveexec_b64 s[0:1], s[8:9]
	s_cbranch_execnz .LBB7_445
	s_branch .LBB7_446
.LBB7_461:
	s_mov_b64 s[0:1], -1
                                        ; implicit-def: $vgpr3
	s_branch .LBB7_466
.LBB7_462:
	s_mov_b64 s[0:1], -1
                                        ; implicit-def: $vgpr3
.LBB7_463:
	s_and_b64 vcc, exec, s[0:1]
	s_cbranch_vccz .LBB7_465
; %bb.464:
	global_load_ubyte v3, v[1:2], off
	s_mov_b32 s0, 0x7f800000
	s_brev_b32 s1, 1
	s_mov_b32 s8, 0x2f800000
	s_waitcnt vmcnt(0)
	v_lshlrev_b32_e32 v3, 24, v3
	v_and_b32_e32 v4, 0x7f000000, v3
	v_ffbh_u32_e32 v6, v4
	v_min_u32_e32 v6, 32, v6
	v_sub_u32_e64 v6, v6, 4 clamp
	v_lshlrev_b32_e32 v8, v6, v4
	v_lshlrev_b32_e32 v6, 23, v6
	v_lshrrev_b32_e32 v8, 4, v8
	v_add_u32_e32 v7, 0x1000000, v4
	v_sub_u32_e32 v6, v8, v6
	v_ashrrev_i32_e32 v7, 8, v7
	v_add_u32_e32 v6, 0x3c000000, v6
	v_and_or_b32 v6, v7, s0, v6
	v_cmp_ne_u32_e32 vcc, 0, v4
	v_cndmask_b32_e32 v4, 0, v6, vcc
	v_and_or_b32 v3, v3, s1, v4
	v_trunc_f32_e32 v3, v3
	v_mul_f32_e64 v4, |v3|, s8
	v_floor_f32_e32 v4, v4
	s_mov_b32 s0, 0xcf800000
	v_fma_f32 v4, v4, s0, |v3|
	v_cvt_u32_f32_e32 v4, v4
	v_ashrrev_i32_e32 v3, 31, v3
	v_xor_b32_e32 v4, v4, v3
	v_sub_u32_e32 v3, v4, v3
.LBB7_465:
	s_mov_b64 s[0:1], 0
.LBB7_466:
	s_andn2_b64 vcc, exec, s[0:1]
	s_cbranch_vccnz .LBB7_468
; %bb.467:
	global_load_ubyte v3, v[1:2], off
	s_movk_i32 s0, 0x7f00
	s_brev_b32 s1, 16
	s_brev_b32 s8, 1
	s_mov_b32 s9, 0x2f800000
	s_waitcnt vmcnt(0)
	v_lshlrev_b16_e32 v4, 8, v3
	v_lshlrev_b32_e32 v3, 25, v3
	v_lshrrev_b32_e32 v6, 4, v3
	v_and_or_b32 v7, v4, s0, 0.5
	v_or_b32_e32 v6, 0x70000000, v6
	v_add_f32_e32 v7, -0.5, v7
	v_mul_f32_e32 v6, 0x7800000, v6
	v_cmp_gt_u32_e32 vcc, s1, v3
	v_bfe_i32 v4, v4, 0, 16
	v_cndmask_b32_e32 v3, v6, v7, vcc
	v_and_or_b32 v3, v4, s8, v3
	v_trunc_f32_e32 v3, v3
	v_mul_f32_e64 v4, |v3|, s9
	v_floor_f32_e32 v4, v4
	s_mov_b32 s0, 0xcf800000
	v_fma_f32 v4, v4, s0, |v3|
	v_cvt_u32_f32_e32 v4, v4
	v_ashrrev_i32_e32 v3, 31, v3
	v_xor_b32_e32 v4, v4, v3
	v_sub_u32_e32 v3, v4, v3
.LBB7_468:
	s_mov_b64 s[8:9], 0
	s_mov_b64 s[0:1], -1
.LBB7_469:
	s_andn2_b64 vcc, exec, s[8:9]
	s_cbranch_vccnz .LBB7_482
; %bb.470:
	s_cmp_gt_i32 s11, 14
	s_cbranch_scc0 .LBB7_473
; %bb.471:
	s_cmp_eq_u32 s11, 15
	s_cbranch_scc0 .LBB7_476
; %bb.472:
	global_load_ushort v3, v[1:2], off
	s_mov_b32 s0, 0x2f800000
	s_mov_b32 s1, 0xcf800000
	s_mov_b64 s[2:3], 0
	s_waitcnt vmcnt(0)
	v_lshlrev_b32_e32 v3, 16, v3
	v_trunc_f32_e32 v3, v3
	v_mul_f32_e64 v4, |v3|, s0
	v_floor_f32_e32 v4, v4
	v_fma_f32 v4, v4, s1, |v3|
	v_cvt_u32_f32_e32 v4, v4
	v_ashrrev_i32_e32 v3, 31, v3
	s_mov_b64 s[0:1], -1
	v_xor_b32_e32 v4, v4, v3
	v_sub_u32_e32 v3, v4, v3
	s_branch .LBB7_477
.LBB7_473:
	s_mov_b64 s[8:9], -1
                                        ; implicit-def: $vgpr3
	s_branch .LBB7_478
.LBB7_474:
	s_andn2_saveexec_b64 s[0:1], s[0:1]
	s_cbranch_execz .LBB7_455
.LBB7_475:
	v_cmp_ne_u16_e32 vcc, 0, v4
	s_andn2_b64 s[8:9], s[8:9], exec
	s_and_b64 s[12:13], vcc, exec
	s_or_b64 s[8:9], s[8:9], s[12:13]
	s_or_b64 exec, exec, s[0:1]
	v_mov_b32_e32 v3, 0
	s_and_saveexec_b64 s[0:1], s[8:9]
	s_cbranch_execnz .LBB7_456
	s_branch .LBB7_457
.LBB7_476:
	s_mov_b64 s[2:3], -1
                                        ; implicit-def: $vgpr3
.LBB7_477:
	s_mov_b64 s[8:9], 0
.LBB7_478:
	s_and_b64 vcc, exec, s[8:9]
	s_cbranch_vccz .LBB7_482
; %bb.479:
	s_cmp_eq_u32 s11, 11
	s_cbranch_scc0 .LBB7_481
; %bb.480:
	global_load_ubyte v3, v[1:2], off
	s_mov_b64 s[0:1], -1
	s_mov_b64 s[2:3], 0
	s_waitcnt vmcnt(0)
	v_cmp_ne_u16_e32 vcc, 0, v3
	v_cndmask_b32_e64 v3, 0, 1, vcc
	s_branch .LBB7_482
.LBB7_481:
	s_mov_b64 s[2:3], -1
                                        ; implicit-def: $vgpr3
.LBB7_482:
	s_branch .LBB7_289
.LBB7_483:
	s_and_b32 s8, 0xffff, s10
	s_cmp_lt_i32 s8, 5
	s_cbranch_scc1 .LBB7_488
; %bb.484:
	s_cmp_lt_i32 s8, 8
	s_cbranch_scc1 .LBB7_489
; %bb.485:
	;; [unrolled: 3-line block ×3, first 2 shown]
	s_cmp_gt_i32 s8, 9
	s_cbranch_scc0 .LBB7_491
; %bb.487:
	global_load_dwordx2 v[3:4], v[1:2], off
	s_movk_i32 s0, 0xffe0
	s_waitcnt vmcnt(0)
	v_trunc_f64_e32 v[3:4], v[3:4]
	v_ldexp_f64 v[6:7], v[3:4], s0
	s_mov_b32 s0, 0
	s_mov_b32 s1, 0xc1f00000
	v_floor_f64_e32 v[6:7], v[6:7]
	v_fma_f64 v[3:4], v[6:7], s[0:1], v[3:4]
	s_mov_b64 s[0:1], 0
	v_cvt_u32_f64_e32 v3, v[3:4]
	s_branch .LBB7_492
.LBB7_488:
	s_mov_b64 s[0:1], -1
                                        ; implicit-def: $vgpr3
	s_branch .LBB7_510
.LBB7_489:
	s_mov_b64 s[0:1], -1
                                        ; implicit-def: $vgpr3
	s_branch .LBB7_498
.LBB7_490:
	s_mov_b64 s[0:1], -1
                                        ; implicit-def: $vgpr3
	s_branch .LBB7_495
.LBB7_491:
	s_mov_b64 s[0:1], -1
                                        ; implicit-def: $vgpr3
.LBB7_492:
	s_andn2_b64 vcc, exec, s[0:1]
	s_cbranch_vccnz .LBB7_494
; %bb.493:
	global_load_dword v3, v[1:2], off
	s_mov_b32 s0, 0x2f800000
	s_waitcnt vmcnt(0)
	v_trunc_f32_e32 v3, v3
	v_mul_f32_e64 v4, |v3|, s0
	v_floor_f32_e32 v4, v4
	s_mov_b32 s0, 0xcf800000
	v_fma_f32 v4, v4, s0, |v3|
	v_cvt_u32_f32_e32 v4, v4
	v_ashrrev_i32_e32 v3, 31, v3
	v_xor_b32_e32 v4, v4, v3
	v_sub_u32_e32 v3, v4, v3
.LBB7_494:
	s_mov_b64 s[0:1], 0
.LBB7_495:
	s_andn2_b64 vcc, exec, s[0:1]
	s_cbranch_vccnz .LBB7_497
; %bb.496:
	global_load_dword v3, v[1:2], off
	s_waitcnt vmcnt(0)
	v_cvt_f32_f16_e32 v3, v3
	v_cvt_i32_f32_e32 v3, v3
.LBB7_497:
	s_mov_b64 s[0:1], 0
.LBB7_498:
	s_andn2_b64 vcc, exec, s[0:1]
	s_cbranch_vccnz .LBB7_509
; %bb.499:
	s_cmp_lt_i32 s8, 6
	s_cbranch_scc1 .LBB7_502
; %bb.500:
	s_cmp_gt_i32 s8, 6
	s_cbranch_scc0 .LBB7_503
; %bb.501:
	global_load_dwordx2 v[3:4], v[1:2], off
	s_movk_i32 s0, 0xffe0
	s_waitcnt vmcnt(0)
	v_trunc_f64_e32 v[3:4], v[3:4]
	v_ldexp_f64 v[6:7], v[3:4], s0
	s_mov_b32 s0, 0
	s_mov_b32 s1, 0xc1f00000
	v_floor_f64_e32 v[6:7], v[6:7]
	v_fma_f64 v[3:4], v[6:7], s[0:1], v[3:4]
	s_mov_b64 s[0:1], 0
	v_cvt_u32_f64_e32 v3, v[3:4]
	s_branch .LBB7_504
.LBB7_502:
	s_mov_b64 s[0:1], -1
                                        ; implicit-def: $vgpr3
	s_branch .LBB7_507
.LBB7_503:
	s_mov_b64 s[0:1], -1
                                        ; implicit-def: $vgpr3
.LBB7_504:
	s_andn2_b64 vcc, exec, s[0:1]
	s_cbranch_vccnz .LBB7_506
; %bb.505:
	global_load_dword v3, v[1:2], off
	s_mov_b32 s0, 0x2f800000
	s_waitcnt vmcnt(0)
	v_trunc_f32_e32 v3, v3
	v_mul_f32_e64 v4, |v3|, s0
	v_floor_f32_e32 v4, v4
	s_mov_b32 s0, 0xcf800000
	v_fma_f32 v4, v4, s0, |v3|
	v_cvt_u32_f32_e32 v4, v4
	v_ashrrev_i32_e32 v3, 31, v3
	v_xor_b32_e32 v4, v4, v3
	v_sub_u32_e32 v3, v4, v3
.LBB7_506:
	s_mov_b64 s[0:1], 0
.LBB7_507:
	s_andn2_b64 vcc, exec, s[0:1]
	s_cbranch_vccnz .LBB7_509
; %bb.508:
	global_load_ushort v3, v[1:2], off
	s_waitcnt vmcnt(0)
	v_cvt_f32_f16_e32 v3, v3
	v_cvt_i32_f32_e32 v3, v3
.LBB7_509:
	s_mov_b64 s[0:1], 0
.LBB7_510:
	s_andn2_b64 vcc, exec, s[0:1]
	s_cbranch_vccnz .LBB7_530
; %bb.511:
	s_cmp_lt_i32 s8, 2
	s_cbranch_scc1 .LBB7_515
; %bb.512:
	s_cmp_lt_i32 s8, 3
	s_cbranch_scc1 .LBB7_516
; %bb.513:
	s_cmp_gt_i32 s8, 3
	s_cbranch_scc0 .LBB7_517
; %bb.514:
	global_load_dwordx2 v[3:4], v[1:2], off
	s_mov_b64 s[0:1], 0
	s_branch .LBB7_518
.LBB7_515:
	s_mov_b64 s[0:1], -1
                                        ; implicit-def: $vgpr3
	s_branch .LBB7_524
.LBB7_516:
	s_mov_b64 s[0:1], -1
                                        ; implicit-def: $vgpr3
	s_branch .LBB7_521
.LBB7_517:
	s_mov_b64 s[0:1], -1
                                        ; implicit-def: $vgpr3
.LBB7_518:
	s_andn2_b64 vcc, exec, s[0:1]
	s_cbranch_vccnz .LBB7_520
; %bb.519:
	global_load_dword v3, v[1:2], off
.LBB7_520:
	s_mov_b64 s[0:1], 0
.LBB7_521:
	s_andn2_b64 vcc, exec, s[0:1]
	s_cbranch_vccnz .LBB7_523
; %bb.522:
	global_load_ushort v3, v[1:2], off
.LBB7_523:
	s_mov_b64 s[0:1], 0
.LBB7_524:
	s_andn2_b64 vcc, exec, s[0:1]
	s_cbranch_vccnz .LBB7_530
; %bb.525:
	s_cmp_gt_i32 s8, 0
	s_cbranch_scc0 .LBB7_527
; %bb.526:
	global_load_ubyte v3, v[1:2], off
	s_mov_b64 s[0:1], 0
	s_branch .LBB7_528
.LBB7_527:
	s_mov_b64 s[0:1], -1
                                        ; implicit-def: $vgpr3
.LBB7_528:
	s_andn2_b64 vcc, exec, s[0:1]
	s_cbranch_vccnz .LBB7_530
; %bb.529:
	global_load_ubyte v3, v[1:2], off
.LBB7_530:
	s_branch .LBB7_290
.LBB7_531:
	s_mov_b64 s[8:9], 0
	s_mov_b64 s[0:1], s[52:53]
.LBB7_532:
                                        ; implicit-def: $vgpr11
.LBB7_533:
	s_andn2_b64 s[10:11], s[52:53], exec
	s_and_b64 s[0:1], s[0:1], exec
	s_or_b64 s[60:61], s[10:11], s[0:1]
	s_andn2_b64 s[0:1], s[54:55], exec
	s_and_b64 s[2:3], s[2:3], exec
	s_or_b64 s[58:59], s[0:1], s[2:3]
	s_orn2_b64 s[0:1], s[8:9], exec
.LBB7_534:
	s_or_b64 exec, exec, s[62:63]
	s_mov_b64 s[2:3], 0
	s_mov_b64 s[8:9], 0
	;; [unrolled: 1-line block ×3, first 2 shown]
                                        ; implicit-def: $sgpr14
                                        ; implicit-def: $vgpr1_vgpr2
                                        ; implicit-def: $vgpr0
                                        ; implicit-def: $vgpr3
	s_and_saveexec_b64 s[62:63], s[0:1]
	s_cbranch_execz .LBB7_901
; %bb.535:
	v_cmp_gt_i32_e32 vcc, s70, v11
	s_mov_b64 s[2:3], -1
	s_mov_b64 s[66:67], s[58:59]
	s_mov_b64 s[68:69], s[60:61]
	s_and_saveexec_b64 s[64:65], vcc
	s_cbranch_execz .LBB7_805
; %bb.536:
	s_andn2_b64 vcc, exec, s[40:41]
	s_cbranch_vccnz .LBB7_541
; %bb.537:
	s_andn2_b64 vcc, exec, s[50:51]
	s_cbranch_vccnz .LBB7_542
; %bb.538:
	s_add_i32 s76, s75, 1
	s_cmp_eq_u32 s72, 2
	s_cbranch_scc1 .LBB7_543
; %bb.539:
	s_and_b32 s71, s76, 28
	v_mov_b32_e32 v2, 0
	s_mov_b32 s77, 0
	s_mov_b64 s[66:67], s[34:35]
	s_mov_b64 s[68:69], s[48:49]
	v_mov_b32_e32 v0, 0
	v_mov_b32_e32 v1, v11
.LBB7_540:                              ; =>This Inner Loop Header: Depth=1
	s_load_dwordx8 s[16:23], s[66:67], 0x4
	s_load_dwordx4 s[0:3], s[66:67], 0x24
	s_load_dwordx8 s[8:15], s[68:69], 0x0
	s_add_u32 s66, s66, 48
	s_addc_u32 s67, s67, 0
	s_waitcnt vmcnt(0) lgkmcnt(0)
	v_mul_hi_u32 v3, s17, v1
	s_add_i32 s77, s77, 4
	s_add_u32 s68, s68, 32
	s_addc_u32 s69, s69, 0
	v_add_u32_e32 v3, v1, v3
	v_lshrrev_b32_e32 v3, s18, v3
	v_mul_lo_u32 v4, v3, s16
	v_mul_hi_u32 v6, s20, v3
	s_cmp_eq_u32 s71, s77
	v_sub_u32_e32 v1, v1, v4
	v_add_u32_e32 v4, v3, v6
	v_mul_lo_u32 v6, v1, s8
	v_mul_lo_u32 v7, v1, s9
	v_lshrrev_b32_e32 v1, s21, v4
	v_mul_lo_u32 v4, v1, s19
	v_mul_hi_u32 v8, s23, v1
	v_sub_u32_e32 v3, v3, v4
	v_add_u32_e32 v4, v1, v8
	v_lshrrev_b32_e32 v4, s0, v4
	v_mul_hi_u32 v9, s2, v4
	v_mul_lo_u32 v10, v4, s22
	v_mul_lo_u32 v8, v3, s10
	;; [unrolled: 1-line block ×3, first 2 shown]
	v_sub_u32_e32 v10, v1, v10
	v_add_u32_e32 v1, v4, v9
	v_lshrrev_b32_e32 v1, s3, v1
	v_mul_lo_u32 v9, v1, s1
	v_mul_lo_u32 v12, v10, s12
	;; [unrolled: 1-line block ×3, first 2 shown]
	v_add3_u32 v0, v6, v0, v8
	v_sub_u32_e32 v4, v4, v9
	v_mul_lo_u32 v9, v4, s14
	v_mul_lo_u32 v4, v4, s15
	v_add3_u32 v2, v7, v2, v3
	v_add3_u32 v0, v12, v0, v9
	;; [unrolled: 1-line block ×3, first 2 shown]
	s_cbranch_scc0 .LBB7_540
	s_branch .LBB7_544
.LBB7_541:
	s_mov_b64 s[0:1], -1
                                        ; implicit-def: $vgpr0
                                        ; implicit-def: $vgpr2
	s_branch .LBB7_548
.LBB7_542:
	v_mov_b32_e32 v0, 0
	v_mov_b32_e32 v2, 0
	s_branch .LBB7_547
.LBB7_543:
	s_mov_b32 s71, 0
	v_mov_b32_e32 v0, 0
	v_mov_b32_e32 v2, 0
	;; [unrolled: 1-line block ×3, first 2 shown]
.LBB7_544:
	s_and_b32 s8, s76, 3
	s_cmp_eq_u32 s8, 0
	s_cbranch_scc1 .LBB7_547
; %bb.545:
	s_lshl_b32 s0, s71, 3
	s_add_u32 s0, s34, s0
	s_addc_u32 s1, s35, 0
	s_add_u32 s0, s0, 0xc4
	s_addc_u32 s1, s1, 0
	s_mul_i32 s2, s71, 12
	s_add_u32 s2, s34, s2
	s_addc_u32 s3, s35, 0
.LBB7_546:                              ; =>This Inner Loop Header: Depth=1
	s_load_dwordx2 s[10:11], s[2:3], 0x4
	s_load_dword s9, s[2:3], 0xc
	s_load_dwordx2 s[12:13], s[0:1], 0x0
	s_add_u32 s2, s2, 12
	s_addc_u32 s3, s3, 0
	s_waitcnt vmcnt(0) lgkmcnt(0)
	v_mul_hi_u32 v3, s11, v1
	s_add_u32 s0, s0, 8
	s_addc_u32 s1, s1, 0
	s_add_i32 s8, s8, -1
	v_add_u32_e32 v3, v1, v3
	v_lshrrev_b32_e32 v4, s9, v3
	v_mul_lo_u32 v3, v4, s10
	s_cmp_lg_u32 s8, 0
	v_sub_u32_e32 v3, v1, v3
	v_mad_u64_u32 v[0:1], s[10:11], v3, s12, v[0:1]
	v_mad_u64_u32 v[2:3], s[10:11], v3, s13, v[2:3]
	v_mov_b32_e32 v1, v4
	s_cbranch_scc1 .LBB7_546
.LBB7_547:
	s_mov_b64 s[0:1], 0
.LBB7_548:
	s_andn2_b64 vcc, exec, s[0:1]
	s_cbranch_vccnz .LBB7_551
; %bb.549:
	s_waitcnt lgkmcnt(0)
	v_mul_hi_u32 v0, s37, v11
	s_andn2_b64 vcc, exec, s[46:47]
	v_add_u32_e32 v0, v11, v0
	v_lshrrev_b32_e32 v1, s38, v0
	v_mul_lo_u32 v0, v1, s36
	v_sub_u32_e32 v2, v11, v0
	v_mul_lo_u32 v0, v2, s28
	v_mul_lo_u32 v2, v2, s29
	s_cbranch_vccnz .LBB7_551
; %bb.550:
	s_waitcnt vmcnt(0)
	v_mul_hi_u32 v3, s44, v1
	v_add_u32_e32 v3, v1, v3
	v_lshrrev_b32_e32 v3, s45, v3
	v_mul_lo_u32 v3, v3, s39
	v_sub_u32_e32 v3, v1, v3
	v_mad_u64_u32 v[0:1], s[0:1], v3, s30, v[0:1]
	v_mad_u64_u32 v[2:3], s[0:1], v3, s31, v[2:3]
.LBB7_551:
	s_waitcnt vmcnt(0) lgkmcnt(0)
	v_mov_b32_e32 v3, s27
	s_and_b32 s10, s74, 0xff
	v_add_co_u32_e32 v1, vcc, s26, v2
	s_cmp_lt_i32 s10, 11
	v_addc_co_u32_e32 v2, vcc, 0, v3, vcc
	s_cbranch_scc1 .LBB7_558
; %bb.552:
	s_and_b32 s11, 0xffff, s10
	s_cmp_gt_i32 s11, 25
	s_cbranch_scc0 .LBB7_559
; %bb.553:
	s_cmp_gt_i32 s11, 28
	s_cbranch_scc0 .LBB7_560
; %bb.554:
	;; [unrolled: 3-line block ×4, first 2 shown]
	s_cmp_eq_u32 s11, 46
	s_mov_b64 s[8:9], 0
	s_cbranch_scc0 .LBB7_567
; %bb.557:
	global_load_dword v3, v[1:2], off
	s_mov_b32 s0, 0x2f800000
	s_mov_b32 s1, 0xcf800000
	s_mov_b64 s[2:3], 0
	s_waitcnt vmcnt(0)
	v_lshlrev_b32_e32 v3, 16, v3
	v_trunc_f32_e32 v3, v3
	v_mul_f32_e64 v4, |v3|, s0
	v_floor_f32_e32 v4, v4
	v_fma_f32 v4, v4, s1, |v3|
	v_cvt_u32_f32_e32 v4, v4
	v_ashrrev_i32_e32 v3, 31, v3
	s_mov_b64 s[0:1], -1
	v_xor_b32_e32 v4, v4, v3
	v_sub_u32_e32 v3, v4, v3
	s_branch .LBB7_568
.LBB7_558:
	s_mov_b64 s[8:9], -1
	s_mov_b64 s[0:1], 0
                                        ; implicit-def: $vgpr3
	s_mov_b64 s[2:3], s[58:59]
	s_branch .LBB7_629
.LBB7_559:
	s_mov_b64 s[8:9], -1
	s_mov_b64 s[0:1], 0
	s_mov_b64 s[2:3], s[58:59]
                                        ; implicit-def: $vgpr3
	s_branch .LBB7_595
.LBB7_560:
	s_mov_b64 s[8:9], -1
	s_mov_b64 s[0:1], 0
	s_mov_b64 s[2:3], s[58:59]
                                        ; implicit-def: $vgpr3
	s_branch .LBB7_578
.LBB7_561:
	s_mov_b64 s[8:9], -1
	s_mov_b64 s[0:1], 0
	s_mov_b64 s[2:3], s[58:59]
                                        ; implicit-def: $vgpr3
	s_branch .LBB7_573
.LBB7_562:
	s_andn2_saveexec_b64 s[12:13], s[12:13]
	s_cbranch_execz .LBB7_335
.LBB7_563:
	v_add_f32_e32 v3, 0x46000000, v4
	v_and_b32_e32 v3, 0xff, v3
	v_cmp_ne_u32_e32 vcc, 0, v3
	s_andn2_b64 s[10:11], s[10:11], exec
	s_and_b64 s[16:17], vcc, exec
	s_or_b64 s[10:11], s[10:11], s[16:17]
	s_or_b64 exec, exec, s[12:13]
	v_mov_b32_e32 v6, 0
	s_and_saveexec_b64 s[12:13], s[10:11]
	s_cbranch_execnz .LBB7_336
	s_branch .LBB7_337
.LBB7_564:
	s_mov_b64 s[8:9], -1
	s_mov_b64 s[0:1], 0
	s_mov_b64 s[2:3], s[58:59]
                                        ; implicit-def: $vgpr3
	s_branch .LBB7_568
.LBB7_565:
	s_andn2_saveexec_b64 s[12:13], s[12:13]
	s_cbranch_execz .LBB7_348
.LBB7_566:
	v_add_f32_e32 v3, 0x42800000, v4
	v_and_b32_e32 v3, 0xff, v3
	v_cmp_ne_u32_e32 vcc, 0, v3
	s_andn2_b64 s[10:11], s[10:11], exec
	s_and_b64 s[16:17], vcc, exec
	s_or_b64 s[10:11], s[10:11], s[16:17]
	s_or_b64 exec, exec, s[12:13]
	v_mov_b32_e32 v6, 0
	s_and_saveexec_b64 s[12:13], s[10:11]
	s_cbranch_execnz .LBB7_349
	s_branch .LBB7_350
.LBB7_567:
	s_mov_b64 s[2:3], -1
                                        ; implicit-def: $vgpr3
	s_mov_b64 s[0:1], 0
.LBB7_568:
	s_and_b64 vcc, exec, s[8:9]
	s_cbranch_vccz .LBB7_572
; %bb.569:
	s_cmp_eq_u32 s11, 44
	s_cbranch_scc0 .LBB7_571
; %bb.570:
	global_load_ubyte v3, v[1:2], off
	s_mov_b32 s0, 0x2f800000
	s_mov_b32 s1, 0xcf800000
	s_mov_b64 s[2:3], 0
	s_waitcnt vmcnt(0)
	v_lshlrev_b32_e32 v4, 23, v3
	v_trunc_f32_e32 v4, v4
	v_mul_f32_e64 v6, |v4|, s0
	v_floor_f32_e32 v6, v6
	v_fma_f32 v6, v6, s1, |v4|
	v_cvt_u32_f32_e32 v6, v6
	v_ashrrev_i32_e32 v4, 31, v4
	v_cmp_ne_u32_e32 vcc, 0, v3
	s_mov_b64 s[0:1], -1
	v_xor_b32_e32 v6, v6, v4
	v_sub_u32_e32 v4, v6, v4
	v_cndmask_b32_e32 v3, 0, v4, vcc
	s_branch .LBB7_572
.LBB7_571:
	s_mov_b64 s[2:3], -1
                                        ; implicit-def: $vgpr3
.LBB7_572:
	s_mov_b64 s[8:9], 0
.LBB7_573:
	s_and_b64 vcc, exec, s[8:9]
	s_cbranch_vccz .LBB7_577
; %bb.574:
	s_cmp_eq_u32 s11, 29
	s_cbranch_scc0 .LBB7_576
; %bb.575:
	global_load_dwordx2 v[3:4], v[1:2], off
	s_mov_b64 s[0:1], -1
	s_mov_b64 s[2:3], 0
	s_branch .LBB7_577
.LBB7_576:
	s_mov_b64 s[2:3], -1
                                        ; implicit-def: $vgpr3
.LBB7_577:
	s_mov_b64 s[8:9], 0
.LBB7_578:
	s_and_b64 vcc, exec, s[8:9]
	s_cbranch_vccz .LBB7_594
; %bb.579:
	s_cmp_lt_i32 s11, 27
	s_cbranch_scc1 .LBB7_582
; %bb.580:
	s_cmp_gt_i32 s11, 27
	s_cbranch_scc0 .LBB7_583
; %bb.581:
	global_load_dword v3, v[1:2], off
	s_mov_b64 s[0:1], 0
	s_branch .LBB7_584
.LBB7_582:
	s_mov_b64 s[0:1], -1
                                        ; implicit-def: $vgpr3
	s_branch .LBB7_587
.LBB7_583:
	s_mov_b64 s[0:1], -1
                                        ; implicit-def: $vgpr3
.LBB7_584:
	s_andn2_b64 vcc, exec, s[0:1]
	s_cbranch_vccnz .LBB7_586
; %bb.585:
	global_load_ushort v3, v[1:2], off
.LBB7_586:
	s_mov_b64 s[0:1], 0
.LBB7_587:
	s_andn2_b64 vcc, exec, s[0:1]
	s_cbranch_vccnz .LBB7_593
; %bb.588:
	global_load_ubyte v4, v[1:2], off
	s_movk_i32 s0, 0x7f
	s_mov_b64 s[8:9], 0
	s_waitcnt vmcnt(0)
	v_cmp_lt_i16_e32 vcc, s0, v4
	s_and_saveexec_b64 s[0:1], vcc
	s_xor_b64 s[0:1], exec, s[0:1]
	s_cbranch_execz .LBB7_605
; %bb.589:
	s_movk_i32 s8, 0x80
	v_cmp_ne_u16_e32 vcc, s8, v4
	s_and_b64 s[8:9], vcc, exec
	s_andn2_saveexec_b64 s[0:1], s[0:1]
	s_cbranch_execnz .LBB7_606
.LBB7_590:
	s_or_b64 exec, exec, s[0:1]
	v_mov_b32_e32 v3, 0
	s_and_saveexec_b64 s[0:1], s[8:9]
	s_cbranch_execz .LBB7_592
.LBB7_591:
	v_lshlrev_b32_e32 v3, 24, v4
	v_and_b32_e32 v4, 0xffff, v4
	v_and_b32_e32 v6, 7, v4
	v_ffbh_u32_e32 v8, v6
	v_min_u32_e32 v8, 32, v8
	v_subrev_u32_e32 v9, 28, v8
	v_bfe_u32 v7, v4, 3, 4
	v_lshlrev_b32_e32 v4, v9, v4
	v_sub_u32_e32 v8, 29, v8
	v_and_b32_e32 v4, 7, v4
	v_cmp_eq_u32_e32 vcc, 0, v7
	v_cndmask_b32_e32 v7, v7, v8, vcc
	v_cndmask_b32_e32 v4, v6, v4, vcc
	v_mov_b32_e32 v6, 0x3b800000
	v_lshlrev_b32_e32 v4, 20, v4
	v_and_b32_e32 v3, 0x80000000, v3
	v_lshl_add_u32 v6, v7, 23, v6
	v_or3_b32 v3, v3, v6, v4
	v_trunc_f32_e32 v3, v3
	s_mov_b32 s8, 0x2f800000
	v_mul_f32_e64 v4, |v3|, s8
	v_floor_f32_e32 v4, v4
	s_mov_b32 s8, 0xcf800000
	v_fma_f32 v4, v4, s8, |v3|
	v_cvt_u32_f32_e32 v4, v4
	v_ashrrev_i32_e32 v3, 31, v3
	v_xor_b32_e32 v4, v4, v3
	v_sub_u32_e32 v3, v4, v3
.LBB7_592:
	s_or_b64 exec, exec, s[0:1]
.LBB7_593:
	s_mov_b64 s[0:1], -1
.LBB7_594:
	s_mov_b64 s[8:9], 0
.LBB7_595:
	s_and_b64 vcc, exec, s[8:9]
	s_cbranch_vccz .LBB7_628
; %bb.596:
	s_cmp_gt_i32 s11, 22
	s_cbranch_scc0 .LBB7_604
; %bb.597:
	s_cmp_lt_i32 s11, 24
	s_cbranch_scc1 .LBB7_607
; %bb.598:
	s_cmp_gt_i32 s11, 24
	s_cbranch_scc0 .LBB7_608
; %bb.599:
	global_load_ubyte v4, v[1:2], off
	s_movk_i32 s0, 0x7f
	s_mov_b64 s[8:9], 0
	s_waitcnt vmcnt(0)
	v_cmp_lt_i16_e32 vcc, s0, v4
	s_and_saveexec_b64 s[0:1], vcc
	s_xor_b64 s[0:1], exec, s[0:1]
	s_cbranch_execz .LBB7_620
; %bb.600:
	s_movk_i32 s8, 0x80
	v_cmp_ne_u16_e32 vcc, s8, v4
	s_and_b64 s[8:9], vcc, exec
	s_andn2_saveexec_b64 s[0:1], s[0:1]
	s_cbranch_execnz .LBB7_621
.LBB7_601:
	s_or_b64 exec, exec, s[0:1]
	v_mov_b32_e32 v3, 0
	s_and_saveexec_b64 s[0:1], s[8:9]
	s_cbranch_execz .LBB7_603
.LBB7_602:
	v_lshlrev_b32_e32 v3, 24, v4
	v_and_b32_e32 v4, 0xffff, v4
	v_and_b32_e32 v6, 3, v4
	v_ffbh_u32_e32 v8, v6
	v_min_u32_e32 v8, 32, v8
	v_subrev_u32_e32 v9, 29, v8
	v_bfe_u32 v7, v4, 2, 5
	v_lshlrev_b32_e32 v4, v9, v4
	v_sub_u32_e32 v8, 30, v8
	v_and_b32_e32 v4, 3, v4
	v_cmp_eq_u32_e32 vcc, 0, v7
	v_cndmask_b32_e32 v7, v7, v8, vcc
	v_cndmask_b32_e32 v4, v6, v4, vcc
	v_mov_b32_e32 v6, 0x37800000
	v_lshlrev_b32_e32 v4, 21, v4
	v_and_b32_e32 v3, 0x80000000, v3
	v_lshl_add_u32 v6, v7, 23, v6
	v_or3_b32 v3, v3, v6, v4
	v_trunc_f32_e32 v3, v3
	s_mov_b32 s8, 0x2f800000
	v_mul_f32_e64 v4, |v3|, s8
	v_floor_f32_e32 v4, v4
	s_mov_b32 s8, 0xcf800000
	v_fma_f32 v4, v4, s8, |v3|
	v_cvt_u32_f32_e32 v4, v4
	v_ashrrev_i32_e32 v3, 31, v3
	v_xor_b32_e32 v4, v4, v3
	v_sub_u32_e32 v3, v4, v3
.LBB7_603:
	s_or_b64 exec, exec, s[0:1]
	s_mov_b64 s[0:1], 0
	s_branch .LBB7_609
.LBB7_604:
	s_mov_b64 s[8:9], -1
                                        ; implicit-def: $vgpr3
	s_branch .LBB7_615
.LBB7_605:
	s_andn2_saveexec_b64 s[0:1], s[0:1]
	s_cbranch_execz .LBB7_590
.LBB7_606:
	v_cmp_ne_u16_e32 vcc, 0, v4
	s_andn2_b64 s[8:9], s[8:9], exec
	s_and_b64 s[12:13], vcc, exec
	s_or_b64 s[8:9], s[8:9], s[12:13]
	s_or_b64 exec, exec, s[0:1]
	v_mov_b32_e32 v3, 0
	s_and_saveexec_b64 s[0:1], s[8:9]
	s_cbranch_execnz .LBB7_591
	s_branch .LBB7_592
.LBB7_607:
	s_mov_b64 s[0:1], -1
                                        ; implicit-def: $vgpr3
	s_branch .LBB7_612
.LBB7_608:
	s_mov_b64 s[0:1], -1
                                        ; implicit-def: $vgpr3
.LBB7_609:
	s_and_b64 vcc, exec, s[0:1]
	s_cbranch_vccz .LBB7_611
; %bb.610:
	global_load_ubyte v3, v[1:2], off
	s_mov_b32 s0, 0x7f800000
	s_brev_b32 s1, 1
	s_mov_b32 s8, 0x2f800000
	s_waitcnt vmcnt(0)
	v_lshlrev_b32_e32 v3, 24, v3
	v_and_b32_e32 v4, 0x7f000000, v3
	v_ffbh_u32_e32 v6, v4
	v_min_u32_e32 v6, 32, v6
	v_sub_u32_e64 v6, v6, 4 clamp
	v_lshlrev_b32_e32 v8, v6, v4
	v_lshlrev_b32_e32 v6, 23, v6
	v_lshrrev_b32_e32 v8, 4, v8
	v_add_u32_e32 v7, 0x1000000, v4
	v_sub_u32_e32 v6, v8, v6
	v_ashrrev_i32_e32 v7, 8, v7
	v_add_u32_e32 v6, 0x3c000000, v6
	v_and_or_b32 v6, v7, s0, v6
	v_cmp_ne_u32_e32 vcc, 0, v4
	v_cndmask_b32_e32 v4, 0, v6, vcc
	v_and_or_b32 v3, v3, s1, v4
	v_trunc_f32_e32 v3, v3
	v_mul_f32_e64 v4, |v3|, s8
	v_floor_f32_e32 v4, v4
	s_mov_b32 s0, 0xcf800000
	v_fma_f32 v4, v4, s0, |v3|
	v_cvt_u32_f32_e32 v4, v4
	v_ashrrev_i32_e32 v3, 31, v3
	v_xor_b32_e32 v4, v4, v3
	v_sub_u32_e32 v3, v4, v3
.LBB7_611:
	s_mov_b64 s[0:1], 0
.LBB7_612:
	s_andn2_b64 vcc, exec, s[0:1]
	s_cbranch_vccnz .LBB7_614
; %bb.613:
	global_load_ubyte v3, v[1:2], off
	s_movk_i32 s0, 0x7f00
	s_brev_b32 s1, 16
	s_brev_b32 s8, 1
	s_mov_b32 s9, 0x2f800000
	s_waitcnt vmcnt(0)
	v_lshlrev_b16_e32 v4, 8, v3
	v_lshlrev_b32_e32 v3, 25, v3
	v_lshrrev_b32_e32 v6, 4, v3
	v_and_or_b32 v7, v4, s0, 0.5
	v_or_b32_e32 v6, 0x70000000, v6
	v_add_f32_e32 v7, -0.5, v7
	v_mul_f32_e32 v6, 0x7800000, v6
	v_cmp_gt_u32_e32 vcc, s1, v3
	v_bfe_i32 v4, v4, 0, 16
	v_cndmask_b32_e32 v3, v6, v7, vcc
	v_and_or_b32 v3, v4, s8, v3
	v_trunc_f32_e32 v3, v3
	v_mul_f32_e64 v4, |v3|, s9
	v_floor_f32_e32 v4, v4
	s_mov_b32 s0, 0xcf800000
	v_fma_f32 v4, v4, s0, |v3|
	v_cvt_u32_f32_e32 v4, v4
	v_ashrrev_i32_e32 v3, 31, v3
	v_xor_b32_e32 v4, v4, v3
	v_sub_u32_e32 v3, v4, v3
.LBB7_614:
	s_mov_b64 s[8:9], 0
	s_mov_b64 s[0:1], -1
.LBB7_615:
	s_andn2_b64 vcc, exec, s[8:9]
	s_cbranch_vccnz .LBB7_628
; %bb.616:
	s_cmp_gt_i32 s11, 14
	s_cbranch_scc0 .LBB7_619
; %bb.617:
	s_cmp_eq_u32 s11, 15
	s_cbranch_scc0 .LBB7_622
; %bb.618:
	global_load_ushort v3, v[1:2], off
	s_mov_b32 s0, 0x2f800000
	s_mov_b32 s1, 0xcf800000
	s_mov_b64 s[2:3], 0
	s_waitcnt vmcnt(0)
	v_lshlrev_b32_e32 v3, 16, v3
	v_trunc_f32_e32 v3, v3
	v_mul_f32_e64 v4, |v3|, s0
	v_floor_f32_e32 v4, v4
	v_fma_f32 v4, v4, s1, |v3|
	v_cvt_u32_f32_e32 v4, v4
	v_ashrrev_i32_e32 v3, 31, v3
	s_mov_b64 s[0:1], -1
	v_xor_b32_e32 v4, v4, v3
	v_sub_u32_e32 v3, v4, v3
	s_branch .LBB7_623
.LBB7_619:
	s_mov_b64 s[8:9], -1
                                        ; implicit-def: $vgpr3
	s_branch .LBB7_624
.LBB7_620:
	s_andn2_saveexec_b64 s[0:1], s[0:1]
	s_cbranch_execz .LBB7_601
.LBB7_621:
	v_cmp_ne_u16_e32 vcc, 0, v4
	s_andn2_b64 s[8:9], s[8:9], exec
	s_and_b64 s[12:13], vcc, exec
	s_or_b64 s[8:9], s[8:9], s[12:13]
	s_or_b64 exec, exec, s[0:1]
	v_mov_b32_e32 v3, 0
	s_and_saveexec_b64 s[0:1], s[8:9]
	s_cbranch_execnz .LBB7_602
	s_branch .LBB7_603
.LBB7_622:
	s_mov_b64 s[2:3], -1
                                        ; implicit-def: $vgpr3
.LBB7_623:
	s_mov_b64 s[8:9], 0
.LBB7_624:
	s_and_b64 vcc, exec, s[8:9]
	s_cbranch_vccz .LBB7_628
; %bb.625:
	s_cmp_eq_u32 s11, 11
	s_cbranch_scc0 .LBB7_627
; %bb.626:
	global_load_ubyte v3, v[1:2], off
	s_mov_b64 s[0:1], -1
	s_mov_b64 s[2:3], 0
	s_waitcnt vmcnt(0)
	v_cmp_ne_u16_e32 vcc, 0, v3
	v_cndmask_b32_e64 v3, 0, 1, vcc
	s_branch .LBB7_628
.LBB7_627:
	s_mov_b64 s[2:3], -1
                                        ; implicit-def: $vgpr3
.LBB7_628:
	s_mov_b64 s[8:9], 0
.LBB7_629:
	s_and_b64 vcc, exec, s[8:9]
	s_cbranch_vccz .LBB7_678
; %bb.630:
	s_and_b32 s8, 0xffff, s10
	s_cmp_lt_i32 s8, 5
	s_cbranch_scc1 .LBB7_635
; %bb.631:
	s_cmp_lt_i32 s8, 8
	s_cbranch_scc1 .LBB7_636
; %bb.632:
	;; [unrolled: 3-line block ×3, first 2 shown]
	s_cmp_gt_i32 s8, 9
	s_cbranch_scc0 .LBB7_638
; %bb.634:
	global_load_dwordx2 v[3:4], v[1:2], off
	s_movk_i32 s0, 0xffe0
	s_waitcnt vmcnt(0)
	v_trunc_f64_e32 v[3:4], v[3:4]
	v_ldexp_f64 v[6:7], v[3:4], s0
	s_mov_b32 s0, 0
	s_mov_b32 s1, 0xc1f00000
	v_floor_f64_e32 v[6:7], v[6:7]
	v_fma_f64 v[3:4], v[6:7], s[0:1], v[3:4]
	s_mov_b64 s[0:1], 0
	v_cvt_u32_f64_e32 v3, v[3:4]
	s_branch .LBB7_639
.LBB7_635:
	s_mov_b64 s[0:1], -1
                                        ; implicit-def: $vgpr3
	s_branch .LBB7_657
.LBB7_636:
	s_mov_b64 s[0:1], -1
                                        ; implicit-def: $vgpr3
	s_branch .LBB7_645
.LBB7_637:
	s_mov_b64 s[0:1], -1
                                        ; implicit-def: $vgpr3
	s_branch .LBB7_642
.LBB7_638:
	s_mov_b64 s[0:1], -1
                                        ; implicit-def: $vgpr3
.LBB7_639:
	s_andn2_b64 vcc, exec, s[0:1]
	s_cbranch_vccnz .LBB7_641
; %bb.640:
	global_load_dword v3, v[1:2], off
	s_mov_b32 s0, 0x2f800000
	s_waitcnt vmcnt(0)
	v_trunc_f32_e32 v3, v3
	v_mul_f32_e64 v4, |v3|, s0
	v_floor_f32_e32 v4, v4
	s_mov_b32 s0, 0xcf800000
	v_fma_f32 v4, v4, s0, |v3|
	v_cvt_u32_f32_e32 v4, v4
	v_ashrrev_i32_e32 v3, 31, v3
	v_xor_b32_e32 v4, v4, v3
	v_sub_u32_e32 v3, v4, v3
.LBB7_641:
	s_mov_b64 s[0:1], 0
.LBB7_642:
	s_andn2_b64 vcc, exec, s[0:1]
	s_cbranch_vccnz .LBB7_644
; %bb.643:
	global_load_dword v3, v[1:2], off
	s_waitcnt vmcnt(0)
	v_cvt_f32_f16_e32 v3, v3
	v_cvt_i32_f32_e32 v3, v3
.LBB7_644:
	s_mov_b64 s[0:1], 0
.LBB7_645:
	s_andn2_b64 vcc, exec, s[0:1]
	s_cbranch_vccnz .LBB7_656
; %bb.646:
	s_cmp_lt_i32 s8, 6
	s_cbranch_scc1 .LBB7_649
; %bb.647:
	s_cmp_gt_i32 s8, 6
	s_cbranch_scc0 .LBB7_650
; %bb.648:
	global_load_dwordx2 v[3:4], v[1:2], off
	s_movk_i32 s0, 0xffe0
	s_waitcnt vmcnt(0)
	v_trunc_f64_e32 v[3:4], v[3:4]
	v_ldexp_f64 v[6:7], v[3:4], s0
	s_mov_b32 s0, 0
	s_mov_b32 s1, 0xc1f00000
	v_floor_f64_e32 v[6:7], v[6:7]
	v_fma_f64 v[3:4], v[6:7], s[0:1], v[3:4]
	s_mov_b64 s[0:1], 0
	v_cvt_u32_f64_e32 v3, v[3:4]
	s_branch .LBB7_651
.LBB7_649:
	s_mov_b64 s[0:1], -1
                                        ; implicit-def: $vgpr3
	s_branch .LBB7_654
.LBB7_650:
	s_mov_b64 s[0:1], -1
                                        ; implicit-def: $vgpr3
.LBB7_651:
	s_andn2_b64 vcc, exec, s[0:1]
	s_cbranch_vccnz .LBB7_653
; %bb.652:
	global_load_dword v3, v[1:2], off
	s_mov_b32 s0, 0x2f800000
	s_waitcnt vmcnt(0)
	v_trunc_f32_e32 v3, v3
	v_mul_f32_e64 v4, |v3|, s0
	v_floor_f32_e32 v4, v4
	s_mov_b32 s0, 0xcf800000
	v_fma_f32 v4, v4, s0, |v3|
	v_cvt_u32_f32_e32 v4, v4
	v_ashrrev_i32_e32 v3, 31, v3
	v_xor_b32_e32 v4, v4, v3
	v_sub_u32_e32 v3, v4, v3
.LBB7_653:
	s_mov_b64 s[0:1], 0
.LBB7_654:
	s_andn2_b64 vcc, exec, s[0:1]
	s_cbranch_vccnz .LBB7_656
; %bb.655:
	global_load_ushort v3, v[1:2], off
	s_waitcnt vmcnt(0)
	v_cvt_f32_f16_e32 v3, v3
	v_cvt_i32_f32_e32 v3, v3
.LBB7_656:
	s_mov_b64 s[0:1], 0
.LBB7_657:
	s_andn2_b64 vcc, exec, s[0:1]
	s_cbranch_vccnz .LBB7_677
; %bb.658:
	s_cmp_lt_i32 s8, 2
	s_cbranch_scc1 .LBB7_662
; %bb.659:
	s_cmp_lt_i32 s8, 3
	s_cbranch_scc1 .LBB7_663
; %bb.660:
	s_cmp_gt_i32 s8, 3
	s_cbranch_scc0 .LBB7_664
; %bb.661:
	global_load_dwordx2 v[3:4], v[1:2], off
	s_mov_b64 s[0:1], 0
	s_branch .LBB7_665
.LBB7_662:
	s_mov_b64 s[0:1], -1
                                        ; implicit-def: $vgpr3
	s_branch .LBB7_671
.LBB7_663:
	s_mov_b64 s[0:1], -1
                                        ; implicit-def: $vgpr3
	s_branch .LBB7_668
.LBB7_664:
	s_mov_b64 s[0:1], -1
                                        ; implicit-def: $vgpr3
.LBB7_665:
	s_andn2_b64 vcc, exec, s[0:1]
	s_cbranch_vccnz .LBB7_667
; %bb.666:
	global_load_dword v3, v[1:2], off
.LBB7_667:
	s_mov_b64 s[0:1], 0
.LBB7_668:
	s_andn2_b64 vcc, exec, s[0:1]
	s_cbranch_vccnz .LBB7_670
; %bb.669:
	global_load_ushort v3, v[1:2], off
.LBB7_670:
	s_mov_b64 s[0:1], 0
.LBB7_671:
	s_andn2_b64 vcc, exec, s[0:1]
	s_cbranch_vccnz .LBB7_677
; %bb.672:
	s_cmp_gt_i32 s8, 0
	s_cbranch_scc0 .LBB7_674
; %bb.673:
	global_load_ubyte v3, v[1:2], off
	s_mov_b64 s[0:1], 0
	s_branch .LBB7_675
.LBB7_674:
	s_mov_b64 s[0:1], -1
                                        ; implicit-def: $vgpr3
.LBB7_675:
	s_andn2_b64 vcc, exec, s[0:1]
	s_cbranch_vccnz .LBB7_677
; %bb.676:
	global_load_ubyte v3, v[1:2], off
.LBB7_677:
	s_mov_b64 s[0:1], -1
.LBB7_678:
	s_andn2_b64 vcc, exec, s[0:1]
	s_cbranch_vccnz .LBB7_686
; %bb.679:
	v_mov_b32_e32 v2, 8
	s_waitcnt vmcnt(0)
	v_lshlrev_b32_sdwa v1, v3, v5 dst_sel:DWORD dst_unused:UNUSED_PAD src0_sel:DWORD src1_sel:BYTE_0
	v_cmp_lt_u16_sdwa vcc, v3, v2 src0_sel:BYTE_0 src1_sel:DWORD
	v_cndmask_b32_e32 v2, 0, v1, vcc
	v_mov_b32_e32 v1, s25
	s_and_b32 s14, 0xffff, s73
	v_add_co_u32_e32 v0, vcc, s24, v0
	s_cmp_lt_i32 s14, 11
	v_addc_co_u32_e32 v1, vcc, 0, v1, vcc
	s_cbranch_scc1 .LBB7_687
; %bb.680:
	s_cmp_gt_i32 s14, 25
	s_cbranch_scc0 .LBB7_688
; %bb.681:
	s_cmp_gt_i32 s14, 28
	s_cbranch_scc0 .LBB7_689
; %bb.682:
	s_cmp_gt_i32 s14, 43
	s_cbranch_scc0 .LBB7_690
; %bb.683:
	s_cmp_gt_i32 s14, 45
	s_cbranch_scc0 .LBB7_691
; %bb.684:
	s_mov_b64 s[10:11], 0
	s_mov_b64 s[0:1], -1
	s_cmp_eq_u32 s14, 46
	s_mov_b64 s[8:9], 0
	s_cbranch_scc0 .LBB7_692
; %bb.685:
	v_cvt_f32_ubyte0_e32 v3, v2
	v_bfe_u32 v4, v3, 16, 1
	s_movk_i32 s0, 0x7fff
	v_add3_u32 v3, v3, v4, s0
	v_lshrrev_b32_e32 v3, 16, v3
	global_store_dword v[0:1], v3, off
	s_mov_b64 s[8:9], -1
	s_mov_b64 s[0:1], 0
	s_branch .LBB7_692
.LBB7_686:
	s_mov_b64 s[8:9], 0
	s_mov_b64 s[0:1], s[60:61]
	s_branch .LBB7_803
.LBB7_687:
	s_mov_b64 s[10:11], -1
	s_mov_b64 s[8:9], 0
	s_mov_b64 s[0:1], s[60:61]
	s_branch .LBB7_761
.LBB7_688:
	s_mov_b64 s[10:11], -1
	s_mov_b64 s[8:9], 0
	s_mov_b64 s[0:1], s[60:61]
	s_branch .LBB7_719
.LBB7_689:
	s_mov_b64 s[10:11], -1
	s_mov_b64 s[8:9], 0
	s_mov_b64 s[0:1], s[60:61]
	s_branch .LBB7_702
.LBB7_690:
	s_mov_b64 s[10:11], -1
	s_mov_b64 s[8:9], 0
	s_mov_b64 s[0:1], s[60:61]
	s_branch .LBB7_698
.LBB7_691:
	s_mov_b64 s[10:11], -1
	s_mov_b64 s[8:9], 0
	s_mov_b64 s[0:1], s[60:61]
.LBB7_692:
	s_and_b64 vcc, exec, s[10:11]
	s_cbranch_vccz .LBB7_697
; %bb.693:
	s_cmp_eq_u32 s14, 44
	s_mov_b64 s[0:1], -1
	s_cbranch_scc0 .LBB7_697
; %bb.694:
	v_cvt_f32_ubyte0_e32 v4, v2
	v_lshrrev_b32_e32 v3, 23, v4
	s_movk_i32 s0, 0xff
	v_cmp_ne_u32_e32 vcc, s0, v3
	v_mov_b32_e32 v6, 0xff
	s_and_saveexec_b64 s[8:9], vcc
; %bb.695:
	s_mov_b32 s0, 0x3fffff
	v_and_b32_e32 v6, 0x400000, v4
	v_and_or_b32 v4, v4, s0, v3
	v_cmp_ne_u32_e32 vcc, 0, v6
	v_cmp_ne_u32_e64 s[0:1], 0, v4
	s_and_b64 s[0:1], vcc, s[0:1]
	v_cndmask_b32_e64 v4, 0, 1, s[0:1]
	v_add_u32_e32 v6, v3, v4
; %bb.696:
	s_or_b64 exec, exec, s[8:9]
	s_mov_b64 s[8:9], -1
	s_mov_b64 s[0:1], 0
	global_store_byte v[0:1], v6, off
.LBB7_697:
	s_mov_b64 s[10:11], 0
.LBB7_698:
	s_and_b64 vcc, exec, s[10:11]
	s_cbranch_vccz .LBB7_701
; %bb.699:
	s_cmp_eq_u32 s14, 29
	s_mov_b64 s[0:1], -1
	s_cbranch_scc0 .LBB7_701
; %bb.700:
	v_and_b32_e32 v3, 0xff, v2
	v_mov_b32_e32 v4, 0
	global_store_dwordx2 v[0:1], v[3:4], off
	s_mov_b64 s[8:9], -1
	s_mov_b64 s[0:1], 0
.LBB7_701:
	s_mov_b64 s[10:11], 0
.LBB7_702:
	s_and_b64 vcc, exec, s[10:11]
	s_cbranch_vccz .LBB7_718
; %bb.703:
	s_cmp_lt_i32 s14, 27
	s_mov_b64 s[8:9], -1
	s_cbranch_scc1 .LBB7_709
; %bb.704:
	s_cmp_gt_i32 s14, 27
	s_cbranch_scc0 .LBB7_706
; %bb.705:
	v_and_b32_e32 v3, 0xff, v2
	s_mov_b64 s[8:9], 0
	global_store_dword v[0:1], v3, off
.LBB7_706:
	s_andn2_b64 vcc, exec, s[8:9]
	s_cbranch_vccnz .LBB7_708
; %bb.707:
	v_and_b32_e32 v3, 0xff, v2
	global_store_short v[0:1], v3, off
.LBB7_708:
	s_mov_b64 s[8:9], 0
.LBB7_709:
	s_andn2_b64 vcc, exec, s[8:9]
	s_cbranch_vccnz .LBB7_717
; %bb.710:
	v_cvt_f32_ubyte0_e32 v4, v2
	s_mov_b32 s8, 0x43800000
	v_cmp_gt_u32_e32 vcc, s8, v4
	v_mov_b32_e32 v6, 0x80
	s_and_saveexec_b64 s[8:9], vcc
	s_cbranch_execz .LBB7_716
; %bb.711:
	s_mov_b32 s10, 0x3bffffff
	v_cmp_lt_u32_e32 vcc, s10, v4
	s_mov_b64 s[10:11], 0
                                        ; implicit-def: $vgpr3
	s_and_saveexec_b64 s[12:13], vcc
	s_xor_b64 s[12:13], exec, s[12:13]
	s_cbranch_execz .LBB7_833
; %bb.712:
	v_bfe_u32 v3, v4, 20, 1
	s_mov_b32 s15, 0x487ffff
	v_add3_u32 v3, v4, v3, s15
	s_mov_b64 s[10:11], exec
	v_lshrrev_b32_e32 v3, 20, v3
                                        ; implicit-def: $vgpr4
	s_andn2_saveexec_b64 s[12:13], s[12:13]
	s_cbranch_execnz .LBB7_834
.LBB7_713:
	s_or_b64 exec, exec, s[12:13]
	v_mov_b32_e32 v6, 0
	s_and_saveexec_b64 s[12:13], s[10:11]
.LBB7_714:
	v_mov_b32_e32 v6, v3
.LBB7_715:
	s_or_b64 exec, exec, s[12:13]
.LBB7_716:
	s_or_b64 exec, exec, s[8:9]
	global_store_byte v[0:1], v6, off
.LBB7_717:
	s_mov_b64 s[8:9], -1
.LBB7_718:
	s_mov_b64 s[10:11], 0
.LBB7_719:
	s_and_b64 vcc, exec, s[10:11]
	s_cbranch_vccz .LBB7_760
; %bb.720:
	s_cmp_gt_i32 s14, 22
	s_mov_b64 s[10:11], -1
	s_cbranch_scc0 .LBB7_752
; %bb.721:
	s_cmp_lt_i32 s14, 24
	s_mov_b64 s[8:9], -1
	s_cbranch_scc1 .LBB7_741
; %bb.722:
	s_cmp_gt_i32 s14, 24
	s_cbranch_scc0 .LBB7_730
; %bb.723:
	v_cvt_f32_ubyte0_e32 v4, v2
	s_mov_b32 s8, 0x47800000
	v_cmp_gt_u32_e32 vcc, s8, v4
	v_mov_b32_e32 v6, 0x80
	s_and_saveexec_b64 s[8:9], vcc
	s_cbranch_execz .LBB7_729
; %bb.724:
	s_mov_b32 s10, 0x37ffffff
	v_cmp_lt_u32_e32 vcc, s10, v4
	s_mov_b64 s[10:11], 0
                                        ; implicit-def: $vgpr3
	s_and_saveexec_b64 s[12:13], vcc
	s_xor_b64 s[12:13], exec, s[12:13]
	s_cbranch_execz .LBB7_836
; %bb.725:
	v_bfe_u32 v3, v4, 21, 1
	s_mov_b32 s15, 0x88fffff
	v_add3_u32 v3, v4, v3, s15
	s_mov_b64 s[10:11], exec
	v_lshrrev_b32_e32 v3, 21, v3
                                        ; implicit-def: $vgpr4
	s_andn2_saveexec_b64 s[12:13], s[12:13]
	s_cbranch_execnz .LBB7_837
.LBB7_726:
	s_or_b64 exec, exec, s[12:13]
	v_mov_b32_e32 v6, 0
	s_and_saveexec_b64 s[12:13], s[10:11]
.LBB7_727:
	v_mov_b32_e32 v6, v3
.LBB7_728:
	s_or_b64 exec, exec, s[12:13]
.LBB7_729:
	s_or_b64 exec, exec, s[8:9]
	s_mov_b64 s[8:9], 0
	global_store_byte v[0:1], v6, off
.LBB7_730:
	s_and_b64 vcc, exec, s[8:9]
	s_cbranch_vccz .LBB7_740
; %bb.731:
	v_cvt_f32_ubyte0_e32 v3, v2
	s_mov_b32 s8, 0x43f00000
	v_cmp_gt_u32_e32 vcc, s8, v3
                                        ; implicit-def: $vgpr4
	s_and_saveexec_b64 s[8:9], vcc
	s_xor_b64 s[8:9], exec, s[8:9]
	s_cbranch_execz .LBB7_737
; %bb.732:
	s_mov_b32 s10, 0x3c7fffff
	v_cmp_lt_u32_e32 vcc, s10, v3
                                        ; implicit-def: $vgpr4
	s_and_saveexec_b64 s[10:11], vcc
	s_xor_b64 s[10:11], exec, s[10:11]
; %bb.733:
	v_bfe_u32 v4, v3, 20, 1
	s_mov_b32 s12, 0x407ffff
	v_add3_u32 v3, v3, v4, s12
	v_lshrrev_b32_e32 v4, 20, v3
	v_and_b32_e32 v3, 0xff00000, v3
	s_mov_b32 s12, 0x7f00000
	v_mov_b32_e32 v6, 0x7e
	v_cmp_ne_u32_e32 vcc, s12, v3
	v_cndmask_b32_e32 v4, v6, v4, vcc
                                        ; implicit-def: $vgpr3
; %bb.734:
	s_andn2_saveexec_b64 s[10:11], s[10:11]
; %bb.735:
	v_add_f32_e32 v4, 0x46800000, v3
; %bb.736:
	s_or_b64 exec, exec, s[10:11]
                                        ; implicit-def: $vgpr3
.LBB7_737:
	s_andn2_saveexec_b64 s[8:9], s[8:9]
; %bb.738:
	s_mov_b32 s10, 0x7f800000
	v_mov_b32_e32 v4, 0x7e
	v_mov_b32_e32 v6, 0x7f
	v_cmp_lt_u32_e32 vcc, s10, v3
	v_cndmask_b32_e32 v4, v4, v6, vcc
; %bb.739:
	s_or_b64 exec, exec, s[8:9]
	global_store_byte v[0:1], v4, off
.LBB7_740:
	s_mov_b64 s[8:9], 0
.LBB7_741:
	s_andn2_b64 vcc, exec, s[8:9]
	s_cbranch_vccnz .LBB7_751
; %bb.742:
	v_cvt_f32_ubyte0_e32 v3, v2
	s_mov_b32 s8, 0x47800000
	v_cmp_gt_u32_e32 vcc, s8, v3
                                        ; implicit-def: $vgpr4
	s_and_saveexec_b64 s[8:9], vcc
	s_xor_b64 s[8:9], exec, s[8:9]
	s_cbranch_execz .LBB7_748
; %bb.743:
	s_mov_b32 s10, 0x387fffff
	v_cmp_lt_u32_e32 vcc, s10, v3
                                        ; implicit-def: $vgpr4
	s_and_saveexec_b64 s[10:11], vcc
	s_xor_b64 s[10:11], exec, s[10:11]
; %bb.744:
	v_bfe_u32 v4, v3, 21, 1
	s_mov_b32 s12, 0x80fffff
	v_add3_u32 v3, v3, v4, s12
	v_lshrrev_b32_e32 v4, 21, v3
                                        ; implicit-def: $vgpr3
; %bb.745:
	s_andn2_saveexec_b64 s[10:11], s[10:11]
; %bb.746:
	v_add_f32_e32 v4, 0x43000000, v3
; %bb.747:
	s_or_b64 exec, exec, s[10:11]
                                        ; implicit-def: $vgpr3
.LBB7_748:
	s_andn2_saveexec_b64 s[8:9], s[8:9]
; %bb.749:
	s_mov_b32 s10, 0x7f800000
	v_mov_b32_e32 v4, 0x7c
	v_mov_b32_e32 v6, 0x7f
	v_cmp_lt_u32_e32 vcc, s10, v3
	v_cndmask_b32_e32 v4, v4, v6, vcc
; %bb.750:
	s_or_b64 exec, exec, s[8:9]
	global_store_byte v[0:1], v4, off
.LBB7_751:
	s_mov_b64 s[10:11], 0
	s_mov_b64 s[8:9], -1
.LBB7_752:
	s_andn2_b64 vcc, exec, s[10:11]
	s_cbranch_vccnz .LBB7_760
; %bb.753:
	s_cmp_gt_i32 s14, 14
	s_mov_b64 s[10:11], -1
	s_cbranch_scc0 .LBB7_757
; %bb.754:
	s_cmp_eq_u32 s14, 15
	s_mov_b64 s[0:1], -1
	s_cbranch_scc0 .LBB7_756
; %bb.755:
	v_cvt_f32_ubyte0_e32 v3, v2
	v_bfe_u32 v4, v3, 16, 1
	s_movk_i32 s0, 0x7fff
	v_add3_u32 v3, v3, v4, s0
	global_store_short_d16_hi v[0:1], v3, off
	s_mov_b64 s[8:9], -1
	s_mov_b64 s[0:1], 0
.LBB7_756:
	s_mov_b64 s[10:11], 0
.LBB7_757:
	s_and_b64 vcc, exec, s[10:11]
	s_cbranch_vccz .LBB7_760
; %bb.758:
	s_cmp_eq_u32 s14, 11
	s_mov_b64 s[0:1], -1
	s_cbranch_scc0 .LBB7_760
; %bb.759:
	v_mov_b32_e32 v3, 0
	v_cmp_ne_u16_sdwa s[0:1], v2, v3 src0_sel:BYTE_0 src1_sel:DWORD
	v_cndmask_b32_e64 v3, 0, 1, s[0:1]
	s_mov_b64 s[8:9], -1
	s_mov_b64 s[0:1], 0
	global_store_byte v[0:1], v3, off
.LBB7_760:
	s_mov_b64 s[10:11], 0
.LBB7_761:
	s_and_b64 vcc, exec, s[10:11]
	s_cbranch_vccz .LBB7_800
; %bb.762:
	s_cmp_lt_i32 s14, 5
	s_mov_b64 s[8:9], -1
	s_cbranch_scc1 .LBB7_783
; %bb.763:
	s_cmp_lt_i32 s14, 8
	s_cbranch_scc1 .LBB7_773
; %bb.764:
	s_cmp_lt_i32 s14, 9
	s_cbranch_scc1 .LBB7_770
; %bb.765:
	s_cmp_gt_i32 s14, 9
	s_cbranch_scc0 .LBB7_767
; %bb.766:
	s_mov_b32 s8, 0xffff
	v_and_b32_sdwa v3, s8, v2 dst_sel:DWORD dst_unused:UNUSED_PAD src0_sel:DWORD src1_sel:BYTE_0
	v_cvt_f64_u32_e32 v[6:7], v3
	v_mov_b32_e32 v8, 0
	v_mov_b32_e32 v9, v8
	s_mov_b64 s[8:9], 0
	global_store_dwordx4 v[0:1], v[6:9], off
.LBB7_767:
	s_andn2_b64 vcc, exec, s[8:9]
	s_cbranch_vccnz .LBB7_769
; %bb.768:
	v_cvt_f32_ubyte0_e32 v3, v2
	v_mov_b32_e32 v4, 0
	global_store_dwordx2 v[0:1], v[3:4], off
.LBB7_769:
	s_mov_b64 s[8:9], 0
.LBB7_770:
	s_andn2_b64 vcc, exec, s[8:9]
	s_cbranch_vccnz .LBB7_772
; %bb.771:
	v_cvt_f16_u16_sdwa v3, v2 dst_sel:DWORD dst_unused:UNUSED_PAD src0_sel:BYTE_0
	global_store_dword v[0:1], v3, off
.LBB7_772:
	s_mov_b64 s[8:9], 0
.LBB7_773:
	s_andn2_b64 vcc, exec, s[8:9]
	s_cbranch_vccnz .LBB7_782
; %bb.774:
	s_cmp_lt_i32 s14, 6
	s_mov_b64 s[8:9], -1
	s_cbranch_scc1 .LBB7_780
; %bb.775:
	s_cmp_gt_i32 s14, 6
	s_cbranch_scc0 .LBB7_777
; %bb.776:
	s_mov_b32 s8, 0xffff
	v_and_b32_sdwa v3, s8, v2 dst_sel:DWORD dst_unused:UNUSED_PAD src0_sel:DWORD src1_sel:BYTE_0
	v_cvt_f64_u32_e32 v[3:4], v3
	s_mov_b64 s[8:9], 0
	global_store_dwordx2 v[0:1], v[3:4], off
.LBB7_777:
	s_andn2_b64 vcc, exec, s[8:9]
	s_cbranch_vccnz .LBB7_779
; %bb.778:
	v_cvt_f32_ubyte0_e32 v3, v2
	global_store_dword v[0:1], v3, off
.LBB7_779:
	s_mov_b64 s[8:9], 0
.LBB7_780:
	s_andn2_b64 vcc, exec, s[8:9]
	s_cbranch_vccnz .LBB7_782
; %bb.781:
	v_cvt_f16_u16_sdwa v3, v2 dst_sel:DWORD dst_unused:UNUSED_PAD src0_sel:BYTE_0
	global_store_short v[0:1], v3, off
.LBB7_782:
	s_mov_b64 s[8:9], 0
.LBB7_783:
	s_andn2_b64 vcc, exec, s[8:9]
	s_cbranch_vccnz .LBB7_799
; %bb.784:
	s_cmp_lt_i32 s14, 2
	s_mov_b64 s[8:9], -1
	s_cbranch_scc1 .LBB7_794
; %bb.785:
	s_cmp_lt_i32 s14, 3
	s_cbranch_scc1 .LBB7_791
; %bb.786:
	s_cmp_gt_i32 s14, 3
	s_cbranch_scc0 .LBB7_788
; %bb.787:
	v_and_b32_e32 v3, 0xff, v2
	v_mov_b32_e32 v4, 0
	s_mov_b64 s[8:9], 0
	global_store_dwordx2 v[0:1], v[3:4], off
.LBB7_788:
	s_andn2_b64 vcc, exec, s[8:9]
	s_cbranch_vccnz .LBB7_790
; %bb.789:
	v_and_b32_e32 v3, 0xff, v2
	global_store_dword v[0:1], v3, off
.LBB7_790:
	s_mov_b64 s[8:9], 0
.LBB7_791:
	s_andn2_b64 vcc, exec, s[8:9]
	s_cbranch_vccnz .LBB7_793
; %bb.792:
	v_and_b32_e32 v3, 0xff, v2
	global_store_short v[0:1], v3, off
.LBB7_793:
	s_mov_b64 s[8:9], 0
.LBB7_794:
	s_andn2_b64 vcc, exec, s[8:9]
	s_cbranch_vccnz .LBB7_799
; %bb.795:
	s_cmp_gt_i32 s14, 0
	s_mov_b64 s[8:9], -1
	s_cbranch_scc0 .LBB7_797
; %bb.796:
	s_mov_b64 s[8:9], 0
	global_store_byte v[0:1], v2, off
.LBB7_797:
	s_andn2_b64 vcc, exec, s[8:9]
	s_cbranch_vccnz .LBB7_799
; %bb.798:
	global_store_byte v[0:1], v2, off
.LBB7_799:
	s_mov_b64 s[8:9], -1
.LBB7_800:
	s_andn2_b64 vcc, exec, s[8:9]
	s_cbranch_vccnz .LBB7_802
; %bb.801:
	v_add_u32_e32 v11, 0x80, v11
	s_mov_b64 s[8:9], -1
	s_branch .LBB7_804
.LBB7_802:
	s_mov_b64 s[8:9], 0
.LBB7_803:
                                        ; implicit-def: $vgpr11
.LBB7_804:
	s_andn2_b64 s[10:11], s[60:61], exec
	s_and_b64 s[0:1], s[0:1], exec
	s_or_b64 s[68:69], s[10:11], s[0:1]
	s_andn2_b64 s[0:1], s[58:59], exec
	s_and_b64 s[2:3], s[2:3], exec
	s_or_b64 s[66:67], s[0:1], s[2:3]
	s_orn2_b64 s[2:3], s[8:9], exec
.LBB7_805:
	s_or_b64 exec, exec, s[64:65]
	s_mov_b64 s[0:1], 0
	s_mov_b64 s[8:9], 0
	;; [unrolled: 1-line block ×3, first 2 shown]
                                        ; implicit-def: $sgpr14
                                        ; implicit-def: $vgpr1_vgpr2
                                        ; implicit-def: $vgpr0
                                        ; implicit-def: $vgpr3
	s_and_saveexec_b64 s[64:65], s[2:3]
	s_cbranch_execz .LBB7_900
; %bb.806:
	v_cmp_gt_i32_e32 vcc, s70, v11
	s_mov_b64 s[2:3], 0
	s_mov_b64 s[12:13], s[66:67]
                                        ; implicit-def: $sgpr14
                                        ; implicit-def: $vgpr1_vgpr2
                                        ; implicit-def: $vgpr0
                                        ; implicit-def: $vgpr3
	s_and_saveexec_b64 s[70:71], vcc
	s_cbranch_execz .LBB7_899
; %bb.807:
	s_andn2_b64 vcc, exec, s[40:41]
	s_cbranch_vccnz .LBB7_812
; %bb.808:
	s_andn2_b64 vcc, exec, s[50:51]
	s_cbranch_vccnz .LBB7_813
; %bb.809:
	s_add_i32 s76, s75, 1
	s_cmp_eq_u32 s72, 2
	s_cbranch_scc1 .LBB7_814
; %bb.810:
	s_and_b32 s75, s76, 28
	v_mov_b32_e32 v2, 0
	s_mov_b32 s77, 0
	s_mov_b64 s[50:51], s[34:35]
	v_mov_b32_e32 v0, 0
	v_mov_b32_e32 v1, v11
.LBB7_811:                              ; =>This Inner Loop Header: Depth=1
	s_load_dwordx8 s[16:23], s[50:51], 0x4
	s_load_dwordx4 s[0:3], s[50:51], 0x24
	s_load_dwordx8 s[8:15], s[48:49], 0x0
	s_add_u32 s50, s50, 48
	s_addc_u32 s51, s51, 0
	s_waitcnt vmcnt(0) lgkmcnt(0)
	v_mul_hi_u32 v3, s17, v1
	s_add_i32 s77, s77, 4
	s_add_u32 s48, s48, 32
	s_addc_u32 s49, s49, 0
	v_add_u32_e32 v3, v1, v3
	v_lshrrev_b32_e32 v3, s18, v3
	v_mul_lo_u32 v4, v3, s16
	v_mul_hi_u32 v6, s20, v3
	s_cmp_eq_u32 s75, s77
	v_sub_u32_e32 v1, v1, v4
	v_add_u32_e32 v4, v3, v6
	v_mul_lo_u32 v6, v1, s8
	v_mul_lo_u32 v7, v1, s9
	v_lshrrev_b32_e32 v1, s21, v4
	v_mul_lo_u32 v4, v1, s19
	v_mul_hi_u32 v8, s23, v1
	v_sub_u32_e32 v3, v3, v4
	v_add_u32_e32 v4, v1, v8
	v_lshrrev_b32_e32 v4, s0, v4
	v_mul_hi_u32 v9, s2, v4
	v_mul_lo_u32 v10, v4, s22
	v_mul_lo_u32 v8, v3, s10
	v_mul_lo_u32 v3, v3, s11
	v_sub_u32_e32 v10, v1, v10
	v_add_u32_e32 v1, v4, v9
	v_lshrrev_b32_e32 v1, s3, v1
	v_mul_lo_u32 v9, v1, s1
	v_mul_lo_u32 v12, v10, s12
	;; [unrolled: 1-line block ×3, first 2 shown]
	v_add3_u32 v0, v6, v0, v8
	v_sub_u32_e32 v4, v4, v9
	v_mul_lo_u32 v9, v4, s14
	v_mul_lo_u32 v4, v4, s15
	v_add3_u32 v2, v7, v2, v3
	v_add3_u32 v0, v12, v0, v9
	;; [unrolled: 1-line block ×3, first 2 shown]
	s_cbranch_scc0 .LBB7_811
	s_branch .LBB7_815
.LBB7_812:
	s_mov_b64 s[0:1], -1
                                        ; implicit-def: $vgpr0
                                        ; implicit-def: $vgpr2
	s_branch .LBB7_819
.LBB7_813:
	v_mov_b32_e32 v0, 0
	v_mov_b32_e32 v2, 0
	s_branch .LBB7_818
.LBB7_814:
	s_mov_b32 s75, 0
	v_mov_b32_e32 v0, 0
	v_mov_b32_e32 v2, 0
	;; [unrolled: 1-line block ×3, first 2 shown]
.LBB7_815:
	s_and_b32 s8, s76, 3
	s_cmp_eq_u32 s8, 0
	s_cbranch_scc1 .LBB7_818
; %bb.816:
	s_lshl_b32 s0, s75, 3
	s_add_u32 s0, s34, s0
	s_addc_u32 s1, s35, 0
	s_add_u32 s0, s0, 0xc4
	s_addc_u32 s1, s1, 0
	s_mul_i32 s2, s75, 12
	s_add_u32 s2, s34, s2
	s_addc_u32 s3, s35, 0
.LBB7_817:                              ; =>This Inner Loop Header: Depth=1
	s_load_dwordx2 s[10:11], s[2:3], 0x4
	s_load_dword s9, s[2:3], 0xc
	s_load_dwordx2 s[12:13], s[0:1], 0x0
	s_add_u32 s2, s2, 12
	s_addc_u32 s3, s3, 0
	s_waitcnt vmcnt(0) lgkmcnt(0)
	v_mul_hi_u32 v3, s11, v1
	s_add_u32 s0, s0, 8
	s_addc_u32 s1, s1, 0
	s_add_i32 s8, s8, -1
	v_add_u32_e32 v3, v1, v3
	v_lshrrev_b32_e32 v4, s9, v3
	v_mul_lo_u32 v3, v4, s10
	s_cmp_lg_u32 s8, 0
	v_sub_u32_e32 v3, v1, v3
	v_mad_u64_u32 v[0:1], s[10:11], v3, s12, v[0:1]
	v_mad_u64_u32 v[2:3], s[10:11], v3, s13, v[2:3]
	v_mov_b32_e32 v1, v4
	s_cbranch_scc1 .LBB7_817
.LBB7_818:
	s_mov_b64 s[0:1], 0
.LBB7_819:
	s_andn2_b64 vcc, exec, s[0:1]
	s_cbranch_vccnz .LBB7_822
; %bb.820:
	s_waitcnt lgkmcnt(0)
	v_mul_hi_u32 v0, s37, v11
	s_andn2_b64 vcc, exec, s[46:47]
	v_add_u32_e32 v0, v11, v0
	v_lshrrev_b32_e32 v1, s38, v0
	v_mul_lo_u32 v0, v1, s36
	v_sub_u32_e32 v2, v11, v0
	v_mul_lo_u32 v0, v2, s28
	v_mul_lo_u32 v2, v2, s29
	s_cbranch_vccnz .LBB7_822
; %bb.821:
	s_waitcnt vmcnt(0)
	v_mul_hi_u32 v3, s44, v1
	v_add_u32_e32 v3, v1, v3
	v_lshrrev_b32_e32 v3, s45, v3
	v_mul_lo_u32 v3, v3, s39
	v_sub_u32_e32 v3, v1, v3
	v_mad_u64_u32 v[0:1], s[0:1], v3, s30, v[0:1]
	v_mad_u64_u32 v[2:3], s[0:1], v3, s31, v[2:3]
.LBB7_822:
	s_waitcnt vmcnt(0) lgkmcnt(0)
	v_mov_b32_e32 v3, s27
	s_and_b32 s14, s74, 0xff
	v_add_co_u32_e32 v1, vcc, s26, v2
	s_cmp_lt_i32 s14, 11
	v_addc_co_u32_e32 v2, vcc, 0, v3, vcc
	s_cbranch_scc1 .LBB7_829
; %bb.823:
	s_and_b32 s12, 0xffff, s14
	s_cmp_gt_i32 s12, 25
	s_mov_b64 s[2:3], 0
	s_cbranch_scc0 .LBB7_830
; %bb.824:
	s_cmp_gt_i32 s12, 28
	s_cbranch_scc0 .LBB7_831
; %bb.825:
	s_cmp_gt_i32 s12, 43
	;; [unrolled: 3-line block ×3, first 2 shown]
	s_cbranch_scc0 .LBB7_835
; %bb.827:
	s_cmp_eq_u32 s12, 46
	s_mov_b64 s[10:11], 0
	s_cbranch_scc0 .LBB7_838
; %bb.828:
	global_load_dword v3, v[1:2], off
	s_mov_b32 s0, 0x2f800000
	s_mov_b32 s1, 0xcf800000
	s_mov_b64 s[8:9], -1
	s_waitcnt vmcnt(0)
	v_lshlrev_b32_e32 v3, 16, v3
	v_trunc_f32_e32 v3, v3
	v_mul_f32_e64 v4, |v3|, s0
	v_floor_f32_e32 v4, v4
	v_fma_f32 v4, v4, s1, |v3|
	v_cvt_u32_f32_e32 v4, v4
	v_ashrrev_i32_e32 v3, 31, v3
	s_mov_b64 s[0:1], 0
	v_xor_b32_e32 v4, v4, v3
	v_sub_u32_e32 v3, v4, v3
	s_branch .LBB7_839
.LBB7_829:
	s_mov_b64 s[12:13], -1
	s_mov_b64 s[8:9], 0
	s_mov_b64 s[2:3], 0
	;; [unrolled: 1-line block ×3, first 2 shown]
                                        ; implicit-def: $vgpr3
	s_branch .LBB7_898
.LBB7_830:
	s_mov_b64 s[10:11], -1
	s_mov_b64 s[8:9], 0
	s_mov_b64 s[0:1], s[66:67]
                                        ; implicit-def: $vgpr3
	s_branch .LBB7_866
.LBB7_831:
	s_mov_b64 s[10:11], -1
	s_mov_b64 s[8:9], 0
	s_mov_b64 s[0:1], s[66:67]
                                        ; implicit-def: $vgpr3
	s_branch .LBB7_849
.LBB7_832:
	s_mov_b64 s[10:11], -1
	s_mov_b64 s[8:9], 0
	s_mov_b64 s[0:1], s[66:67]
                                        ; implicit-def: $vgpr3
	s_branch .LBB7_844
.LBB7_833:
	s_andn2_saveexec_b64 s[12:13], s[12:13]
	s_cbranch_execz .LBB7_713
.LBB7_834:
	v_add_f32_e32 v3, 0x46000000, v4
	v_and_b32_e32 v3, 0xff, v3
	v_cmp_ne_u32_e32 vcc, 0, v3
	s_andn2_b64 s[10:11], s[10:11], exec
	s_and_b64 s[16:17], vcc, exec
	s_or_b64 s[10:11], s[10:11], s[16:17]
	s_or_b64 exec, exec, s[12:13]
	v_mov_b32_e32 v6, 0
	s_and_saveexec_b64 s[12:13], s[10:11]
	s_cbranch_execnz .LBB7_714
	s_branch .LBB7_715
.LBB7_835:
	s_mov_b64 s[10:11], -1
	s_mov_b64 s[8:9], 0
	s_mov_b64 s[0:1], s[66:67]
                                        ; implicit-def: $vgpr3
	s_branch .LBB7_839
.LBB7_836:
	s_andn2_saveexec_b64 s[12:13], s[12:13]
	s_cbranch_execz .LBB7_726
.LBB7_837:
	v_add_f32_e32 v3, 0x42800000, v4
	v_and_b32_e32 v3, 0xff, v3
	v_cmp_ne_u32_e32 vcc, 0, v3
	s_andn2_b64 s[10:11], s[10:11], exec
	s_and_b64 s[16:17], vcc, exec
	s_or_b64 s[10:11], s[10:11], s[16:17]
	s_or_b64 exec, exec, s[12:13]
	v_mov_b32_e32 v6, 0
	s_and_saveexec_b64 s[12:13], s[10:11]
	s_cbranch_execnz .LBB7_727
	s_branch .LBB7_728
.LBB7_838:
	s_mov_b64 s[0:1], -1
                                        ; implicit-def: $vgpr3
	s_mov_b64 s[8:9], 0
.LBB7_839:
	s_and_b64 vcc, exec, s[10:11]
	s_cbranch_vccz .LBB7_843
; %bb.840:
	s_cmp_eq_u32 s12, 44
	s_cbranch_scc0 .LBB7_842
; %bb.841:
	global_load_ubyte v3, v[1:2], off
	s_mov_b32 s0, 0x2f800000
	s_mov_b32 s1, 0xcf800000
	s_mov_b64 s[8:9], -1
	s_waitcnt vmcnt(0)
	v_lshlrev_b32_e32 v4, 23, v3
	v_trunc_f32_e32 v4, v4
	v_mul_f32_e64 v6, |v4|, s0
	v_floor_f32_e32 v6, v6
	v_fma_f32 v6, v6, s1, |v4|
	v_cvt_u32_f32_e32 v6, v6
	v_ashrrev_i32_e32 v4, 31, v4
	v_cmp_ne_u32_e32 vcc, 0, v3
	s_mov_b64 s[0:1], 0
	v_xor_b32_e32 v6, v6, v4
	v_sub_u32_e32 v4, v6, v4
	v_cndmask_b32_e32 v3, 0, v4, vcc
	s_branch .LBB7_843
.LBB7_842:
	s_mov_b64 s[0:1], -1
                                        ; implicit-def: $vgpr3
.LBB7_843:
	s_mov_b64 s[10:11], 0
.LBB7_844:
	s_and_b64 vcc, exec, s[10:11]
	s_cbranch_vccz .LBB7_848
; %bb.845:
	s_cmp_eq_u32 s12, 29
	s_cbranch_scc0 .LBB7_847
; %bb.846:
	global_load_dwordx2 v[3:4], v[1:2], off
	s_mov_b64 s[0:1], 0
	s_mov_b64 s[8:9], -1
	s_branch .LBB7_848
.LBB7_847:
	s_mov_b64 s[0:1], -1
                                        ; implicit-def: $vgpr3
.LBB7_848:
	s_mov_b64 s[10:11], 0
.LBB7_849:
	s_and_b64 vcc, exec, s[10:11]
	s_cbranch_vccz .LBB7_865
; %bb.850:
	s_cmp_lt_i32 s12, 27
	s_cbranch_scc1 .LBB7_853
; %bb.851:
	s_cmp_gt_i32 s12, 27
	s_cbranch_scc0 .LBB7_854
; %bb.852:
	global_load_dword v3, v[1:2], off
	s_mov_b64 s[8:9], 0
	s_branch .LBB7_855
.LBB7_853:
	s_mov_b64 s[8:9], -1
                                        ; implicit-def: $vgpr3
	s_branch .LBB7_858
.LBB7_854:
	s_mov_b64 s[8:9], -1
                                        ; implicit-def: $vgpr3
.LBB7_855:
	s_andn2_b64 vcc, exec, s[8:9]
	s_cbranch_vccnz .LBB7_857
; %bb.856:
	global_load_ushort v3, v[1:2], off
.LBB7_857:
	s_mov_b64 s[8:9], 0
.LBB7_858:
	s_andn2_b64 vcc, exec, s[8:9]
	s_cbranch_vccnz .LBB7_864
; %bb.859:
	global_load_ubyte v4, v[1:2], off
	s_movk_i32 s8, 0x7f
	s_mov_b64 s[10:11], 0
	s_waitcnt vmcnt(0)
	v_cmp_lt_i16_e32 vcc, s8, v4
	s_and_saveexec_b64 s[8:9], vcc
	s_xor_b64 s[8:9], exec, s[8:9]
	s_cbranch_execz .LBB7_876
; %bb.860:
	s_movk_i32 s10, 0x80
	v_cmp_ne_u16_e32 vcc, s10, v4
	s_and_b64 s[10:11], vcc, exec
	s_andn2_saveexec_b64 s[8:9], s[8:9]
	s_cbranch_execnz .LBB7_877
.LBB7_861:
	s_or_b64 exec, exec, s[8:9]
	v_mov_b32_e32 v3, 0
	s_and_saveexec_b64 s[8:9], s[10:11]
	s_cbranch_execz .LBB7_863
.LBB7_862:
	v_lshlrev_b32_e32 v3, 24, v4
	v_and_b32_e32 v4, 0xffff, v4
	v_and_b32_e32 v6, 7, v4
	v_ffbh_u32_e32 v8, v6
	v_min_u32_e32 v8, 32, v8
	v_subrev_u32_e32 v9, 28, v8
	v_bfe_u32 v7, v4, 3, 4
	v_lshlrev_b32_e32 v4, v9, v4
	v_sub_u32_e32 v8, 29, v8
	v_and_b32_e32 v4, 7, v4
	v_cmp_eq_u32_e32 vcc, 0, v7
	v_cndmask_b32_e32 v7, v7, v8, vcc
	v_cndmask_b32_e32 v4, v6, v4, vcc
	v_mov_b32_e32 v6, 0x3b800000
	v_lshlrev_b32_e32 v4, 20, v4
	v_and_b32_e32 v3, 0x80000000, v3
	v_lshl_add_u32 v6, v7, 23, v6
	v_or3_b32 v3, v3, v6, v4
	v_trunc_f32_e32 v3, v3
	s_mov_b32 s10, 0x2f800000
	v_mul_f32_e64 v4, |v3|, s10
	v_floor_f32_e32 v4, v4
	s_mov_b32 s10, 0xcf800000
	v_fma_f32 v4, v4, s10, |v3|
	v_cvt_u32_f32_e32 v4, v4
	v_ashrrev_i32_e32 v3, 31, v3
	v_xor_b32_e32 v4, v4, v3
	v_sub_u32_e32 v3, v4, v3
.LBB7_863:
	s_or_b64 exec, exec, s[8:9]
.LBB7_864:
	s_mov_b64 s[8:9], -1
.LBB7_865:
	s_mov_b64 s[10:11], 0
.LBB7_866:
	s_and_b64 vcc, exec, s[10:11]
	s_cbranch_vccz .LBB7_897
; %bb.867:
	s_cmp_gt_i32 s12, 22
	s_cbranch_scc0 .LBB7_875
; %bb.868:
	s_cmp_lt_i32 s12, 24
	s_cbranch_scc1 .LBB7_878
; %bb.869:
	s_cmp_gt_i32 s12, 24
	s_cbranch_scc0 .LBB7_879
; %bb.870:
	global_load_ubyte v4, v[1:2], off
	s_movk_i32 s2, 0x7f
	s_mov_b64 s[8:9], 0
	s_waitcnt vmcnt(0)
	v_cmp_lt_i16_e32 vcc, s2, v4
	s_and_saveexec_b64 s[2:3], vcc
	s_xor_b64 s[2:3], exec, s[2:3]
	s_cbranch_execz .LBB7_891
; %bb.871:
	s_movk_i32 s8, 0x80
	v_cmp_ne_u16_e32 vcc, s8, v4
	s_and_b64 s[8:9], vcc, exec
	s_andn2_saveexec_b64 s[2:3], s[2:3]
	s_cbranch_execnz .LBB7_892
.LBB7_872:
	s_or_b64 exec, exec, s[2:3]
	v_mov_b32_e32 v3, 0
	s_and_saveexec_b64 s[2:3], s[8:9]
	s_cbranch_execz .LBB7_874
.LBB7_873:
	v_lshlrev_b32_e32 v3, 24, v4
	v_and_b32_e32 v4, 0xffff, v4
	v_and_b32_e32 v6, 3, v4
	v_ffbh_u32_e32 v8, v6
	v_min_u32_e32 v8, 32, v8
	v_subrev_u32_e32 v9, 29, v8
	v_bfe_u32 v7, v4, 2, 5
	v_lshlrev_b32_e32 v4, v9, v4
	v_sub_u32_e32 v8, 30, v8
	v_and_b32_e32 v4, 3, v4
	v_cmp_eq_u32_e32 vcc, 0, v7
	v_cndmask_b32_e32 v7, v7, v8, vcc
	v_cndmask_b32_e32 v4, v6, v4, vcc
	v_mov_b32_e32 v6, 0x37800000
	v_lshlrev_b32_e32 v4, 21, v4
	v_and_b32_e32 v3, 0x80000000, v3
	v_lshl_add_u32 v6, v7, 23, v6
	v_or3_b32 v3, v3, v6, v4
	v_trunc_f32_e32 v3, v3
	s_mov_b32 s8, 0x2f800000
	v_mul_f32_e64 v4, |v3|, s8
	v_floor_f32_e32 v4, v4
	s_mov_b32 s8, 0xcf800000
	v_fma_f32 v4, v4, s8, |v3|
	v_cvt_u32_f32_e32 v4, v4
	v_ashrrev_i32_e32 v3, 31, v3
	v_xor_b32_e32 v4, v4, v3
	v_sub_u32_e32 v3, v4, v3
.LBB7_874:
	s_or_b64 exec, exec, s[2:3]
	s_mov_b64 s[2:3], 0
	s_branch .LBB7_880
.LBB7_875:
	s_mov_b64 s[2:3], -1
                                        ; implicit-def: $vgpr3
	s_branch .LBB7_886
.LBB7_876:
	s_andn2_saveexec_b64 s[8:9], s[8:9]
	s_cbranch_execz .LBB7_861
.LBB7_877:
	v_cmp_ne_u16_e32 vcc, 0, v4
	s_andn2_b64 s[10:11], s[10:11], exec
	s_and_b64 s[16:17], vcc, exec
	s_or_b64 s[10:11], s[10:11], s[16:17]
	s_or_b64 exec, exec, s[8:9]
	v_mov_b32_e32 v3, 0
	s_and_saveexec_b64 s[8:9], s[10:11]
	s_cbranch_execnz .LBB7_862
	s_branch .LBB7_863
.LBB7_878:
	s_mov_b64 s[2:3], -1
                                        ; implicit-def: $vgpr3
	s_branch .LBB7_883
.LBB7_879:
	s_mov_b64 s[2:3], -1
                                        ; implicit-def: $vgpr3
.LBB7_880:
	s_and_b64 vcc, exec, s[2:3]
	s_cbranch_vccz .LBB7_882
; %bb.881:
	global_load_ubyte v3, v[1:2], off
	s_mov_b32 s2, 0x7f800000
	s_brev_b32 s3, 1
	s_mov_b32 s8, 0x2f800000
	s_waitcnt vmcnt(0)
	v_lshlrev_b32_e32 v3, 24, v3
	v_and_b32_e32 v4, 0x7f000000, v3
	v_ffbh_u32_e32 v6, v4
	v_min_u32_e32 v6, 32, v6
	v_sub_u32_e64 v6, v6, 4 clamp
	v_lshlrev_b32_e32 v8, v6, v4
	v_lshlrev_b32_e32 v6, 23, v6
	v_lshrrev_b32_e32 v8, 4, v8
	v_add_u32_e32 v7, 0x1000000, v4
	v_sub_u32_e32 v6, v8, v6
	v_ashrrev_i32_e32 v7, 8, v7
	v_add_u32_e32 v6, 0x3c000000, v6
	v_and_or_b32 v6, v7, s2, v6
	v_cmp_ne_u32_e32 vcc, 0, v4
	v_cndmask_b32_e32 v4, 0, v6, vcc
	v_and_or_b32 v3, v3, s3, v4
	v_trunc_f32_e32 v3, v3
	v_mul_f32_e64 v4, |v3|, s8
	v_floor_f32_e32 v4, v4
	s_mov_b32 s2, 0xcf800000
	v_fma_f32 v4, v4, s2, |v3|
	v_cvt_u32_f32_e32 v4, v4
	v_ashrrev_i32_e32 v3, 31, v3
	v_xor_b32_e32 v4, v4, v3
	v_sub_u32_e32 v3, v4, v3
.LBB7_882:
	s_mov_b64 s[2:3], 0
.LBB7_883:
	s_andn2_b64 vcc, exec, s[2:3]
	s_cbranch_vccnz .LBB7_885
; %bb.884:
	global_load_ubyte v3, v[1:2], off
	s_movk_i32 s2, 0x7f00
	s_brev_b32 s3, 16
	s_brev_b32 s8, 1
	s_mov_b32 s9, 0x2f800000
	s_waitcnt vmcnt(0)
	v_lshlrev_b16_e32 v4, 8, v3
	v_lshlrev_b32_e32 v3, 25, v3
	v_lshrrev_b32_e32 v6, 4, v3
	v_and_or_b32 v7, v4, s2, 0.5
	v_or_b32_e32 v6, 0x70000000, v6
	v_add_f32_e32 v7, -0.5, v7
	v_mul_f32_e32 v6, 0x7800000, v6
	v_cmp_gt_u32_e32 vcc, s3, v3
	v_bfe_i32 v4, v4, 0, 16
	v_cndmask_b32_e32 v3, v6, v7, vcc
	v_and_or_b32 v3, v4, s8, v3
	v_trunc_f32_e32 v3, v3
	v_mul_f32_e64 v4, |v3|, s9
	v_floor_f32_e32 v4, v4
	s_mov_b32 s2, 0xcf800000
	v_fma_f32 v4, v4, s2, |v3|
	v_cvt_u32_f32_e32 v4, v4
	v_ashrrev_i32_e32 v3, 31, v3
	v_xor_b32_e32 v4, v4, v3
	v_sub_u32_e32 v3, v4, v3
.LBB7_885:
	s_mov_b64 s[2:3], 0
	s_mov_b64 s[8:9], -1
.LBB7_886:
	s_andn2_b64 vcc, exec, s[2:3]
	s_mov_b64 s[2:3], 0
	s_cbranch_vccnz .LBB7_897
; %bb.887:
	s_cmp_gt_i32 s12, 14
	s_cbranch_scc0 .LBB7_890
; %bb.888:
	s_cmp_eq_u32 s12, 15
	s_cbranch_scc0 .LBB7_893
; %bb.889:
	global_load_ushort v3, v[1:2], off
	s_mov_b32 s0, 0x2f800000
	s_mov_b32 s1, 0xcf800000
	s_mov_b64 s[8:9], -1
	s_waitcnt vmcnt(0)
	v_lshlrev_b32_e32 v3, 16, v3
	v_trunc_f32_e32 v3, v3
	v_mul_f32_e64 v4, |v3|, s0
	v_floor_f32_e32 v4, v4
	v_fma_f32 v4, v4, s1, |v3|
	v_cvt_u32_f32_e32 v4, v4
	v_ashrrev_i32_e32 v3, 31, v3
	s_mov_b64 s[0:1], 0
	v_xor_b32_e32 v4, v4, v3
	v_sub_u32_e32 v3, v4, v3
	s_branch .LBB7_894
.LBB7_890:
	s_mov_b64 s[10:11], -1
                                        ; implicit-def: $vgpr3
	s_branch .LBB7_895
.LBB7_891:
	s_andn2_saveexec_b64 s[2:3], s[2:3]
	s_cbranch_execz .LBB7_872
.LBB7_892:
	v_cmp_ne_u16_e32 vcc, 0, v4
	s_andn2_b64 s[8:9], s[8:9], exec
	s_and_b64 s[10:11], vcc, exec
	s_or_b64 s[8:9], s[8:9], s[10:11]
	s_or_b64 exec, exec, s[2:3]
	v_mov_b32_e32 v3, 0
	s_and_saveexec_b64 s[2:3], s[8:9]
	s_cbranch_execnz .LBB7_873
	s_branch .LBB7_874
.LBB7_893:
	s_mov_b64 s[0:1], -1
                                        ; implicit-def: $vgpr3
.LBB7_894:
	s_mov_b64 s[10:11], 0
.LBB7_895:
	s_and_b64 vcc, exec, s[10:11]
	s_cbranch_vccz .LBB7_897
; %bb.896:
	s_cmp_lg_u32 s12, 11
	s_cselect_b64 s[10:11], -1, 0
	s_andn2_b64 s[0:1], s[0:1], exec
	s_and_b64 s[10:11], s[10:11], exec
	s_mov_b64 s[2:3], -1
	s_or_b64 s[0:1], s[0:1], s[10:11]
.LBB7_897:
	s_mov_b64 s[12:13], 0
.LBB7_898:
	s_and_b64 s[10:11], s[8:9], exec
	s_and_b64 s[8:9], s[12:13], exec
	s_andn2_b64 s[12:13], s[66:67], exec
	s_and_b64 s[0:1], s[0:1], exec
	s_and_b64 s[2:3], s[2:3], exec
	s_or_b64 s[12:13], s[12:13], s[0:1]
.LBB7_899:
	s_or_b64 exec, exec, s[70:71]
	s_and_b64 s[0:1], s[2:3], exec
	s_andn2_b64 s[2:3], s[66:67], exec
	s_and_b64 s[12:13], s[12:13], exec
	s_and_b64 s[10:11], s[10:11], exec
	;; [unrolled: 1-line block ×3, first 2 shown]
	s_or_b64 s[66:67], s[2:3], s[12:13]
.LBB7_900:
	s_or_b64 exec, exec, s[64:65]
	s_andn2_b64 s[2:3], s[60:61], exec
	s_and_b64 s[12:13], s[68:69], exec
	s_or_b64 s[60:61], s[2:3], s[12:13]
	s_and_b64 s[2:3], s[0:1], exec
	s_andn2_b64 s[0:1], s[58:59], exec
	s_and_b64 s[12:13], s[66:67], exec
	s_and_b64 s[10:11], s[10:11], exec
	;; [unrolled: 1-line block ×3, first 2 shown]
	s_or_b64 s[58:59], s[0:1], s[12:13]
.LBB7_901:
	s_or_b64 exec, exec, s[62:63]
	s_andn2_b64 s[0:1], s[52:53], exec
	s_and_b64 s[12:13], s[60:61], exec
	s_or_b64 s[52:53], s[0:1], s[12:13]
	s_and_b64 s[0:1], s[10:11], exec
	s_and_b64 s[10:11], s[8:9], exec
	;; [unrolled: 1-line block ×3, first 2 shown]
	s_andn2_b64 s[2:3], s[54:55], exec
	s_and_b64 s[8:9], s[58:59], exec
	s_or_b64 s[54:55], s[2:3], s[8:9]
	s_or_b64 exec, exec, s[56:57]
	s_mov_b64 s[2:3], 0
	s_and_saveexec_b64 s[8:9], s[54:55]
	s_cbranch_execz .LBB7_270
.LBB7_902:
	s_mov_b64 s[2:3], exec
	s_andn2_b64 s[60:61], s[60:61], exec
	s_trap 2
	s_or_b64 exec, exec, s[8:9]
	s_and_saveexec_b64 s[8:9], s[60:61]
	s_xor_b64 s[8:9], exec, s[8:9]
	s_cbranch_execnz .LBB7_271
.LBB7_903:
	s_or_b64 exec, exec, s[8:9]
	s_and_saveexec_b64 s[8:9], s[10:11]
	s_cbranch_execz .LBB7_949
.LBB7_904:
	s_sext_i32_i16 s10, s14
	s_cmp_lt_i32 s10, 5
	s_cbranch_scc1 .LBB7_909
; %bb.905:
	s_cmp_lt_i32 s10, 8
	s_cbranch_scc1 .LBB7_910
; %bb.906:
	;; [unrolled: 3-line block ×3, first 2 shown]
	s_cmp_gt_i32 s10, 9
	s_cbranch_scc0 .LBB7_912
; %bb.908:
	global_load_dwordx2 v[3:4], v[1:2], off
	s_movk_i32 s10, 0xffe0
	s_waitcnt vmcnt(0)
	v_trunc_f64_e32 v[3:4], v[3:4]
	v_ldexp_f64 v[6:7], v[3:4], s10
	s_mov_b32 s10, 0
	s_mov_b32 s11, 0xc1f00000
	v_floor_f64_e32 v[6:7], v[6:7]
	v_fma_f64 v[3:4], v[6:7], s[10:11], v[3:4]
	s_mov_b64 s[10:11], 0
	v_cvt_u32_f64_e32 v3, v[3:4]
	s_branch .LBB7_913
.LBB7_909:
                                        ; implicit-def: $vgpr3
	s_branch .LBB7_930
.LBB7_910:
                                        ; implicit-def: $vgpr3
	s_branch .LBB7_919
.LBB7_911:
	s_mov_b64 s[10:11], -1
                                        ; implicit-def: $vgpr3
	s_branch .LBB7_916
.LBB7_912:
	s_mov_b64 s[10:11], -1
                                        ; implicit-def: $vgpr3
.LBB7_913:
	s_andn2_b64 vcc, exec, s[10:11]
	s_cbranch_vccnz .LBB7_915
; %bb.914:
	global_load_dword v3, v[1:2], off
	s_mov_b32 s10, 0x2f800000
	s_waitcnt vmcnt(0)
	v_trunc_f32_e32 v3, v3
	v_mul_f32_e64 v4, |v3|, s10
	v_floor_f32_e32 v4, v4
	s_mov_b32 s10, 0xcf800000
	v_fma_f32 v4, v4, s10, |v3|
	v_cvt_u32_f32_e32 v4, v4
	v_ashrrev_i32_e32 v3, 31, v3
	v_xor_b32_e32 v4, v4, v3
	v_sub_u32_e32 v3, v4, v3
.LBB7_915:
	s_mov_b64 s[10:11], 0
.LBB7_916:
	s_andn2_b64 vcc, exec, s[10:11]
	s_cbranch_vccnz .LBB7_918
; %bb.917:
	global_load_dword v3, v[1:2], off
	s_waitcnt vmcnt(0)
	v_cvt_f32_f16_e32 v3, v3
	v_cvt_i32_f32_e32 v3, v3
.LBB7_918:
	s_cbranch_execnz .LBB7_929
.LBB7_919:
	s_sext_i32_i16 s10, s14
	s_cmp_lt_i32 s10, 6
	s_cbranch_scc1 .LBB7_922
; %bb.920:
	s_cmp_gt_i32 s10, 6
	s_cbranch_scc0 .LBB7_923
; %bb.921:
	global_load_dwordx2 v[3:4], v[1:2], off
	s_movk_i32 s10, 0xffe0
	s_waitcnt vmcnt(0)
	v_trunc_f64_e32 v[3:4], v[3:4]
	v_ldexp_f64 v[6:7], v[3:4], s10
	s_mov_b32 s10, 0
	s_mov_b32 s11, 0xc1f00000
	v_floor_f64_e32 v[6:7], v[6:7]
	v_fma_f64 v[3:4], v[6:7], s[10:11], v[3:4]
	s_mov_b64 s[10:11], 0
	v_cvt_u32_f64_e32 v3, v[3:4]
	s_branch .LBB7_924
.LBB7_922:
	s_mov_b64 s[10:11], -1
                                        ; implicit-def: $vgpr3
	s_branch .LBB7_927
.LBB7_923:
	s_mov_b64 s[10:11], -1
                                        ; implicit-def: $vgpr3
.LBB7_924:
	s_andn2_b64 vcc, exec, s[10:11]
	s_cbranch_vccnz .LBB7_926
; %bb.925:
	global_load_dword v3, v[1:2], off
	s_mov_b32 s10, 0x2f800000
	s_waitcnt vmcnt(0)
	v_trunc_f32_e32 v3, v3
	v_mul_f32_e64 v4, |v3|, s10
	v_floor_f32_e32 v4, v4
	s_mov_b32 s10, 0xcf800000
	v_fma_f32 v4, v4, s10, |v3|
	v_cvt_u32_f32_e32 v4, v4
	v_ashrrev_i32_e32 v3, 31, v3
	v_xor_b32_e32 v4, v4, v3
	v_sub_u32_e32 v3, v4, v3
.LBB7_926:
	s_mov_b64 s[10:11], 0
.LBB7_927:
	s_andn2_b64 vcc, exec, s[10:11]
	s_cbranch_vccnz .LBB7_929
; %bb.928:
	global_load_ushort v3, v[1:2], off
	s_waitcnt vmcnt(0)
	v_cvt_f32_f16_e32 v3, v3
	v_cvt_i32_f32_e32 v3, v3
.LBB7_929:
	s_cbranch_execnz .LBB7_948
.LBB7_930:
	s_sext_i32_i16 s10, s14
	s_cmp_lt_i32 s10, 2
	s_cbranch_scc1 .LBB7_934
; %bb.931:
	s_cmp_lt_i32 s10, 3
	s_cbranch_scc1 .LBB7_935
; %bb.932:
	s_cmp_gt_i32 s10, 3
	s_cbranch_scc0 .LBB7_936
; %bb.933:
	global_load_dwordx2 v[3:4], v[1:2], off
	s_mov_b64 s[10:11], 0
	s_branch .LBB7_937
.LBB7_934:
                                        ; implicit-def: $vgpr3
	s_branch .LBB7_943
.LBB7_935:
	s_mov_b64 s[10:11], -1
                                        ; implicit-def: $vgpr3
	s_branch .LBB7_940
.LBB7_936:
	s_mov_b64 s[10:11], -1
                                        ; implicit-def: $vgpr3
.LBB7_937:
	s_andn2_b64 vcc, exec, s[10:11]
	s_cbranch_vccnz .LBB7_939
; %bb.938:
	global_load_dword v3, v[1:2], off
.LBB7_939:
	s_mov_b64 s[10:11], 0
.LBB7_940:
	s_andn2_b64 vcc, exec, s[10:11]
	s_cbranch_vccnz .LBB7_942
; %bb.941:
	global_load_ushort v3, v[1:2], off
.LBB7_942:
	s_cbranch_execnz .LBB7_948
.LBB7_943:
	s_sext_i32_i16 s10, s14
	s_cmp_gt_i32 s10, 0
	s_cbranch_scc0 .LBB7_945
; %bb.944:
	global_load_ubyte v3, v[1:2], off
	s_mov_b64 s[10:11], 0
	s_branch .LBB7_946
.LBB7_945:
	s_mov_b64 s[10:11], -1
                                        ; implicit-def: $vgpr3
.LBB7_946:
	s_andn2_b64 vcc, exec, s[10:11]
	s_cbranch_vccnz .LBB7_948
; %bb.947:
	global_load_ubyte v3, v[1:2], off
.LBB7_948:
	s_or_b64 s[0:1], s[0:1], exec
.LBB7_949:
	s_or_b64 exec, exec, s[8:9]
	s_mov_b64 s[12:13], 0
	s_mov_b64 s[10:11], 0
                                        ; implicit-def: $vgpr1_vgpr2
                                        ; implicit-def: $vgpr4
	s_and_saveexec_b64 s[8:9], s[0:1]
	s_cbranch_execz .LBB7_1024
; %bb.950:
	v_mov_b32_e32 v2, 8
	s_waitcnt vmcnt(0)
	v_lshlrev_b32_sdwa v1, v3, v5 dst_sel:DWORD dst_unused:UNUSED_PAD src0_sel:DWORD src1_sel:BYTE_0
	v_cmp_lt_u16_sdwa vcc, v3, v2 src0_sel:BYTE_0 src1_sel:DWORD
	v_cndmask_b32_e32 v4, 0, v1, vcc
	s_waitcnt lgkmcnt(0)
	v_mov_b32_e32 v2, s25
	s_and_b32 s18, 0xffff, s73
	v_add_co_u32_e32 v1, vcc, s24, v0
	s_cmp_lt_i32 s18, 11
	v_addc_co_u32_e32 v2, vcc, 0, v2, vcc
	s_cbranch_scc1 .LBB7_1027
; %bb.951:
	s_mov_b64 s[12:13], -1
	s_cmp_gt_i32 s18, 25
	s_mov_b64 s[0:1], s[52:53]
	s_cbranch_scc0 .LBB7_984
; %bb.952:
	s_mov_b64 s[10:11], -1
	s_cmp_gt_i32 s18, 28
	s_mov_b64 s[0:1], s[52:53]
	s_cbranch_scc0 .LBB7_968
; %bb.953:
	s_cmp_gt_i32 s18, 43
	s_mov_b64 s[0:1], s[52:53]
	s_cbranch_scc0 .LBB7_964
; %bb.954:
	;; [unrolled: 4-line block ×3, first 2 shown]
	s_cmp_eq_u32 s18, 46
	s_mov_b64 s[0:1], -1
	s_cbranch_scc0 .LBB7_957
; %bb.956:
	v_cvt_f32_ubyte0_e32 v0, v4
	v_bfe_u32 v3, v0, 16, 1
	s_movk_i32 s0, 0x7fff
	v_add3_u32 v0, v0, v3, s0
	v_lshrrev_b32_e32 v0, 16, v0
	global_store_dword v[1:2], v0, off
	s_mov_b64 s[0:1], 0
.LBB7_957:
	s_mov_b64 s[10:11], 0
.LBB7_958:
	s_and_b64 vcc, exec, s[10:11]
	s_cbranch_vccz .LBB7_963
; %bb.959:
	s_cmp_eq_u32 s18, 44
	s_mov_b64 s[0:1], -1
	s_cbranch_scc0 .LBB7_963
; %bb.960:
	v_cvt_f32_ubyte0_e32 v3, v4
	v_lshrrev_b32_e32 v0, 23, v3
	s_movk_i32 s0, 0xff
	v_cmp_ne_u32_e32 vcc, s0, v0
	v_mov_b32_e32 v5, 0xff
	s_and_saveexec_b64 s[10:11], vcc
; %bb.961:
	s_mov_b32 s0, 0x3fffff
	v_and_b32_e32 v5, 0x400000, v3
	v_and_or_b32 v3, v3, s0, v0
	v_cmp_ne_u32_e32 vcc, 0, v5
	v_cmp_ne_u32_e64 s[0:1], 0, v3
	s_and_b64 s[0:1], vcc, s[0:1]
	v_cndmask_b32_e64 v3, 0, 1, s[0:1]
	v_add_u32_e32 v5, v0, v3
; %bb.962:
	s_or_b64 exec, exec, s[10:11]
	s_mov_b64 s[0:1], 0
	global_store_byte v[1:2], v5, off
.LBB7_963:
	s_mov_b64 s[10:11], 0
.LBB7_964:
	s_and_b64 vcc, exec, s[10:11]
	s_cbranch_vccz .LBB7_967
; %bb.965:
	s_cmp_eq_u32 s18, 29
	s_mov_b64 s[0:1], -1
	s_cbranch_scc0 .LBB7_967
; %bb.966:
	v_and_b32_e32 v5, 0xff, v4
	v_mov_b32_e32 v6, 0
	global_store_dwordx2 v[1:2], v[5:6], off
	s_mov_b64 s[0:1], 0
.LBB7_967:
	s_mov_b64 s[10:11], 0
.LBB7_968:
	s_and_b64 vcc, exec, s[10:11]
	s_cbranch_vccz .LBB7_983
; %bb.969:
	s_cmp_lt_i32 s18, 27
	s_mov_b64 s[10:11], -1
	s_cbranch_scc1 .LBB7_975
; %bb.970:
	s_cmp_gt_i32 s18, 27
	s_cbranch_scc0 .LBB7_972
; %bb.971:
	v_and_b32_e32 v0, 0xff, v4
	s_mov_b64 s[10:11], 0
	global_store_dword v[1:2], v0, off
.LBB7_972:
	s_andn2_b64 vcc, exec, s[10:11]
	s_cbranch_vccnz .LBB7_974
; %bb.973:
	v_and_b32_e32 v0, 0xff, v4
	global_store_short v[1:2], v0, off
.LBB7_974:
	s_mov_b64 s[10:11], 0
.LBB7_975:
	s_andn2_b64 vcc, exec, s[10:11]
	s_cbranch_vccnz .LBB7_983
; %bb.976:
	v_cvt_f32_ubyte0_e32 v3, v4
	s_mov_b32 s10, 0x43800000
	v_cmp_gt_u32_e32 vcc, s10, v3
	v_mov_b32_e32 v5, 0x80
	s_and_saveexec_b64 s[10:11], vcc
	s_cbranch_execz .LBB7_982
; %bb.977:
	s_mov_b32 s12, 0x3bffffff
	v_cmp_lt_u32_e32 vcc, s12, v3
	s_mov_b64 s[12:13], 0
                                        ; implicit-def: $vgpr0
	s_and_saveexec_b64 s[14:15], vcc
	s_xor_b64 s[14:15], exec, s[14:15]
	s_cbranch_execz .LBB7_1140
; %bb.978:
	v_bfe_u32 v0, v3, 20, 1
	s_mov_b32 s16, 0x487ffff
	v_add3_u32 v0, v3, v0, s16
	s_mov_b64 s[12:13], exec
	v_lshrrev_b32_e32 v0, 20, v0
                                        ; implicit-def: $vgpr3
	s_andn2_saveexec_b64 s[14:15], s[14:15]
	s_cbranch_execnz .LBB7_1141
.LBB7_979:
	s_or_b64 exec, exec, s[14:15]
	v_mov_b32_e32 v5, 0
	s_and_saveexec_b64 s[14:15], s[12:13]
.LBB7_980:
	v_mov_b32_e32 v5, v0
.LBB7_981:
	s_or_b64 exec, exec, s[14:15]
.LBB7_982:
	s_or_b64 exec, exec, s[10:11]
	global_store_byte v[1:2], v5, off
.LBB7_983:
	s_mov_b64 s[12:13], 0
.LBB7_984:
	s_mov_b64 s[10:11], 0
	s_and_b64 vcc, exec, s[12:13]
	s_cbranch_vccz .LBB7_1028
; %bb.985:
	s_cmp_gt_i32 s18, 22
	s_mov_b64 s[12:13], -1
	s_cbranch_scc0 .LBB7_1017
; %bb.986:
	s_cmp_lt_i32 s18, 24
	s_cbranch_scc1 .LBB7_1006
; %bb.987:
	s_cmp_gt_i32 s18, 24
	s_cbranch_scc0 .LBB7_995
; %bb.988:
	v_cvt_f32_ubyte0_e32 v3, v4
	s_mov_b32 s12, 0x47800000
	v_cmp_gt_u32_e32 vcc, s12, v3
	v_mov_b32_e32 v5, 0x80
	s_and_saveexec_b64 s[12:13], vcc
	s_cbranch_execz .LBB7_994
; %bb.989:
	s_mov_b32 s14, 0x37ffffff
	v_cmp_lt_u32_e32 vcc, s14, v3
	s_mov_b64 s[14:15], 0
                                        ; implicit-def: $vgpr0
	s_and_saveexec_b64 s[16:17], vcc
	s_xor_b64 s[16:17], exec, s[16:17]
	s_cbranch_execz .LBB7_1260
; %bb.990:
	v_bfe_u32 v0, v3, 21, 1
	s_mov_b32 s19, 0x88fffff
	v_add3_u32 v0, v3, v0, s19
	s_mov_b64 s[14:15], exec
	v_lshrrev_b32_e32 v0, 21, v0
                                        ; implicit-def: $vgpr3
	s_andn2_saveexec_b64 s[16:17], s[16:17]
	s_cbranch_execnz .LBB7_1261
.LBB7_991:
	s_or_b64 exec, exec, s[16:17]
	v_mov_b32_e32 v5, 0
	s_and_saveexec_b64 s[16:17], s[14:15]
.LBB7_992:
	v_mov_b32_e32 v5, v0
.LBB7_993:
	s_or_b64 exec, exec, s[16:17]
.LBB7_994:
	s_or_b64 exec, exec, s[12:13]
	s_mov_b64 s[12:13], 0
	global_store_byte v[1:2], v5, off
.LBB7_995:
	s_and_b64 vcc, exec, s[12:13]
	s_cbranch_vccz .LBB7_1005
; %bb.996:
	v_cvt_f32_ubyte0_e32 v0, v4
	s_mov_b32 s12, 0x43f00000
	v_cmp_gt_u32_e32 vcc, s12, v0
                                        ; implicit-def: $vgpr3
	s_and_saveexec_b64 s[12:13], vcc
	s_xor_b64 s[12:13], exec, s[12:13]
	s_cbranch_execz .LBB7_1002
; %bb.997:
	s_mov_b32 s14, 0x3c7fffff
	v_cmp_lt_u32_e32 vcc, s14, v0
                                        ; implicit-def: $vgpr3
	s_and_saveexec_b64 s[14:15], vcc
	s_xor_b64 s[14:15], exec, s[14:15]
; %bb.998:
	v_bfe_u32 v3, v0, 20, 1
	s_mov_b32 s16, 0x407ffff
	v_add3_u32 v0, v0, v3, s16
	v_lshrrev_b32_e32 v3, 20, v0
	v_and_b32_e32 v0, 0xff00000, v0
	s_mov_b32 s16, 0x7f00000
	v_mov_b32_e32 v5, 0x7e
	v_cmp_ne_u32_e32 vcc, s16, v0
	v_cndmask_b32_e32 v3, v5, v3, vcc
                                        ; implicit-def: $vgpr0
; %bb.999:
	s_andn2_saveexec_b64 s[14:15], s[14:15]
; %bb.1000:
	v_add_f32_e32 v3, 0x46800000, v0
; %bb.1001:
	s_or_b64 exec, exec, s[14:15]
                                        ; implicit-def: $vgpr0
.LBB7_1002:
	s_andn2_saveexec_b64 s[12:13], s[12:13]
; %bb.1003:
	s_mov_b32 s14, 0x7f800000
	v_mov_b32_e32 v3, 0x7e
	v_mov_b32_e32 v5, 0x7f
	v_cmp_lt_u32_e32 vcc, s14, v0
	v_cndmask_b32_e32 v3, v3, v5, vcc
; %bb.1004:
	s_or_b64 exec, exec, s[12:13]
	global_store_byte v[1:2], v3, off
.LBB7_1005:
	s_mov_b64 s[12:13], 0
.LBB7_1006:
	s_andn2_b64 vcc, exec, s[12:13]
	s_cbranch_vccnz .LBB7_1016
; %bb.1007:
	v_cvt_f32_ubyte0_e32 v0, v4
	s_mov_b32 s12, 0x47800000
	v_cmp_gt_u32_e32 vcc, s12, v0
                                        ; implicit-def: $vgpr3
	s_and_saveexec_b64 s[12:13], vcc
	s_xor_b64 s[12:13], exec, s[12:13]
	s_cbranch_execz .LBB7_1013
; %bb.1008:
	s_mov_b32 s14, 0x387fffff
	v_cmp_lt_u32_e32 vcc, s14, v0
                                        ; implicit-def: $vgpr3
	s_and_saveexec_b64 s[14:15], vcc
	s_xor_b64 s[14:15], exec, s[14:15]
; %bb.1009:
	v_bfe_u32 v3, v0, 21, 1
	s_mov_b32 s16, 0x80fffff
	v_add3_u32 v0, v0, v3, s16
	v_lshrrev_b32_e32 v3, 21, v0
                                        ; implicit-def: $vgpr0
; %bb.1010:
	s_andn2_saveexec_b64 s[14:15], s[14:15]
; %bb.1011:
	v_add_f32_e32 v3, 0x43000000, v0
; %bb.1012:
	s_or_b64 exec, exec, s[14:15]
                                        ; implicit-def: $vgpr0
.LBB7_1013:
	s_andn2_saveexec_b64 s[12:13], s[12:13]
; %bb.1014:
	s_mov_b32 s14, 0x7f800000
	v_mov_b32_e32 v3, 0x7c
	v_mov_b32_e32 v5, 0x7f
	v_cmp_lt_u32_e32 vcc, s14, v0
	v_cndmask_b32_e32 v3, v3, v5, vcc
; %bb.1015:
	s_or_b64 exec, exec, s[12:13]
	global_store_byte v[1:2], v3, off
.LBB7_1016:
	s_mov_b64 s[12:13], 0
.LBB7_1017:
	s_andn2_b64 vcc, exec, s[12:13]
	s_mov_b64 s[12:13], 0
	s_cbranch_vccnz .LBB7_1029
; %bb.1018:
	s_cmp_gt_i32 s18, 14
	s_mov_b64 s[14:15], -1
	s_cbranch_scc0 .LBB7_1022
; %bb.1019:
	s_cmp_eq_u32 s18, 15
	s_mov_b64 s[0:1], -1
	s_cbranch_scc0 .LBB7_1021
; %bb.1020:
	v_cvt_f32_ubyte0_e32 v0, v4
	v_bfe_u32 v3, v0, 16, 1
	s_movk_i32 s0, 0x7fff
	v_add3_u32 v0, v0, v3, s0
	global_store_short_d16_hi v[1:2], v0, off
	s_mov_b64 s[0:1], 0
.LBB7_1021:
	s_mov_b64 s[14:15], 0
.LBB7_1022:
	s_and_b64 vcc, exec, s[14:15]
	s_cbranch_vccz .LBB7_1029
; %bb.1023:
	s_cmp_lg_u32 s18, 11
	s_cselect_b64 s[14:15], -1, 0
	s_andn2_b64 s[0:1], s[0:1], exec
	s_and_b64 s[14:15], s[14:15], exec
	s_mov_b64 s[12:13], -1
	s_or_b64 s[0:1], s[0:1], s[14:15]
	s_branch .LBB7_1029
.LBB7_1024:
	s_or_b64 exec, exec, s[8:9]
	s_and_saveexec_b64 s[0:1], s[52:53]
	s_cbranch_execnz .LBB7_1030
.LBB7_1025:
	s_or_b64 exec, exec, s[0:1]
	s_and_saveexec_b64 s[0:1], s[12:13]
	s_xor_b64 s[0:1], exec, s[0:1]
	s_cbranch_execz .LBB7_1031
.LBB7_1026:
	v_mov_b32_e32 v0, 0
	s_waitcnt vmcnt(0)
	v_cmp_ne_u16_sdwa s[8:9], v4, v0 src0_sel:BYTE_0 src1_sel:DWORD
	v_cndmask_b32_e64 v0, 0, 1, s[8:9]
	global_store_byte v[1:2], v0, off
	s_or_b64 exec, exec, s[0:1]
	s_and_saveexec_b64 s[0:1], s[10:11]
	s_xor_b64 s[0:1], exec, s[0:1]
	s_cbranch_execz .LBB7_1069
	s_branch .LBB7_1032
.LBB7_1027:
	s_mov_b64 s[10:11], -1
	s_mov_b64 s[0:1], s[52:53]
	s_branch .LBB7_1029
.LBB7_1028:
	s_mov_b64 s[12:13], 0
.LBB7_1029:
	s_andn2_b64 s[14:15], s[52:53], exec
	s_and_b64 s[0:1], s[0:1], exec
	s_and_b64 s[10:11], s[10:11], exec
	;; [unrolled: 1-line block ×3, first 2 shown]
	s_or_b64 s[52:53], s[14:15], s[0:1]
	s_or_b64 exec, exec, s[8:9]
	s_and_saveexec_b64 s[0:1], s[52:53]
	s_cbranch_execz .LBB7_1025
.LBB7_1030:
	s_or_b64 s[2:3], s[2:3], exec
	s_andn2_b64 s[12:13], s[12:13], exec
	s_trap 2
	s_or_b64 exec, exec, s[0:1]
	s_and_saveexec_b64 s[0:1], s[12:13]
	s_xor_b64 s[0:1], exec, s[0:1]
	s_cbranch_execnz .LBB7_1026
.LBB7_1031:
	s_or_b64 exec, exec, s[0:1]
	s_and_saveexec_b64 s[0:1], s[10:11]
	s_xor_b64 s[0:1], exec, s[0:1]
	s_cbranch_execz .LBB7_1069
.LBB7_1032:
	s_sext_i32_i16 s10, s73
	s_cmp_lt_i32 s10, 5
	s_mov_b64 s[8:9], -1
	s_cbranch_scc1 .LBB7_1053
; %bb.1033:
	s_cmp_lt_i32 s10, 8
	s_cbranch_scc1 .LBB7_1043
; %bb.1034:
	s_cmp_lt_i32 s10, 9
	s_cbranch_scc1 .LBB7_1040
; %bb.1035:
	s_cmp_gt_i32 s10, 9
	s_cbranch_scc0 .LBB7_1037
; %bb.1036:
	s_mov_b32 s8, 0xffff
	s_waitcnt vmcnt(0)
	v_and_b32_sdwa v0, s8, v4 dst_sel:DWORD dst_unused:UNUSED_PAD src0_sel:DWORD src1_sel:BYTE_0
	v_cvt_f64_u32_e32 v[5:6], v0
	v_mov_b32_e32 v7, 0
	v_mov_b32_e32 v8, v7
	s_mov_b64 s[8:9], 0
	global_store_dwordx4 v[1:2], v[5:8], off
.LBB7_1037:
	s_andn2_b64 vcc, exec, s[8:9]
	s_cbranch_vccnz .LBB7_1039
; %bb.1038:
	s_waitcnt vmcnt(0)
	v_cvt_f32_ubyte0_e32 v5, v4
	v_mov_b32_e32 v6, 0
	global_store_dwordx2 v[1:2], v[5:6], off
.LBB7_1039:
	s_mov_b64 s[8:9], 0
.LBB7_1040:
	s_andn2_b64 vcc, exec, s[8:9]
	s_cbranch_vccnz .LBB7_1042
; %bb.1041:
	s_waitcnt vmcnt(0)
	v_cvt_f16_u16_sdwa v0, v4 dst_sel:DWORD dst_unused:UNUSED_PAD src0_sel:BYTE_0
	global_store_dword v[1:2], v0, off
.LBB7_1042:
	s_mov_b64 s[8:9], 0
.LBB7_1043:
	s_andn2_b64 vcc, exec, s[8:9]
	s_cbranch_vccnz .LBB7_1052
; %bb.1044:
	s_sext_i32_i16 s10, s73
	s_cmp_lt_i32 s10, 6
	s_mov_b64 s[8:9], -1
	s_cbranch_scc1 .LBB7_1050
; %bb.1045:
	s_cmp_gt_i32 s10, 6
	s_cbranch_scc0 .LBB7_1047
; %bb.1046:
	s_mov_b32 s8, 0xffff
	s_waitcnt vmcnt(0)
	v_and_b32_sdwa v0, s8, v4 dst_sel:DWORD dst_unused:UNUSED_PAD src0_sel:DWORD src1_sel:BYTE_0
	v_cvt_f64_u32_e32 v[5:6], v0
	s_mov_b64 s[8:9], 0
	global_store_dwordx2 v[1:2], v[5:6], off
.LBB7_1047:
	s_andn2_b64 vcc, exec, s[8:9]
	s_cbranch_vccnz .LBB7_1049
; %bb.1048:
	s_waitcnt vmcnt(0)
	v_cvt_f32_ubyte0_e32 v0, v4
	global_store_dword v[1:2], v0, off
.LBB7_1049:
	s_mov_b64 s[8:9], 0
.LBB7_1050:
	s_andn2_b64 vcc, exec, s[8:9]
	s_cbranch_vccnz .LBB7_1052
; %bb.1051:
	s_waitcnt vmcnt(0)
	v_cvt_f16_u16_sdwa v0, v4 dst_sel:DWORD dst_unused:UNUSED_PAD src0_sel:BYTE_0
	global_store_short v[1:2], v0, off
.LBB7_1052:
	s_mov_b64 s[8:9], 0
.LBB7_1053:
	s_andn2_b64 vcc, exec, s[8:9]
	s_cbranch_vccnz .LBB7_1069
; %bb.1054:
	s_sext_i32_i16 s10, s73
	s_cmp_lt_i32 s10, 2
	s_mov_b64 s[8:9], -1
	s_cbranch_scc1 .LBB7_1064
; %bb.1055:
	s_cmp_lt_i32 s10, 3
	s_cbranch_scc1 .LBB7_1061
; %bb.1056:
	s_cmp_gt_i32 s10, 3
	s_cbranch_scc0 .LBB7_1058
; %bb.1057:
	s_waitcnt vmcnt(0)
	v_and_b32_e32 v5, 0xff, v4
	v_mov_b32_e32 v6, 0
	s_mov_b64 s[8:9], 0
	global_store_dwordx2 v[1:2], v[5:6], off
.LBB7_1058:
	s_andn2_b64 vcc, exec, s[8:9]
	s_cbranch_vccnz .LBB7_1060
; %bb.1059:
	s_waitcnt vmcnt(0)
	v_and_b32_e32 v0, 0xff, v4
	global_store_dword v[1:2], v0, off
.LBB7_1060:
	s_mov_b64 s[8:9], 0
.LBB7_1061:
	s_andn2_b64 vcc, exec, s[8:9]
	s_cbranch_vccnz .LBB7_1063
; %bb.1062:
	s_waitcnt vmcnt(0)
	v_and_b32_e32 v0, 0xff, v4
	global_store_short v[1:2], v0, off
.LBB7_1063:
	s_mov_b64 s[8:9], 0
.LBB7_1064:
	s_andn2_b64 vcc, exec, s[8:9]
	s_cbranch_vccnz .LBB7_1069
; %bb.1065:
	s_sext_i32_i16 s8, s73
	s_cmp_gt_i32 s8, 0
	s_mov_b64 s[8:9], -1
	s_cbranch_scc0 .LBB7_1067
; %bb.1066:
	s_mov_b64 s[8:9], 0
	s_waitcnt vmcnt(0)
	global_store_byte v[1:2], v4, off
.LBB7_1067:
	s_andn2_b64 vcc, exec, s[8:9]
	s_cbranch_vccnz .LBB7_1069
; %bb.1068:
	s_waitcnt vmcnt(0)
	global_store_byte v[1:2], v4, off
.LBB7_1069:
	s_or_b64 exec, exec, s[0:1]
	s_waitcnt lgkmcnt(0)
	s_and_b64 s[28:29], s[2:3], exec
                                        ; implicit-def: $vgpr13
                                        ; implicit-def: $vgpr11
.LBB7_1070:
	s_or_saveexec_b64 s[30:31], s[42:43]
	s_mov_b64 s[0:1], 0
                                        ; implicit-def: $vgpr0_vgpr1
                                        ; implicit-def: $sgpr14
                                        ; implicit-def: $vgpr2
	s_xor_b64 exec, exec, s[30:31]
	s_cbranch_execz .LBB7_2057
; %bb.1071:
	v_cndmask_b32_e64 v0, 0, 1, s[40:41]
	v_cmp_ne_u32_e64 s[0:1], 1, v0
	s_andn2_b64 vcc, exec, s[40:41]
	s_cbranch_vccnz .LBB7_1077
; %bb.1072:
	s_cmp_lg_u32 s33, 0
	s_mov_b32 s36, 0
	s_cbranch_scc0 .LBB7_1078
; %bb.1073:
	s_min_u32 s37, s72, 15
	s_add_i32 s37, s37, 1
	s_cmp_eq_u32 s72, 2
	s_cbranch_scc1 .LBB7_1079
; %bb.1074:
	s_and_b32 s36, s37, 28
	s_add_u32 s2, s34, 0xc4
	s_addc_u32 s3, s35, 0
	v_mov_b32_e32 v8, 0
	s_mov_b32 s38, 0
	s_mov_b64 s[6:7], s[34:35]
	v_mov_b32_e32 v6, 0
	v_mov_b32_e32 v0, v11
.LBB7_1075:                             ; =>This Inner Loop Header: Depth=1
	s_load_dwordx8 s[16:23], s[6:7], 0x4
	s_load_dwordx4 s[24:27], s[6:7], 0x24
	s_load_dwordx8 s[8:15], s[2:3], 0x0
	s_add_u32 s6, s6, 48
	s_addc_u32 s7, s7, 0
	s_waitcnt lgkmcnt(0)
	v_mul_hi_u32 v1, s17, v0
	s_add_i32 s38, s38, 4
	s_add_u32 s2, s2, 32
	s_addc_u32 s3, s3, 0
	v_add_u32_e32 v1, v0, v1
	v_lshrrev_b32_e32 v1, s18, v1
	v_mul_lo_u32 v2, v1, s16
	s_waitcnt vmcnt(0)
	v_mul_hi_u32 v3, s20, v1
	s_cmp_lg_u32 s36, s38
	v_sub_u32_e32 v0, v0, v2
	v_add_u32_e32 v2, v1, v3
	v_mul_lo_u32 v3, v0, s8
	v_mul_lo_u32 v4, v0, s9
	v_lshrrev_b32_e32 v0, s21, v2
	v_mul_lo_u32 v2, v0, s19
	v_mul_hi_u32 v5, s23, v0
	v_sub_u32_e32 v1, v1, v2
	v_add_u32_e32 v2, v0, v5
	v_lshrrev_b32_e32 v2, s24, v2
	v_mul_hi_u32 v7, s26, v2
	v_mul_lo_u32 v9, v2, s22
	v_mul_lo_u32 v5, v1, s10
	;; [unrolled: 1-line block ×3, first 2 shown]
	v_sub_u32_e32 v9, v0, v9
	v_add_u32_e32 v0, v2, v7
	v_lshrrev_b32_e32 v0, s27, v0
	v_mul_lo_u32 v7, v0, s25
	v_mul_lo_u32 v10, v9, s12
	;; [unrolled: 1-line block ×3, first 2 shown]
	v_add3_u32 v3, v3, v6, v5
	v_sub_u32_e32 v2, v2, v7
	v_mul_lo_u32 v7, v2, s14
	v_mul_lo_u32 v2, v2, s15
	v_add3_u32 v1, v4, v8, v1
	v_add3_u32 v6, v10, v3, v7
	;; [unrolled: 1-line block ×3, first 2 shown]
	s_cbranch_scc1 .LBB7_1075
; %bb.1076:
	s_and_b32 s8, s37, 3
	s_cmp_eq_u32 s8, 0
	s_cbranch_scc0 .LBB7_1080
	s_branch .LBB7_1082
.LBB7_1077:
                                        ; implicit-def: $vgpr6
                                        ; implicit-def: $vgpr8
	s_branch .LBB7_1083
.LBB7_1078:
	v_mov_b32_e32 v6, 0
	v_mov_b32_e32 v8, 0
	s_branch .LBB7_1082
.LBB7_1079:
	v_mov_b32_e32 v6, 0
	v_mov_b32_e32 v8, 0
	v_mov_b32_e32 v0, v11
	s_and_b32 s8, s37, 3
	s_cmp_eq_u32 s8, 0
	s_cbranch_scc1 .LBB7_1082
.LBB7_1080:
	s_lshl_b32 s2, s36, 3
	s_add_u32 s2, s34, s2
	s_addc_u32 s3, s35, 0
	s_add_u32 s2, s2, 0xc4
	s_addc_u32 s3, s3, 0
	s_mul_i32 s6, s36, 12
	s_add_u32 s6, s34, s6
	s_addc_u32 s7, s35, 0
.LBB7_1081:                             ; =>This Inner Loop Header: Depth=1
	s_load_dwordx2 s[10:11], s[6:7], 0x4
	s_load_dword s9, s[6:7], 0xc
	s_load_dwordx2 s[12:13], s[2:3], 0x0
	s_add_u32 s6, s6, 12
	s_addc_u32 s7, s7, 0
	s_waitcnt lgkmcnt(0)
	v_mul_hi_u32 v1, s11, v0
	s_add_u32 s2, s2, 8
	s_addc_u32 s3, s3, 0
	s_add_i32 s8, s8, -1
	v_add_u32_e32 v1, v0, v1
	v_lshrrev_b32_e32 v1, s9, v1
	v_mul_lo_u32 v2, v1, s10
	s_cmp_lg_u32 s8, 0
	v_sub_u32_e32 v0, v0, v2
	v_mad_u64_u32 v[6:7], s[10:11], v0, s12, v[6:7]
	v_mad_u64_u32 v[8:9], s[10:11], v0, s13, v[8:9]
	v_mov_b32_e32 v0, v1
	s_cbranch_scc1 .LBB7_1081
.LBB7_1082:
	s_cbranch_execnz .LBB7_1085
.LBB7_1083:
	s_load_dwordx4 s[8:11], s[34:35], 0x4
	s_load_dwordx2 s[2:3], s[34:35], 0xc4
	s_cmp_lt_u32 s33, 2
	s_waitcnt lgkmcnt(0)
	v_mul_hi_u32 v0, s9, v11
	v_add_u32_e32 v0, v11, v0
	v_lshrrev_b32_e32 v0, s10, v0
	v_mul_lo_u32 v1, v0, s8
	v_sub_u32_e32 v1, v11, v1
	v_mul_lo_u32 v6, v1, s2
	v_mul_lo_u32 v8, v1, s3
	s_cbranch_scc1 .LBB7_1085
; %bb.1084:
	s_load_dwordx4 s[8:11], s[34:35], 0x10
	s_load_dwordx2 s[2:3], s[34:35], 0xcc
	s_waitcnt lgkmcnt(0)
	v_mul_hi_u32 v1, s9, v0
	v_add_u32_e32 v1, v0, v1
	v_lshrrev_b32_e32 v1, s10, v1
	v_mul_lo_u32 v1, v1, s8
	v_sub_u32_e32 v0, v0, v1
	v_mad_u64_u32 v[6:7], s[6:7], v0, s2, v[6:7]
	v_mad_u64_u32 v[8:9], s[2:3], v0, s3, v[8:9]
.LBB7_1085:
	s_and_b64 vcc, exec, s[0:1]
	v_add_u32_e32 v0, 0x80, v11
	s_cbranch_vccnz .LBB7_1091
; %bb.1086:
	s_cmp_lg_u32 s33, 0
	s_mov_b32 s36, 0
	s_cbranch_scc0 .LBB7_1092
; %bb.1087:
	s_min_u32 s37, s72, 15
	s_add_i32 s37, s37, 1
	s_cmp_eq_u32 s72, 2
	s_cbranch_scc1 .LBB7_1093
; %bb.1088:
	s_and_b32 s36, s37, 28
	s_add_u32 s2, s34, 0xc4
	s_addc_u32 s3, s35, 0
	v_mov_b32_e32 v9, 0
	s_mov_b32 s38, 0
	s_mov_b64 s[6:7], s[34:35]
	s_waitcnt vmcnt(0)
	v_mov_b32_e32 v4, 0
	v_mov_b32_e32 v1, v0
.LBB7_1089:                             ; =>This Inner Loop Header: Depth=1
	s_load_dwordx8 s[16:23], s[6:7], 0x4
	s_load_dwordx4 s[24:27], s[6:7], 0x24
	s_load_dwordx8 s[8:15], s[2:3], 0x0
	s_add_u32 s6, s6, 48
	s_addc_u32 s7, s7, 0
	s_waitcnt lgkmcnt(0)
	v_mul_hi_u32 v2, s17, v1
	s_add_i32 s38, s38, 4
	s_add_u32 s2, s2, 32
	s_addc_u32 s3, s3, 0
	v_add_u32_e32 v2, v1, v2
	v_lshrrev_b32_e32 v2, s18, v2
	v_mul_lo_u32 v3, v2, s16
	v_mul_hi_u32 v5, s20, v2
	s_cmp_lg_u32 s36, s38
	v_sub_u32_e32 v1, v1, v3
	v_add_u32_e32 v3, v2, v5
	v_mul_lo_u32 v5, v1, s8
	v_mul_lo_u32 v7, v1, s9
	v_lshrrev_b32_e32 v1, s21, v3
	v_mul_lo_u32 v3, v1, s19
	v_mul_hi_u32 v10, s23, v1
	v_sub_u32_e32 v2, v2, v3
	v_add_u32_e32 v3, v1, v10
	v_lshrrev_b32_e32 v3, s24, v3
	v_mul_hi_u32 v12, s26, v3
	v_mul_lo_u32 v14, v3, s22
	v_mul_lo_u32 v10, v2, s10
	;; [unrolled: 1-line block ×3, first 2 shown]
	v_sub_u32_e32 v14, v1, v14
	v_add_u32_e32 v1, v3, v12
	v_lshrrev_b32_e32 v1, s27, v1
	v_mul_lo_u32 v12, v1, s25
	v_mul_lo_u32 v15, v14, s12
	;; [unrolled: 1-line block ×3, first 2 shown]
	v_add3_u32 v4, v5, v4, v10
	v_sub_u32_e32 v3, v3, v12
	v_mul_lo_u32 v12, v3, s14
	v_mul_lo_u32 v3, v3, s15
	v_add3_u32 v2, v7, v9, v2
	v_add3_u32 v4, v15, v4, v12
	;; [unrolled: 1-line block ×3, first 2 shown]
	s_cbranch_scc1 .LBB7_1089
; %bb.1090:
	s_and_b32 s8, s37, 3
	s_cmp_eq_u32 s8, 0
	s_cbranch_scc0 .LBB7_1094
	s_branch .LBB7_1096
.LBB7_1091:
                                        ; implicit-def: $vgpr4
                                        ; implicit-def: $vgpr9
	s_branch .LBB7_1097
.LBB7_1092:
	s_waitcnt vmcnt(0)
	v_mov_b32_e32 v4, 0
	v_mov_b32_e32 v9, 0
	s_branch .LBB7_1096
.LBB7_1093:
	s_waitcnt vmcnt(0)
	v_mov_b32_e32 v4, 0
	v_mov_b32_e32 v9, 0
	;; [unrolled: 1-line block ×3, first 2 shown]
	s_and_b32 s8, s37, 3
	s_cmp_eq_u32 s8, 0
	s_cbranch_scc1 .LBB7_1096
.LBB7_1094:
	s_lshl_b32 s2, s36, 3
	s_add_u32 s2, s34, s2
	s_addc_u32 s3, s35, 0
	s_add_u32 s2, s2, 0xc4
	s_addc_u32 s3, s3, 0
	s_mul_i32 s6, s36, 12
	s_add_u32 s6, s34, s6
	s_addc_u32 s7, s35, 0
.LBB7_1095:                             ; =>This Inner Loop Header: Depth=1
	s_load_dwordx2 s[10:11], s[6:7], 0x4
	s_load_dword s9, s[6:7], 0xc
	s_load_dwordx2 s[12:13], s[2:3], 0x0
	s_add_u32 s6, s6, 12
	s_addc_u32 s7, s7, 0
	s_waitcnt lgkmcnt(0)
	v_mul_hi_u32 v2, s11, v1
	s_add_u32 s2, s2, 8
	s_addc_u32 s3, s3, 0
	s_add_i32 s8, s8, -1
	v_add_u32_e32 v2, v1, v2
	v_lshrrev_b32_e32 v2, s9, v2
	v_mul_lo_u32 v3, v2, s10
	s_cmp_lg_u32 s8, 0
	v_sub_u32_e32 v1, v1, v3
	v_mad_u64_u32 v[4:5], s[10:11], v1, s12, v[4:5]
	v_mad_u64_u32 v[9:10], s[10:11], v1, s13, v[9:10]
	v_mov_b32_e32 v1, v2
	s_cbranch_scc1 .LBB7_1095
.LBB7_1096:
	s_cbranch_execnz .LBB7_1099
.LBB7_1097:
	s_load_dwordx4 s[8:11], s[34:35], 0x4
	s_load_dwordx2 s[2:3], s[34:35], 0xc4
	s_cmp_lt_u32 s33, 2
	s_waitcnt lgkmcnt(0)
	v_mul_hi_u32 v1, s9, v0
	v_add_u32_e32 v1, v0, v1
	v_lshrrev_b32_e32 v1, s10, v1
	v_mul_lo_u32 v2, v1, s8
	v_sub_u32_e32 v0, v0, v2
	s_waitcnt vmcnt(0)
	v_mul_lo_u32 v4, v0, s2
	v_mul_lo_u32 v9, v0, s3
	s_cbranch_scc1 .LBB7_1099
; %bb.1098:
	s_load_dwordx4 s[8:11], s[34:35], 0x10
	s_load_dwordx2 s[2:3], s[34:35], 0xcc
	s_waitcnt lgkmcnt(0)
	v_mul_hi_u32 v0, s9, v1
	v_add_u32_e32 v0, v1, v0
	v_lshrrev_b32_e32 v0, s10, v0
	v_mul_lo_u32 v0, v0, s8
	v_sub_u32_e32 v0, v1, v0
	v_mad_u64_u32 v[4:5], s[6:7], v0, s2, v[4:5]
	v_mad_u64_u32 v[9:10], s[2:3], v0, s3, v[9:10]
.LBB7_1099:
	s_and_b64 vcc, exec, s[0:1]
	v_add_u32_e32 v0, 0x100, v11
	s_cbranch_vccnz .LBB7_1105
; %bb.1100:
	s_cmp_lg_u32 s33, 0
	s_mov_b32 s36, 0
	s_cbranch_scc0 .LBB7_1106
; %bb.1101:
	s_min_u32 s37, s72, 15
	s_add_i32 s37, s37, 1
	s_cmp_eq_u32 s72, 2
	s_cbranch_scc1 .LBB7_1107
; %bb.1102:
	s_and_b32 s36, s37, 28
	s_add_u32 s2, s34, 0xc4
	s_addc_u32 s3, s35, 0
	v_mov_b32_e32 v10, 0
	s_mov_b32 s38, 0
	s_mov_b64 s[6:7], s[34:35]
	v_mov_b32_e32 v2, 0
	v_mov_b32_e32 v1, v0
.LBB7_1103:                             ; =>This Inner Loop Header: Depth=1
	s_load_dwordx8 s[16:23], s[6:7], 0x4
	s_load_dwordx4 s[24:27], s[6:7], 0x24
	s_load_dwordx8 s[8:15], s[2:3], 0x0
	s_add_u32 s6, s6, 48
	s_addc_u32 s7, s7, 0
	s_waitcnt vmcnt(0) lgkmcnt(0)
	v_mul_hi_u32 v3, s17, v1
	s_add_i32 s38, s38, 4
	s_add_u32 s2, s2, 32
	s_addc_u32 s3, s3, 0
	v_add_u32_e32 v3, v1, v3
	v_lshrrev_b32_e32 v3, s18, v3
	v_mul_lo_u32 v5, v3, s16
	v_mul_hi_u32 v7, s20, v3
	s_cmp_lg_u32 s36, s38
	v_sub_u32_e32 v1, v1, v5
	v_add_u32_e32 v5, v3, v7
	v_mul_lo_u32 v7, v1, s8
	v_mul_lo_u32 v11, v1, s9
	v_lshrrev_b32_e32 v1, s21, v5
	v_mul_lo_u32 v5, v1, s19
	v_mul_hi_u32 v12, s23, v1
	v_sub_u32_e32 v3, v3, v5
	v_add_u32_e32 v5, v1, v12
	v_lshrrev_b32_e32 v5, s24, v5
	v_mul_hi_u32 v14, s26, v5
	v_mul_lo_u32 v15, v5, s22
	v_mul_lo_u32 v12, v3, s10
	;; [unrolled: 1-line block ×3, first 2 shown]
	v_sub_u32_e32 v15, v1, v15
	v_add_u32_e32 v1, v5, v14
	v_lshrrev_b32_e32 v1, s27, v1
	v_mul_lo_u32 v14, v1, s25
	v_mul_lo_u32 v16, v15, s12
	;; [unrolled: 1-line block ×3, first 2 shown]
	v_add3_u32 v2, v7, v2, v12
	v_sub_u32_e32 v5, v5, v14
	v_mul_lo_u32 v14, v5, s14
	v_mul_lo_u32 v5, v5, s15
	v_add3_u32 v3, v11, v10, v3
	v_add3_u32 v2, v16, v2, v14
	;; [unrolled: 1-line block ×3, first 2 shown]
	s_cbranch_scc1 .LBB7_1103
; %bb.1104:
	s_and_b32 s8, s37, 3
	s_cmp_eq_u32 s8, 0
	s_cbranch_scc0 .LBB7_1108
	s_branch .LBB7_1110
.LBB7_1105:
                                        ; implicit-def: $vgpr2
                                        ; implicit-def: $vgpr10
	s_branch .LBB7_1111
.LBB7_1106:
	v_mov_b32_e32 v2, 0
	v_mov_b32_e32 v10, 0
	s_branch .LBB7_1110
.LBB7_1107:
	v_mov_b32_e32 v2, 0
	v_mov_b32_e32 v10, 0
	;; [unrolled: 1-line block ×3, first 2 shown]
	s_and_b32 s8, s37, 3
	s_cmp_eq_u32 s8, 0
	s_cbranch_scc1 .LBB7_1110
.LBB7_1108:
	s_lshl_b32 s2, s36, 3
	s_add_u32 s2, s34, s2
	s_addc_u32 s3, s35, 0
	s_add_u32 s2, s2, 0xc4
	s_addc_u32 s3, s3, 0
	s_mul_i32 s6, s36, 12
	s_add_u32 s6, s34, s6
	s_addc_u32 s7, s35, 0
.LBB7_1109:                             ; =>This Inner Loop Header: Depth=1
	s_load_dwordx2 s[10:11], s[6:7], 0x4
	s_load_dword s9, s[6:7], 0xc
	s_load_dwordx2 s[12:13], s[2:3], 0x0
	s_add_u32 s6, s6, 12
	s_addc_u32 s7, s7, 0
	s_waitcnt vmcnt(0) lgkmcnt(0)
	v_mul_hi_u32 v3, s11, v1
	s_add_u32 s2, s2, 8
	s_addc_u32 s3, s3, 0
	s_add_i32 s8, s8, -1
	v_add_u32_e32 v3, v1, v3
	v_lshrrev_b32_e32 v5, s9, v3
	v_mul_lo_u32 v3, v5, s10
	s_cmp_lg_u32 s8, 0
	v_sub_u32_e32 v1, v1, v3
	v_mad_u64_u32 v[2:3], s[10:11], v1, s12, v[2:3]
	v_mad_u64_u32 v[10:11], s[10:11], v1, s13, v[10:11]
	v_mov_b32_e32 v1, v5
	s_cbranch_scc1 .LBB7_1109
.LBB7_1110:
	s_cbranch_execnz .LBB7_1113
.LBB7_1111:
	s_load_dwordx4 s[8:11], s[34:35], 0x4
	s_load_dwordx2 s[2:3], s[34:35], 0xc4
	s_cmp_lt_u32 s33, 2
	s_waitcnt lgkmcnt(0)
	v_mul_hi_u32 v1, s9, v0
	v_add_u32_e32 v1, v0, v1
	v_lshrrev_b32_e32 v1, s10, v1
	v_mul_lo_u32 v2, v1, s8
	v_sub_u32_e32 v0, v0, v2
	v_mul_lo_u32 v2, v0, s2
	v_mul_lo_u32 v10, v0, s3
	s_cbranch_scc1 .LBB7_1113
; %bb.1112:
	s_load_dwordx4 s[8:11], s[34:35], 0x10
	s_load_dwordx2 s[2:3], s[34:35], 0xcc
	s_waitcnt lgkmcnt(0)
	v_mul_hi_u32 v0, s9, v1
	v_add_u32_e32 v0, v1, v0
	v_lshrrev_b32_e32 v0, s10, v0
	v_mul_lo_u32 v0, v0, s8
	v_sub_u32_e32 v0, v1, v0
	s_waitcnt vmcnt(0)
	v_mad_u64_u32 v[2:3], s[6:7], v0, s2, v[2:3]
	v_mad_u64_u32 v[10:11], s[2:3], v0, s3, v[10:11]
.LBB7_1113:
	s_and_b64 vcc, exec, s[0:1]
	s_cbranch_vccnz .LBB7_1119
; %bb.1114:
	s_cmp_lg_u32 s33, 0
	s_mov_b32 s26, 0
	s_cbranch_scc0 .LBB7_1120
; %bb.1115:
	s_min_u32 s27, s72, 15
	s_add_i32 s27, s27, 1
	s_cmp_eq_u32 s72, 2
	s_cbranch_scc1 .LBB7_1121
; %bb.1116:
	s_and_b32 s26, s27, 28
	s_add_u32 s6, s34, 0xc4
	s_addc_u32 s7, s35, 0
	v_mov_b32_e32 v11, 0
	s_mov_b32 s36, 0
	s_mov_b64 s[24:25], s[34:35]
	v_mov_b32_e32 v0, 0
	v_mov_b32_e32 v1, v13
.LBB7_1117:                             ; =>This Inner Loop Header: Depth=1
	s_load_dwordx8 s[16:23], s[24:25], 0x4
	s_load_dwordx4 s[0:3], s[24:25], 0x24
	s_load_dwordx8 s[8:15], s[6:7], 0x0
	s_add_u32 s24, s24, 48
	s_addc_u32 s25, s25, 0
	s_waitcnt vmcnt(0) lgkmcnt(0)
	v_mul_hi_u32 v3, s17, v1
	s_add_i32 s36, s36, 4
	s_add_u32 s6, s6, 32
	s_addc_u32 s7, s7, 0
	v_add_u32_e32 v3, v1, v3
	v_lshrrev_b32_e32 v3, s18, v3
	v_mul_lo_u32 v5, v3, s16
	v_mul_hi_u32 v7, s20, v3
	s_cmp_lg_u32 s26, s36
	v_sub_u32_e32 v1, v1, v5
	v_add_u32_e32 v5, v3, v7
	v_mul_lo_u32 v7, v1, s8
	v_mul_lo_u32 v12, v1, s9
	v_lshrrev_b32_e32 v1, s21, v5
	v_mul_lo_u32 v5, v1, s19
	v_mul_hi_u32 v14, s23, v1
	v_sub_u32_e32 v3, v3, v5
	v_add_u32_e32 v5, v1, v14
	v_lshrrev_b32_e32 v5, s0, v5
	v_mul_hi_u32 v15, s2, v5
	v_mul_lo_u32 v16, v5, s22
	v_mul_lo_u32 v14, v3, s10
	;; [unrolled: 1-line block ×3, first 2 shown]
	v_sub_u32_e32 v16, v1, v16
	v_add_u32_e32 v1, v5, v15
	v_lshrrev_b32_e32 v1, s3, v1
	v_mul_lo_u32 v15, v1, s1
	v_mul_lo_u32 v17, v16, s12
	;; [unrolled: 1-line block ×3, first 2 shown]
	v_add3_u32 v0, v7, v0, v14
	v_sub_u32_e32 v5, v5, v15
	v_mul_lo_u32 v15, v5, s14
	v_mul_lo_u32 v5, v5, s15
	v_add3_u32 v3, v12, v11, v3
	v_add3_u32 v0, v17, v0, v15
	v_add3_u32 v11, v16, v3, v5
	s_cbranch_scc1 .LBB7_1117
; %bb.1118:
	s_and_b32 s6, s27, 3
	s_cmp_eq_u32 s6, 0
	s_cbranch_scc0 .LBB7_1122
	s_branch .LBB7_1124
.LBB7_1119:
                                        ; implicit-def: $vgpr0
                                        ; implicit-def: $vgpr11
	s_branch .LBB7_1125
.LBB7_1120:
	v_mov_b32_e32 v0, 0
	v_mov_b32_e32 v11, 0
	s_branch .LBB7_1124
.LBB7_1121:
	v_mov_b32_e32 v0, 0
	v_mov_b32_e32 v11, 0
	;; [unrolled: 1-line block ×3, first 2 shown]
	s_and_b32 s6, s27, 3
	s_cmp_eq_u32 s6, 0
	s_cbranch_scc1 .LBB7_1124
.LBB7_1122:
	s_lshl_b32 s0, s26, 3
	s_add_u32 s0, s34, s0
	s_addc_u32 s1, s35, 0
	s_add_u32 s0, s0, 0xc4
	s_addc_u32 s1, s1, 0
	s_mul_i32 s2, s26, 12
	s_add_u32 s2, s34, s2
	s_addc_u32 s3, s35, 0
.LBB7_1123:                             ; =>This Inner Loop Header: Depth=1
	s_load_dwordx2 s[8:9], s[2:3], 0x4
	s_load_dword s7, s[2:3], 0xc
	s_load_dwordx2 s[10:11], s[0:1], 0x0
	s_add_u32 s2, s2, 12
	s_addc_u32 s3, s3, 0
	s_waitcnt vmcnt(0) lgkmcnt(0)
	v_mul_hi_u32 v3, s9, v1
	s_add_u32 s0, s0, 8
	s_addc_u32 s1, s1, 0
	s_add_i32 s6, s6, -1
	v_add_u32_e32 v3, v1, v3
	v_lshrrev_b32_e32 v3, s7, v3
	v_mul_lo_u32 v5, v3, s8
	s_cmp_lg_u32 s6, 0
	v_sub_u32_e32 v5, v1, v5
	v_mad_u64_u32 v[0:1], s[8:9], v5, s10, v[0:1]
	v_mad_u64_u32 v[11:12], s[8:9], v5, s11, v[11:12]
	v_mov_b32_e32 v1, v3
	s_cbranch_scc1 .LBB7_1123
.LBB7_1124:
	s_cbranch_execnz .LBB7_1127
.LBB7_1125:
	s_load_dwordx4 s[0:3], s[34:35], 0x4
	s_load_dwordx2 s[6:7], s[34:35], 0xc4
	s_cmp_lt_u32 s33, 2
	s_waitcnt lgkmcnt(0)
	v_mul_hi_u32 v0, s1, v13
	v_add_u32_e32 v0, v13, v0
	v_lshrrev_b32_e32 v1, s2, v0
	v_mul_lo_u32 v0, v1, s0
	s_waitcnt vmcnt(0)
	v_sub_u32_e32 v3, v13, v0
	v_mul_lo_u32 v0, v3, s6
	v_mul_lo_u32 v11, v3, s7
	s_cbranch_scc1 .LBB7_1127
; %bb.1126:
	s_load_dwordx4 s[0:3], s[34:35], 0x10
	s_load_dwordx2 s[6:7], s[34:35], 0xcc
	s_waitcnt lgkmcnt(0)
	v_mul_hi_u32 v3, s1, v1
	v_add_u32_e32 v3, v1, v3
	v_lshrrev_b32_e32 v3, s2, v3
	v_mul_lo_u32 v3, v3, s0
	v_sub_u32_e32 v3, v1, v3
	v_mad_u64_u32 v[0:1], s[0:1], v3, s6, v[0:1]
	v_mad_u64_u32 v[11:12], s[0:1], v3, s7, v[11:12]
.LBB7_1127:
	s_load_dword s14, s[4:5], 0x160
	s_load_dwordx4 s[8:11], s[34:35], 0x148
	s_waitcnt lgkmcnt(0)
	s_lshr_b32 s12, s14, 24
	v_mov_b32_e32 v1, s11
	v_add_co_u32_e32 v12, vcc, s10, v8
	s_cmp_lt_i32 s12, 11
	v_addc_co_u32_e32 v13, vcc, 0, v1, vcc
	s_cbranch_scc1 .LBB7_1134
; %bb.1128:
	s_and_b32 s13, 0xffff, s12
	s_cmp_gt_i32 s13, 25
	s_mov_b64 s[4:5], 0
	s_cbranch_scc0 .LBB7_1136
; %bb.1129:
	s_cmp_gt_i32 s13, 28
	s_cbranch_scc0 .LBB7_1137
; %bb.1130:
	s_cmp_gt_i32 s13, 43
	;; [unrolled: 3-line block ×3, first 2 shown]
	s_cbranch_scc0 .LBB7_1139
; %bb.1132:
	s_cmp_eq_u32 s13, 46
	s_mov_b64 s[2:3], 0
	s_cbranch_scc0 .LBB7_1142
; %bb.1133:
	global_load_dword v1, v[12:13], off
	s_mov_b32 s0, 0x2f800000
	s_mov_b32 s1, 0xcf800000
	s_mov_b64 s[6:7], -1
	s_waitcnt vmcnt(0)
	v_lshlrev_b32_e32 v1, 16, v1
	v_trunc_f32_e32 v1, v1
	v_mul_f32_e64 v3, |v1|, s0
	v_floor_f32_e32 v3, v3
	v_fma_f32 v3, v3, s1, |v1|
	v_cvt_u32_f32_e32 v3, v3
	v_ashrrev_i32_e32 v1, 31, v1
	s_mov_b64 s[0:1], 0
	v_xor_b32_e32 v3, v3, v1
	v_sub_u32_e32 v7, v3, v1
	s_branch .LBB7_1143
.LBB7_1134:
	s_mov_b64 s[6:7], 0
                                        ; implicit-def: $vgpr7
	s_mov_b64 s[2:3], s[28:29]
	s_cbranch_execnz .LBB7_1201
.LBB7_1135:
	s_andn2_b64 vcc, exec, s[6:7]
	s_cbranch_vccz .LBB7_1246
	s_branch .LBB7_2055
.LBB7_1136:
	s_mov_b64 s[6:7], 0
	s_mov_b64 s[0:1], 0
                                        ; implicit-def: $vgpr7
	s_cbranch_execnz .LBB7_1168
	s_branch .LBB7_1197
.LBB7_1137:
	s_mov_b64 s[6:7], 0
	s_mov_b64 s[0:1], 0
                                        ; implicit-def: $vgpr7
	s_cbranch_execz .LBB7_1167
	s_branch .LBB7_1152
.LBB7_1138:
	s_mov_b64 s[6:7], 0
	s_mov_b64 s[0:1], 0
                                        ; implicit-def: $vgpr7
	s_cbranch_execnz .LBB7_1148
	s_branch .LBB7_1151
.LBB7_1139:
	s_mov_b64 s[2:3], -1
	s_mov_b64 s[6:7], 0
	s_mov_b64 s[0:1], 0
                                        ; implicit-def: $vgpr7
	s_branch .LBB7_1143
.LBB7_1140:
	s_andn2_saveexec_b64 s[14:15], s[14:15]
	s_cbranch_execz .LBB7_979
.LBB7_1141:
	v_add_f32_e32 v0, 0x46000000, v3
	v_and_b32_e32 v0, 0xff, v0
	v_cmp_ne_u32_e32 vcc, 0, v0
	s_andn2_b64 s[12:13], s[12:13], exec
	s_and_b64 s[16:17], vcc, exec
	s_or_b64 s[12:13], s[12:13], s[16:17]
	s_or_b64 exec, exec, s[14:15]
	v_mov_b32_e32 v5, 0
	s_and_saveexec_b64 s[14:15], s[12:13]
	s_cbranch_execnz .LBB7_980
	s_branch .LBB7_981
.LBB7_1142:
	s_mov_b64 s[0:1], -1
                                        ; implicit-def: $vgpr7
	s_mov_b64 s[6:7], 0
.LBB7_1143:
	s_and_b64 vcc, exec, s[2:3]
	s_cbranch_vccz .LBB7_1146
; %bb.1144:
	s_cmp_eq_u32 s13, 44
	s_cbranch_scc0 .LBB7_1147
; %bb.1145:
	global_load_ubyte v1, v[12:13], off
	s_mov_b32 s0, 0x2f800000
	s_mov_b32 s1, 0xcf800000
	s_mov_b64 s[6:7], -1
	s_waitcnt vmcnt(0)
	v_lshlrev_b32_e32 v3, 23, v1
	v_trunc_f32_e32 v3, v3
	v_mul_f32_e64 v5, |v3|, s0
	v_floor_f32_e32 v5, v5
	v_fma_f32 v5, v5, s1, |v3|
	v_cvt_u32_f32_e32 v5, v5
	v_ashrrev_i32_e32 v3, 31, v3
	v_cmp_ne_u32_e32 vcc, 0, v1
	s_mov_b64 s[0:1], 0
	v_xor_b32_e32 v5, v5, v3
	v_sub_u32_e32 v3, v5, v3
	v_cndmask_b32_e32 v7, 0, v3, vcc
.LBB7_1146:
	s_branch .LBB7_1151
.LBB7_1147:
	s_mov_b64 s[0:1], -1
                                        ; implicit-def: $vgpr7
	s_branch .LBB7_1151
.LBB7_1148:
	s_cmp_eq_u32 s13, 29
	s_cbranch_scc0 .LBB7_1150
; %bb.1149:
	global_load_dwordx2 v[7:8], v[12:13], off
	s_mov_b64 s[0:1], 0
	s_mov_b64 s[6:7], -1
	s_branch .LBB7_1151
.LBB7_1150:
	s_mov_b64 s[0:1], -1
                                        ; implicit-def: $vgpr7
.LBB7_1151:
	s_branch .LBB7_1167
.LBB7_1152:
	s_cmp_lt_i32 s13, 27
	s_cbranch_scc1 .LBB7_1155
; %bb.1153:
	s_cmp_gt_i32 s13, 27
	s_cbranch_scc0 .LBB7_1156
; %bb.1154:
	global_load_dword v7, v[12:13], off
	s_mov_b64 s[2:3], 0
	s_branch .LBB7_1157
.LBB7_1155:
	s_mov_b64 s[2:3], -1
                                        ; implicit-def: $vgpr7
	s_branch .LBB7_1160
.LBB7_1156:
	s_mov_b64 s[2:3], -1
                                        ; implicit-def: $vgpr7
.LBB7_1157:
	s_andn2_b64 vcc, exec, s[2:3]
	s_cbranch_vccnz .LBB7_1159
; %bb.1158:
	global_load_ushort v7, v[12:13], off
.LBB7_1159:
	s_mov_b64 s[2:3], 0
.LBB7_1160:
	s_andn2_b64 vcc, exec, s[2:3]
	s_cbranch_vccnz .LBB7_1166
; %bb.1161:
	global_load_ubyte v1, v[12:13], off
	s_movk_i32 s2, 0x7f
	s_mov_b64 s[6:7], 0
	s_waitcnt vmcnt(0)
	v_cmp_lt_i16_e32 vcc, s2, v1
	s_and_saveexec_b64 s[2:3], vcc
	s_xor_b64 s[2:3], exec, s[2:3]
	s_cbranch_execz .LBB7_1177
; %bb.1162:
	s_movk_i32 s6, 0x80
	v_cmp_ne_u16_e32 vcc, s6, v1
	s_and_b64 s[6:7], vcc, exec
	s_andn2_saveexec_b64 s[2:3], s[2:3]
	s_cbranch_execnz .LBB7_1178
.LBB7_1163:
	s_or_b64 exec, exec, s[2:3]
	v_mov_b32_e32 v7, 0
	s_and_saveexec_b64 s[2:3], s[6:7]
	s_cbranch_execz .LBB7_1165
.LBB7_1164:
	v_lshlrev_b32_e32 v3, 24, v1
	v_and_b32_e32 v1, 0xffff, v1
	v_and_b32_e32 v5, 7, v1
	v_ffbh_u32_e32 v8, v5
	v_min_u32_e32 v8, 32, v8
	v_subrev_u32_e32 v14, 28, v8
	v_bfe_u32 v7, v1, 3, 4
	v_lshlrev_b32_e32 v1, v14, v1
	v_sub_u32_e32 v8, 29, v8
	v_and_b32_e32 v1, 7, v1
	v_cmp_eq_u32_e32 vcc, 0, v7
	v_cndmask_b32_e32 v7, v7, v8, vcc
	v_cndmask_b32_e32 v1, v5, v1, vcc
	v_mov_b32_e32 v5, 0x3b800000
	v_lshlrev_b32_e32 v1, 20, v1
	v_and_b32_e32 v3, 0x80000000, v3
	v_lshl_add_u32 v5, v7, 23, v5
	v_or3_b32 v1, v3, v5, v1
	v_trunc_f32_e32 v1, v1
	s_mov_b32 s6, 0x2f800000
	v_mul_f32_e64 v3, |v1|, s6
	v_floor_f32_e32 v3, v3
	s_mov_b32 s6, 0xcf800000
	v_fma_f32 v3, v3, s6, |v1|
	v_cvt_u32_f32_e32 v3, v3
	v_ashrrev_i32_e32 v1, 31, v1
	v_xor_b32_e32 v3, v3, v1
	v_sub_u32_e32 v7, v3, v1
.LBB7_1165:
	s_or_b64 exec, exec, s[2:3]
.LBB7_1166:
	s_mov_b64 s[6:7], -1
.LBB7_1167:
	s_branch .LBB7_1197
.LBB7_1168:
	s_cmp_gt_i32 s13, 22
	s_cbranch_scc0 .LBB7_1176
; %bb.1169:
	s_cmp_lt_i32 s13, 24
	s_cbranch_scc1 .LBB7_1179
; %bb.1170:
	s_cmp_gt_i32 s13, 24
	s_cbranch_scc0 .LBB7_1180
; %bb.1171:
	global_load_ubyte v1, v[12:13], off
	s_movk_i32 s2, 0x7f
	s_waitcnt vmcnt(0)
	v_cmp_lt_i16_e32 vcc, s2, v1
	s_and_saveexec_b64 s[2:3], vcc
	s_xor_b64 s[2:3], exec, s[2:3]
	s_cbranch_execz .LBB7_1191
; %bb.1172:
	s_movk_i32 s4, 0x80
	v_cmp_ne_u16_e32 vcc, s4, v1
	s_and_b64 s[4:5], vcc, exec
	s_andn2_saveexec_b64 s[2:3], s[2:3]
	s_cbranch_execnz .LBB7_1192
.LBB7_1173:
	s_or_b64 exec, exec, s[2:3]
	v_mov_b32_e32 v7, 0
	s_and_saveexec_b64 s[2:3], s[4:5]
	s_cbranch_execz .LBB7_1175
.LBB7_1174:
	v_lshlrev_b32_e32 v3, 24, v1
	v_and_b32_e32 v1, 0xffff, v1
	v_and_b32_e32 v5, 3, v1
	v_ffbh_u32_e32 v8, v5
	v_min_u32_e32 v8, 32, v8
	v_subrev_u32_e32 v14, 29, v8
	v_bfe_u32 v7, v1, 2, 5
	v_lshlrev_b32_e32 v1, v14, v1
	v_sub_u32_e32 v8, 30, v8
	v_and_b32_e32 v1, 3, v1
	v_cmp_eq_u32_e32 vcc, 0, v7
	v_cndmask_b32_e32 v7, v7, v8, vcc
	v_cndmask_b32_e32 v1, v5, v1, vcc
	v_mov_b32_e32 v5, 0x37800000
	v_lshlrev_b32_e32 v1, 21, v1
	v_and_b32_e32 v3, 0x80000000, v3
	v_lshl_add_u32 v5, v7, 23, v5
	v_or3_b32 v1, v3, v5, v1
	v_trunc_f32_e32 v1, v1
	s_mov_b32 s4, 0x2f800000
	v_mul_f32_e64 v3, |v1|, s4
	v_floor_f32_e32 v3, v3
	s_mov_b32 s4, 0xcf800000
	v_fma_f32 v3, v3, s4, |v1|
	v_cvt_u32_f32_e32 v3, v3
	v_ashrrev_i32_e32 v1, 31, v1
	v_xor_b32_e32 v3, v3, v1
	v_sub_u32_e32 v7, v3, v1
.LBB7_1175:
	s_or_b64 exec, exec, s[2:3]
	s_mov_b64 s[2:3], 0
	s_branch .LBB7_1181
.LBB7_1176:
                                        ; implicit-def: $vgpr7
	s_mov_b64 s[4:5], 0
	s_branch .LBB7_1187
.LBB7_1177:
	s_andn2_saveexec_b64 s[2:3], s[2:3]
	s_cbranch_execz .LBB7_1163
.LBB7_1178:
	v_cmp_ne_u16_e32 vcc, 0, v1
	s_andn2_b64 s[6:7], s[6:7], exec
	s_and_b64 s[16:17], vcc, exec
	s_or_b64 s[6:7], s[6:7], s[16:17]
	s_or_b64 exec, exec, s[2:3]
	v_mov_b32_e32 v7, 0
	s_and_saveexec_b64 s[2:3], s[6:7]
	s_cbranch_execnz .LBB7_1164
	s_branch .LBB7_1165
.LBB7_1179:
	s_mov_b64 s[2:3], -1
                                        ; implicit-def: $vgpr7
	s_branch .LBB7_1184
.LBB7_1180:
	s_mov_b64 s[2:3], -1
                                        ; implicit-def: $vgpr7
.LBB7_1181:
	s_and_b64 vcc, exec, s[2:3]
	s_cbranch_vccz .LBB7_1183
; %bb.1182:
	global_load_ubyte v1, v[12:13], off
	s_mov_b32 s2, 0x7f800000
	s_brev_b32 s3, 1
	s_mov_b32 s4, 0x2f800000
	s_waitcnt vmcnt(0)
	v_lshlrev_b32_e32 v1, 24, v1
	v_and_b32_e32 v3, 0x7f000000, v1
	v_ffbh_u32_e32 v5, v3
	v_min_u32_e32 v5, 32, v5
	v_sub_u32_e64 v5, v5, 4 clamp
	v_lshlrev_b32_e32 v8, v5, v3
	v_lshlrev_b32_e32 v5, 23, v5
	v_lshrrev_b32_e32 v8, 4, v8
	v_add_u32_e32 v7, 0x1000000, v3
	v_sub_u32_e32 v5, v8, v5
	v_ashrrev_i32_e32 v7, 8, v7
	v_add_u32_e32 v5, 0x3c000000, v5
	v_and_or_b32 v5, v7, s2, v5
	v_cmp_ne_u32_e32 vcc, 0, v3
	v_cndmask_b32_e32 v3, 0, v5, vcc
	v_and_or_b32 v1, v1, s3, v3
	v_trunc_f32_e32 v1, v1
	v_mul_f32_e64 v3, |v1|, s4
	v_floor_f32_e32 v3, v3
	s_mov_b32 s2, 0xcf800000
	v_fma_f32 v3, v3, s2, |v1|
	v_cvt_u32_f32_e32 v3, v3
	v_ashrrev_i32_e32 v1, 31, v1
	v_xor_b32_e32 v3, v3, v1
	v_sub_u32_e32 v7, v3, v1
.LBB7_1183:
	s_mov_b64 s[2:3], 0
.LBB7_1184:
	s_andn2_b64 vcc, exec, s[2:3]
	s_cbranch_vccnz .LBB7_1186
; %bb.1185:
	global_load_ubyte v1, v[12:13], off
	s_movk_i32 s2, 0x7f00
	s_brev_b32 s3, 16
	s_brev_b32 s4, 1
	s_mov_b32 s5, 0x2f800000
	s_waitcnt vmcnt(0)
	v_lshlrev_b16_e32 v3, 8, v1
	v_lshlrev_b32_e32 v1, 25, v1
	v_lshrrev_b32_e32 v5, 4, v1
	v_and_or_b32 v7, v3, s2, 0.5
	v_or_b32_e32 v5, 0x70000000, v5
	v_add_f32_e32 v7, -0.5, v7
	v_mul_f32_e32 v5, 0x7800000, v5
	v_cmp_gt_u32_e32 vcc, s3, v1
	v_bfe_i32 v3, v3, 0, 16
	v_cndmask_b32_e32 v1, v5, v7, vcc
	v_and_or_b32 v1, v3, s4, v1
	v_trunc_f32_e32 v1, v1
	v_mul_f32_e64 v3, |v1|, s5
	v_floor_f32_e32 v3, v3
	s_mov_b32 s2, 0xcf800000
	v_fma_f32 v3, v3, s2, |v1|
	v_cvt_u32_f32_e32 v3, v3
	v_ashrrev_i32_e32 v1, 31, v1
	v_xor_b32_e32 v3, v3, v1
	v_sub_u32_e32 v7, v3, v1
.LBB7_1186:
	s_mov_b64 s[6:7], -1
	s_mov_b64 s[4:5], 0
	s_cbranch_execnz .LBB7_1197
.LBB7_1187:
	s_cmp_gt_i32 s13, 14
	s_cbranch_scc0 .LBB7_1190
; %bb.1188:
	s_cmp_eq_u32 s13, 15
	s_cbranch_scc0 .LBB7_1193
; %bb.1189:
	global_load_ushort v1, v[12:13], off
	s_mov_b32 s0, 0x2f800000
	s_mov_b32 s1, 0xcf800000
	s_mov_b64 s[6:7], -1
	s_waitcnt vmcnt(0)
	v_lshlrev_b32_e32 v1, 16, v1
	v_trunc_f32_e32 v1, v1
	v_mul_f32_e64 v3, |v1|, s0
	v_floor_f32_e32 v3, v3
	v_fma_f32 v3, v3, s1, |v1|
	v_cvt_u32_f32_e32 v3, v3
	v_ashrrev_i32_e32 v1, 31, v1
	s_mov_b64 s[0:1], 0
	v_xor_b32_e32 v3, v3, v1
	v_sub_u32_e32 v7, v3, v1
	s_branch .LBB7_1194
.LBB7_1190:
	s_mov_b64 s[2:3], -1
                                        ; implicit-def: $vgpr7
	s_branch .LBB7_1195
.LBB7_1191:
	s_andn2_saveexec_b64 s[2:3], s[2:3]
	s_cbranch_execz .LBB7_1173
.LBB7_1192:
	v_cmp_ne_u16_e32 vcc, 0, v1
	s_andn2_b64 s[4:5], s[4:5], exec
	s_and_b64 s[6:7], vcc, exec
	s_or_b64 s[4:5], s[4:5], s[6:7]
	s_or_b64 exec, exec, s[2:3]
	v_mov_b32_e32 v7, 0
	s_and_saveexec_b64 s[2:3], s[4:5]
	s_cbranch_execnz .LBB7_1174
	s_branch .LBB7_1175
.LBB7_1193:
	s_mov_b64 s[0:1], -1
                                        ; implicit-def: $vgpr7
.LBB7_1194:
	s_mov_b64 s[2:3], 0
.LBB7_1195:
	s_and_b64 vcc, exec, s[2:3]
	s_cbranch_vccz .LBB7_1197
; %bb.1196:
	s_cmp_lg_u32 s13, 11
	s_mov_b64 s[4:5], -1
	s_cselect_b64 s[0:1], -1, 0
.LBB7_1197:
	s_and_b64 vcc, exec, s[0:1]
	s_mov_b64 s[2:3], s[28:29]
	s_cbranch_vccnz .LBB7_1258
; %bb.1198:
	s_andn2_b64 vcc, exec, s[4:5]
	s_cbranch_vccnz .LBB7_1200
.LBB7_1199:
	global_load_ubyte v1, v[12:13], off
	s_mov_b64 s[6:7], -1
	s_waitcnt vmcnt(0)
	v_cmp_ne_u16_e32 vcc, 0, v1
	v_cndmask_b32_e64 v7, 0, 1, vcc
.LBB7_1200:
	s_branch .LBB7_1135
.LBB7_1201:
	s_and_b32 s4, 0xffff, s12
	s_cmp_lt_i32 s4, 5
	s_cbranch_scc1 .LBB7_1206
; %bb.1202:
	s_cmp_lt_i32 s4, 8
	s_cbranch_scc1 .LBB7_1207
; %bb.1203:
	;; [unrolled: 3-line block ×3, first 2 shown]
	s_cmp_gt_i32 s4, 9
	s_cbranch_scc0 .LBB7_1209
; %bb.1205:
	global_load_dwordx2 v[7:8], v[12:13], off
	s_movk_i32 s0, 0xffe0
	s_waitcnt vmcnt(0)
	v_trunc_f64_e32 v[7:8], v[7:8]
	v_ldexp_f64 v[14:15], v[7:8], s0
	s_mov_b32 s0, 0
	s_mov_b32 s1, 0xc1f00000
	v_floor_f64_e32 v[14:15], v[14:15]
	v_fma_f64 v[7:8], v[14:15], s[0:1], v[7:8]
	s_mov_b64 s[0:1], 0
	v_cvt_u32_f64_e32 v7, v[7:8]
	s_branch .LBB7_1210
.LBB7_1206:
                                        ; implicit-def: $vgpr7
	s_branch .LBB7_1227
.LBB7_1207:
                                        ; implicit-def: $vgpr7
	s_branch .LBB7_1216
.LBB7_1208:
	s_mov_b64 s[0:1], -1
                                        ; implicit-def: $vgpr7
	s_branch .LBB7_1213
.LBB7_1209:
	s_mov_b64 s[0:1], -1
                                        ; implicit-def: $vgpr7
.LBB7_1210:
	s_andn2_b64 vcc, exec, s[0:1]
	s_cbranch_vccnz .LBB7_1212
; %bb.1211:
	global_load_dword v1, v[12:13], off
	s_mov_b32 s0, 0x2f800000
	s_waitcnt vmcnt(0)
	v_trunc_f32_e32 v1, v1
	v_mul_f32_e64 v3, |v1|, s0
	v_floor_f32_e32 v3, v3
	s_mov_b32 s0, 0xcf800000
	v_fma_f32 v3, v3, s0, |v1|
	v_cvt_u32_f32_e32 v3, v3
	v_ashrrev_i32_e32 v1, 31, v1
	v_xor_b32_e32 v3, v3, v1
	v_sub_u32_e32 v7, v3, v1
.LBB7_1212:
	s_mov_b64 s[0:1], 0
.LBB7_1213:
	s_andn2_b64 vcc, exec, s[0:1]
	s_cbranch_vccnz .LBB7_1215
; %bb.1214:
	global_load_dword v1, v[12:13], off
	s_waitcnt vmcnt(0)
	v_cvt_f32_f16_e32 v1, v1
	v_cvt_i32_f32_e32 v7, v1
.LBB7_1215:
	s_cbranch_execnz .LBB7_1226
.LBB7_1216:
	s_cmp_lt_i32 s4, 6
	s_cbranch_scc1 .LBB7_1219
; %bb.1217:
	s_cmp_gt_i32 s4, 6
	s_cbranch_scc0 .LBB7_1220
; %bb.1218:
	global_load_dwordx2 v[7:8], v[12:13], off
	s_movk_i32 s0, 0xffe0
	s_waitcnt vmcnt(0)
	v_trunc_f64_e32 v[7:8], v[7:8]
	v_ldexp_f64 v[14:15], v[7:8], s0
	s_mov_b32 s0, 0
	s_mov_b32 s1, 0xc1f00000
	v_floor_f64_e32 v[14:15], v[14:15]
	v_fma_f64 v[7:8], v[14:15], s[0:1], v[7:8]
	s_mov_b64 s[0:1], 0
	v_cvt_u32_f64_e32 v7, v[7:8]
	s_branch .LBB7_1221
.LBB7_1219:
	s_mov_b64 s[0:1], -1
                                        ; implicit-def: $vgpr7
	s_branch .LBB7_1224
.LBB7_1220:
	s_mov_b64 s[0:1], -1
                                        ; implicit-def: $vgpr7
.LBB7_1221:
	s_andn2_b64 vcc, exec, s[0:1]
	s_cbranch_vccnz .LBB7_1223
; %bb.1222:
	global_load_dword v1, v[12:13], off
	s_mov_b32 s0, 0x2f800000
	s_waitcnt vmcnt(0)
	v_trunc_f32_e32 v1, v1
	v_mul_f32_e64 v3, |v1|, s0
	v_floor_f32_e32 v3, v3
	s_mov_b32 s0, 0xcf800000
	v_fma_f32 v3, v3, s0, |v1|
	v_cvt_u32_f32_e32 v3, v3
	v_ashrrev_i32_e32 v1, 31, v1
	v_xor_b32_e32 v3, v3, v1
	v_sub_u32_e32 v7, v3, v1
.LBB7_1223:
	s_mov_b64 s[0:1], 0
.LBB7_1224:
	s_andn2_b64 vcc, exec, s[0:1]
	s_cbranch_vccnz .LBB7_1226
; %bb.1225:
	global_load_ushort v1, v[12:13], off
	s_waitcnt vmcnt(0)
	v_cvt_f32_f16_e32 v1, v1
	v_cvt_i32_f32_e32 v7, v1
.LBB7_1226:
	s_cbranch_execnz .LBB7_1245
.LBB7_1227:
	s_cmp_lt_i32 s4, 2
	s_cbranch_scc1 .LBB7_1231
; %bb.1228:
	s_cmp_lt_i32 s4, 3
	s_cbranch_scc1 .LBB7_1232
; %bb.1229:
	s_cmp_gt_i32 s4, 3
	s_cbranch_scc0 .LBB7_1233
; %bb.1230:
	global_load_dwordx2 v[7:8], v[12:13], off
	s_mov_b64 s[0:1], 0
	s_branch .LBB7_1234
.LBB7_1231:
                                        ; implicit-def: $vgpr7
	s_branch .LBB7_1240
.LBB7_1232:
	s_mov_b64 s[0:1], -1
                                        ; implicit-def: $vgpr7
	s_branch .LBB7_1237
.LBB7_1233:
	s_mov_b64 s[0:1], -1
                                        ; implicit-def: $vgpr7
.LBB7_1234:
	s_andn2_b64 vcc, exec, s[0:1]
	s_cbranch_vccnz .LBB7_1236
; %bb.1235:
	global_load_dword v7, v[12:13], off
.LBB7_1236:
	s_mov_b64 s[0:1], 0
.LBB7_1237:
	s_andn2_b64 vcc, exec, s[0:1]
	s_cbranch_vccnz .LBB7_1239
; %bb.1238:
	global_load_ushort v7, v[12:13], off
.LBB7_1239:
	s_cbranch_execnz .LBB7_1245
.LBB7_1240:
	s_cmp_gt_i32 s4, 0
	s_cbranch_scc0 .LBB7_1242
; %bb.1241:
	global_load_ubyte v7, v[12:13], off
	s_mov_b64 s[0:1], 0
	s_branch .LBB7_1243
.LBB7_1242:
	s_mov_b64 s[0:1], -1
                                        ; implicit-def: $vgpr7
.LBB7_1243:
	s_andn2_b64 vcc, exec, s[0:1]
	s_cbranch_vccnz .LBB7_1245
; %bb.1244:
	global_load_ubyte v7, v[12:13], off
.LBB7_1245:
.LBB7_1246:
	v_mov_b32_e32 v1, s11
	s_and_b32 s15, 0xffff, s12
	v_add_co_u32_e32 v12, vcc, s10, v9
	s_cmp_lt_i32 s15, 11
	v_addc_co_u32_e32 v13, vcc, 0, v1, vcc
	s_cbranch_scc1 .LBB7_1253
; %bb.1247:
	s_cmp_gt_i32 s15, 25
	s_mov_b64 s[4:5], 0
	s_cbranch_scc0 .LBB7_1255
; %bb.1248:
	s_cmp_gt_i32 s15, 28
	s_cbranch_scc0 .LBB7_1256
; %bb.1249:
	s_cmp_gt_i32 s15, 43
	;; [unrolled: 3-line block ×3, first 2 shown]
	s_cbranch_scc0 .LBB7_1259
; %bb.1251:
	s_cmp_eq_u32 s15, 46
	s_mov_b64 s[12:13], 0
	s_cbranch_scc0 .LBB7_1262
; %bb.1252:
	global_load_dword v1, v[12:13], off
	s_mov_b32 s0, 0x2f800000
	s_mov_b32 s1, 0xcf800000
	s_mov_b64 s[6:7], -1
	s_waitcnt vmcnt(0)
	v_lshlrev_b32_e32 v1, 16, v1
	v_trunc_f32_e32 v1, v1
	v_mul_f32_e64 v3, |v1|, s0
	v_floor_f32_e32 v3, v3
	v_fma_f32 v3, v3, s1, |v1|
	v_cvt_u32_f32_e32 v3, v3
	v_ashrrev_i32_e32 v1, 31, v1
	s_mov_b64 s[0:1], 0
	v_xor_b32_e32 v3, v3, v1
	v_sub_u32_e32 v8, v3, v1
	s_branch .LBB7_1263
.LBB7_1253:
	s_mov_b64 s[6:7], 0
                                        ; implicit-def: $vgpr8
	s_cbranch_execnz .LBB7_1324
.LBB7_1254:
	s_andn2_b64 vcc, exec, s[6:7]
	s_cbranch_vccnz .LBB7_2055
	s_branch .LBB7_1371
.LBB7_1255:
	s_mov_b64 s[6:7], 0
	s_mov_b64 s[0:1], 0
                                        ; implicit-def: $vgpr8
	s_cbranch_execnz .LBB7_1290
	s_branch .LBB7_1320
.LBB7_1256:
	s_mov_b64 s[12:13], -1
	s_mov_b64 s[6:7], 0
	s_mov_b64 s[0:1], 0
                                        ; implicit-def: $vgpr8
	s_branch .LBB7_1273
.LBB7_1257:
	s_mov_b64 s[12:13], -1
	s_mov_b64 s[6:7], 0
	s_mov_b64 s[0:1], 0
                                        ; implicit-def: $vgpr8
	s_branch .LBB7_1268
.LBB7_1258:
	s_or_b64 s[2:3], s[28:29], exec
	s_trap 2
	s_cbranch_execz .LBB7_1199
	s_branch .LBB7_1200
.LBB7_1259:
	s_mov_b64 s[12:13], -1
	s_mov_b64 s[6:7], 0
	s_mov_b64 s[0:1], 0
                                        ; implicit-def: $vgpr8
	s_branch .LBB7_1263
.LBB7_1260:
	s_andn2_saveexec_b64 s[16:17], s[16:17]
	s_cbranch_execz .LBB7_991
.LBB7_1261:
	v_add_f32_e32 v0, 0x42800000, v3
	v_and_b32_e32 v0, 0xff, v0
	v_cmp_ne_u32_e32 vcc, 0, v0
	s_andn2_b64 s[14:15], s[14:15], exec
	s_and_b64 s[20:21], vcc, exec
	s_or_b64 s[14:15], s[14:15], s[20:21]
	s_or_b64 exec, exec, s[16:17]
	v_mov_b32_e32 v5, 0
	s_and_saveexec_b64 s[16:17], s[14:15]
	s_cbranch_execnz .LBB7_992
	s_branch .LBB7_993
.LBB7_1262:
	s_mov_b64 s[0:1], -1
                                        ; implicit-def: $vgpr8
	s_mov_b64 s[6:7], 0
.LBB7_1263:
	s_and_b64 vcc, exec, s[12:13]
	s_cbranch_vccz .LBB7_1267
; %bb.1264:
	s_cmp_eq_u32 s15, 44
	s_cbranch_scc0 .LBB7_1266
; %bb.1265:
	global_load_ubyte v1, v[12:13], off
	s_mov_b32 s0, 0x2f800000
	s_mov_b32 s1, 0xcf800000
	s_mov_b64 s[6:7], -1
	s_waitcnt vmcnt(0)
	v_lshlrev_b32_e32 v3, 23, v1
	v_trunc_f32_e32 v3, v3
	v_mul_f32_e64 v5, |v3|, s0
	v_floor_f32_e32 v5, v5
	v_fma_f32 v5, v5, s1, |v3|
	v_cvt_u32_f32_e32 v5, v5
	v_ashrrev_i32_e32 v3, 31, v3
	v_cmp_ne_u32_e32 vcc, 0, v1
	s_mov_b64 s[0:1], 0
	v_xor_b32_e32 v5, v5, v3
	v_sub_u32_e32 v3, v5, v3
	v_cndmask_b32_e32 v8, 0, v3, vcc
	s_branch .LBB7_1267
.LBB7_1266:
	s_mov_b64 s[0:1], -1
                                        ; implicit-def: $vgpr8
.LBB7_1267:
	s_mov_b64 s[12:13], 0
.LBB7_1268:
	s_and_b64 vcc, exec, s[12:13]
	s_cbranch_vccz .LBB7_1272
; %bb.1269:
	s_cmp_eq_u32 s15, 29
	s_cbranch_scc0 .LBB7_1271
; %bb.1270:
	global_load_dwordx2 v[8:9], v[12:13], off
	s_mov_b64 s[0:1], 0
	s_mov_b64 s[6:7], -1
	s_branch .LBB7_1272
.LBB7_1271:
	s_mov_b64 s[0:1], -1
                                        ; implicit-def: $vgpr8
.LBB7_1272:
	s_mov_b64 s[12:13], 0
.LBB7_1273:
	s_and_b64 vcc, exec, s[12:13]
	s_cbranch_vccz .LBB7_1289
; %bb.1274:
	s_cmp_lt_i32 s15, 27
	s_cbranch_scc1 .LBB7_1277
; %bb.1275:
	s_cmp_gt_i32 s15, 27
	s_cbranch_scc0 .LBB7_1278
; %bb.1276:
	global_load_dword v8, v[12:13], off
	s_mov_b64 s[6:7], 0
	s_branch .LBB7_1279
.LBB7_1277:
	s_mov_b64 s[6:7], -1
                                        ; implicit-def: $vgpr8
	s_branch .LBB7_1282
.LBB7_1278:
	s_mov_b64 s[6:7], -1
                                        ; implicit-def: $vgpr8
.LBB7_1279:
	s_andn2_b64 vcc, exec, s[6:7]
	s_cbranch_vccnz .LBB7_1281
; %bb.1280:
	global_load_ushort v8, v[12:13], off
.LBB7_1281:
	s_mov_b64 s[6:7], 0
.LBB7_1282:
	s_andn2_b64 vcc, exec, s[6:7]
	s_cbranch_vccnz .LBB7_1288
; %bb.1283:
	global_load_ubyte v1, v[12:13], off
	s_movk_i32 s6, 0x7f
	s_mov_b64 s[12:13], 0
	s_waitcnt vmcnt(0)
	v_cmp_lt_i16_e32 vcc, s6, v1
	s_and_saveexec_b64 s[6:7], vcc
	s_xor_b64 s[6:7], exec, s[6:7]
	s_cbranch_execz .LBB7_1299
; %bb.1284:
	s_movk_i32 s12, 0x80
	v_cmp_ne_u16_e32 vcc, s12, v1
	s_and_b64 s[12:13], vcc, exec
	s_andn2_saveexec_b64 s[6:7], s[6:7]
	s_cbranch_execnz .LBB7_1300
.LBB7_1285:
	s_or_b64 exec, exec, s[6:7]
	v_mov_b32_e32 v8, 0
	s_and_saveexec_b64 s[6:7], s[12:13]
	s_cbranch_execz .LBB7_1287
.LBB7_1286:
	v_lshlrev_b32_e32 v3, 24, v1
	v_and_b32_e32 v1, 0xffff, v1
	v_and_b32_e32 v5, 7, v1
	v_ffbh_u32_e32 v9, v5
	v_min_u32_e32 v9, 32, v9
	v_subrev_u32_e32 v14, 28, v9
	v_bfe_u32 v8, v1, 3, 4
	v_lshlrev_b32_e32 v1, v14, v1
	v_sub_u32_e32 v9, 29, v9
	v_and_b32_e32 v1, 7, v1
	v_cmp_eq_u32_e32 vcc, 0, v8
	v_cndmask_b32_e32 v8, v8, v9, vcc
	v_cndmask_b32_e32 v1, v5, v1, vcc
	v_mov_b32_e32 v5, 0x3b800000
	v_lshlrev_b32_e32 v1, 20, v1
	v_and_b32_e32 v3, 0x80000000, v3
	v_lshl_add_u32 v5, v8, 23, v5
	v_or3_b32 v1, v3, v5, v1
	v_trunc_f32_e32 v1, v1
	s_mov_b32 s12, 0x2f800000
	v_mul_f32_e64 v3, |v1|, s12
	v_floor_f32_e32 v3, v3
	s_mov_b32 s12, 0xcf800000
	v_fma_f32 v3, v3, s12, |v1|
	v_cvt_u32_f32_e32 v3, v3
	v_ashrrev_i32_e32 v1, 31, v1
	v_xor_b32_e32 v3, v3, v1
	v_sub_u32_e32 v8, v3, v1
.LBB7_1287:
	s_or_b64 exec, exec, s[6:7]
.LBB7_1288:
	s_mov_b64 s[6:7], -1
.LBB7_1289:
	s_branch .LBB7_1320
.LBB7_1290:
	s_cmp_gt_i32 s15, 22
	s_cbranch_scc0 .LBB7_1298
; %bb.1291:
	s_cmp_lt_i32 s15, 24
	s_cbranch_scc1 .LBB7_1301
; %bb.1292:
	s_cmp_gt_i32 s15, 24
	s_cbranch_scc0 .LBB7_1302
; %bb.1293:
	global_load_ubyte v1, v[12:13], off
	s_movk_i32 s4, 0x7f
	s_mov_b64 s[6:7], 0
	s_waitcnt vmcnt(0)
	v_cmp_lt_i16_e32 vcc, s4, v1
	s_and_saveexec_b64 s[4:5], vcc
	s_xor_b64 s[4:5], exec, s[4:5]
	s_cbranch_execz .LBB7_1314
; %bb.1294:
	s_movk_i32 s6, 0x80
	v_cmp_ne_u16_e32 vcc, s6, v1
	s_and_b64 s[6:7], vcc, exec
	s_andn2_saveexec_b64 s[4:5], s[4:5]
	s_cbranch_execnz .LBB7_1315
.LBB7_1295:
	s_or_b64 exec, exec, s[4:5]
	v_mov_b32_e32 v8, 0
	s_and_saveexec_b64 s[4:5], s[6:7]
	s_cbranch_execz .LBB7_1297
.LBB7_1296:
	v_lshlrev_b32_e32 v3, 24, v1
	v_and_b32_e32 v1, 0xffff, v1
	v_and_b32_e32 v5, 3, v1
	v_ffbh_u32_e32 v9, v5
	v_min_u32_e32 v9, 32, v9
	v_subrev_u32_e32 v14, 29, v9
	v_bfe_u32 v8, v1, 2, 5
	v_lshlrev_b32_e32 v1, v14, v1
	v_sub_u32_e32 v9, 30, v9
	v_and_b32_e32 v1, 3, v1
	v_cmp_eq_u32_e32 vcc, 0, v8
	v_cndmask_b32_e32 v8, v8, v9, vcc
	v_cndmask_b32_e32 v1, v5, v1, vcc
	v_mov_b32_e32 v5, 0x37800000
	v_lshlrev_b32_e32 v1, 21, v1
	v_and_b32_e32 v3, 0x80000000, v3
	v_lshl_add_u32 v5, v8, 23, v5
	v_or3_b32 v1, v3, v5, v1
	v_trunc_f32_e32 v1, v1
	s_mov_b32 s6, 0x2f800000
	v_mul_f32_e64 v3, |v1|, s6
	v_floor_f32_e32 v3, v3
	s_mov_b32 s6, 0xcf800000
	v_fma_f32 v3, v3, s6, |v1|
	v_cvt_u32_f32_e32 v3, v3
	v_ashrrev_i32_e32 v1, 31, v1
	v_xor_b32_e32 v3, v3, v1
	v_sub_u32_e32 v8, v3, v1
.LBB7_1297:
	s_or_b64 exec, exec, s[4:5]
	s_mov_b64 s[4:5], 0
	s_branch .LBB7_1303
.LBB7_1298:
	s_mov_b64 s[4:5], -1
                                        ; implicit-def: $vgpr8
	s_branch .LBB7_1309
.LBB7_1299:
	s_andn2_saveexec_b64 s[6:7], s[6:7]
	s_cbranch_execz .LBB7_1285
.LBB7_1300:
	v_cmp_ne_u16_e32 vcc, 0, v1
	s_andn2_b64 s[12:13], s[12:13], exec
	s_and_b64 s[16:17], vcc, exec
	s_or_b64 s[12:13], s[12:13], s[16:17]
	s_or_b64 exec, exec, s[6:7]
	v_mov_b32_e32 v8, 0
	s_and_saveexec_b64 s[6:7], s[12:13]
	s_cbranch_execnz .LBB7_1286
	s_branch .LBB7_1287
.LBB7_1301:
	s_mov_b64 s[4:5], -1
                                        ; implicit-def: $vgpr8
	s_branch .LBB7_1306
.LBB7_1302:
	s_mov_b64 s[4:5], -1
                                        ; implicit-def: $vgpr8
.LBB7_1303:
	s_and_b64 vcc, exec, s[4:5]
	s_cbranch_vccz .LBB7_1305
; %bb.1304:
	global_load_ubyte v1, v[12:13], off
	s_mov_b32 s4, 0x7f800000
	s_brev_b32 s5, 1
	s_mov_b32 s6, 0x2f800000
	s_waitcnt vmcnt(0)
	v_lshlrev_b32_e32 v1, 24, v1
	v_and_b32_e32 v3, 0x7f000000, v1
	v_ffbh_u32_e32 v5, v3
	v_min_u32_e32 v5, 32, v5
	v_sub_u32_e64 v5, v5, 4 clamp
	v_lshlrev_b32_e32 v9, v5, v3
	v_lshlrev_b32_e32 v5, 23, v5
	v_lshrrev_b32_e32 v9, 4, v9
	v_add_u32_e32 v8, 0x1000000, v3
	v_sub_u32_e32 v5, v9, v5
	v_ashrrev_i32_e32 v8, 8, v8
	v_add_u32_e32 v5, 0x3c000000, v5
	v_and_or_b32 v5, v8, s4, v5
	v_cmp_ne_u32_e32 vcc, 0, v3
	v_cndmask_b32_e32 v3, 0, v5, vcc
	v_and_or_b32 v1, v1, s5, v3
	v_trunc_f32_e32 v1, v1
	v_mul_f32_e64 v3, |v1|, s6
	v_floor_f32_e32 v3, v3
	s_mov_b32 s4, 0xcf800000
	v_fma_f32 v3, v3, s4, |v1|
	v_cvt_u32_f32_e32 v3, v3
	v_ashrrev_i32_e32 v1, 31, v1
	v_xor_b32_e32 v3, v3, v1
	v_sub_u32_e32 v8, v3, v1
.LBB7_1305:
	s_mov_b64 s[4:5], 0
.LBB7_1306:
	s_andn2_b64 vcc, exec, s[4:5]
	s_cbranch_vccnz .LBB7_1308
; %bb.1307:
	global_load_ubyte v1, v[12:13], off
	s_movk_i32 s4, 0x7f00
	s_brev_b32 s5, 16
	s_brev_b32 s6, 1
	s_mov_b32 s7, 0x2f800000
	s_waitcnt vmcnt(0)
	v_lshlrev_b16_e32 v3, 8, v1
	v_lshlrev_b32_e32 v1, 25, v1
	v_lshrrev_b32_e32 v5, 4, v1
	v_and_or_b32 v8, v3, s4, 0.5
	v_or_b32_e32 v5, 0x70000000, v5
	v_add_f32_e32 v8, -0.5, v8
	v_mul_f32_e32 v5, 0x7800000, v5
	v_cmp_gt_u32_e32 vcc, s5, v1
	v_bfe_i32 v3, v3, 0, 16
	v_cndmask_b32_e32 v1, v5, v8, vcc
	v_and_or_b32 v1, v3, s6, v1
	v_trunc_f32_e32 v1, v1
	v_mul_f32_e64 v3, |v1|, s7
	v_floor_f32_e32 v3, v3
	s_mov_b32 s4, 0xcf800000
	v_fma_f32 v3, v3, s4, |v1|
	v_cvt_u32_f32_e32 v3, v3
	v_ashrrev_i32_e32 v1, 31, v1
	v_xor_b32_e32 v3, v3, v1
	v_sub_u32_e32 v8, v3, v1
.LBB7_1308:
	s_mov_b64 s[4:5], 0
	s_mov_b64 s[6:7], -1
.LBB7_1309:
	s_andn2_b64 vcc, exec, s[4:5]
	s_mov_b64 s[4:5], 0
	s_cbranch_vccnz .LBB7_1320
; %bb.1310:
	s_cmp_gt_i32 s15, 14
	s_cbranch_scc0 .LBB7_1313
; %bb.1311:
	s_cmp_eq_u32 s15, 15
	s_cbranch_scc0 .LBB7_1316
; %bb.1312:
	global_load_ushort v1, v[12:13], off
	s_mov_b32 s0, 0x2f800000
	s_mov_b32 s1, 0xcf800000
	s_mov_b64 s[6:7], -1
	s_waitcnt vmcnt(0)
	v_lshlrev_b32_e32 v1, 16, v1
	v_trunc_f32_e32 v1, v1
	v_mul_f32_e64 v3, |v1|, s0
	v_floor_f32_e32 v3, v3
	v_fma_f32 v3, v3, s1, |v1|
	v_cvt_u32_f32_e32 v3, v3
	v_ashrrev_i32_e32 v1, 31, v1
	s_mov_b64 s[0:1], 0
	v_xor_b32_e32 v3, v3, v1
	v_sub_u32_e32 v8, v3, v1
	s_branch .LBB7_1317
.LBB7_1313:
	s_mov_b64 s[12:13], -1
                                        ; implicit-def: $vgpr8
	s_branch .LBB7_1318
.LBB7_1314:
	s_andn2_saveexec_b64 s[4:5], s[4:5]
	s_cbranch_execz .LBB7_1295
.LBB7_1315:
	v_cmp_ne_u16_e32 vcc, 0, v1
	s_andn2_b64 s[6:7], s[6:7], exec
	s_and_b64 s[12:13], vcc, exec
	s_or_b64 s[6:7], s[6:7], s[12:13]
	s_or_b64 exec, exec, s[4:5]
	v_mov_b32_e32 v8, 0
	s_and_saveexec_b64 s[4:5], s[6:7]
	s_cbranch_execnz .LBB7_1296
	s_branch .LBB7_1297
.LBB7_1316:
	s_mov_b64 s[0:1], -1
                                        ; implicit-def: $vgpr8
.LBB7_1317:
	s_mov_b64 s[12:13], 0
.LBB7_1318:
	s_and_b64 vcc, exec, s[12:13]
	s_cbranch_vccz .LBB7_1320
; %bb.1319:
	s_cmp_lg_u32 s15, 11
	s_mov_b64 s[4:5], -1
	s_cselect_b64 s[0:1], -1, 0
.LBB7_1320:
	s_and_b64 vcc, exec, s[0:1]
	s_cbranch_vccnz .LBB7_1383
; %bb.1321:
	s_andn2_b64 vcc, exec, s[4:5]
	s_cbranch_vccnz .LBB7_1323
.LBB7_1322:
	global_load_ubyte v1, v[12:13], off
	s_mov_b64 s[6:7], -1
	s_waitcnt vmcnt(0)
	v_cmp_ne_u16_e32 vcc, 0, v1
	v_cndmask_b32_e64 v8, 0, 1, vcc
.LBB7_1323:
	s_branch .LBB7_1254
.LBB7_1324:
	s_cmp_lt_i32 s15, 5
	s_cbranch_scc1 .LBB7_1329
; %bb.1325:
	s_cmp_lt_i32 s15, 8
	s_cbranch_scc1 .LBB7_1330
; %bb.1326:
	;; [unrolled: 3-line block ×3, first 2 shown]
	s_cmp_gt_i32 s15, 9
	s_cbranch_scc0 .LBB7_1332
; %bb.1328:
	global_load_dwordx2 v[8:9], v[12:13], off
	s_movk_i32 s0, 0xffe0
	s_waitcnt vmcnt(0)
	v_trunc_f64_e32 v[8:9], v[8:9]
	v_ldexp_f64 v[14:15], v[8:9], s0
	s_mov_b32 s0, 0
	s_mov_b32 s1, 0xc1f00000
	v_floor_f64_e32 v[14:15], v[14:15]
	v_fma_f64 v[8:9], v[14:15], s[0:1], v[8:9]
	s_mov_b64 s[0:1], 0
	v_cvt_u32_f64_e32 v8, v[8:9]
	s_branch .LBB7_1333
.LBB7_1329:
                                        ; implicit-def: $vgpr8
	s_branch .LBB7_1351
.LBB7_1330:
	s_mov_b64 s[0:1], -1
                                        ; implicit-def: $vgpr8
	s_branch .LBB7_1339
.LBB7_1331:
	s_mov_b64 s[0:1], -1
                                        ; implicit-def: $vgpr8
	s_branch .LBB7_1336
.LBB7_1332:
	s_mov_b64 s[0:1], -1
                                        ; implicit-def: $vgpr8
.LBB7_1333:
	s_andn2_b64 vcc, exec, s[0:1]
	s_cbranch_vccnz .LBB7_1335
; %bb.1334:
	global_load_dword v1, v[12:13], off
	s_mov_b32 s0, 0x2f800000
	s_waitcnt vmcnt(0)
	v_trunc_f32_e32 v1, v1
	v_mul_f32_e64 v3, |v1|, s0
	v_floor_f32_e32 v3, v3
	s_mov_b32 s0, 0xcf800000
	v_fma_f32 v3, v3, s0, |v1|
	v_cvt_u32_f32_e32 v3, v3
	v_ashrrev_i32_e32 v1, 31, v1
	v_xor_b32_e32 v3, v3, v1
	v_sub_u32_e32 v8, v3, v1
.LBB7_1335:
	s_mov_b64 s[0:1], 0
.LBB7_1336:
	s_andn2_b64 vcc, exec, s[0:1]
	s_cbranch_vccnz .LBB7_1338
; %bb.1337:
	global_load_dword v1, v[12:13], off
	s_waitcnt vmcnt(0)
	v_cvt_f32_f16_e32 v1, v1
	v_cvt_i32_f32_e32 v8, v1
.LBB7_1338:
	s_mov_b64 s[0:1], 0
.LBB7_1339:
	s_andn2_b64 vcc, exec, s[0:1]
	s_cbranch_vccnz .LBB7_1350
; %bb.1340:
	s_cmp_lt_i32 s15, 6
	s_cbranch_scc1 .LBB7_1343
; %bb.1341:
	s_cmp_gt_i32 s15, 6
	s_cbranch_scc0 .LBB7_1344
; %bb.1342:
	global_load_dwordx2 v[8:9], v[12:13], off
	s_movk_i32 s0, 0xffe0
	s_waitcnt vmcnt(0)
	v_trunc_f64_e32 v[8:9], v[8:9]
	v_ldexp_f64 v[14:15], v[8:9], s0
	s_mov_b32 s0, 0
	s_mov_b32 s1, 0xc1f00000
	v_floor_f64_e32 v[14:15], v[14:15]
	v_fma_f64 v[8:9], v[14:15], s[0:1], v[8:9]
	s_mov_b64 s[0:1], 0
	v_cvt_u32_f64_e32 v8, v[8:9]
	s_branch .LBB7_1345
.LBB7_1343:
	s_mov_b64 s[0:1], -1
                                        ; implicit-def: $vgpr8
	s_branch .LBB7_1348
.LBB7_1344:
	s_mov_b64 s[0:1], -1
                                        ; implicit-def: $vgpr8
.LBB7_1345:
	s_andn2_b64 vcc, exec, s[0:1]
	s_cbranch_vccnz .LBB7_1347
; %bb.1346:
	global_load_dword v1, v[12:13], off
	s_mov_b32 s0, 0x2f800000
	s_waitcnt vmcnt(0)
	v_trunc_f32_e32 v1, v1
	v_mul_f32_e64 v3, |v1|, s0
	v_floor_f32_e32 v3, v3
	s_mov_b32 s0, 0xcf800000
	v_fma_f32 v3, v3, s0, |v1|
	v_cvt_u32_f32_e32 v3, v3
	v_ashrrev_i32_e32 v1, 31, v1
	v_xor_b32_e32 v3, v3, v1
	v_sub_u32_e32 v8, v3, v1
.LBB7_1347:
	s_mov_b64 s[0:1], 0
.LBB7_1348:
	s_andn2_b64 vcc, exec, s[0:1]
	s_cbranch_vccnz .LBB7_1350
; %bb.1349:
	global_load_ushort v1, v[12:13], off
	s_waitcnt vmcnt(0)
	v_cvt_f32_f16_e32 v1, v1
	v_cvt_i32_f32_e32 v8, v1
.LBB7_1350:
	s_cbranch_execnz .LBB7_1370
.LBB7_1351:
	s_cmp_lt_i32 s15, 2
	s_cbranch_scc1 .LBB7_1355
; %bb.1352:
	s_cmp_lt_i32 s15, 3
	s_cbranch_scc1 .LBB7_1356
; %bb.1353:
	s_cmp_gt_i32 s15, 3
	s_cbranch_scc0 .LBB7_1357
; %bb.1354:
	global_load_dwordx2 v[8:9], v[12:13], off
	s_mov_b64 s[0:1], 0
	s_branch .LBB7_1358
.LBB7_1355:
	s_mov_b64 s[0:1], -1
                                        ; implicit-def: $vgpr8
	s_branch .LBB7_1364
.LBB7_1356:
	s_mov_b64 s[0:1], -1
                                        ; implicit-def: $vgpr8
	s_branch .LBB7_1361
.LBB7_1357:
	s_mov_b64 s[0:1], -1
                                        ; implicit-def: $vgpr8
.LBB7_1358:
	s_andn2_b64 vcc, exec, s[0:1]
	s_cbranch_vccnz .LBB7_1360
; %bb.1359:
	global_load_dword v8, v[12:13], off
.LBB7_1360:
	s_mov_b64 s[0:1], 0
.LBB7_1361:
	s_andn2_b64 vcc, exec, s[0:1]
	s_cbranch_vccnz .LBB7_1363
; %bb.1362:
	global_load_ushort v8, v[12:13], off
.LBB7_1363:
	s_mov_b64 s[0:1], 0
.LBB7_1364:
	s_andn2_b64 vcc, exec, s[0:1]
	s_cbranch_vccnz .LBB7_1370
; %bb.1365:
	s_cmp_gt_i32 s15, 0
	s_cbranch_scc0 .LBB7_1367
; %bb.1366:
	global_load_ubyte v8, v[12:13], off
	s_mov_b64 s[0:1], 0
	s_branch .LBB7_1368
.LBB7_1367:
	s_mov_b64 s[0:1], -1
                                        ; implicit-def: $vgpr8
.LBB7_1368:
	s_andn2_b64 vcc, exec, s[0:1]
	s_cbranch_vccnz .LBB7_1370
; %bb.1369:
	global_load_ubyte v8, v[12:13], off
.LBB7_1370:
.LBB7_1371:
	v_mov_b32_e32 v1, s11
	v_add_co_u32_e32 v12, vcc, s10, v10
	s_cmp_lt_i32 s15, 11
	v_addc_co_u32_e32 v13, vcc, 0, v1, vcc
	s_cbranch_scc1 .LBB7_1378
; %bb.1372:
	s_cmp_gt_i32 s15, 25
	s_mov_b64 s[4:5], 0
	s_cbranch_scc0 .LBB7_1380
; %bb.1373:
	s_cmp_gt_i32 s15, 28
	s_cbranch_scc0 .LBB7_1381
; %bb.1374:
	s_cmp_gt_i32 s15, 43
	;; [unrolled: 3-line block ×3, first 2 shown]
	s_cbranch_scc0 .LBB7_1384
; %bb.1376:
	s_cmp_eq_u32 s15, 46
	s_mov_b64 s[12:13], 0
	s_cbranch_scc0 .LBB7_1385
; %bb.1377:
	global_load_dword v1, v[12:13], off
	s_mov_b32 s0, 0x2f800000
	s_mov_b32 s1, 0xcf800000
	s_mov_b64 s[6:7], -1
	s_waitcnt vmcnt(0)
	v_lshlrev_b32_e32 v1, 16, v1
	v_trunc_f32_e32 v1, v1
	v_mul_f32_e64 v3, |v1|, s0
	v_floor_f32_e32 v3, v3
	v_fma_f32 v3, v3, s1, |v1|
	v_cvt_u32_f32_e32 v3, v3
	v_ashrrev_i32_e32 v1, 31, v1
	s_mov_b64 s[0:1], 0
	v_xor_b32_e32 v3, v3, v1
	v_sub_u32_e32 v9, v3, v1
	s_branch .LBB7_1386
.LBB7_1378:
	s_mov_b64 s[6:7], 0
                                        ; implicit-def: $vgpr9
	s_cbranch_execnz .LBB7_1448
.LBB7_1379:
	s_andn2_b64 vcc, exec, s[6:7]
	s_cbranch_vccnz .LBB7_2055
	s_branch .LBB7_1496
.LBB7_1380:
	s_mov_b64 s[12:13], -1
	s_mov_b64 s[6:7], 0
	s_mov_b64 s[0:1], 0
                                        ; implicit-def: $vgpr9
	s_branch .LBB7_1413
.LBB7_1381:
	s_mov_b64 s[12:13], -1
	s_mov_b64 s[6:7], 0
	s_mov_b64 s[0:1], 0
                                        ; implicit-def: $vgpr9
	s_branch .LBB7_1396
.LBB7_1382:
	s_mov_b64 s[12:13], -1
	s_mov_b64 s[6:7], 0
	s_mov_b64 s[0:1], 0
                                        ; implicit-def: $vgpr9
	s_branch .LBB7_1391
.LBB7_1383:
	s_trap 2
	s_or_b64 s[2:3], s[2:3], exec
	s_cbranch_execz .LBB7_1322
	s_branch .LBB7_1323
.LBB7_1384:
	s_mov_b64 s[12:13], -1
	s_mov_b64 s[6:7], 0
	s_mov_b64 s[0:1], 0
                                        ; implicit-def: $vgpr9
	s_branch .LBB7_1386
.LBB7_1385:
	s_mov_b64 s[0:1], -1
                                        ; implicit-def: $vgpr9
	s_mov_b64 s[6:7], 0
.LBB7_1386:
	s_and_b64 vcc, exec, s[12:13]
	s_cbranch_vccz .LBB7_1390
; %bb.1387:
	s_cmp_eq_u32 s15, 44
	s_cbranch_scc0 .LBB7_1389
; %bb.1388:
	global_load_ubyte v1, v[12:13], off
	s_mov_b32 s0, 0x2f800000
	s_mov_b32 s1, 0xcf800000
	s_mov_b64 s[6:7], -1
	s_waitcnt vmcnt(0)
	v_lshlrev_b32_e32 v3, 23, v1
	v_trunc_f32_e32 v3, v3
	v_mul_f32_e64 v5, |v3|, s0
	v_floor_f32_e32 v5, v5
	v_fma_f32 v5, v5, s1, |v3|
	v_cvt_u32_f32_e32 v5, v5
	v_ashrrev_i32_e32 v3, 31, v3
	v_cmp_ne_u32_e32 vcc, 0, v1
	s_mov_b64 s[0:1], 0
	v_xor_b32_e32 v5, v5, v3
	v_sub_u32_e32 v3, v5, v3
	v_cndmask_b32_e32 v9, 0, v3, vcc
	s_branch .LBB7_1390
.LBB7_1389:
	s_mov_b64 s[0:1], -1
                                        ; implicit-def: $vgpr9
.LBB7_1390:
	s_mov_b64 s[12:13], 0
.LBB7_1391:
	s_and_b64 vcc, exec, s[12:13]
	s_cbranch_vccz .LBB7_1395
; %bb.1392:
	s_cmp_eq_u32 s15, 29
	s_cbranch_scc0 .LBB7_1394
; %bb.1393:
	global_load_dwordx2 v[9:10], v[12:13], off
	s_mov_b64 s[0:1], 0
	s_mov_b64 s[6:7], -1
	s_branch .LBB7_1395
.LBB7_1394:
	s_mov_b64 s[0:1], -1
                                        ; implicit-def: $vgpr9
.LBB7_1395:
	s_mov_b64 s[12:13], 0
.LBB7_1396:
	s_and_b64 vcc, exec, s[12:13]
	s_cbranch_vccz .LBB7_1412
; %bb.1397:
	s_cmp_lt_i32 s15, 27
	s_cbranch_scc1 .LBB7_1400
; %bb.1398:
	s_cmp_gt_i32 s15, 27
	s_cbranch_scc0 .LBB7_1401
; %bb.1399:
	global_load_dword v9, v[12:13], off
	s_mov_b64 s[6:7], 0
	s_branch .LBB7_1402
.LBB7_1400:
	s_mov_b64 s[6:7], -1
                                        ; implicit-def: $vgpr9
	s_branch .LBB7_1405
.LBB7_1401:
	s_mov_b64 s[6:7], -1
                                        ; implicit-def: $vgpr9
.LBB7_1402:
	s_andn2_b64 vcc, exec, s[6:7]
	s_cbranch_vccnz .LBB7_1404
; %bb.1403:
	global_load_ushort v9, v[12:13], off
.LBB7_1404:
	s_mov_b64 s[6:7], 0
.LBB7_1405:
	s_andn2_b64 vcc, exec, s[6:7]
	s_cbranch_vccnz .LBB7_1411
; %bb.1406:
	global_load_ubyte v1, v[12:13], off
	s_movk_i32 s6, 0x7f
	s_mov_b64 s[12:13], 0
	s_waitcnt vmcnt(0)
	v_cmp_lt_i16_e32 vcc, s6, v1
	s_and_saveexec_b64 s[6:7], vcc
	s_xor_b64 s[6:7], exec, s[6:7]
	s_cbranch_execz .LBB7_1423
; %bb.1407:
	s_movk_i32 s12, 0x80
	v_cmp_ne_u16_e32 vcc, s12, v1
	s_and_b64 s[12:13], vcc, exec
	s_andn2_saveexec_b64 s[6:7], s[6:7]
	s_cbranch_execnz .LBB7_1424
.LBB7_1408:
	s_or_b64 exec, exec, s[6:7]
	v_mov_b32_e32 v9, 0
	s_and_saveexec_b64 s[6:7], s[12:13]
	s_cbranch_execz .LBB7_1410
.LBB7_1409:
	v_lshlrev_b32_e32 v3, 24, v1
	v_and_b32_e32 v1, 0xffff, v1
	v_and_b32_e32 v5, 7, v1
	v_ffbh_u32_e32 v10, v5
	v_min_u32_e32 v10, 32, v10
	v_subrev_u32_e32 v14, 28, v10
	v_bfe_u32 v9, v1, 3, 4
	v_lshlrev_b32_e32 v1, v14, v1
	v_sub_u32_e32 v10, 29, v10
	v_and_b32_e32 v1, 7, v1
	v_cmp_eq_u32_e32 vcc, 0, v9
	v_cndmask_b32_e32 v9, v9, v10, vcc
	v_cndmask_b32_e32 v1, v5, v1, vcc
	v_mov_b32_e32 v5, 0x3b800000
	v_lshlrev_b32_e32 v1, 20, v1
	v_and_b32_e32 v3, 0x80000000, v3
	v_lshl_add_u32 v5, v9, 23, v5
	v_or3_b32 v1, v3, v5, v1
	v_trunc_f32_e32 v1, v1
	s_mov_b32 s12, 0x2f800000
	v_mul_f32_e64 v3, |v1|, s12
	v_floor_f32_e32 v3, v3
	s_mov_b32 s12, 0xcf800000
	v_fma_f32 v3, v3, s12, |v1|
	v_cvt_u32_f32_e32 v3, v3
	v_ashrrev_i32_e32 v1, 31, v1
	v_xor_b32_e32 v3, v3, v1
	v_sub_u32_e32 v9, v3, v1
.LBB7_1410:
	s_or_b64 exec, exec, s[6:7]
.LBB7_1411:
	s_mov_b64 s[6:7], -1
.LBB7_1412:
	s_mov_b64 s[12:13], 0
.LBB7_1413:
	s_and_b64 vcc, exec, s[12:13]
	s_cbranch_vccz .LBB7_1444
; %bb.1414:
	s_cmp_gt_i32 s15, 22
	s_cbranch_scc0 .LBB7_1422
; %bb.1415:
	s_cmp_lt_i32 s15, 24
	s_cbranch_scc1 .LBB7_1425
; %bb.1416:
	s_cmp_gt_i32 s15, 24
	s_cbranch_scc0 .LBB7_1426
; %bb.1417:
	global_load_ubyte v1, v[12:13], off
	s_movk_i32 s4, 0x7f
	s_mov_b64 s[6:7], 0
	s_waitcnt vmcnt(0)
	v_cmp_lt_i16_e32 vcc, s4, v1
	s_and_saveexec_b64 s[4:5], vcc
	s_xor_b64 s[4:5], exec, s[4:5]
	s_cbranch_execz .LBB7_1438
; %bb.1418:
	s_movk_i32 s6, 0x80
	v_cmp_ne_u16_e32 vcc, s6, v1
	s_and_b64 s[6:7], vcc, exec
	s_andn2_saveexec_b64 s[4:5], s[4:5]
	s_cbranch_execnz .LBB7_1439
.LBB7_1419:
	s_or_b64 exec, exec, s[4:5]
	v_mov_b32_e32 v9, 0
	s_and_saveexec_b64 s[4:5], s[6:7]
	s_cbranch_execz .LBB7_1421
.LBB7_1420:
	v_lshlrev_b32_e32 v3, 24, v1
	v_and_b32_e32 v1, 0xffff, v1
	v_and_b32_e32 v5, 3, v1
	v_ffbh_u32_e32 v10, v5
	v_min_u32_e32 v10, 32, v10
	v_subrev_u32_e32 v14, 29, v10
	v_bfe_u32 v9, v1, 2, 5
	v_lshlrev_b32_e32 v1, v14, v1
	v_sub_u32_e32 v10, 30, v10
	v_and_b32_e32 v1, 3, v1
	v_cmp_eq_u32_e32 vcc, 0, v9
	v_cndmask_b32_e32 v9, v9, v10, vcc
	v_cndmask_b32_e32 v1, v5, v1, vcc
	v_mov_b32_e32 v5, 0x37800000
	v_lshlrev_b32_e32 v1, 21, v1
	v_and_b32_e32 v3, 0x80000000, v3
	v_lshl_add_u32 v5, v9, 23, v5
	v_or3_b32 v1, v3, v5, v1
	v_trunc_f32_e32 v1, v1
	s_mov_b32 s6, 0x2f800000
	v_mul_f32_e64 v3, |v1|, s6
	v_floor_f32_e32 v3, v3
	s_mov_b32 s6, 0xcf800000
	v_fma_f32 v3, v3, s6, |v1|
	v_cvt_u32_f32_e32 v3, v3
	v_ashrrev_i32_e32 v1, 31, v1
	v_xor_b32_e32 v3, v3, v1
	v_sub_u32_e32 v9, v3, v1
.LBB7_1421:
	s_or_b64 exec, exec, s[4:5]
	s_mov_b64 s[4:5], 0
	s_branch .LBB7_1427
.LBB7_1422:
	s_mov_b64 s[4:5], -1
                                        ; implicit-def: $vgpr9
	s_branch .LBB7_1433
.LBB7_1423:
	s_andn2_saveexec_b64 s[6:7], s[6:7]
	s_cbranch_execz .LBB7_1408
.LBB7_1424:
	v_cmp_ne_u16_e32 vcc, 0, v1
	s_andn2_b64 s[12:13], s[12:13], exec
	s_and_b64 s[16:17], vcc, exec
	s_or_b64 s[12:13], s[12:13], s[16:17]
	s_or_b64 exec, exec, s[6:7]
	v_mov_b32_e32 v9, 0
	s_and_saveexec_b64 s[6:7], s[12:13]
	s_cbranch_execnz .LBB7_1409
	s_branch .LBB7_1410
.LBB7_1425:
	s_mov_b64 s[4:5], -1
                                        ; implicit-def: $vgpr9
	s_branch .LBB7_1430
.LBB7_1426:
	s_mov_b64 s[4:5], -1
                                        ; implicit-def: $vgpr9
.LBB7_1427:
	s_and_b64 vcc, exec, s[4:5]
	s_cbranch_vccz .LBB7_1429
; %bb.1428:
	global_load_ubyte v1, v[12:13], off
	s_mov_b32 s4, 0x7f800000
	s_brev_b32 s5, 1
	s_mov_b32 s6, 0x2f800000
	s_waitcnt vmcnt(0)
	v_lshlrev_b32_e32 v1, 24, v1
	v_and_b32_e32 v3, 0x7f000000, v1
	v_ffbh_u32_e32 v5, v3
	v_min_u32_e32 v5, 32, v5
	v_sub_u32_e64 v5, v5, 4 clamp
	v_lshlrev_b32_e32 v10, v5, v3
	v_lshlrev_b32_e32 v5, 23, v5
	v_lshrrev_b32_e32 v10, 4, v10
	v_add_u32_e32 v9, 0x1000000, v3
	v_sub_u32_e32 v5, v10, v5
	v_ashrrev_i32_e32 v9, 8, v9
	v_add_u32_e32 v5, 0x3c000000, v5
	v_and_or_b32 v5, v9, s4, v5
	v_cmp_ne_u32_e32 vcc, 0, v3
	v_cndmask_b32_e32 v3, 0, v5, vcc
	v_and_or_b32 v1, v1, s5, v3
	v_trunc_f32_e32 v1, v1
	v_mul_f32_e64 v3, |v1|, s6
	v_floor_f32_e32 v3, v3
	s_mov_b32 s4, 0xcf800000
	v_fma_f32 v3, v3, s4, |v1|
	v_cvt_u32_f32_e32 v3, v3
	v_ashrrev_i32_e32 v1, 31, v1
	v_xor_b32_e32 v3, v3, v1
	v_sub_u32_e32 v9, v3, v1
.LBB7_1429:
	s_mov_b64 s[4:5], 0
.LBB7_1430:
	s_andn2_b64 vcc, exec, s[4:5]
	s_cbranch_vccnz .LBB7_1432
; %bb.1431:
	global_load_ubyte v1, v[12:13], off
	s_movk_i32 s4, 0x7f00
	s_brev_b32 s5, 16
	s_brev_b32 s6, 1
	s_mov_b32 s7, 0x2f800000
	s_waitcnt vmcnt(0)
	v_lshlrev_b16_e32 v3, 8, v1
	v_lshlrev_b32_e32 v1, 25, v1
	v_lshrrev_b32_e32 v5, 4, v1
	v_and_or_b32 v9, v3, s4, 0.5
	v_or_b32_e32 v5, 0x70000000, v5
	v_add_f32_e32 v9, -0.5, v9
	v_mul_f32_e32 v5, 0x7800000, v5
	v_cmp_gt_u32_e32 vcc, s5, v1
	v_bfe_i32 v3, v3, 0, 16
	v_cndmask_b32_e32 v1, v5, v9, vcc
	v_and_or_b32 v1, v3, s6, v1
	v_trunc_f32_e32 v1, v1
	v_mul_f32_e64 v3, |v1|, s7
	v_floor_f32_e32 v3, v3
	s_mov_b32 s4, 0xcf800000
	v_fma_f32 v3, v3, s4, |v1|
	v_cvt_u32_f32_e32 v3, v3
	v_ashrrev_i32_e32 v1, 31, v1
	v_xor_b32_e32 v3, v3, v1
	v_sub_u32_e32 v9, v3, v1
.LBB7_1432:
	s_mov_b64 s[4:5], 0
	s_mov_b64 s[6:7], -1
.LBB7_1433:
	s_andn2_b64 vcc, exec, s[4:5]
	s_mov_b64 s[4:5], 0
	s_cbranch_vccnz .LBB7_1444
; %bb.1434:
	s_cmp_gt_i32 s15, 14
	s_cbranch_scc0 .LBB7_1437
; %bb.1435:
	s_cmp_eq_u32 s15, 15
	s_cbranch_scc0 .LBB7_1440
; %bb.1436:
	global_load_ushort v1, v[12:13], off
	s_mov_b32 s0, 0x2f800000
	s_mov_b32 s1, 0xcf800000
	s_mov_b64 s[6:7], -1
	s_waitcnt vmcnt(0)
	v_lshlrev_b32_e32 v1, 16, v1
	v_trunc_f32_e32 v1, v1
	v_mul_f32_e64 v3, |v1|, s0
	v_floor_f32_e32 v3, v3
	v_fma_f32 v3, v3, s1, |v1|
	v_cvt_u32_f32_e32 v3, v3
	v_ashrrev_i32_e32 v1, 31, v1
	s_mov_b64 s[0:1], 0
	v_xor_b32_e32 v3, v3, v1
	v_sub_u32_e32 v9, v3, v1
	s_branch .LBB7_1441
.LBB7_1437:
	s_mov_b64 s[12:13], -1
                                        ; implicit-def: $vgpr9
	s_branch .LBB7_1442
.LBB7_1438:
	s_andn2_saveexec_b64 s[4:5], s[4:5]
	s_cbranch_execz .LBB7_1419
.LBB7_1439:
	v_cmp_ne_u16_e32 vcc, 0, v1
	s_andn2_b64 s[6:7], s[6:7], exec
	s_and_b64 s[12:13], vcc, exec
	s_or_b64 s[6:7], s[6:7], s[12:13]
	s_or_b64 exec, exec, s[4:5]
	v_mov_b32_e32 v9, 0
	s_and_saveexec_b64 s[4:5], s[6:7]
	s_cbranch_execnz .LBB7_1420
	s_branch .LBB7_1421
.LBB7_1440:
	s_mov_b64 s[0:1], -1
                                        ; implicit-def: $vgpr9
.LBB7_1441:
	s_mov_b64 s[12:13], 0
.LBB7_1442:
	s_and_b64 vcc, exec, s[12:13]
	s_cbranch_vccz .LBB7_1444
; %bb.1443:
	s_cmp_lg_u32 s15, 11
	s_mov_b64 s[4:5], -1
	s_cselect_b64 s[0:1], -1, 0
.LBB7_1444:
	s_and_b64 vcc, exec, s[0:1]
	s_cbranch_vccnz .LBB7_1507
; %bb.1445:
	s_andn2_b64 vcc, exec, s[4:5]
	s_cbranch_vccnz .LBB7_1447
.LBB7_1446:
	global_load_ubyte v1, v[12:13], off
	s_mov_b64 s[6:7], -1
	s_waitcnt vmcnt(0)
	v_cmp_ne_u16_e32 vcc, 0, v1
	v_cndmask_b32_e64 v9, 0, 1, vcc
.LBB7_1447:
	s_branch .LBB7_1379
.LBB7_1448:
	s_cmp_lt_i32 s15, 5
	s_cbranch_scc1 .LBB7_1453
; %bb.1449:
	s_cmp_lt_i32 s15, 8
	s_cbranch_scc1 .LBB7_1454
; %bb.1450:
	;; [unrolled: 3-line block ×3, first 2 shown]
	s_cmp_gt_i32 s15, 9
	s_cbranch_scc0 .LBB7_1456
; %bb.1452:
	global_load_dwordx2 v[9:10], v[12:13], off
	s_movk_i32 s0, 0xffe0
	s_waitcnt vmcnt(0)
	v_trunc_f64_e32 v[9:10], v[9:10]
	v_ldexp_f64 v[14:15], v[9:10], s0
	s_mov_b32 s0, 0
	s_mov_b32 s1, 0xc1f00000
	v_floor_f64_e32 v[14:15], v[14:15]
	v_fma_f64 v[9:10], v[14:15], s[0:1], v[9:10]
	s_mov_b64 s[0:1], 0
	v_cvt_u32_f64_e32 v9, v[9:10]
	s_branch .LBB7_1457
.LBB7_1453:
	s_mov_b64 s[0:1], -1
                                        ; implicit-def: $vgpr9
	s_branch .LBB7_1475
.LBB7_1454:
	s_mov_b64 s[0:1], -1
                                        ; implicit-def: $vgpr9
	s_branch .LBB7_1463
.LBB7_1455:
	s_mov_b64 s[0:1], -1
                                        ; implicit-def: $vgpr9
	s_branch .LBB7_1460
.LBB7_1456:
	s_mov_b64 s[0:1], -1
                                        ; implicit-def: $vgpr9
.LBB7_1457:
	s_andn2_b64 vcc, exec, s[0:1]
	s_cbranch_vccnz .LBB7_1459
; %bb.1458:
	global_load_dword v1, v[12:13], off
	s_mov_b32 s0, 0x2f800000
	s_waitcnt vmcnt(0)
	v_trunc_f32_e32 v1, v1
	v_mul_f32_e64 v3, |v1|, s0
	v_floor_f32_e32 v3, v3
	s_mov_b32 s0, 0xcf800000
	v_fma_f32 v3, v3, s0, |v1|
	v_cvt_u32_f32_e32 v3, v3
	v_ashrrev_i32_e32 v1, 31, v1
	v_xor_b32_e32 v3, v3, v1
	v_sub_u32_e32 v9, v3, v1
.LBB7_1459:
	s_mov_b64 s[0:1], 0
.LBB7_1460:
	s_andn2_b64 vcc, exec, s[0:1]
	s_cbranch_vccnz .LBB7_1462
; %bb.1461:
	global_load_dword v1, v[12:13], off
	s_waitcnt vmcnt(0)
	v_cvt_f32_f16_e32 v1, v1
	v_cvt_i32_f32_e32 v9, v1
.LBB7_1462:
	s_mov_b64 s[0:1], 0
.LBB7_1463:
	s_andn2_b64 vcc, exec, s[0:1]
	s_cbranch_vccnz .LBB7_1474
; %bb.1464:
	s_cmp_lt_i32 s15, 6
	s_cbranch_scc1 .LBB7_1467
; %bb.1465:
	s_cmp_gt_i32 s15, 6
	s_cbranch_scc0 .LBB7_1468
; %bb.1466:
	global_load_dwordx2 v[9:10], v[12:13], off
	s_movk_i32 s0, 0xffe0
	s_waitcnt vmcnt(0)
	v_trunc_f64_e32 v[9:10], v[9:10]
	v_ldexp_f64 v[14:15], v[9:10], s0
	s_mov_b32 s0, 0
	s_mov_b32 s1, 0xc1f00000
	v_floor_f64_e32 v[14:15], v[14:15]
	v_fma_f64 v[9:10], v[14:15], s[0:1], v[9:10]
	s_mov_b64 s[0:1], 0
	v_cvt_u32_f64_e32 v9, v[9:10]
	s_branch .LBB7_1469
.LBB7_1467:
	s_mov_b64 s[0:1], -1
                                        ; implicit-def: $vgpr9
	s_branch .LBB7_1472
.LBB7_1468:
	s_mov_b64 s[0:1], -1
                                        ; implicit-def: $vgpr9
.LBB7_1469:
	s_andn2_b64 vcc, exec, s[0:1]
	s_cbranch_vccnz .LBB7_1471
; %bb.1470:
	global_load_dword v1, v[12:13], off
	s_mov_b32 s0, 0x2f800000
	s_waitcnt vmcnt(0)
	v_trunc_f32_e32 v1, v1
	v_mul_f32_e64 v3, |v1|, s0
	v_floor_f32_e32 v3, v3
	s_mov_b32 s0, 0xcf800000
	v_fma_f32 v3, v3, s0, |v1|
	v_cvt_u32_f32_e32 v3, v3
	v_ashrrev_i32_e32 v1, 31, v1
	v_xor_b32_e32 v3, v3, v1
	v_sub_u32_e32 v9, v3, v1
.LBB7_1471:
	s_mov_b64 s[0:1], 0
.LBB7_1472:
	s_andn2_b64 vcc, exec, s[0:1]
	s_cbranch_vccnz .LBB7_1474
; %bb.1473:
	global_load_ushort v1, v[12:13], off
	s_waitcnt vmcnt(0)
	v_cvt_f32_f16_e32 v1, v1
	v_cvt_i32_f32_e32 v9, v1
.LBB7_1474:
	s_mov_b64 s[0:1], 0
.LBB7_1475:
	s_andn2_b64 vcc, exec, s[0:1]
	s_cbranch_vccnz .LBB7_1495
; %bb.1476:
	s_cmp_lt_i32 s15, 2
	s_cbranch_scc1 .LBB7_1480
; %bb.1477:
	s_cmp_lt_i32 s15, 3
	s_cbranch_scc1 .LBB7_1481
; %bb.1478:
	s_cmp_gt_i32 s15, 3
	s_cbranch_scc0 .LBB7_1482
; %bb.1479:
	global_load_dwordx2 v[9:10], v[12:13], off
	s_mov_b64 s[0:1], 0
	s_branch .LBB7_1483
.LBB7_1480:
	s_mov_b64 s[0:1], -1
                                        ; implicit-def: $vgpr9
	s_branch .LBB7_1489
.LBB7_1481:
	s_mov_b64 s[0:1], -1
                                        ; implicit-def: $vgpr9
	s_branch .LBB7_1486
.LBB7_1482:
	s_mov_b64 s[0:1], -1
                                        ; implicit-def: $vgpr9
.LBB7_1483:
	s_andn2_b64 vcc, exec, s[0:1]
	s_cbranch_vccnz .LBB7_1485
; %bb.1484:
	global_load_dword v9, v[12:13], off
.LBB7_1485:
	s_mov_b64 s[0:1], 0
.LBB7_1486:
	s_andn2_b64 vcc, exec, s[0:1]
	s_cbranch_vccnz .LBB7_1488
; %bb.1487:
	global_load_ushort v9, v[12:13], off
.LBB7_1488:
	s_mov_b64 s[0:1], 0
.LBB7_1489:
	s_andn2_b64 vcc, exec, s[0:1]
	s_cbranch_vccnz .LBB7_1495
; %bb.1490:
	s_cmp_gt_i32 s15, 0
	s_cbranch_scc0 .LBB7_1492
; %bb.1491:
	global_load_ubyte v9, v[12:13], off
	s_mov_b64 s[0:1], 0
	s_branch .LBB7_1493
.LBB7_1492:
	s_mov_b64 s[0:1], -1
                                        ; implicit-def: $vgpr9
.LBB7_1493:
	s_andn2_b64 vcc, exec, s[0:1]
	s_cbranch_vccnz .LBB7_1495
; %bb.1494:
	global_load_ubyte v9, v[12:13], off
.LBB7_1495:
.LBB7_1496:
	v_mov_b32_e32 v1, s11
	v_add_co_u32_e32 v12, vcc, s10, v11
	s_cmp_lt_i32 s15, 11
	v_addc_co_u32_e32 v13, vcc, 0, v1, vcc
	s_cbranch_scc1 .LBB7_1503
; %bb.1497:
	s_cmp_gt_i32 s15, 25
	s_mov_b64 s[4:5], 0
	s_cbranch_scc0 .LBB7_1504
; %bb.1498:
	s_cmp_gt_i32 s15, 28
	s_cbranch_scc0 .LBB7_1505
; %bb.1499:
	s_cmp_gt_i32 s15, 43
	;; [unrolled: 3-line block ×3, first 2 shown]
	s_cbranch_scc0 .LBB7_1508
; %bb.1501:
	s_cmp_eq_u32 s15, 46
	s_mov_b64 s[10:11], 0
	s_cbranch_scc0 .LBB7_1509
; %bb.1502:
	global_load_dword v1, v[12:13], off
	s_mov_b32 s0, 0x2f800000
	s_mov_b32 s1, 0xcf800000
	s_mov_b64 s[6:7], -1
	s_waitcnt vmcnt(0)
	v_lshlrev_b32_e32 v1, 16, v1
	v_trunc_f32_e32 v1, v1
	v_mul_f32_e64 v3, |v1|, s0
	v_floor_f32_e32 v3, v3
	v_fma_f32 v3, v3, s1, |v1|
	v_cvt_u32_f32_e32 v3, v3
	v_ashrrev_i32_e32 v1, 31, v1
	s_mov_b64 s[0:1], 0
	v_xor_b32_e32 v3, v3, v1
	v_sub_u32_e32 v10, v3, v1
	s_branch .LBB7_1510
.LBB7_1503:
	s_mov_b64 s[0:1], -1
	s_mov_b64 s[6:7], 0
                                        ; implicit-def: $vgpr10
	s_branch .LBB7_1572
.LBB7_1504:
	s_mov_b64 s[10:11], -1
	s_mov_b64 s[6:7], 0
	s_mov_b64 s[0:1], 0
                                        ; implicit-def: $vgpr10
	s_branch .LBB7_1537
.LBB7_1505:
	s_mov_b64 s[10:11], -1
	s_mov_b64 s[6:7], 0
	s_mov_b64 s[0:1], 0
                                        ; implicit-def: $vgpr10
	s_branch .LBB7_1520
.LBB7_1506:
	s_mov_b64 s[10:11], -1
	s_mov_b64 s[6:7], 0
	s_mov_b64 s[0:1], 0
                                        ; implicit-def: $vgpr10
	s_branch .LBB7_1515
.LBB7_1507:
	s_trap 2
	s_or_b64 s[2:3], s[2:3], exec
	s_cbranch_execz .LBB7_1446
	s_branch .LBB7_1447
.LBB7_1508:
	s_mov_b64 s[10:11], -1
	s_mov_b64 s[6:7], 0
	s_mov_b64 s[0:1], 0
                                        ; implicit-def: $vgpr10
	s_branch .LBB7_1510
.LBB7_1509:
	s_mov_b64 s[0:1], -1
                                        ; implicit-def: $vgpr10
	s_mov_b64 s[6:7], 0
.LBB7_1510:
	s_and_b64 vcc, exec, s[10:11]
	s_cbranch_vccz .LBB7_1514
; %bb.1511:
	s_cmp_eq_u32 s15, 44
	s_cbranch_scc0 .LBB7_1513
; %bb.1512:
	global_load_ubyte v1, v[12:13], off
	s_mov_b32 s0, 0x2f800000
	s_mov_b32 s1, 0xcf800000
	s_mov_b64 s[6:7], -1
	s_waitcnt vmcnt(0)
	v_lshlrev_b32_e32 v3, 23, v1
	v_trunc_f32_e32 v3, v3
	v_mul_f32_e64 v5, |v3|, s0
	v_floor_f32_e32 v5, v5
	v_fma_f32 v5, v5, s1, |v3|
	v_cvt_u32_f32_e32 v5, v5
	v_ashrrev_i32_e32 v3, 31, v3
	v_cmp_ne_u32_e32 vcc, 0, v1
	s_mov_b64 s[0:1], 0
	v_xor_b32_e32 v5, v5, v3
	v_sub_u32_e32 v3, v5, v3
	v_cndmask_b32_e32 v10, 0, v3, vcc
	s_branch .LBB7_1514
.LBB7_1513:
	s_mov_b64 s[0:1], -1
                                        ; implicit-def: $vgpr10
.LBB7_1514:
	s_mov_b64 s[10:11], 0
.LBB7_1515:
	s_and_b64 vcc, exec, s[10:11]
	s_cbranch_vccz .LBB7_1519
; %bb.1516:
	s_cmp_eq_u32 s15, 29
	s_cbranch_scc0 .LBB7_1518
; %bb.1517:
	global_load_dwordx2 v[10:11], v[12:13], off
	s_mov_b64 s[0:1], 0
	s_mov_b64 s[6:7], -1
	s_branch .LBB7_1519
.LBB7_1518:
	s_mov_b64 s[0:1], -1
                                        ; implicit-def: $vgpr10
.LBB7_1519:
	s_mov_b64 s[10:11], 0
.LBB7_1520:
	s_and_b64 vcc, exec, s[10:11]
	s_cbranch_vccz .LBB7_1536
; %bb.1521:
	s_cmp_lt_i32 s15, 27
	s_cbranch_scc1 .LBB7_1524
; %bb.1522:
	s_cmp_gt_i32 s15, 27
	s_cbranch_scc0 .LBB7_1525
; %bb.1523:
	global_load_dword v10, v[12:13], off
	s_mov_b64 s[6:7], 0
	s_branch .LBB7_1526
.LBB7_1524:
	s_mov_b64 s[6:7], -1
                                        ; implicit-def: $vgpr10
	s_branch .LBB7_1529
.LBB7_1525:
	s_mov_b64 s[6:7], -1
                                        ; implicit-def: $vgpr10
.LBB7_1526:
	s_andn2_b64 vcc, exec, s[6:7]
	s_cbranch_vccnz .LBB7_1528
; %bb.1527:
	global_load_ushort v10, v[12:13], off
.LBB7_1528:
	s_mov_b64 s[6:7], 0
.LBB7_1529:
	s_andn2_b64 vcc, exec, s[6:7]
	s_cbranch_vccnz .LBB7_1535
; %bb.1530:
	global_load_ubyte v1, v[12:13], off
	s_movk_i32 s6, 0x7f
	s_mov_b64 s[10:11], 0
	s_waitcnt vmcnt(0)
	v_cmp_lt_i16_e32 vcc, s6, v1
	s_and_saveexec_b64 s[6:7], vcc
	s_xor_b64 s[6:7], exec, s[6:7]
	s_cbranch_execz .LBB7_1547
; %bb.1531:
	s_movk_i32 s10, 0x80
	v_cmp_ne_u16_e32 vcc, s10, v1
	s_and_b64 s[10:11], vcc, exec
	s_andn2_saveexec_b64 s[6:7], s[6:7]
	s_cbranch_execnz .LBB7_1548
.LBB7_1532:
	s_or_b64 exec, exec, s[6:7]
	v_mov_b32_e32 v10, 0
	s_and_saveexec_b64 s[6:7], s[10:11]
	s_cbranch_execz .LBB7_1534
.LBB7_1533:
	v_lshlrev_b32_e32 v3, 24, v1
	v_and_b32_e32 v1, 0xffff, v1
	v_and_b32_e32 v5, 7, v1
	v_ffbh_u32_e32 v11, v5
	v_min_u32_e32 v11, 32, v11
	v_subrev_u32_e32 v14, 28, v11
	v_bfe_u32 v10, v1, 3, 4
	v_lshlrev_b32_e32 v1, v14, v1
	v_sub_u32_e32 v11, 29, v11
	v_and_b32_e32 v1, 7, v1
	v_cmp_eq_u32_e32 vcc, 0, v10
	v_cndmask_b32_e32 v10, v10, v11, vcc
	v_cndmask_b32_e32 v1, v5, v1, vcc
	v_mov_b32_e32 v5, 0x3b800000
	v_lshlrev_b32_e32 v1, 20, v1
	v_and_b32_e32 v3, 0x80000000, v3
	v_lshl_add_u32 v5, v10, 23, v5
	v_or3_b32 v1, v3, v5, v1
	v_trunc_f32_e32 v1, v1
	s_mov_b32 s10, 0x2f800000
	v_mul_f32_e64 v3, |v1|, s10
	v_floor_f32_e32 v3, v3
	s_mov_b32 s10, 0xcf800000
	v_fma_f32 v3, v3, s10, |v1|
	v_cvt_u32_f32_e32 v3, v3
	v_ashrrev_i32_e32 v1, 31, v1
	v_xor_b32_e32 v3, v3, v1
	v_sub_u32_e32 v10, v3, v1
.LBB7_1534:
	s_or_b64 exec, exec, s[6:7]
.LBB7_1535:
	s_mov_b64 s[6:7], -1
.LBB7_1536:
	s_mov_b64 s[10:11], 0
.LBB7_1537:
	s_and_b64 vcc, exec, s[10:11]
	s_cbranch_vccz .LBB7_1568
; %bb.1538:
	s_cmp_gt_i32 s15, 22
	s_cbranch_scc0 .LBB7_1546
; %bb.1539:
	s_cmp_lt_i32 s15, 24
	s_cbranch_scc1 .LBB7_1549
; %bb.1540:
	s_cmp_gt_i32 s15, 24
	s_cbranch_scc0 .LBB7_1550
; %bb.1541:
	global_load_ubyte v1, v[12:13], off
	s_movk_i32 s4, 0x7f
	s_mov_b64 s[6:7], 0
	s_waitcnt vmcnt(0)
	v_cmp_lt_i16_e32 vcc, s4, v1
	s_and_saveexec_b64 s[4:5], vcc
	s_xor_b64 s[4:5], exec, s[4:5]
	s_cbranch_execz .LBB7_1562
; %bb.1542:
	s_movk_i32 s6, 0x80
	v_cmp_ne_u16_e32 vcc, s6, v1
	s_and_b64 s[6:7], vcc, exec
	s_andn2_saveexec_b64 s[4:5], s[4:5]
	s_cbranch_execnz .LBB7_1563
.LBB7_1543:
	s_or_b64 exec, exec, s[4:5]
	v_mov_b32_e32 v10, 0
	s_and_saveexec_b64 s[4:5], s[6:7]
	s_cbranch_execz .LBB7_1545
.LBB7_1544:
	v_lshlrev_b32_e32 v3, 24, v1
	v_and_b32_e32 v1, 0xffff, v1
	v_and_b32_e32 v5, 3, v1
	v_ffbh_u32_e32 v11, v5
	v_min_u32_e32 v11, 32, v11
	v_subrev_u32_e32 v14, 29, v11
	v_bfe_u32 v10, v1, 2, 5
	v_lshlrev_b32_e32 v1, v14, v1
	v_sub_u32_e32 v11, 30, v11
	v_and_b32_e32 v1, 3, v1
	v_cmp_eq_u32_e32 vcc, 0, v10
	v_cndmask_b32_e32 v10, v10, v11, vcc
	v_cndmask_b32_e32 v1, v5, v1, vcc
	v_mov_b32_e32 v5, 0x37800000
	v_lshlrev_b32_e32 v1, 21, v1
	v_and_b32_e32 v3, 0x80000000, v3
	v_lshl_add_u32 v5, v10, 23, v5
	v_or3_b32 v1, v3, v5, v1
	v_trunc_f32_e32 v1, v1
	s_mov_b32 s6, 0x2f800000
	v_mul_f32_e64 v3, |v1|, s6
	v_floor_f32_e32 v3, v3
	s_mov_b32 s6, 0xcf800000
	v_fma_f32 v3, v3, s6, |v1|
	v_cvt_u32_f32_e32 v3, v3
	v_ashrrev_i32_e32 v1, 31, v1
	v_xor_b32_e32 v3, v3, v1
	v_sub_u32_e32 v10, v3, v1
.LBB7_1545:
	s_or_b64 exec, exec, s[4:5]
	s_mov_b64 s[4:5], 0
	s_branch .LBB7_1551
.LBB7_1546:
	s_mov_b64 s[4:5], -1
                                        ; implicit-def: $vgpr10
	s_branch .LBB7_1557
.LBB7_1547:
	s_andn2_saveexec_b64 s[6:7], s[6:7]
	s_cbranch_execz .LBB7_1532
.LBB7_1548:
	v_cmp_ne_u16_e32 vcc, 0, v1
	s_andn2_b64 s[10:11], s[10:11], exec
	s_and_b64 s[12:13], vcc, exec
	s_or_b64 s[10:11], s[10:11], s[12:13]
	s_or_b64 exec, exec, s[6:7]
	v_mov_b32_e32 v10, 0
	s_and_saveexec_b64 s[6:7], s[10:11]
	s_cbranch_execnz .LBB7_1533
	s_branch .LBB7_1534
.LBB7_1549:
	s_mov_b64 s[4:5], -1
                                        ; implicit-def: $vgpr10
	s_branch .LBB7_1554
.LBB7_1550:
	s_mov_b64 s[4:5], -1
                                        ; implicit-def: $vgpr10
.LBB7_1551:
	s_and_b64 vcc, exec, s[4:5]
	s_cbranch_vccz .LBB7_1553
; %bb.1552:
	global_load_ubyte v1, v[12:13], off
	s_mov_b32 s4, 0x7f800000
	s_brev_b32 s5, 1
	s_mov_b32 s6, 0x2f800000
	s_waitcnt vmcnt(0)
	v_lshlrev_b32_e32 v1, 24, v1
	v_and_b32_e32 v3, 0x7f000000, v1
	v_ffbh_u32_e32 v5, v3
	v_min_u32_e32 v5, 32, v5
	v_sub_u32_e64 v5, v5, 4 clamp
	v_lshlrev_b32_e32 v11, v5, v3
	v_lshlrev_b32_e32 v5, 23, v5
	v_lshrrev_b32_e32 v11, 4, v11
	v_add_u32_e32 v10, 0x1000000, v3
	v_sub_u32_e32 v5, v11, v5
	v_ashrrev_i32_e32 v10, 8, v10
	v_add_u32_e32 v5, 0x3c000000, v5
	v_and_or_b32 v5, v10, s4, v5
	v_cmp_ne_u32_e32 vcc, 0, v3
	v_cndmask_b32_e32 v3, 0, v5, vcc
	v_and_or_b32 v1, v1, s5, v3
	v_trunc_f32_e32 v1, v1
	v_mul_f32_e64 v3, |v1|, s6
	v_floor_f32_e32 v3, v3
	s_mov_b32 s4, 0xcf800000
	v_fma_f32 v3, v3, s4, |v1|
	v_cvt_u32_f32_e32 v3, v3
	v_ashrrev_i32_e32 v1, 31, v1
	v_xor_b32_e32 v3, v3, v1
	v_sub_u32_e32 v10, v3, v1
.LBB7_1553:
	s_mov_b64 s[4:5], 0
.LBB7_1554:
	s_andn2_b64 vcc, exec, s[4:5]
	s_cbranch_vccnz .LBB7_1556
; %bb.1555:
	global_load_ubyte v1, v[12:13], off
	s_movk_i32 s4, 0x7f00
	s_brev_b32 s5, 16
	s_brev_b32 s6, 1
	s_mov_b32 s7, 0x2f800000
	s_waitcnt vmcnt(0)
	v_lshlrev_b16_e32 v3, 8, v1
	v_lshlrev_b32_e32 v1, 25, v1
	v_lshrrev_b32_e32 v5, 4, v1
	v_and_or_b32 v10, v3, s4, 0.5
	v_or_b32_e32 v5, 0x70000000, v5
	v_add_f32_e32 v10, -0.5, v10
	v_mul_f32_e32 v5, 0x7800000, v5
	v_cmp_gt_u32_e32 vcc, s5, v1
	v_bfe_i32 v3, v3, 0, 16
	v_cndmask_b32_e32 v1, v5, v10, vcc
	v_and_or_b32 v1, v3, s6, v1
	v_trunc_f32_e32 v1, v1
	v_mul_f32_e64 v3, |v1|, s7
	v_floor_f32_e32 v3, v3
	s_mov_b32 s4, 0xcf800000
	v_fma_f32 v3, v3, s4, |v1|
	v_cvt_u32_f32_e32 v3, v3
	v_ashrrev_i32_e32 v1, 31, v1
	v_xor_b32_e32 v3, v3, v1
	v_sub_u32_e32 v10, v3, v1
.LBB7_1556:
	s_mov_b64 s[4:5], 0
	s_mov_b64 s[6:7], -1
.LBB7_1557:
	s_andn2_b64 vcc, exec, s[4:5]
	s_mov_b64 s[4:5], 0
	s_cbranch_vccnz .LBB7_1568
; %bb.1558:
	s_cmp_gt_i32 s15, 14
	s_cbranch_scc0 .LBB7_1561
; %bb.1559:
	s_cmp_eq_u32 s15, 15
	s_cbranch_scc0 .LBB7_1564
; %bb.1560:
	global_load_ushort v1, v[12:13], off
	s_mov_b32 s0, 0x2f800000
	s_mov_b32 s1, 0xcf800000
	s_mov_b64 s[6:7], -1
	s_waitcnt vmcnt(0)
	v_lshlrev_b32_e32 v1, 16, v1
	v_trunc_f32_e32 v1, v1
	v_mul_f32_e64 v3, |v1|, s0
	v_floor_f32_e32 v3, v3
	v_fma_f32 v3, v3, s1, |v1|
	v_cvt_u32_f32_e32 v3, v3
	v_ashrrev_i32_e32 v1, 31, v1
	s_mov_b64 s[0:1], 0
	v_xor_b32_e32 v3, v3, v1
	v_sub_u32_e32 v10, v3, v1
	s_branch .LBB7_1565
.LBB7_1561:
	s_mov_b64 s[10:11], -1
                                        ; implicit-def: $vgpr10
	s_branch .LBB7_1566
.LBB7_1562:
	s_andn2_saveexec_b64 s[4:5], s[4:5]
	s_cbranch_execz .LBB7_1543
.LBB7_1563:
	v_cmp_ne_u16_e32 vcc, 0, v1
	s_andn2_b64 s[6:7], s[6:7], exec
	s_and_b64 s[10:11], vcc, exec
	s_or_b64 s[6:7], s[6:7], s[10:11]
	s_or_b64 exec, exec, s[4:5]
	v_mov_b32_e32 v10, 0
	s_and_saveexec_b64 s[4:5], s[6:7]
	s_cbranch_execnz .LBB7_1544
	s_branch .LBB7_1545
.LBB7_1564:
	s_mov_b64 s[0:1], -1
                                        ; implicit-def: $vgpr10
.LBB7_1565:
	s_mov_b64 s[10:11], 0
.LBB7_1566:
	s_and_b64 vcc, exec, s[10:11]
	s_cbranch_vccz .LBB7_1568
; %bb.1567:
	s_cmp_lg_u32 s15, 11
	s_mov_b64 s[4:5], -1
	s_cselect_b64 s[0:1], -1, 0
.LBB7_1568:
	s_and_b64 vcc, exec, s[0:1]
	s_cbranch_vccnz .LBB7_2101
; %bb.1569:
	s_andn2_b64 vcc, exec, s[4:5]
	s_cbranch_vccnz .LBB7_1571
.LBB7_1570:
	global_load_ubyte v1, v[12:13], off
	s_mov_b64 s[6:7], -1
	s_waitcnt vmcnt(0)
	v_cmp_ne_u16_e32 vcc, 0, v1
	v_cndmask_b32_e64 v10, 0, 1, vcc
.LBB7_1571:
	s_mov_b64 s[0:1], 0
.LBB7_1572:
	s_and_b64 vcc, exec, s[0:1]
	s_cbranch_vccz .LBB7_1621
; %bb.1573:
	s_cmp_lt_i32 s15, 5
	s_cbranch_scc1 .LBB7_1578
; %bb.1574:
	s_cmp_lt_i32 s15, 8
	s_cbranch_scc1 .LBB7_1579
	;; [unrolled: 3-line block ×3, first 2 shown]
; %bb.1576:
	s_cmp_gt_i32 s15, 9
	s_cbranch_scc0 .LBB7_1581
; %bb.1577:
	global_load_dwordx2 v[10:11], v[12:13], off
	s_movk_i32 s0, 0xffe0
	s_waitcnt vmcnt(0)
	v_trunc_f64_e32 v[10:11], v[10:11]
	v_ldexp_f64 v[14:15], v[10:11], s0
	s_mov_b32 s0, 0
	s_mov_b32 s1, 0xc1f00000
	v_floor_f64_e32 v[14:15], v[14:15]
	v_fma_f64 v[10:11], v[14:15], s[0:1], v[10:11]
	s_mov_b64 s[0:1], 0
	v_cvt_u32_f64_e32 v10, v[10:11]
	s_branch .LBB7_1582
.LBB7_1578:
	s_mov_b64 s[0:1], -1
                                        ; implicit-def: $vgpr10
	s_branch .LBB7_1600
.LBB7_1579:
	s_mov_b64 s[0:1], -1
                                        ; implicit-def: $vgpr10
	s_branch .LBB7_1588
.LBB7_1580:
	s_mov_b64 s[0:1], -1
                                        ; implicit-def: $vgpr10
	s_branch .LBB7_1585
.LBB7_1581:
	s_mov_b64 s[0:1], -1
                                        ; implicit-def: $vgpr10
.LBB7_1582:
	s_andn2_b64 vcc, exec, s[0:1]
	s_cbranch_vccnz .LBB7_1584
; %bb.1583:
	global_load_dword v1, v[12:13], off
	s_mov_b32 s0, 0x2f800000
	s_waitcnt vmcnt(0)
	v_trunc_f32_e32 v1, v1
	v_mul_f32_e64 v3, |v1|, s0
	v_floor_f32_e32 v3, v3
	s_mov_b32 s0, 0xcf800000
	v_fma_f32 v3, v3, s0, |v1|
	v_cvt_u32_f32_e32 v3, v3
	v_ashrrev_i32_e32 v1, 31, v1
	v_xor_b32_e32 v3, v3, v1
	v_sub_u32_e32 v10, v3, v1
.LBB7_1584:
	s_mov_b64 s[0:1], 0
.LBB7_1585:
	s_andn2_b64 vcc, exec, s[0:1]
	s_cbranch_vccnz .LBB7_1587
; %bb.1586:
	global_load_dword v1, v[12:13], off
	s_waitcnt vmcnt(0)
	v_cvt_f32_f16_e32 v1, v1
	v_cvt_i32_f32_e32 v10, v1
.LBB7_1587:
	s_mov_b64 s[0:1], 0
.LBB7_1588:
	s_andn2_b64 vcc, exec, s[0:1]
	s_cbranch_vccnz .LBB7_1599
; %bb.1589:
	s_cmp_lt_i32 s15, 6
	s_cbranch_scc1 .LBB7_1592
; %bb.1590:
	s_cmp_gt_i32 s15, 6
	s_cbranch_scc0 .LBB7_1593
; %bb.1591:
	global_load_dwordx2 v[10:11], v[12:13], off
	s_movk_i32 s0, 0xffe0
	s_waitcnt vmcnt(0)
	v_trunc_f64_e32 v[10:11], v[10:11]
	v_ldexp_f64 v[14:15], v[10:11], s0
	s_mov_b32 s0, 0
	s_mov_b32 s1, 0xc1f00000
	v_floor_f64_e32 v[14:15], v[14:15]
	v_fma_f64 v[10:11], v[14:15], s[0:1], v[10:11]
	s_mov_b64 s[0:1], 0
	v_cvt_u32_f64_e32 v10, v[10:11]
	s_branch .LBB7_1594
.LBB7_1592:
	s_mov_b64 s[0:1], -1
                                        ; implicit-def: $vgpr10
	s_branch .LBB7_1597
.LBB7_1593:
	s_mov_b64 s[0:1], -1
                                        ; implicit-def: $vgpr10
.LBB7_1594:
	s_andn2_b64 vcc, exec, s[0:1]
	s_cbranch_vccnz .LBB7_1596
; %bb.1595:
	global_load_dword v1, v[12:13], off
	s_mov_b32 s0, 0x2f800000
	s_waitcnt vmcnt(0)
	v_trunc_f32_e32 v1, v1
	v_mul_f32_e64 v3, |v1|, s0
	v_floor_f32_e32 v3, v3
	s_mov_b32 s0, 0xcf800000
	v_fma_f32 v3, v3, s0, |v1|
	v_cvt_u32_f32_e32 v3, v3
	v_ashrrev_i32_e32 v1, 31, v1
	v_xor_b32_e32 v3, v3, v1
	v_sub_u32_e32 v10, v3, v1
.LBB7_1596:
	s_mov_b64 s[0:1], 0
.LBB7_1597:
	s_andn2_b64 vcc, exec, s[0:1]
	s_cbranch_vccnz .LBB7_1599
; %bb.1598:
	global_load_ushort v1, v[12:13], off
	s_waitcnt vmcnt(0)
	v_cvt_f32_f16_e32 v1, v1
	v_cvt_i32_f32_e32 v10, v1
.LBB7_1599:
	s_mov_b64 s[0:1], 0
.LBB7_1600:
	s_andn2_b64 vcc, exec, s[0:1]
	s_cbranch_vccnz .LBB7_1620
; %bb.1601:
	s_cmp_lt_i32 s15, 2
	s_cbranch_scc1 .LBB7_1605
; %bb.1602:
	s_cmp_lt_i32 s15, 3
	s_cbranch_scc1 .LBB7_1606
; %bb.1603:
	s_cmp_gt_i32 s15, 3
	s_cbranch_scc0 .LBB7_1607
; %bb.1604:
	global_load_dwordx2 v[10:11], v[12:13], off
	s_mov_b64 s[0:1], 0
	s_branch .LBB7_1608
.LBB7_1605:
	s_mov_b64 s[0:1], -1
                                        ; implicit-def: $vgpr10
	s_branch .LBB7_1614
.LBB7_1606:
	s_mov_b64 s[0:1], -1
                                        ; implicit-def: $vgpr10
	s_branch .LBB7_1611
.LBB7_1607:
	s_mov_b64 s[0:1], -1
                                        ; implicit-def: $vgpr10
.LBB7_1608:
	s_andn2_b64 vcc, exec, s[0:1]
	s_cbranch_vccnz .LBB7_1610
; %bb.1609:
	global_load_dword v10, v[12:13], off
.LBB7_1610:
	s_mov_b64 s[0:1], 0
.LBB7_1611:
	s_andn2_b64 vcc, exec, s[0:1]
	s_cbranch_vccnz .LBB7_1613
; %bb.1612:
	global_load_ushort v10, v[12:13], off
.LBB7_1613:
	s_mov_b64 s[0:1], 0
.LBB7_1614:
	s_andn2_b64 vcc, exec, s[0:1]
	s_cbranch_vccnz .LBB7_1620
; %bb.1615:
	s_cmp_gt_i32 s15, 0
	s_cbranch_scc0 .LBB7_1617
; %bb.1616:
	global_load_ubyte v10, v[12:13], off
	s_mov_b64 s[0:1], 0
	s_branch .LBB7_1618
.LBB7_1617:
	s_mov_b64 s[0:1], -1
                                        ; implicit-def: $vgpr10
.LBB7_1618:
	s_andn2_b64 vcc, exec, s[0:1]
	s_cbranch_vccnz .LBB7_1620
; %bb.1619:
	global_load_ubyte v10, v[12:13], off
.LBB7_1620:
	s_mov_b64 s[6:7], -1
.LBB7_1621:
	s_andn2_b64 vcc, exec, s[6:7]
	s_cbranch_vccnz .LBB7_2055
; %bb.1622:
	s_lshr_b32 s0, s14, 8
	s_and_b32 s15, s0, 0xff
	s_waitcnt vmcnt(0)
	v_mov_b32_e32 v3, 8
	v_lshlrev_b32_e64 v1, v7, s15
	v_cmp_lt_u16_sdwa vcc, v7, v3 src0_sel:BYTE_0 src1_sel:DWORD
	s_bfe_u32 s16, s14, 0x80010
	v_cndmask_b32_e32 v1, 0, v1, vcc
	v_mov_b32_e32 v3, s9
	v_add_co_u32_e32 v5, vcc, s8, v6
	s_cmp_lt_i32 s16, 11
	v_addc_co_u32_e32 v6, vcc, 0, v3, vcc
	s_cbranch_scc1 .LBB7_1700
; %bb.1623:
	s_and_b32 s17, 0xffff, s16
	s_mov_b64 s[10:11], -1
	s_mov_b64 s[4:5], 0
	s_cmp_gt_i32 s17, 25
	s_mov_b64 s[6:7], 0
	s_mov_b64 s[0:1], 0
	s_cbranch_scc0 .LBB7_1656
; %bb.1624:
	s_cmp_gt_i32 s17, 28
	s_cbranch_scc0 .LBB7_1639
; %bb.1625:
	s_cmp_gt_i32 s17, 43
	;; [unrolled: 3-line block ×3, first 2 shown]
	s_cbranch_scc0 .LBB7_1629
; %bb.1627:
	s_mov_b64 s[0:1], -1
	s_mov_b64 s[10:11], 0
	s_cmp_eq_u32 s17, 46
	s_cbranch_scc0 .LBB7_1629
; %bb.1628:
	v_cvt_f32_ubyte0_e32 v3, v1
	v_bfe_u32 v7, v3, 16, 1
	s_movk_i32 s0, 0x7fff
	v_add3_u32 v3, v3, v7, s0
	v_lshrrev_b32_e32 v3, 16, v3
	global_store_dword v[5:6], v3, off
	s_mov_b64 s[0:1], 0
	s_mov_b64 s[6:7], -1
.LBB7_1629:
	s_and_b64 vcc, exec, s[10:11]
	s_cbranch_vccz .LBB7_1634
; %bb.1630:
	s_cmp_eq_u32 s17, 44
	s_mov_b64 s[0:1], -1
	s_cbranch_scc0 .LBB7_1634
; %bb.1631:
	v_cvt_f32_ubyte0_e32 v7, v1
	v_lshrrev_b32_e32 v3, 23, v7
	s_movk_i32 s0, 0xff
	v_cmp_ne_u32_e32 vcc, s0, v3
	v_mov_b32_e32 v11, 0xff
	s_and_saveexec_b64 s[6:7], vcc
; %bb.1632:
	s_mov_b32 s0, 0x3fffff
	v_and_b32_e32 v11, 0x400000, v7
	v_and_or_b32 v7, v7, s0, v3
	v_cmp_ne_u32_e32 vcc, 0, v11
	v_cmp_ne_u32_e64 s[0:1], 0, v7
	s_and_b64 s[0:1], vcc, s[0:1]
	v_cndmask_b32_e64 v7, 0, 1, s[0:1]
	v_add_u32_e32 v11, v3, v7
; %bb.1633:
	s_or_b64 exec, exec, s[6:7]
	s_mov_b64 s[0:1], 0
	s_mov_b64 s[6:7], -1
	global_store_byte v[5:6], v11, off
.LBB7_1634:
	s_mov_b64 s[10:11], 0
.LBB7_1635:
	s_and_b64 vcc, exec, s[10:11]
	s_cbranch_vccz .LBB7_1638
; %bb.1636:
	s_cmp_eq_u32 s17, 29
	s_mov_b64 s[0:1], -1
	s_cbranch_scc0 .LBB7_1638
; %bb.1637:
	v_and_b32_e32 v11, 0xff, v1
	v_mov_b32_e32 v12, 0
	global_store_dwordx2 v[5:6], v[11:12], off
	s_mov_b64 s[0:1], 0
	s_mov_b64 s[6:7], -1
.LBB7_1638:
	s_mov_b64 s[10:11], 0
.LBB7_1639:
	s_and_b64 vcc, exec, s[10:11]
	s_cbranch_vccz .LBB7_1655
; %bb.1640:
	s_cmp_lt_i32 s17, 27
	s_mov_b64 s[6:7], -1
	s_cbranch_scc1 .LBB7_1646
; %bb.1641:
	s_cmp_gt_i32 s17, 27
	s_cbranch_scc0 .LBB7_1643
; %bb.1642:
	v_and_b32_e32 v3, 0xff, v1
	s_mov_b64 s[6:7], 0
	global_store_dword v[5:6], v3, off
.LBB7_1643:
	s_andn2_b64 vcc, exec, s[6:7]
	s_cbranch_vccnz .LBB7_1645
; %bb.1644:
	v_and_b32_e32 v3, 0xff, v1
	global_store_short v[5:6], v3, off
.LBB7_1645:
	s_mov_b64 s[6:7], 0
.LBB7_1646:
	s_andn2_b64 vcc, exec, s[6:7]
	s_cbranch_vccnz .LBB7_1654
; %bb.1647:
	v_cvt_f32_ubyte0_e32 v7, v1
	s_mov_b32 s6, 0x43800000
	v_cmp_gt_u32_e32 vcc, s6, v7
	v_mov_b32_e32 v11, 0x80
	s_and_saveexec_b64 s[6:7], vcc
	s_cbranch_execz .LBB7_1653
; %bb.1648:
	s_mov_b32 s10, 0x3bffffff
	v_cmp_lt_u32_e32 vcc, s10, v7
	s_mov_b64 s[10:11], 0
                                        ; implicit-def: $vgpr3
	s_and_saveexec_b64 s[12:13], vcc
	s_xor_b64 s[12:13], exec, s[12:13]
	s_cbranch_execz .LBB7_2102
; %bb.1649:
	v_bfe_u32 v3, v7, 20, 1
	s_mov_b32 s18, 0x487ffff
	v_add3_u32 v3, v7, v3, s18
	s_mov_b64 s[10:11], exec
	v_lshrrev_b32_e32 v3, 20, v3
                                        ; implicit-def: $vgpr7
	s_andn2_saveexec_b64 s[12:13], s[12:13]
	s_cbranch_execnz .LBB7_2103
.LBB7_1650:
	s_or_b64 exec, exec, s[12:13]
	v_mov_b32_e32 v11, 0
	s_and_saveexec_b64 s[12:13], s[10:11]
.LBB7_1651:
	v_mov_b32_e32 v11, v3
.LBB7_1652:
	s_or_b64 exec, exec, s[12:13]
.LBB7_1653:
	s_or_b64 exec, exec, s[6:7]
	global_store_byte v[5:6], v11, off
.LBB7_1654:
	s_mov_b64 s[6:7], -1
.LBB7_1655:
	s_mov_b64 s[10:11], 0
.LBB7_1656:
	s_and_b64 vcc, exec, s[10:11]
	s_cbranch_vccz .LBB7_1696
; %bb.1657:
	s_cmp_gt_i32 s17, 22
	s_mov_b64 s[4:5], -1
	s_cbranch_scc0 .LBB7_1689
; %bb.1658:
	s_cmp_lt_i32 s17, 24
	s_cbranch_scc1 .LBB7_1678
; %bb.1659:
	s_cmp_gt_i32 s17, 24
	s_cbranch_scc0 .LBB7_1667
; %bb.1660:
	v_cvt_f32_ubyte0_e32 v7, v1
	s_mov_b32 s4, 0x47800000
	v_cmp_gt_u32_e32 vcc, s4, v7
	v_mov_b32_e32 v11, 0x80
	s_and_saveexec_b64 s[4:5], vcc
	s_cbranch_execz .LBB7_1666
; %bb.1661:
	s_mov_b32 s6, 0x37ffffff
	v_cmp_lt_u32_e32 vcc, s6, v7
	s_mov_b64 s[6:7], 0
                                        ; implicit-def: $vgpr3
	s_and_saveexec_b64 s[10:11], vcc
	s_xor_b64 s[10:11], exec, s[10:11]
	s_cbranch_execz .LBB7_2105
; %bb.1662:
	v_bfe_u32 v3, v7, 21, 1
	s_mov_b32 s12, 0x88fffff
	v_add3_u32 v3, v7, v3, s12
	s_mov_b64 s[6:7], exec
	v_lshrrev_b32_e32 v3, 21, v3
                                        ; implicit-def: $vgpr7
	s_andn2_saveexec_b64 s[10:11], s[10:11]
	s_cbranch_execnz .LBB7_2106
.LBB7_1663:
	s_or_b64 exec, exec, s[10:11]
	v_mov_b32_e32 v11, 0
	s_and_saveexec_b64 s[10:11], s[6:7]
.LBB7_1664:
	v_mov_b32_e32 v11, v3
.LBB7_1665:
	s_or_b64 exec, exec, s[10:11]
.LBB7_1666:
	s_or_b64 exec, exec, s[4:5]
	s_mov_b64 s[4:5], 0
	global_store_byte v[5:6], v11, off
.LBB7_1667:
	s_and_b64 vcc, exec, s[4:5]
	s_cbranch_vccz .LBB7_1677
; %bb.1668:
	v_cvt_f32_ubyte0_e32 v3, v1
	s_mov_b32 s4, 0x43f00000
	v_cmp_gt_u32_e32 vcc, s4, v3
                                        ; implicit-def: $vgpr7
	s_and_saveexec_b64 s[4:5], vcc
	s_xor_b64 s[4:5], exec, s[4:5]
	s_cbranch_execz .LBB7_1674
; %bb.1669:
	s_mov_b32 s6, 0x3c7fffff
	v_cmp_lt_u32_e32 vcc, s6, v3
                                        ; implicit-def: $vgpr7
	s_and_saveexec_b64 s[6:7], vcc
	s_xor_b64 s[6:7], exec, s[6:7]
; %bb.1670:
	v_bfe_u32 v7, v3, 20, 1
	s_mov_b32 s10, 0x407ffff
	v_add3_u32 v3, v3, v7, s10
	v_lshrrev_b32_e32 v7, 20, v3
	v_and_b32_e32 v3, 0xff00000, v3
	s_mov_b32 s10, 0x7f00000
	v_mov_b32_e32 v11, 0x7e
	v_cmp_ne_u32_e32 vcc, s10, v3
	v_cndmask_b32_e32 v7, v11, v7, vcc
                                        ; implicit-def: $vgpr3
; %bb.1671:
	s_andn2_saveexec_b64 s[6:7], s[6:7]
; %bb.1672:
	v_add_f32_e32 v7, 0x46800000, v3
; %bb.1673:
	s_or_b64 exec, exec, s[6:7]
                                        ; implicit-def: $vgpr3
.LBB7_1674:
	s_andn2_saveexec_b64 s[4:5], s[4:5]
; %bb.1675:
	s_mov_b32 s6, 0x7f800000
	v_mov_b32_e32 v7, 0x7e
	v_mov_b32_e32 v11, 0x7f
	v_cmp_lt_u32_e32 vcc, s6, v3
	v_cndmask_b32_e32 v7, v7, v11, vcc
; %bb.1676:
	s_or_b64 exec, exec, s[4:5]
	global_store_byte v[5:6], v7, off
.LBB7_1677:
	s_mov_b64 s[4:5], 0
.LBB7_1678:
	s_andn2_b64 vcc, exec, s[4:5]
	s_cbranch_vccnz .LBB7_1688
; %bb.1679:
	v_cvt_f32_ubyte0_e32 v3, v1
	s_mov_b32 s4, 0x47800000
	v_cmp_gt_u32_e32 vcc, s4, v3
                                        ; implicit-def: $vgpr7
	s_and_saveexec_b64 s[4:5], vcc
	s_xor_b64 s[4:5], exec, s[4:5]
	s_cbranch_execz .LBB7_1685
; %bb.1680:
	s_mov_b32 s6, 0x387fffff
	v_cmp_lt_u32_e32 vcc, s6, v3
                                        ; implicit-def: $vgpr7
	s_and_saveexec_b64 s[6:7], vcc
	s_xor_b64 s[6:7], exec, s[6:7]
; %bb.1681:
	v_bfe_u32 v7, v3, 21, 1
	s_mov_b32 s10, 0x80fffff
	v_add3_u32 v3, v3, v7, s10
	v_lshrrev_b32_e32 v7, 21, v3
                                        ; implicit-def: $vgpr3
; %bb.1682:
	s_andn2_saveexec_b64 s[6:7], s[6:7]
; %bb.1683:
	v_add_f32_e32 v7, 0x43000000, v3
; %bb.1684:
	s_or_b64 exec, exec, s[6:7]
                                        ; implicit-def: $vgpr3
.LBB7_1685:
	s_andn2_saveexec_b64 s[4:5], s[4:5]
; %bb.1686:
	s_mov_b32 s6, 0x7f800000
	v_mov_b32_e32 v7, 0x7c
	v_mov_b32_e32 v11, 0x7f
	v_cmp_lt_u32_e32 vcc, s6, v3
	v_cndmask_b32_e32 v7, v7, v11, vcc
; %bb.1687:
	s_or_b64 exec, exec, s[4:5]
	global_store_byte v[5:6], v7, off
.LBB7_1688:
	s_mov_b64 s[4:5], 0
	s_mov_b64 s[6:7], -1
.LBB7_1689:
	s_andn2_b64 vcc, exec, s[4:5]
	s_mov_b64 s[4:5], 0
	s_cbranch_vccnz .LBB7_1696
; %bb.1690:
	s_cmp_gt_i32 s17, 14
	s_mov_b64 s[10:11], -1
	s_cbranch_scc0 .LBB7_1694
; %bb.1691:
	s_cmp_eq_u32 s17, 15
	s_mov_b64 s[0:1], -1
	s_cbranch_scc0 .LBB7_1693
; %bb.1692:
	v_cvt_f32_ubyte0_e32 v3, v1
	v_bfe_u32 v7, v3, 16, 1
	s_movk_i32 s0, 0x7fff
	v_add3_u32 v3, v3, v7, s0
	global_store_short_d16_hi v[5:6], v3, off
	s_mov_b64 s[0:1], 0
	s_mov_b64 s[6:7], -1
.LBB7_1693:
	s_mov_b64 s[10:11], 0
.LBB7_1694:
	s_and_b64 vcc, exec, s[10:11]
	s_cbranch_vccz .LBB7_1696
; %bb.1695:
	s_cmp_lg_u32 s17, 11
	s_mov_b64 s[4:5], -1
	s_cselect_b64 s[0:1], -1, 0
.LBB7_1696:
	s_and_b64 vcc, exec, s[0:1]
	s_cbranch_vccnz .LBB7_2104
; %bb.1697:
	s_andn2_b64 vcc, exec, s[4:5]
	s_cbranch_vccnz .LBB7_1699
.LBB7_1698:
	v_mov_b32_e32 v3, 0
	v_cmp_ne_u16_sdwa s[0:1], v1, v3 src0_sel:BYTE_0 src1_sel:DWORD
	v_cndmask_b32_e64 v3, 0, 1, s[0:1]
	s_mov_b64 s[6:7], -1
	global_store_byte v[5:6], v3, off
.LBB7_1699:
	s_mov_b64 s[0:1], 0
	s_branch .LBB7_1701
.LBB7_1700:
	s_mov_b64 s[0:1], -1
	s_mov_b64 s[6:7], 0
.LBB7_1701:
	s_and_b64 vcc, exec, s[0:1]
	s_cbranch_vccz .LBB7_1740
; %bb.1702:
	s_and_b32 s4, 0xffff, s16
	s_cmp_lt_i32 s4, 5
	s_mov_b64 s[0:1], -1
	s_cbranch_scc1 .LBB7_1723
; %bb.1703:
	s_cmp_lt_i32 s4, 8
	s_cbranch_scc1 .LBB7_1713
; %bb.1704:
	s_cmp_lt_i32 s4, 9
	s_cbranch_scc1 .LBB7_1710
; %bb.1705:
	s_cmp_gt_i32 s4, 9
	s_cbranch_scc0 .LBB7_1707
; %bb.1706:
	s_mov_b32 s0, 0xffff
	v_and_b32_sdwa v3, s0, v1 dst_sel:DWORD dst_unused:UNUSED_PAD src0_sel:DWORD src1_sel:BYTE_0
	v_cvt_f64_u32_e32 v[11:12], v3
	v_mov_b32_e32 v13, 0
	v_mov_b32_e32 v14, v13
	s_mov_b64 s[0:1], 0
	global_store_dwordx4 v[5:6], v[11:14], off
.LBB7_1707:
	s_andn2_b64 vcc, exec, s[0:1]
	s_cbranch_vccnz .LBB7_1709
; %bb.1708:
	v_cvt_f32_ubyte0_e32 v11, v1
	v_mov_b32_e32 v12, 0
	global_store_dwordx2 v[5:6], v[11:12], off
.LBB7_1709:
	s_mov_b64 s[0:1], 0
.LBB7_1710:
	s_andn2_b64 vcc, exec, s[0:1]
	s_cbranch_vccnz .LBB7_1712
; %bb.1711:
	v_cvt_f16_u16_sdwa v3, v1 dst_sel:DWORD dst_unused:UNUSED_PAD src0_sel:BYTE_0
	global_store_dword v[5:6], v3, off
.LBB7_1712:
	s_mov_b64 s[0:1], 0
.LBB7_1713:
	s_andn2_b64 vcc, exec, s[0:1]
	s_cbranch_vccnz .LBB7_1722
; %bb.1714:
	s_cmp_lt_i32 s4, 6
	s_mov_b64 s[0:1], -1
	s_cbranch_scc1 .LBB7_1720
; %bb.1715:
	s_cmp_gt_i32 s4, 6
	s_cbranch_scc0 .LBB7_1717
; %bb.1716:
	s_mov_b32 s0, 0xffff
	v_and_b32_sdwa v3, s0, v1 dst_sel:DWORD dst_unused:UNUSED_PAD src0_sel:DWORD src1_sel:BYTE_0
	v_cvt_f64_u32_e32 v[11:12], v3
	s_mov_b64 s[0:1], 0
	global_store_dwordx2 v[5:6], v[11:12], off
.LBB7_1717:
	s_andn2_b64 vcc, exec, s[0:1]
	s_cbranch_vccnz .LBB7_1719
; %bb.1718:
	v_cvt_f32_ubyte0_e32 v3, v1
	global_store_dword v[5:6], v3, off
.LBB7_1719:
	s_mov_b64 s[0:1], 0
.LBB7_1720:
	s_andn2_b64 vcc, exec, s[0:1]
	s_cbranch_vccnz .LBB7_1722
; %bb.1721:
	v_cvt_f16_u16_sdwa v3, v1 dst_sel:DWORD dst_unused:UNUSED_PAD src0_sel:BYTE_0
	global_store_short v[5:6], v3, off
.LBB7_1722:
	s_mov_b64 s[0:1], 0
.LBB7_1723:
	s_andn2_b64 vcc, exec, s[0:1]
	s_cbranch_vccnz .LBB7_1739
; %bb.1724:
	s_cmp_lt_i32 s4, 2
	s_mov_b64 s[0:1], -1
	s_cbranch_scc1 .LBB7_1734
; %bb.1725:
	s_cmp_lt_i32 s4, 3
	s_cbranch_scc1 .LBB7_1731
; %bb.1726:
	s_cmp_gt_i32 s4, 3
	s_cbranch_scc0 .LBB7_1728
; %bb.1727:
	v_and_b32_e32 v11, 0xff, v1
	v_mov_b32_e32 v12, 0
	global_store_dwordx2 v[5:6], v[11:12], off
	s_mov_b64 s[0:1], 0
.LBB7_1728:
	s_andn2_b64 vcc, exec, s[0:1]
	s_cbranch_vccnz .LBB7_1730
; %bb.1729:
	v_and_b32_e32 v3, 0xff, v1
	global_store_dword v[5:6], v3, off
.LBB7_1730:
	s_mov_b64 s[0:1], 0
.LBB7_1731:
	s_andn2_b64 vcc, exec, s[0:1]
	s_cbranch_vccnz .LBB7_1733
; %bb.1732:
	v_and_b32_e32 v3, 0xff, v1
	global_store_short v[5:6], v3, off
.LBB7_1733:
	s_mov_b64 s[0:1], 0
.LBB7_1734:
	s_andn2_b64 vcc, exec, s[0:1]
	s_cbranch_vccnz .LBB7_1739
; %bb.1735:
	s_cmp_gt_i32 s4, 0
	s_mov_b64 s[0:1], -1
	s_cbranch_scc0 .LBB7_1737
; %bb.1736:
	global_store_byte v[5:6], v1, off
	s_mov_b64 s[0:1], 0
.LBB7_1737:
	s_andn2_b64 vcc, exec, s[0:1]
	s_cbranch_vccnz .LBB7_1739
; %bb.1738:
	global_store_byte v[5:6], v1, off
.LBB7_1739:
	s_mov_b64 s[6:7], -1
.LBB7_1740:
	s_andn2_b64 vcc, exec, s[6:7]
	s_cbranch_vccnz .LBB7_2055
; %bb.1741:
	v_mov_b32_e32 v3, 8
	s_lshr_b32 s0, s14, 16
	v_lshlrev_b32_e64 v1, v8, s15
	v_cmp_lt_u16_sdwa vcc, v8, v3 src0_sel:BYTE_0 src1_sel:DWORD
	s_and_b32 s14, s0, 0xff
	v_cndmask_b32_e32 v1, 0, v1, vcc
	v_mov_b32_e32 v5, s9
	v_add_co_u32_e32 v3, vcc, s8, v4
	s_cmp_lt_i32 s14, 11
	v_addc_co_u32_e32 v4, vcc, 0, v5, vcc
	s_cbranch_scc1 .LBB7_1819
; %bb.1742:
	s_and_b32 s16, 0xffff, s14
	s_mov_b64 s[10:11], -1
	s_mov_b64 s[4:5], 0
	s_cmp_gt_i32 s16, 25
	s_mov_b64 s[6:7], 0
	s_mov_b64 s[0:1], 0
	s_cbranch_scc0 .LBB7_1775
; %bb.1743:
	s_cmp_gt_i32 s16, 28
	s_cbranch_scc0 .LBB7_1758
; %bb.1744:
	s_cmp_gt_i32 s16, 43
	s_cbranch_scc0 .LBB7_1754
; %bb.1745:
	s_cmp_gt_i32 s16, 45
	s_cbranch_scc0 .LBB7_1748
; %bb.1746:
	s_mov_b64 s[0:1], -1
	s_mov_b64 s[10:11], 0
	s_cmp_eq_u32 s16, 46
	s_cbranch_scc0 .LBB7_1748
; %bb.1747:
	v_cvt_f32_ubyte0_e32 v5, v1
	v_bfe_u32 v6, v5, 16, 1
	s_movk_i32 s0, 0x7fff
	v_add3_u32 v5, v5, v6, s0
	v_lshrrev_b32_e32 v5, 16, v5
	global_store_dword v[3:4], v5, off
	s_mov_b64 s[0:1], 0
	s_mov_b64 s[6:7], -1
.LBB7_1748:
	s_and_b64 vcc, exec, s[10:11]
	s_cbranch_vccz .LBB7_1753
; %bb.1749:
	s_cmp_eq_u32 s16, 44
	s_mov_b64 s[0:1], -1
	s_cbranch_scc0 .LBB7_1753
; %bb.1750:
	v_cvt_f32_ubyte0_e32 v6, v1
	v_lshrrev_b32_e32 v5, 23, v6
	s_movk_i32 s0, 0xff
	v_cmp_ne_u32_e32 vcc, s0, v5
	v_mov_b32_e32 v7, 0xff
	s_and_saveexec_b64 s[6:7], vcc
; %bb.1751:
	s_mov_b32 s0, 0x3fffff
	v_and_b32_e32 v7, 0x400000, v6
	v_and_or_b32 v6, v6, s0, v5
	v_cmp_ne_u32_e32 vcc, 0, v7
	v_cmp_ne_u32_e64 s[0:1], 0, v6
	s_and_b64 s[0:1], vcc, s[0:1]
	v_cndmask_b32_e64 v6, 0, 1, s[0:1]
	v_add_u32_e32 v7, v5, v6
; %bb.1752:
	s_or_b64 exec, exec, s[6:7]
	s_mov_b64 s[0:1], 0
	s_mov_b64 s[6:7], -1
	global_store_byte v[3:4], v7, off
.LBB7_1753:
	s_mov_b64 s[10:11], 0
.LBB7_1754:
	s_and_b64 vcc, exec, s[10:11]
	s_cbranch_vccz .LBB7_1757
; %bb.1755:
	s_cmp_eq_u32 s16, 29
	s_mov_b64 s[0:1], -1
	s_cbranch_scc0 .LBB7_1757
; %bb.1756:
	v_and_b32_e32 v5, 0xff, v1
	v_mov_b32_e32 v6, 0
	global_store_dwordx2 v[3:4], v[5:6], off
	s_mov_b64 s[0:1], 0
	s_mov_b64 s[6:7], -1
.LBB7_1757:
	s_mov_b64 s[10:11], 0
.LBB7_1758:
	s_and_b64 vcc, exec, s[10:11]
	s_cbranch_vccz .LBB7_1774
; %bb.1759:
	s_cmp_lt_i32 s16, 27
	s_mov_b64 s[6:7], -1
	s_cbranch_scc1 .LBB7_1765
; %bb.1760:
	s_cmp_gt_i32 s16, 27
	s_cbranch_scc0 .LBB7_1762
; %bb.1761:
	v_and_b32_e32 v5, 0xff, v1
	s_mov_b64 s[6:7], 0
	global_store_dword v[3:4], v5, off
.LBB7_1762:
	s_andn2_b64 vcc, exec, s[6:7]
	s_cbranch_vccnz .LBB7_1764
; %bb.1763:
	v_and_b32_e32 v5, 0xff, v1
	global_store_short v[3:4], v5, off
.LBB7_1764:
	s_mov_b64 s[6:7], 0
.LBB7_1765:
	s_andn2_b64 vcc, exec, s[6:7]
	s_cbranch_vccnz .LBB7_1773
; %bb.1766:
	v_cvt_f32_ubyte0_e32 v6, v1
	s_mov_b32 s6, 0x43800000
	v_cmp_gt_u32_e32 vcc, s6, v6
	v_mov_b32_e32 v7, 0x80
	s_and_saveexec_b64 s[6:7], vcc
	s_cbranch_execz .LBB7_1772
; %bb.1767:
	s_mov_b32 s10, 0x3bffffff
	v_cmp_lt_u32_e32 vcc, s10, v6
	s_mov_b64 s[10:11], 0
                                        ; implicit-def: $vgpr5
	s_and_saveexec_b64 s[12:13], vcc
	s_xor_b64 s[12:13], exec, s[12:13]
	s_cbranch_execz .LBB7_2107
; %bb.1768:
	v_bfe_u32 v5, v6, 20, 1
	s_mov_b32 s17, 0x487ffff
	v_add3_u32 v5, v6, v5, s17
	s_mov_b64 s[10:11], exec
	v_lshrrev_b32_e32 v5, 20, v5
                                        ; implicit-def: $vgpr6
	s_andn2_saveexec_b64 s[12:13], s[12:13]
	s_cbranch_execnz .LBB7_2108
.LBB7_1769:
	s_or_b64 exec, exec, s[12:13]
	v_mov_b32_e32 v7, 0
	s_and_saveexec_b64 s[12:13], s[10:11]
.LBB7_1770:
	v_mov_b32_e32 v7, v5
.LBB7_1771:
	s_or_b64 exec, exec, s[12:13]
.LBB7_1772:
	s_or_b64 exec, exec, s[6:7]
	global_store_byte v[3:4], v7, off
.LBB7_1773:
	s_mov_b64 s[6:7], -1
.LBB7_1774:
	s_mov_b64 s[10:11], 0
.LBB7_1775:
	s_and_b64 vcc, exec, s[10:11]
	s_cbranch_vccz .LBB7_1815
; %bb.1776:
	s_cmp_gt_i32 s16, 22
	s_mov_b64 s[4:5], -1
	s_cbranch_scc0 .LBB7_1808
; %bb.1777:
	s_cmp_lt_i32 s16, 24
	s_cbranch_scc1 .LBB7_1797
; %bb.1778:
	s_cmp_gt_i32 s16, 24
	s_cbranch_scc0 .LBB7_1786
; %bb.1779:
	v_cvt_f32_ubyte0_e32 v6, v1
	s_mov_b32 s4, 0x47800000
	v_cmp_gt_u32_e32 vcc, s4, v6
	v_mov_b32_e32 v7, 0x80
	s_and_saveexec_b64 s[4:5], vcc
	s_cbranch_execz .LBB7_1785
; %bb.1780:
	s_mov_b32 s6, 0x37ffffff
	v_cmp_lt_u32_e32 vcc, s6, v6
	s_mov_b64 s[6:7], 0
                                        ; implicit-def: $vgpr5
	s_and_saveexec_b64 s[10:11], vcc
	s_xor_b64 s[10:11], exec, s[10:11]
	s_cbranch_execz .LBB7_2110
; %bb.1781:
	v_bfe_u32 v5, v6, 21, 1
	s_mov_b32 s12, 0x88fffff
	v_add3_u32 v5, v6, v5, s12
	s_mov_b64 s[6:7], exec
	v_lshrrev_b32_e32 v5, 21, v5
                                        ; implicit-def: $vgpr6
	s_andn2_saveexec_b64 s[10:11], s[10:11]
	s_cbranch_execnz .LBB7_2111
.LBB7_1782:
	s_or_b64 exec, exec, s[10:11]
	v_mov_b32_e32 v7, 0
	s_and_saveexec_b64 s[10:11], s[6:7]
.LBB7_1783:
	v_mov_b32_e32 v7, v5
.LBB7_1784:
	s_or_b64 exec, exec, s[10:11]
.LBB7_1785:
	s_or_b64 exec, exec, s[4:5]
	s_mov_b64 s[4:5], 0
	global_store_byte v[3:4], v7, off
.LBB7_1786:
	s_and_b64 vcc, exec, s[4:5]
	s_cbranch_vccz .LBB7_1796
; %bb.1787:
	v_cvt_f32_ubyte0_e32 v5, v1
	s_mov_b32 s4, 0x43f00000
	v_cmp_gt_u32_e32 vcc, s4, v5
                                        ; implicit-def: $vgpr6
	s_and_saveexec_b64 s[4:5], vcc
	s_xor_b64 s[4:5], exec, s[4:5]
	s_cbranch_execz .LBB7_1793
; %bb.1788:
	s_mov_b32 s6, 0x3c7fffff
	v_cmp_lt_u32_e32 vcc, s6, v5
                                        ; implicit-def: $vgpr6
	s_and_saveexec_b64 s[6:7], vcc
	s_xor_b64 s[6:7], exec, s[6:7]
; %bb.1789:
	v_bfe_u32 v6, v5, 20, 1
	s_mov_b32 s10, 0x407ffff
	v_add3_u32 v5, v5, v6, s10
	v_lshrrev_b32_e32 v6, 20, v5
	v_and_b32_e32 v5, 0xff00000, v5
	s_mov_b32 s10, 0x7f00000
	v_mov_b32_e32 v7, 0x7e
	v_cmp_ne_u32_e32 vcc, s10, v5
	v_cndmask_b32_e32 v6, v7, v6, vcc
                                        ; implicit-def: $vgpr5
; %bb.1790:
	s_andn2_saveexec_b64 s[6:7], s[6:7]
; %bb.1791:
	v_add_f32_e32 v6, 0x46800000, v5
; %bb.1792:
	s_or_b64 exec, exec, s[6:7]
                                        ; implicit-def: $vgpr5
.LBB7_1793:
	s_andn2_saveexec_b64 s[4:5], s[4:5]
; %bb.1794:
	s_mov_b32 s6, 0x7f800000
	v_mov_b32_e32 v6, 0x7e
	v_mov_b32_e32 v7, 0x7f
	v_cmp_lt_u32_e32 vcc, s6, v5
	v_cndmask_b32_e32 v6, v6, v7, vcc
; %bb.1795:
	s_or_b64 exec, exec, s[4:5]
	global_store_byte v[3:4], v6, off
.LBB7_1796:
	s_mov_b64 s[4:5], 0
.LBB7_1797:
	s_andn2_b64 vcc, exec, s[4:5]
	s_cbranch_vccnz .LBB7_1807
; %bb.1798:
	v_cvt_f32_ubyte0_e32 v5, v1
	s_mov_b32 s4, 0x47800000
	v_cmp_gt_u32_e32 vcc, s4, v5
                                        ; implicit-def: $vgpr6
	s_and_saveexec_b64 s[4:5], vcc
	s_xor_b64 s[4:5], exec, s[4:5]
	s_cbranch_execz .LBB7_1804
; %bb.1799:
	s_mov_b32 s6, 0x387fffff
	v_cmp_lt_u32_e32 vcc, s6, v5
                                        ; implicit-def: $vgpr6
	s_and_saveexec_b64 s[6:7], vcc
	s_xor_b64 s[6:7], exec, s[6:7]
; %bb.1800:
	v_bfe_u32 v6, v5, 21, 1
	s_mov_b32 s10, 0x80fffff
	v_add3_u32 v5, v5, v6, s10
	v_lshrrev_b32_e32 v6, 21, v5
                                        ; implicit-def: $vgpr5
; %bb.1801:
	s_andn2_saveexec_b64 s[6:7], s[6:7]
; %bb.1802:
	v_add_f32_e32 v6, 0x43000000, v5
; %bb.1803:
	s_or_b64 exec, exec, s[6:7]
                                        ; implicit-def: $vgpr5
.LBB7_1804:
	s_andn2_saveexec_b64 s[4:5], s[4:5]
; %bb.1805:
	s_mov_b32 s6, 0x7f800000
	v_mov_b32_e32 v6, 0x7c
	v_mov_b32_e32 v7, 0x7f
	v_cmp_lt_u32_e32 vcc, s6, v5
	v_cndmask_b32_e32 v6, v6, v7, vcc
; %bb.1806:
	s_or_b64 exec, exec, s[4:5]
	global_store_byte v[3:4], v6, off
.LBB7_1807:
	s_mov_b64 s[4:5], 0
	s_mov_b64 s[6:7], -1
.LBB7_1808:
	s_andn2_b64 vcc, exec, s[4:5]
	s_mov_b64 s[4:5], 0
	s_cbranch_vccnz .LBB7_1815
; %bb.1809:
	s_cmp_gt_i32 s16, 14
	s_mov_b64 s[10:11], -1
	s_cbranch_scc0 .LBB7_1813
; %bb.1810:
	s_cmp_eq_u32 s16, 15
	s_mov_b64 s[0:1], -1
	s_cbranch_scc0 .LBB7_1812
; %bb.1811:
	v_cvt_f32_ubyte0_e32 v5, v1
	v_bfe_u32 v6, v5, 16, 1
	s_movk_i32 s0, 0x7fff
	v_add3_u32 v5, v5, v6, s0
	global_store_short_d16_hi v[3:4], v5, off
	s_mov_b64 s[0:1], 0
	s_mov_b64 s[6:7], -1
.LBB7_1812:
	s_mov_b64 s[10:11], 0
.LBB7_1813:
	s_and_b64 vcc, exec, s[10:11]
	s_cbranch_vccz .LBB7_1815
; %bb.1814:
	s_cmp_lg_u32 s16, 11
	s_mov_b64 s[4:5], -1
	s_cselect_b64 s[0:1], -1, 0
.LBB7_1815:
	s_and_b64 vcc, exec, s[0:1]
	s_cbranch_vccnz .LBB7_2109
; %bb.1816:
	s_andn2_b64 vcc, exec, s[4:5]
	s_cbranch_vccnz .LBB7_1818
.LBB7_1817:
	v_mov_b32_e32 v5, 0
	v_cmp_ne_u16_sdwa s[0:1], v1, v5 src0_sel:BYTE_0 src1_sel:DWORD
	v_cndmask_b32_e64 v5, 0, 1, s[0:1]
	s_mov_b64 s[6:7], -1
	global_store_byte v[3:4], v5, off
.LBB7_1818:
	s_mov_b64 s[0:1], 0
	s_branch .LBB7_1820
.LBB7_1819:
	s_mov_b64 s[0:1], -1
	s_mov_b64 s[6:7], 0
.LBB7_1820:
	s_and_b64 vcc, exec, s[0:1]
	s_cbranch_vccz .LBB7_1859
; %bb.1821:
	s_and_b32 s4, 0xffff, s14
	s_cmp_lt_i32 s4, 5
	s_mov_b64 s[0:1], -1
	s_cbranch_scc1 .LBB7_1842
; %bb.1822:
	s_cmp_lt_i32 s4, 8
	s_cbranch_scc1 .LBB7_1832
; %bb.1823:
	s_cmp_lt_i32 s4, 9
	s_cbranch_scc1 .LBB7_1829
; %bb.1824:
	s_cmp_gt_i32 s4, 9
	s_cbranch_scc0 .LBB7_1826
; %bb.1825:
	s_mov_b32 s0, 0xffff
	v_and_b32_sdwa v5, s0, v1 dst_sel:DWORD dst_unused:UNUSED_PAD src0_sel:DWORD src1_sel:BYTE_0
	v_cvt_f64_u32_e32 v[5:6], v5
	v_mov_b32_e32 v7, 0
	v_mov_b32_e32 v8, v7
	s_mov_b64 s[0:1], 0
	global_store_dwordx4 v[3:4], v[5:8], off
.LBB7_1826:
	s_andn2_b64 vcc, exec, s[0:1]
	s_cbranch_vccnz .LBB7_1828
; %bb.1827:
	v_cvt_f32_ubyte0_e32 v5, v1
	v_mov_b32_e32 v6, 0
	global_store_dwordx2 v[3:4], v[5:6], off
.LBB7_1828:
	s_mov_b64 s[0:1], 0
.LBB7_1829:
	s_andn2_b64 vcc, exec, s[0:1]
	s_cbranch_vccnz .LBB7_1831
; %bb.1830:
	v_cvt_f16_u16_sdwa v5, v1 dst_sel:DWORD dst_unused:UNUSED_PAD src0_sel:BYTE_0
	global_store_dword v[3:4], v5, off
.LBB7_1831:
	s_mov_b64 s[0:1], 0
.LBB7_1832:
	s_andn2_b64 vcc, exec, s[0:1]
	s_cbranch_vccnz .LBB7_1841
; %bb.1833:
	s_cmp_lt_i32 s4, 6
	s_mov_b64 s[0:1], -1
	s_cbranch_scc1 .LBB7_1839
; %bb.1834:
	s_cmp_gt_i32 s4, 6
	s_cbranch_scc0 .LBB7_1836
; %bb.1835:
	s_mov_b32 s0, 0xffff
	v_and_b32_sdwa v5, s0, v1 dst_sel:DWORD dst_unused:UNUSED_PAD src0_sel:DWORD src1_sel:BYTE_0
	v_cvt_f64_u32_e32 v[5:6], v5
	s_mov_b64 s[0:1], 0
	global_store_dwordx2 v[3:4], v[5:6], off
.LBB7_1836:
	s_andn2_b64 vcc, exec, s[0:1]
	s_cbranch_vccnz .LBB7_1838
; %bb.1837:
	v_cvt_f32_ubyte0_e32 v5, v1
	global_store_dword v[3:4], v5, off
.LBB7_1838:
	s_mov_b64 s[0:1], 0
.LBB7_1839:
	s_andn2_b64 vcc, exec, s[0:1]
	s_cbranch_vccnz .LBB7_1841
; %bb.1840:
	v_cvt_f16_u16_sdwa v5, v1 dst_sel:DWORD dst_unused:UNUSED_PAD src0_sel:BYTE_0
	global_store_short v[3:4], v5, off
.LBB7_1841:
	s_mov_b64 s[0:1], 0
.LBB7_1842:
	s_andn2_b64 vcc, exec, s[0:1]
	s_cbranch_vccnz .LBB7_1858
; %bb.1843:
	s_cmp_lt_i32 s4, 2
	s_mov_b64 s[0:1], -1
	s_cbranch_scc1 .LBB7_1853
; %bb.1844:
	s_cmp_lt_i32 s4, 3
	s_cbranch_scc1 .LBB7_1850
; %bb.1845:
	s_cmp_gt_i32 s4, 3
	s_cbranch_scc0 .LBB7_1847
; %bb.1846:
	v_and_b32_e32 v5, 0xff, v1
	v_mov_b32_e32 v6, 0
	global_store_dwordx2 v[3:4], v[5:6], off
	s_mov_b64 s[0:1], 0
.LBB7_1847:
	s_andn2_b64 vcc, exec, s[0:1]
	s_cbranch_vccnz .LBB7_1849
; %bb.1848:
	v_and_b32_e32 v5, 0xff, v1
	global_store_dword v[3:4], v5, off
.LBB7_1849:
	s_mov_b64 s[0:1], 0
.LBB7_1850:
	s_andn2_b64 vcc, exec, s[0:1]
	s_cbranch_vccnz .LBB7_1852
; %bb.1851:
	v_and_b32_e32 v5, 0xff, v1
	global_store_short v[3:4], v5, off
.LBB7_1852:
	s_mov_b64 s[0:1], 0
.LBB7_1853:
	s_andn2_b64 vcc, exec, s[0:1]
	s_cbranch_vccnz .LBB7_1858
; %bb.1854:
	s_cmp_gt_i32 s4, 0
	s_mov_b64 s[0:1], -1
	s_cbranch_scc0 .LBB7_1856
; %bb.1855:
	global_store_byte v[3:4], v1, off
	s_mov_b64 s[0:1], 0
.LBB7_1856:
	s_andn2_b64 vcc, exec, s[0:1]
	s_cbranch_vccnz .LBB7_1858
; %bb.1857:
	global_store_byte v[3:4], v1, off
.LBB7_1858:
	s_mov_b64 s[6:7], -1
.LBB7_1859:
	s_andn2_b64 vcc, exec, s[6:7]
	s_cbranch_vccnz .LBB7_2055
; %bb.1860:
	v_mov_b32_e32 v3, 8
	v_lshlrev_b32_e64 v1, v9, s15
	v_cmp_lt_u16_sdwa vcc, v9, v3 src0_sel:BYTE_0 src1_sel:DWORD
	v_cndmask_b32_e32 v3, 0, v1, vcc
	v_mov_b32_e32 v4, s9
	v_add_co_u32_e32 v1, vcc, s8, v2
	s_cmp_lt_i32 s14, 11
	v_addc_co_u32_e32 v2, vcc, 0, v4, vcc
	s_cbranch_scc1 .LBB7_1938
; %bb.1861:
	s_and_b32 s16, 0xffff, s14
	s_mov_b64 s[10:11], -1
	s_mov_b64 s[4:5], 0
	s_cmp_gt_i32 s16, 25
	s_mov_b64 s[6:7], 0
	s_mov_b64 s[0:1], 0
	s_cbranch_scc0 .LBB7_1894
; %bb.1862:
	s_cmp_gt_i32 s16, 28
	s_cbranch_scc0 .LBB7_1877
; %bb.1863:
	s_cmp_gt_i32 s16, 43
	;; [unrolled: 3-line block ×3, first 2 shown]
	s_cbranch_scc0 .LBB7_1867
; %bb.1865:
	s_mov_b64 s[0:1], -1
	s_mov_b64 s[10:11], 0
	s_cmp_eq_u32 s16, 46
	s_cbranch_scc0 .LBB7_1867
; %bb.1866:
	v_cvt_f32_ubyte0_e32 v4, v3
	v_bfe_u32 v5, v4, 16, 1
	s_movk_i32 s0, 0x7fff
	v_add3_u32 v4, v4, v5, s0
	v_lshrrev_b32_e32 v4, 16, v4
	global_store_dword v[1:2], v4, off
	s_mov_b64 s[0:1], 0
	s_mov_b64 s[6:7], -1
.LBB7_1867:
	s_and_b64 vcc, exec, s[10:11]
	s_cbranch_vccz .LBB7_1872
; %bb.1868:
	s_cmp_eq_u32 s16, 44
	s_mov_b64 s[0:1], -1
	s_cbranch_scc0 .LBB7_1872
; %bb.1869:
	v_cvt_f32_ubyte0_e32 v5, v3
	v_lshrrev_b32_e32 v4, 23, v5
	s_movk_i32 s0, 0xff
	v_cmp_ne_u32_e32 vcc, s0, v4
	v_mov_b32_e32 v6, 0xff
	s_and_saveexec_b64 s[6:7], vcc
; %bb.1870:
	s_mov_b32 s0, 0x3fffff
	v_and_b32_e32 v6, 0x400000, v5
	v_and_or_b32 v5, v5, s0, v4
	v_cmp_ne_u32_e32 vcc, 0, v6
	v_cmp_ne_u32_e64 s[0:1], 0, v5
	s_and_b64 s[0:1], vcc, s[0:1]
	v_cndmask_b32_e64 v5, 0, 1, s[0:1]
	v_add_u32_e32 v6, v4, v5
; %bb.1871:
	s_or_b64 exec, exec, s[6:7]
	s_mov_b64 s[0:1], 0
	s_mov_b64 s[6:7], -1
	global_store_byte v[1:2], v6, off
.LBB7_1872:
	s_mov_b64 s[10:11], 0
.LBB7_1873:
	s_and_b64 vcc, exec, s[10:11]
	s_cbranch_vccz .LBB7_1876
; %bb.1874:
	s_cmp_eq_u32 s16, 29
	s_mov_b64 s[0:1], -1
	s_cbranch_scc0 .LBB7_1876
; %bb.1875:
	v_and_b32_e32 v4, 0xff, v3
	v_mov_b32_e32 v5, 0
	global_store_dwordx2 v[1:2], v[4:5], off
	s_mov_b64 s[0:1], 0
	s_mov_b64 s[6:7], -1
.LBB7_1876:
	s_mov_b64 s[10:11], 0
.LBB7_1877:
	s_and_b64 vcc, exec, s[10:11]
	s_cbranch_vccz .LBB7_1893
; %bb.1878:
	s_cmp_lt_i32 s16, 27
	s_mov_b64 s[6:7], -1
	s_cbranch_scc1 .LBB7_1884
; %bb.1879:
	s_cmp_gt_i32 s16, 27
	s_cbranch_scc0 .LBB7_1881
; %bb.1880:
	v_and_b32_e32 v4, 0xff, v3
	s_mov_b64 s[6:7], 0
	global_store_dword v[1:2], v4, off
.LBB7_1881:
	s_andn2_b64 vcc, exec, s[6:7]
	s_cbranch_vccnz .LBB7_1883
; %bb.1882:
	v_and_b32_e32 v4, 0xff, v3
	global_store_short v[1:2], v4, off
.LBB7_1883:
	s_mov_b64 s[6:7], 0
.LBB7_1884:
	s_andn2_b64 vcc, exec, s[6:7]
	s_cbranch_vccnz .LBB7_1892
; %bb.1885:
	v_cvt_f32_ubyte0_e32 v5, v3
	s_mov_b32 s6, 0x43800000
	v_cmp_gt_u32_e32 vcc, s6, v5
	v_mov_b32_e32 v6, 0x80
	s_and_saveexec_b64 s[6:7], vcc
	s_cbranch_execz .LBB7_1891
; %bb.1886:
	s_mov_b32 s10, 0x3bffffff
	v_cmp_lt_u32_e32 vcc, s10, v5
	s_mov_b64 s[10:11], 0
                                        ; implicit-def: $vgpr4
	s_and_saveexec_b64 s[12:13], vcc
	s_xor_b64 s[12:13], exec, s[12:13]
	s_cbranch_execz .LBB7_2112
; %bb.1887:
	v_bfe_u32 v4, v5, 20, 1
	s_mov_b32 s17, 0x487ffff
	v_add3_u32 v4, v5, v4, s17
	s_mov_b64 s[10:11], exec
	v_lshrrev_b32_e32 v4, 20, v4
                                        ; implicit-def: $vgpr5
	s_andn2_saveexec_b64 s[12:13], s[12:13]
	s_cbranch_execnz .LBB7_2113
.LBB7_1888:
	s_or_b64 exec, exec, s[12:13]
	v_mov_b32_e32 v6, 0
	s_and_saveexec_b64 s[12:13], s[10:11]
.LBB7_1889:
	v_mov_b32_e32 v6, v4
.LBB7_1890:
	s_or_b64 exec, exec, s[12:13]
.LBB7_1891:
	s_or_b64 exec, exec, s[6:7]
	global_store_byte v[1:2], v6, off
.LBB7_1892:
	s_mov_b64 s[6:7], -1
.LBB7_1893:
	s_mov_b64 s[10:11], 0
.LBB7_1894:
	s_and_b64 vcc, exec, s[10:11]
	s_cbranch_vccz .LBB7_1934
; %bb.1895:
	s_cmp_gt_i32 s16, 22
	s_mov_b64 s[4:5], -1
	s_cbranch_scc0 .LBB7_1927
; %bb.1896:
	s_cmp_lt_i32 s16, 24
	s_cbranch_scc1 .LBB7_1916
; %bb.1897:
	s_cmp_gt_i32 s16, 24
	s_cbranch_scc0 .LBB7_1905
; %bb.1898:
	v_cvt_f32_ubyte0_e32 v5, v3
	s_mov_b32 s4, 0x47800000
	v_cmp_gt_u32_e32 vcc, s4, v5
	v_mov_b32_e32 v6, 0x80
	s_and_saveexec_b64 s[4:5], vcc
	s_cbranch_execz .LBB7_1904
; %bb.1899:
	s_mov_b32 s6, 0x37ffffff
	v_cmp_lt_u32_e32 vcc, s6, v5
	s_mov_b64 s[6:7], 0
                                        ; implicit-def: $vgpr4
	s_and_saveexec_b64 s[10:11], vcc
	s_xor_b64 s[10:11], exec, s[10:11]
	s_cbranch_execz .LBB7_2115
; %bb.1900:
	v_bfe_u32 v4, v5, 21, 1
	s_mov_b32 s12, 0x88fffff
	v_add3_u32 v4, v5, v4, s12
	s_mov_b64 s[6:7], exec
	v_lshrrev_b32_e32 v4, 21, v4
                                        ; implicit-def: $vgpr5
	s_andn2_saveexec_b64 s[10:11], s[10:11]
	s_cbranch_execnz .LBB7_2116
.LBB7_1901:
	s_or_b64 exec, exec, s[10:11]
	v_mov_b32_e32 v6, 0
	s_and_saveexec_b64 s[10:11], s[6:7]
.LBB7_1902:
	v_mov_b32_e32 v6, v4
.LBB7_1903:
	s_or_b64 exec, exec, s[10:11]
.LBB7_1904:
	s_or_b64 exec, exec, s[4:5]
	s_mov_b64 s[4:5], 0
	global_store_byte v[1:2], v6, off
.LBB7_1905:
	s_and_b64 vcc, exec, s[4:5]
	s_cbranch_vccz .LBB7_1915
; %bb.1906:
	v_cvt_f32_ubyte0_e32 v4, v3
	s_mov_b32 s4, 0x43f00000
	v_cmp_gt_u32_e32 vcc, s4, v4
                                        ; implicit-def: $vgpr5
	s_and_saveexec_b64 s[4:5], vcc
	s_xor_b64 s[4:5], exec, s[4:5]
	s_cbranch_execz .LBB7_1912
; %bb.1907:
	s_mov_b32 s6, 0x3c7fffff
	v_cmp_lt_u32_e32 vcc, s6, v4
                                        ; implicit-def: $vgpr5
	s_and_saveexec_b64 s[6:7], vcc
	s_xor_b64 s[6:7], exec, s[6:7]
; %bb.1908:
	v_bfe_u32 v5, v4, 20, 1
	s_mov_b32 s10, 0x407ffff
	v_add3_u32 v4, v4, v5, s10
	v_lshrrev_b32_e32 v5, 20, v4
	v_and_b32_e32 v4, 0xff00000, v4
	s_mov_b32 s10, 0x7f00000
	v_mov_b32_e32 v6, 0x7e
	v_cmp_ne_u32_e32 vcc, s10, v4
	v_cndmask_b32_e32 v5, v6, v5, vcc
                                        ; implicit-def: $vgpr4
; %bb.1909:
	s_andn2_saveexec_b64 s[6:7], s[6:7]
; %bb.1910:
	v_add_f32_e32 v5, 0x46800000, v4
; %bb.1911:
	s_or_b64 exec, exec, s[6:7]
                                        ; implicit-def: $vgpr4
.LBB7_1912:
	s_andn2_saveexec_b64 s[4:5], s[4:5]
; %bb.1913:
	s_mov_b32 s6, 0x7f800000
	v_mov_b32_e32 v5, 0x7e
	v_mov_b32_e32 v6, 0x7f
	v_cmp_lt_u32_e32 vcc, s6, v4
	v_cndmask_b32_e32 v5, v5, v6, vcc
; %bb.1914:
	s_or_b64 exec, exec, s[4:5]
	global_store_byte v[1:2], v5, off
.LBB7_1915:
	s_mov_b64 s[4:5], 0
.LBB7_1916:
	s_andn2_b64 vcc, exec, s[4:5]
	s_cbranch_vccnz .LBB7_1926
; %bb.1917:
	v_cvt_f32_ubyte0_e32 v4, v3
	s_mov_b32 s4, 0x47800000
	v_cmp_gt_u32_e32 vcc, s4, v4
                                        ; implicit-def: $vgpr5
	s_and_saveexec_b64 s[4:5], vcc
	s_xor_b64 s[4:5], exec, s[4:5]
	s_cbranch_execz .LBB7_1923
; %bb.1918:
	s_mov_b32 s6, 0x387fffff
	v_cmp_lt_u32_e32 vcc, s6, v4
                                        ; implicit-def: $vgpr5
	s_and_saveexec_b64 s[6:7], vcc
	s_xor_b64 s[6:7], exec, s[6:7]
; %bb.1919:
	v_bfe_u32 v5, v4, 21, 1
	s_mov_b32 s10, 0x80fffff
	v_add3_u32 v4, v4, v5, s10
	v_lshrrev_b32_e32 v5, 21, v4
                                        ; implicit-def: $vgpr4
; %bb.1920:
	s_andn2_saveexec_b64 s[6:7], s[6:7]
; %bb.1921:
	v_add_f32_e32 v5, 0x43000000, v4
; %bb.1922:
	s_or_b64 exec, exec, s[6:7]
                                        ; implicit-def: $vgpr4
.LBB7_1923:
	s_andn2_saveexec_b64 s[4:5], s[4:5]
; %bb.1924:
	s_mov_b32 s6, 0x7f800000
	v_mov_b32_e32 v5, 0x7c
	v_mov_b32_e32 v6, 0x7f
	v_cmp_lt_u32_e32 vcc, s6, v4
	v_cndmask_b32_e32 v5, v5, v6, vcc
; %bb.1925:
	s_or_b64 exec, exec, s[4:5]
	global_store_byte v[1:2], v5, off
.LBB7_1926:
	s_mov_b64 s[4:5], 0
	s_mov_b64 s[6:7], -1
.LBB7_1927:
	s_andn2_b64 vcc, exec, s[4:5]
	s_mov_b64 s[4:5], 0
	s_cbranch_vccnz .LBB7_1934
; %bb.1928:
	s_cmp_gt_i32 s16, 14
	s_mov_b64 s[10:11], -1
	s_cbranch_scc0 .LBB7_1932
; %bb.1929:
	s_cmp_eq_u32 s16, 15
	s_mov_b64 s[0:1], -1
	s_cbranch_scc0 .LBB7_1931
; %bb.1930:
	v_cvt_f32_ubyte0_e32 v4, v3
	v_bfe_u32 v5, v4, 16, 1
	s_movk_i32 s0, 0x7fff
	v_add3_u32 v4, v4, v5, s0
	global_store_short_d16_hi v[1:2], v4, off
	s_mov_b64 s[0:1], 0
	s_mov_b64 s[6:7], -1
.LBB7_1931:
	s_mov_b64 s[10:11], 0
.LBB7_1932:
	s_and_b64 vcc, exec, s[10:11]
	s_cbranch_vccz .LBB7_1934
; %bb.1933:
	s_cmp_lg_u32 s16, 11
	s_mov_b64 s[4:5], -1
	s_cselect_b64 s[0:1], -1, 0
.LBB7_1934:
	s_and_b64 vcc, exec, s[0:1]
	s_cbranch_vccnz .LBB7_2114
; %bb.1935:
	s_andn2_b64 vcc, exec, s[4:5]
	s_cbranch_vccnz .LBB7_1937
.LBB7_1936:
	v_mov_b32_e32 v4, 0
	v_cmp_ne_u16_sdwa s[0:1], v3, v4 src0_sel:BYTE_0 src1_sel:DWORD
	v_cndmask_b32_e64 v4, 0, 1, s[0:1]
	s_mov_b64 s[6:7], -1
	global_store_byte v[1:2], v4, off
.LBB7_1937:
	s_mov_b64 s[0:1], 0
	s_branch .LBB7_1939
.LBB7_1938:
	s_mov_b64 s[0:1], -1
	s_mov_b64 s[6:7], 0
.LBB7_1939:
	s_and_b64 vcc, exec, s[0:1]
	s_cbranch_vccz .LBB7_1978
; %bb.1940:
	s_and_b32 s4, 0xffff, s14
	s_cmp_lt_i32 s4, 5
	s_mov_b64 s[0:1], -1
	s_cbranch_scc1 .LBB7_1961
; %bb.1941:
	s_cmp_lt_i32 s4, 8
	s_cbranch_scc1 .LBB7_1951
; %bb.1942:
	s_cmp_lt_i32 s4, 9
	s_cbranch_scc1 .LBB7_1948
; %bb.1943:
	s_cmp_gt_i32 s4, 9
	s_cbranch_scc0 .LBB7_1945
; %bb.1944:
	s_mov_b32 s0, 0xffff
	v_and_b32_sdwa v4, s0, v3 dst_sel:DWORD dst_unused:UNUSED_PAD src0_sel:DWORD src1_sel:BYTE_0
	v_cvt_f64_u32_e32 v[4:5], v4
	v_mov_b32_e32 v6, 0
	v_mov_b32_e32 v7, v6
	s_mov_b64 s[0:1], 0
	global_store_dwordx4 v[1:2], v[4:7], off
.LBB7_1945:
	s_andn2_b64 vcc, exec, s[0:1]
	s_cbranch_vccnz .LBB7_1947
; %bb.1946:
	v_cvt_f32_ubyte0_e32 v4, v3
	v_mov_b32_e32 v5, 0
	global_store_dwordx2 v[1:2], v[4:5], off
.LBB7_1947:
	s_mov_b64 s[0:1], 0
.LBB7_1948:
	s_andn2_b64 vcc, exec, s[0:1]
	s_cbranch_vccnz .LBB7_1950
; %bb.1949:
	v_cvt_f16_u16_sdwa v4, v3 dst_sel:DWORD dst_unused:UNUSED_PAD src0_sel:BYTE_0
	global_store_dword v[1:2], v4, off
.LBB7_1950:
	s_mov_b64 s[0:1], 0
.LBB7_1951:
	s_andn2_b64 vcc, exec, s[0:1]
	s_cbranch_vccnz .LBB7_1960
; %bb.1952:
	s_cmp_lt_i32 s4, 6
	s_mov_b64 s[0:1], -1
	s_cbranch_scc1 .LBB7_1958
; %bb.1953:
	s_cmp_gt_i32 s4, 6
	s_cbranch_scc0 .LBB7_1955
; %bb.1954:
	s_mov_b32 s0, 0xffff
	v_and_b32_sdwa v4, s0, v3 dst_sel:DWORD dst_unused:UNUSED_PAD src0_sel:DWORD src1_sel:BYTE_0
	v_cvt_f64_u32_e32 v[4:5], v4
	s_mov_b64 s[0:1], 0
	global_store_dwordx2 v[1:2], v[4:5], off
.LBB7_1955:
	s_andn2_b64 vcc, exec, s[0:1]
	s_cbranch_vccnz .LBB7_1957
; %bb.1956:
	v_cvt_f32_ubyte0_e32 v4, v3
	global_store_dword v[1:2], v4, off
.LBB7_1957:
	s_mov_b64 s[0:1], 0
.LBB7_1958:
	s_andn2_b64 vcc, exec, s[0:1]
	s_cbranch_vccnz .LBB7_1960
; %bb.1959:
	v_cvt_f16_u16_sdwa v4, v3 dst_sel:DWORD dst_unused:UNUSED_PAD src0_sel:BYTE_0
	global_store_short v[1:2], v4, off
.LBB7_1960:
	s_mov_b64 s[0:1], 0
.LBB7_1961:
	s_andn2_b64 vcc, exec, s[0:1]
	s_cbranch_vccnz .LBB7_1977
; %bb.1962:
	s_cmp_lt_i32 s4, 2
	s_mov_b64 s[0:1], -1
	s_cbranch_scc1 .LBB7_1972
; %bb.1963:
	s_cmp_lt_i32 s4, 3
	s_cbranch_scc1 .LBB7_1969
; %bb.1964:
	s_cmp_gt_i32 s4, 3
	s_cbranch_scc0 .LBB7_1966
; %bb.1965:
	v_and_b32_e32 v4, 0xff, v3
	v_mov_b32_e32 v5, 0
	global_store_dwordx2 v[1:2], v[4:5], off
	s_mov_b64 s[0:1], 0
.LBB7_1966:
	s_andn2_b64 vcc, exec, s[0:1]
	s_cbranch_vccnz .LBB7_1968
; %bb.1967:
	v_and_b32_e32 v4, 0xff, v3
	global_store_dword v[1:2], v4, off
.LBB7_1968:
	s_mov_b64 s[0:1], 0
.LBB7_1969:
	s_andn2_b64 vcc, exec, s[0:1]
	s_cbranch_vccnz .LBB7_1971
; %bb.1970:
	v_and_b32_e32 v4, 0xff, v3
	global_store_short v[1:2], v4, off
.LBB7_1971:
	s_mov_b64 s[0:1], 0
.LBB7_1972:
	s_andn2_b64 vcc, exec, s[0:1]
	s_cbranch_vccnz .LBB7_1977
; %bb.1973:
	s_cmp_gt_i32 s4, 0
	s_mov_b64 s[0:1], -1
	s_cbranch_scc0 .LBB7_1975
; %bb.1974:
	global_store_byte v[1:2], v3, off
	s_mov_b64 s[0:1], 0
.LBB7_1975:
	s_andn2_b64 vcc, exec, s[0:1]
	s_cbranch_vccnz .LBB7_1977
; %bb.1976:
	global_store_byte v[1:2], v3, off
.LBB7_1977:
	s_mov_b64 s[6:7], -1
.LBB7_1978:
	s_andn2_b64 vcc, exec, s[6:7]
	s_cbranch_vccnz .LBB7_2055
; %bb.1979:
	v_mov_b32_e32 v2, 8
	v_lshlrev_b32_e64 v1, v10, s15
	v_cmp_lt_u16_sdwa vcc, v10, v2 src0_sel:BYTE_0 src1_sel:DWORD
	v_cndmask_b32_e32 v2, 0, v1, vcc
	v_mov_b32_e32 v1, s9
	v_add_co_u32_e32 v0, vcc, s8, v0
	s_cmp_lt_i32 s14, 11
	v_addc_co_u32_e32 v1, vcc, 0, v1, vcc
	s_cbranch_scc1 .LBB7_2100
; %bb.1980:
	s_and_b32 s12, 0xffff, s14
	s_mov_b64 s[6:7], -1
	s_mov_b64 s[4:5], 0
	s_cmp_gt_i32 s12, 25
	s_mov_b64 s[0:1], 0
	s_cbranch_scc0 .LBB7_2013
; %bb.1981:
	s_cmp_gt_i32 s12, 28
	s_cbranch_scc0 .LBB7_1997
; %bb.1982:
	s_cmp_gt_i32 s12, 43
	;; [unrolled: 3-line block ×3, first 2 shown]
	s_cbranch_scc0 .LBB7_1987
; %bb.1984:
	s_cmp_eq_u32 s12, 46
	s_mov_b64 s[0:1], -1
	s_cbranch_scc0 .LBB7_1986
; %bb.1985:
	v_cvt_f32_ubyte0_e32 v3, v2
	v_bfe_u32 v4, v3, 16, 1
	s_movk_i32 s0, 0x7fff
	v_add3_u32 v3, v3, v4, s0
	v_lshrrev_b32_e32 v3, 16, v3
	global_store_dword v[0:1], v3, off
	s_mov_b64 s[0:1], 0
.LBB7_1986:
	s_mov_b64 s[6:7], 0
.LBB7_1987:
	s_and_b64 vcc, exec, s[6:7]
	s_cbranch_vccz .LBB7_1992
; %bb.1988:
	s_cmp_eq_u32 s12, 44
	s_mov_b64 s[0:1], -1
	s_cbranch_scc0 .LBB7_1992
; %bb.1989:
	v_cvt_f32_ubyte0_e32 v4, v2
	v_lshrrev_b32_e32 v3, 23, v4
	s_movk_i32 s0, 0xff
	v_cmp_ne_u32_e32 vcc, s0, v3
	v_mov_b32_e32 v5, 0xff
	s_and_saveexec_b64 s[6:7], vcc
; %bb.1990:
	s_mov_b32 s0, 0x3fffff
	v_and_b32_e32 v5, 0x400000, v4
	v_and_or_b32 v4, v4, s0, v3
	v_cmp_ne_u32_e32 vcc, 0, v5
	v_cmp_ne_u32_e64 s[0:1], 0, v4
	s_and_b64 s[0:1], vcc, s[0:1]
	v_cndmask_b32_e64 v4, 0, 1, s[0:1]
	v_add_u32_e32 v5, v3, v4
; %bb.1991:
	s_or_b64 exec, exec, s[6:7]
	s_mov_b64 s[0:1], 0
	global_store_byte v[0:1], v5, off
.LBB7_1992:
	s_mov_b64 s[6:7], 0
.LBB7_1993:
	s_and_b64 vcc, exec, s[6:7]
	s_cbranch_vccz .LBB7_1996
; %bb.1994:
	s_cmp_eq_u32 s12, 29
	s_mov_b64 s[0:1], -1
	s_cbranch_scc0 .LBB7_1996
; %bb.1995:
	v_and_b32_e32 v3, 0xff, v2
	v_mov_b32_e32 v4, 0
	global_store_dwordx2 v[0:1], v[3:4], off
	s_mov_b64 s[0:1], 0
.LBB7_1996:
	s_mov_b64 s[6:7], 0
.LBB7_1997:
	s_and_b64 vcc, exec, s[6:7]
	s_cbranch_vccz .LBB7_2012
; %bb.1998:
	s_cmp_lt_i32 s12, 27
	s_mov_b64 s[6:7], -1
	s_cbranch_scc1 .LBB7_2004
; %bb.1999:
	s_cmp_gt_i32 s12, 27
	s_cbranch_scc0 .LBB7_2001
; %bb.2000:
	v_and_b32_e32 v3, 0xff, v2
	global_store_dword v[0:1], v3, off
	s_mov_b64 s[6:7], 0
.LBB7_2001:
	s_andn2_b64 vcc, exec, s[6:7]
	s_cbranch_vccnz .LBB7_2003
; %bb.2002:
	v_and_b32_e32 v3, 0xff, v2
	global_store_short v[0:1], v3, off
.LBB7_2003:
	s_mov_b64 s[6:7], 0
.LBB7_2004:
	s_andn2_b64 vcc, exec, s[6:7]
	s_cbranch_vccnz .LBB7_2012
; %bb.2005:
	v_cvt_f32_ubyte0_e32 v4, v2
	s_mov_b32 s6, 0x43800000
	v_cmp_gt_u32_e32 vcc, s6, v4
	v_mov_b32_e32 v5, 0x80
	s_and_saveexec_b64 s[6:7], vcc
	s_cbranch_execz .LBB7_2011
; %bb.2006:
	s_mov_b32 s8, 0x3bffffff
	v_cmp_lt_u32_e32 vcc, s8, v4
	s_mov_b64 s[8:9], 0
                                        ; implicit-def: $vgpr3
	s_and_saveexec_b64 s[10:11], vcc
	s_xor_b64 s[10:11], exec, s[10:11]
	s_cbranch_execz .LBB7_2117
; %bb.2007:
	v_bfe_u32 v3, v4, 20, 1
	s_mov_b32 s13, 0x487ffff
	v_add3_u32 v3, v4, v3, s13
	s_mov_b64 s[8:9], exec
	v_lshrrev_b32_e32 v3, 20, v3
                                        ; implicit-def: $vgpr4
	s_andn2_saveexec_b64 s[10:11], s[10:11]
	s_cbranch_execnz .LBB7_2118
.LBB7_2008:
	s_or_b64 exec, exec, s[10:11]
	v_mov_b32_e32 v5, 0
	s_and_saveexec_b64 s[10:11], s[8:9]
.LBB7_2009:
	v_mov_b32_e32 v5, v3
.LBB7_2010:
	s_or_b64 exec, exec, s[10:11]
.LBB7_2011:
	s_or_b64 exec, exec, s[6:7]
	global_store_byte v[0:1], v5, off
.LBB7_2012:
	s_mov_b64 s[6:7], 0
.LBB7_2013:
	s_and_b64 vcc, exec, s[6:7]
	s_cbranch_vccz .LBB7_2053
; %bb.2014:
	s_cmp_gt_i32 s12, 22
	s_mov_b64 s[4:5], -1
	s_cbranch_scc0 .LBB7_2046
; %bb.2015:
	s_cmp_lt_i32 s12, 24
	s_cbranch_scc1 .LBB7_2035
; %bb.2016:
	s_cmp_gt_i32 s12, 24
	s_cbranch_scc0 .LBB7_2024
; %bb.2017:
	v_cvt_f32_ubyte0_e32 v4, v2
	s_mov_b32 s4, 0x47800000
	v_cmp_gt_u32_e32 vcc, s4, v4
	v_mov_b32_e32 v5, 0x80
	s_and_saveexec_b64 s[4:5], vcc
	s_cbranch_execz .LBB7_2023
; %bb.2018:
	s_mov_b32 s6, 0x37ffffff
	v_cmp_lt_u32_e32 vcc, s6, v4
	s_mov_b64 s[6:7], 0
                                        ; implicit-def: $vgpr3
	s_and_saveexec_b64 s[8:9], vcc
	s_xor_b64 s[8:9], exec, s[8:9]
	s_cbranch_execz .LBB7_2120
; %bb.2019:
	v_bfe_u32 v3, v4, 21, 1
	s_mov_b32 s10, 0x88fffff
	v_add3_u32 v3, v4, v3, s10
	s_mov_b64 s[6:7], exec
	v_lshrrev_b32_e32 v3, 21, v3
                                        ; implicit-def: $vgpr4
	s_andn2_saveexec_b64 s[8:9], s[8:9]
	s_cbranch_execnz .LBB7_2121
.LBB7_2020:
	s_or_b64 exec, exec, s[8:9]
	v_mov_b32_e32 v5, 0
	s_and_saveexec_b64 s[8:9], s[6:7]
.LBB7_2021:
	v_mov_b32_e32 v5, v3
.LBB7_2022:
	s_or_b64 exec, exec, s[8:9]
.LBB7_2023:
	s_or_b64 exec, exec, s[4:5]
	s_mov_b64 s[4:5], 0
	global_store_byte v[0:1], v5, off
.LBB7_2024:
	s_and_b64 vcc, exec, s[4:5]
	s_cbranch_vccz .LBB7_2034
; %bb.2025:
	v_cvt_f32_ubyte0_e32 v3, v2
	s_mov_b32 s4, 0x43f00000
	v_cmp_gt_u32_e32 vcc, s4, v3
                                        ; implicit-def: $vgpr4
	s_and_saveexec_b64 s[4:5], vcc
	s_xor_b64 s[4:5], exec, s[4:5]
	s_cbranch_execz .LBB7_2031
; %bb.2026:
	s_mov_b32 s6, 0x3c7fffff
	v_cmp_lt_u32_e32 vcc, s6, v3
                                        ; implicit-def: $vgpr4
	s_and_saveexec_b64 s[6:7], vcc
	s_xor_b64 s[6:7], exec, s[6:7]
; %bb.2027:
	v_bfe_u32 v4, v3, 20, 1
	s_mov_b32 s8, 0x407ffff
	v_add3_u32 v3, v3, v4, s8
	v_lshrrev_b32_e32 v4, 20, v3
	v_and_b32_e32 v3, 0xff00000, v3
	s_mov_b32 s8, 0x7f00000
	v_mov_b32_e32 v5, 0x7e
	v_cmp_ne_u32_e32 vcc, s8, v3
	v_cndmask_b32_e32 v4, v5, v4, vcc
                                        ; implicit-def: $vgpr3
; %bb.2028:
	s_andn2_saveexec_b64 s[6:7], s[6:7]
; %bb.2029:
	v_add_f32_e32 v4, 0x46800000, v3
; %bb.2030:
	s_or_b64 exec, exec, s[6:7]
                                        ; implicit-def: $vgpr3
.LBB7_2031:
	s_andn2_saveexec_b64 s[4:5], s[4:5]
; %bb.2032:
	s_mov_b32 s6, 0x7f800000
	v_mov_b32_e32 v4, 0x7e
	v_mov_b32_e32 v5, 0x7f
	v_cmp_lt_u32_e32 vcc, s6, v3
	v_cndmask_b32_e32 v4, v4, v5, vcc
; %bb.2033:
	s_or_b64 exec, exec, s[4:5]
	global_store_byte v[0:1], v4, off
.LBB7_2034:
	s_mov_b64 s[4:5], 0
.LBB7_2035:
	s_andn2_b64 vcc, exec, s[4:5]
	s_cbranch_vccnz .LBB7_2045
; %bb.2036:
	v_cvt_f32_ubyte0_e32 v3, v2
	s_mov_b32 s4, 0x47800000
	v_cmp_gt_u32_e32 vcc, s4, v3
                                        ; implicit-def: $vgpr4
	s_and_saveexec_b64 s[4:5], vcc
	s_xor_b64 s[4:5], exec, s[4:5]
	s_cbranch_execz .LBB7_2042
; %bb.2037:
	s_mov_b32 s6, 0x387fffff
	v_cmp_lt_u32_e32 vcc, s6, v3
                                        ; implicit-def: $vgpr4
	s_and_saveexec_b64 s[6:7], vcc
	s_xor_b64 s[6:7], exec, s[6:7]
; %bb.2038:
	v_bfe_u32 v4, v3, 21, 1
	s_mov_b32 s8, 0x80fffff
	v_add3_u32 v3, v3, v4, s8
	v_lshrrev_b32_e32 v4, 21, v3
                                        ; implicit-def: $vgpr3
; %bb.2039:
	s_andn2_saveexec_b64 s[6:7], s[6:7]
; %bb.2040:
	v_add_f32_e32 v4, 0x43000000, v3
; %bb.2041:
	s_or_b64 exec, exec, s[6:7]
                                        ; implicit-def: $vgpr3
.LBB7_2042:
	s_andn2_saveexec_b64 s[4:5], s[4:5]
; %bb.2043:
	s_mov_b32 s6, 0x7f800000
	v_mov_b32_e32 v4, 0x7c
	v_mov_b32_e32 v5, 0x7f
	v_cmp_lt_u32_e32 vcc, s6, v3
	v_cndmask_b32_e32 v4, v4, v5, vcc
; %bb.2044:
	s_or_b64 exec, exec, s[4:5]
	global_store_byte v[0:1], v4, off
.LBB7_2045:
	s_mov_b64 s[4:5], 0
.LBB7_2046:
	s_andn2_b64 vcc, exec, s[4:5]
	s_mov_b64 s[4:5], 0
	s_cbranch_vccnz .LBB7_2053
; %bb.2047:
	s_cmp_gt_i32 s12, 14
	s_mov_b64 s[6:7], -1
	s_cbranch_scc0 .LBB7_2051
; %bb.2048:
	s_cmp_eq_u32 s12, 15
	s_mov_b64 s[0:1], -1
	s_cbranch_scc0 .LBB7_2050
; %bb.2049:
	v_cvt_f32_ubyte0_e32 v3, v2
	v_bfe_u32 v4, v3, 16, 1
	s_movk_i32 s0, 0x7fff
	v_add3_u32 v3, v3, v4, s0
	global_store_short_d16_hi v[0:1], v3, off
	s_mov_b64 s[0:1], 0
.LBB7_2050:
	s_mov_b64 s[6:7], 0
.LBB7_2051:
	s_and_b64 vcc, exec, s[6:7]
	s_cbranch_vccz .LBB7_2053
; %bb.2052:
	s_cmp_lg_u32 s12, 11
	s_mov_b64 s[4:5], -1
	s_cselect_b64 s[0:1], -1, 0
.LBB7_2053:
	s_and_b64 vcc, exec, s[0:1]
	s_cbranch_vccnz .LBB7_2119
.LBB7_2054:
	s_mov_b64 s[0:1], 0
	s_branch .LBB7_2056
.LBB7_2055:
	s_mov_b64 s[0:1], 0
	s_mov_b64 s[4:5], 0
                                        ; implicit-def: $vgpr0_vgpr1
                                        ; implicit-def: $sgpr14
                                        ; implicit-def: $vgpr2
.LBB7_2056:
	s_and_b64 s[6:7], s[4:5], exec
	s_andn2_b64 s[4:5], s[28:29], exec
	s_and_b64 s[2:3], s[2:3], exec
	s_and_b64 s[0:1], s[0:1], exec
	s_or_b64 s[28:29], s[4:5], s[2:3]
.LBB7_2057:
	s_or_b64 exec, exec, s[30:31]
	s_and_saveexec_b64 s[2:3], s[28:29]
	s_cbranch_execz .LBB7_2060
; %bb.2058:
	; divergent unreachable
	s_or_b64 exec, exec, s[2:3]
	s_and_saveexec_b64 s[2:3], s[6:7]
	s_xor_b64 s[2:3], exec, s[2:3]
	s_cbranch_execnz .LBB7_2061
.LBB7_2059:
	s_or_b64 exec, exec, s[2:3]
	s_and_saveexec_b64 s[2:3], s[0:1]
	s_cbranch_execnz .LBB7_2062
	s_branch .LBB7_2099
.LBB7_2060:
	s_or_b64 exec, exec, s[2:3]
	s_and_saveexec_b64 s[2:3], s[6:7]
	s_xor_b64 s[2:3], exec, s[2:3]
	s_cbranch_execz .LBB7_2059
.LBB7_2061:
	s_waitcnt vmcnt(0)
	v_mov_b32_e32 v3, 0
	v_cmp_ne_u16_sdwa s[4:5], v2, v3 src0_sel:BYTE_0 src1_sel:DWORD
	v_cndmask_b32_e64 v3, 0, 1, s[4:5]
	global_store_byte v[0:1], v3, off
	s_or_b64 exec, exec, s[2:3]
	s_and_saveexec_b64 s[2:3], s[0:1]
	s_cbranch_execz .LBB7_2099
.LBB7_2062:
	s_sext_i32_i16 s2, s14
	s_cmp_lt_i32 s2, 5
	s_mov_b64 s[0:1], -1
	s_cbranch_scc1 .LBB7_2083
; %bb.2063:
	s_cmp_lt_i32 s2, 8
	s_cbranch_scc1 .LBB7_2073
; %bb.2064:
	s_cmp_lt_i32 s2, 9
	s_cbranch_scc1 .LBB7_2070
; %bb.2065:
	s_cmp_gt_i32 s2, 9
	s_cbranch_scc0 .LBB7_2067
; %bb.2066:
	s_mov_b32 s0, 0xffff
	s_waitcnt vmcnt(0)
	v_and_b32_sdwa v3, s0, v2 dst_sel:DWORD dst_unused:UNUSED_PAD src0_sel:DWORD src1_sel:BYTE_0
	v_cvt_f64_u32_e32 v[3:4], v3
	v_mov_b32_e32 v5, 0
	v_mov_b32_e32 v6, v5
	s_mov_b64 s[0:1], 0
	global_store_dwordx4 v[0:1], v[3:6], off
.LBB7_2067:
	s_andn2_b64 vcc, exec, s[0:1]
	s_cbranch_vccnz .LBB7_2069
; %bb.2068:
	s_waitcnt vmcnt(0)
	v_cvt_f32_ubyte0_e32 v3, v2
	v_mov_b32_e32 v4, 0
	global_store_dwordx2 v[0:1], v[3:4], off
.LBB7_2069:
	s_mov_b64 s[0:1], 0
.LBB7_2070:
	s_andn2_b64 vcc, exec, s[0:1]
	s_cbranch_vccnz .LBB7_2072
; %bb.2071:
	s_waitcnt vmcnt(0)
	v_cvt_f16_u16_sdwa v3, v2 dst_sel:DWORD dst_unused:UNUSED_PAD src0_sel:BYTE_0
	global_store_dword v[0:1], v3, off
.LBB7_2072:
	s_mov_b64 s[0:1], 0
.LBB7_2073:
	s_andn2_b64 vcc, exec, s[0:1]
	s_cbranch_vccnz .LBB7_2082
; %bb.2074:
	s_sext_i32_i16 s2, s14
	s_cmp_lt_i32 s2, 6
	s_mov_b64 s[0:1], -1
	s_cbranch_scc1 .LBB7_2080
; %bb.2075:
	s_cmp_gt_i32 s2, 6
	s_cbranch_scc0 .LBB7_2077
; %bb.2076:
	s_mov_b32 s0, 0xffff
	s_waitcnt vmcnt(0)
	v_and_b32_sdwa v3, s0, v2 dst_sel:DWORD dst_unused:UNUSED_PAD src0_sel:DWORD src1_sel:BYTE_0
	v_cvt_f64_u32_e32 v[3:4], v3
	s_mov_b64 s[0:1], 0
	global_store_dwordx2 v[0:1], v[3:4], off
.LBB7_2077:
	s_andn2_b64 vcc, exec, s[0:1]
	s_cbranch_vccnz .LBB7_2079
; %bb.2078:
	s_waitcnt vmcnt(0)
	v_cvt_f32_ubyte0_e32 v3, v2
	global_store_dword v[0:1], v3, off
.LBB7_2079:
	s_mov_b64 s[0:1], 0
.LBB7_2080:
	s_andn2_b64 vcc, exec, s[0:1]
	s_cbranch_vccnz .LBB7_2082
; %bb.2081:
	s_waitcnt vmcnt(0)
	v_cvt_f16_u16_sdwa v3, v2 dst_sel:DWORD dst_unused:UNUSED_PAD src0_sel:BYTE_0
	global_store_short v[0:1], v3, off
.LBB7_2082:
	s_mov_b64 s[0:1], 0
.LBB7_2083:
	s_andn2_b64 vcc, exec, s[0:1]
	s_cbranch_vccnz .LBB7_2099
; %bb.2084:
	s_sext_i32_i16 s2, s14
	s_cmp_lt_i32 s2, 2
	s_mov_b64 s[0:1], -1
	s_cbranch_scc1 .LBB7_2094
; %bb.2085:
	s_cmp_lt_i32 s2, 3
	s_cbranch_scc1 .LBB7_2091
; %bb.2086:
	s_cmp_gt_i32 s2, 3
	s_cbranch_scc0 .LBB7_2088
; %bb.2087:
	s_waitcnt vmcnt(0)
	v_and_b32_e32 v3, 0xff, v2
	v_mov_b32_e32 v4, 0
	global_store_dwordx2 v[0:1], v[3:4], off
	s_mov_b64 s[0:1], 0
.LBB7_2088:
	s_andn2_b64 vcc, exec, s[0:1]
	s_cbranch_vccnz .LBB7_2090
; %bb.2089:
	s_waitcnt vmcnt(0)
	v_and_b32_e32 v3, 0xff, v2
	global_store_dword v[0:1], v3, off
.LBB7_2090:
	s_mov_b64 s[0:1], 0
.LBB7_2091:
	s_andn2_b64 vcc, exec, s[0:1]
	s_cbranch_vccnz .LBB7_2093
; %bb.2092:
	s_waitcnt vmcnt(0)
	v_and_b32_e32 v3, 0xff, v2
	global_store_short v[0:1], v3, off
.LBB7_2093:
	s_mov_b64 s[0:1], 0
.LBB7_2094:
	s_andn2_b64 vcc, exec, s[0:1]
	s_cbranch_vccnz .LBB7_2099
; %bb.2095:
	s_sext_i32_i16 s0, s14
	s_cmp_gt_i32 s0, 0
	s_mov_b64 s[0:1], -1
	s_cbranch_scc0 .LBB7_2097
; %bb.2096:
	global_store_byte v[0:1], v2, off
	s_mov_b64 s[0:1], 0
.LBB7_2097:
	s_andn2_b64 vcc, exec, s[0:1]
	s_cbranch_vccnz .LBB7_2099
; %bb.2098:
	global_store_byte v[0:1], v2, off
	s_endpgm
.LBB7_2099:
	s_endpgm
.LBB7_2100:
	s_mov_b64 s[4:5], 0
	s_mov_b64 s[0:1], -1
	s_branch .LBB7_2056
.LBB7_2101:
	s_trap 2
	s_or_b64 s[2:3], s[2:3], exec
	s_cbranch_execz .LBB7_1570
	s_branch .LBB7_1571
.LBB7_2102:
	s_andn2_saveexec_b64 s[12:13], s[12:13]
	s_cbranch_execz .LBB7_1650
.LBB7_2103:
	v_add_f32_e32 v3, 0x46000000, v7
	v_and_b32_e32 v3, 0xff, v3
	v_cmp_ne_u32_e32 vcc, 0, v3
	s_andn2_b64 s[10:11], s[10:11], exec
	s_and_b64 s[18:19], vcc, exec
	s_or_b64 s[10:11], s[10:11], s[18:19]
	s_or_b64 exec, exec, s[12:13]
	v_mov_b32_e32 v11, 0
	s_and_saveexec_b64 s[12:13], s[10:11]
	s_cbranch_execnz .LBB7_1651
	s_branch .LBB7_1652
.LBB7_2104:
	s_trap 2
	s_or_b64 s[2:3], s[2:3], exec
	s_cbranch_execz .LBB7_1698
	s_branch .LBB7_1699
.LBB7_2105:
	s_andn2_saveexec_b64 s[10:11], s[10:11]
	s_cbranch_execz .LBB7_1663
.LBB7_2106:
	v_add_f32_e32 v3, 0x42800000, v7
	v_and_b32_e32 v3, 0xff, v3
	v_cmp_ne_u32_e32 vcc, 0, v3
	s_andn2_b64 s[6:7], s[6:7], exec
	s_and_b64 s[12:13], vcc, exec
	s_or_b64 s[6:7], s[6:7], s[12:13]
	s_or_b64 exec, exec, s[10:11]
	v_mov_b32_e32 v11, 0
	s_and_saveexec_b64 s[10:11], s[6:7]
	s_cbranch_execnz .LBB7_1664
	s_branch .LBB7_1665
.LBB7_2107:
	s_andn2_saveexec_b64 s[12:13], s[12:13]
	s_cbranch_execz .LBB7_1769
.LBB7_2108:
	v_add_f32_e32 v5, 0x46000000, v6
	v_and_b32_e32 v5, 0xff, v5
	v_cmp_ne_u32_e32 vcc, 0, v5
	s_andn2_b64 s[10:11], s[10:11], exec
	s_and_b64 s[18:19], vcc, exec
	s_or_b64 s[10:11], s[10:11], s[18:19]
	s_or_b64 exec, exec, s[12:13]
	v_mov_b32_e32 v7, 0
	s_and_saveexec_b64 s[12:13], s[10:11]
	s_cbranch_execnz .LBB7_1770
	s_branch .LBB7_1771
.LBB7_2109:
	s_trap 2
	s_or_b64 s[2:3], s[2:3], exec
	s_cbranch_execz .LBB7_1817
	s_branch .LBB7_1818
.LBB7_2110:
	s_andn2_saveexec_b64 s[10:11], s[10:11]
	s_cbranch_execz .LBB7_1782
.LBB7_2111:
	v_add_f32_e32 v5, 0x42800000, v6
	v_and_b32_e32 v5, 0xff, v5
	v_cmp_ne_u32_e32 vcc, 0, v5
	s_andn2_b64 s[6:7], s[6:7], exec
	s_and_b64 s[12:13], vcc, exec
	s_or_b64 s[6:7], s[6:7], s[12:13]
	s_or_b64 exec, exec, s[10:11]
	v_mov_b32_e32 v7, 0
	s_and_saveexec_b64 s[10:11], s[6:7]
	s_cbranch_execnz .LBB7_1783
	s_branch .LBB7_1784
.LBB7_2112:
	s_andn2_saveexec_b64 s[12:13], s[12:13]
	s_cbranch_execz .LBB7_1888
.LBB7_2113:
	v_add_f32_e32 v4, 0x46000000, v5
	v_and_b32_e32 v4, 0xff, v4
	v_cmp_ne_u32_e32 vcc, 0, v4
	s_andn2_b64 s[10:11], s[10:11], exec
	s_and_b64 s[18:19], vcc, exec
	s_or_b64 s[10:11], s[10:11], s[18:19]
	s_or_b64 exec, exec, s[12:13]
	v_mov_b32_e32 v6, 0
	s_and_saveexec_b64 s[12:13], s[10:11]
	s_cbranch_execnz .LBB7_1889
	s_branch .LBB7_1890
.LBB7_2114:
	s_trap 2
	s_or_b64 s[2:3], s[2:3], exec
	s_cbranch_execz .LBB7_1936
	s_branch .LBB7_1937
.LBB7_2115:
	s_andn2_saveexec_b64 s[10:11], s[10:11]
	s_cbranch_execz .LBB7_1901
.LBB7_2116:
	v_add_f32_e32 v4, 0x42800000, v5
	v_and_b32_e32 v4, 0xff, v4
	v_cmp_ne_u32_e32 vcc, 0, v4
	s_andn2_b64 s[6:7], s[6:7], exec
	s_and_b64 s[12:13], vcc, exec
	s_or_b64 s[6:7], s[6:7], s[12:13]
	s_or_b64 exec, exec, s[10:11]
	v_mov_b32_e32 v6, 0
	s_and_saveexec_b64 s[10:11], s[6:7]
	s_cbranch_execnz .LBB7_1902
	s_branch .LBB7_1903
.LBB7_2117:
	s_andn2_saveexec_b64 s[10:11], s[10:11]
	s_cbranch_execz .LBB7_2008
.LBB7_2118:
	v_add_f32_e32 v3, 0x46000000, v4
	v_and_b32_e32 v3, 0xff, v3
	v_cmp_ne_u32_e32 vcc, 0, v3
	s_andn2_b64 s[8:9], s[8:9], exec
	s_and_b64 s[16:17], vcc, exec
	s_or_b64 s[8:9], s[8:9], s[16:17]
	s_or_b64 exec, exec, s[10:11]
	v_mov_b32_e32 v5, 0
	s_and_saveexec_b64 s[10:11], s[8:9]
	s_cbranch_execnz .LBB7_2009
	s_branch .LBB7_2010
.LBB7_2119:
	s_mov_b64 s[4:5], 0
	s_or_b64 s[2:3], s[2:3], exec
	s_trap 2
	s_branch .LBB7_2054
.LBB7_2120:
	s_andn2_saveexec_b64 s[8:9], s[8:9]
	s_cbranch_execz .LBB7_2020
.LBB7_2121:
	v_add_f32_e32 v3, 0x42800000, v4
	v_and_b32_e32 v3, 0xff, v3
	v_cmp_ne_u32_e32 vcc, 0, v3
	s_andn2_b64 s[6:7], s[6:7], exec
	s_and_b64 s[10:11], vcc, exec
	s_or_b64 s[6:7], s[6:7], s[10:11]
	s_or_b64 exec, exec, s[8:9]
	v_mov_b32_e32 v5, 0
	s_and_saveexec_b64 s[8:9], s[6:7]
	s_cbranch_execnz .LBB7_2021
	s_branch .LBB7_2022
	.section	.rodata,"a",@progbits
	.p2align	6, 0x0
	.amdhsa_kernel _ZN2at6native32elementwise_kernel_manual_unrollILi128ELi4EZNS0_15gpu_kernel_implINS0_13AUnaryFunctorIhhhZZZNS0_18lshift_kernel_cudaERNS_18TensorIteratorBaseEENKUlvE_clEvENKUlvE_clEvEUlhhE_EEEEvS5_RKT_EUlibE0_EEviT1_
		.amdhsa_group_segment_fixed_size 0
		.amdhsa_private_segment_fixed_size 0
		.amdhsa_kernarg_size 360
		.amdhsa_user_sgpr_count 6
		.amdhsa_user_sgpr_private_segment_buffer 1
		.amdhsa_user_sgpr_dispatch_ptr 0
		.amdhsa_user_sgpr_queue_ptr 0
		.amdhsa_user_sgpr_kernarg_segment_ptr 1
		.amdhsa_user_sgpr_dispatch_id 0
		.amdhsa_user_sgpr_flat_scratch_init 0
		.amdhsa_user_sgpr_private_segment_size 0
		.amdhsa_uses_dynamic_stack 0
		.amdhsa_system_sgpr_private_segment_wavefront_offset 0
		.amdhsa_system_sgpr_workgroup_id_x 1
		.amdhsa_system_sgpr_workgroup_id_y 0
		.amdhsa_system_sgpr_workgroup_id_z 0
		.amdhsa_system_sgpr_workgroup_info 0
		.amdhsa_system_vgpr_workitem_id 0
		.amdhsa_next_free_vgpr 18
		.amdhsa_next_free_sgpr 78
		.amdhsa_reserve_vcc 1
		.amdhsa_reserve_flat_scratch 0
		.amdhsa_float_round_mode_32 0
		.amdhsa_float_round_mode_16_64 0
		.amdhsa_float_denorm_mode_32 3
		.amdhsa_float_denorm_mode_16_64 3
		.amdhsa_dx10_clamp 1
		.amdhsa_ieee_mode 1
		.amdhsa_fp16_overflow 0
		.amdhsa_exception_fp_ieee_invalid_op 0
		.amdhsa_exception_fp_denorm_src 0
		.amdhsa_exception_fp_ieee_div_zero 0
		.amdhsa_exception_fp_ieee_overflow 0
		.amdhsa_exception_fp_ieee_underflow 0
		.amdhsa_exception_fp_ieee_inexact 0
		.amdhsa_exception_int_div_zero 0
	.end_amdhsa_kernel
	.section	.text._ZN2at6native32elementwise_kernel_manual_unrollILi128ELi4EZNS0_15gpu_kernel_implINS0_13AUnaryFunctorIhhhZZZNS0_18lshift_kernel_cudaERNS_18TensorIteratorBaseEENKUlvE_clEvENKUlvE_clEvEUlhhE_EEEEvS5_RKT_EUlibE0_EEviT1_,"axG",@progbits,_ZN2at6native32elementwise_kernel_manual_unrollILi128ELi4EZNS0_15gpu_kernel_implINS0_13AUnaryFunctorIhhhZZZNS0_18lshift_kernel_cudaERNS_18TensorIteratorBaseEENKUlvE_clEvENKUlvE_clEvEUlhhE_EEEEvS5_RKT_EUlibE0_EEviT1_,comdat
.Lfunc_end7:
	.size	_ZN2at6native32elementwise_kernel_manual_unrollILi128ELi4EZNS0_15gpu_kernel_implINS0_13AUnaryFunctorIhhhZZZNS0_18lshift_kernel_cudaERNS_18TensorIteratorBaseEENKUlvE_clEvENKUlvE_clEvEUlhhE_EEEEvS5_RKT_EUlibE0_EEviT1_, .Lfunc_end7-_ZN2at6native32elementwise_kernel_manual_unrollILi128ELi4EZNS0_15gpu_kernel_implINS0_13AUnaryFunctorIhhhZZZNS0_18lshift_kernel_cudaERNS_18TensorIteratorBaseEENKUlvE_clEvENKUlvE_clEvEUlhhE_EEEEvS5_RKT_EUlibE0_EEviT1_
                                        ; -- End function
	.set _ZN2at6native32elementwise_kernel_manual_unrollILi128ELi4EZNS0_15gpu_kernel_implINS0_13AUnaryFunctorIhhhZZZNS0_18lshift_kernel_cudaERNS_18TensorIteratorBaseEENKUlvE_clEvENKUlvE_clEvEUlhhE_EEEEvS5_RKT_EUlibE0_EEviT1_.num_vgpr, 18
	.set _ZN2at6native32elementwise_kernel_manual_unrollILi128ELi4EZNS0_15gpu_kernel_implINS0_13AUnaryFunctorIhhhZZZNS0_18lshift_kernel_cudaERNS_18TensorIteratorBaseEENKUlvE_clEvENKUlvE_clEvEUlhhE_EEEEvS5_RKT_EUlibE0_EEviT1_.num_agpr, 0
	.set _ZN2at6native32elementwise_kernel_manual_unrollILi128ELi4EZNS0_15gpu_kernel_implINS0_13AUnaryFunctorIhhhZZZNS0_18lshift_kernel_cudaERNS_18TensorIteratorBaseEENKUlvE_clEvENKUlvE_clEvEUlhhE_EEEEvS5_RKT_EUlibE0_EEviT1_.numbered_sgpr, 78
	.set _ZN2at6native32elementwise_kernel_manual_unrollILi128ELi4EZNS0_15gpu_kernel_implINS0_13AUnaryFunctorIhhhZZZNS0_18lshift_kernel_cudaERNS_18TensorIteratorBaseEENKUlvE_clEvENKUlvE_clEvEUlhhE_EEEEvS5_RKT_EUlibE0_EEviT1_.num_named_barrier, 0
	.set _ZN2at6native32elementwise_kernel_manual_unrollILi128ELi4EZNS0_15gpu_kernel_implINS0_13AUnaryFunctorIhhhZZZNS0_18lshift_kernel_cudaERNS_18TensorIteratorBaseEENKUlvE_clEvENKUlvE_clEvEUlhhE_EEEEvS5_RKT_EUlibE0_EEviT1_.private_seg_size, 0
	.set _ZN2at6native32elementwise_kernel_manual_unrollILi128ELi4EZNS0_15gpu_kernel_implINS0_13AUnaryFunctorIhhhZZZNS0_18lshift_kernel_cudaERNS_18TensorIteratorBaseEENKUlvE_clEvENKUlvE_clEvEUlhhE_EEEEvS5_RKT_EUlibE0_EEviT1_.uses_vcc, 1
	.set _ZN2at6native32elementwise_kernel_manual_unrollILi128ELi4EZNS0_15gpu_kernel_implINS0_13AUnaryFunctorIhhhZZZNS0_18lshift_kernel_cudaERNS_18TensorIteratorBaseEENKUlvE_clEvENKUlvE_clEvEUlhhE_EEEEvS5_RKT_EUlibE0_EEviT1_.uses_flat_scratch, 0
	.set _ZN2at6native32elementwise_kernel_manual_unrollILi128ELi4EZNS0_15gpu_kernel_implINS0_13AUnaryFunctorIhhhZZZNS0_18lshift_kernel_cudaERNS_18TensorIteratorBaseEENKUlvE_clEvENKUlvE_clEvEUlhhE_EEEEvS5_RKT_EUlibE0_EEviT1_.has_dyn_sized_stack, 0
	.set _ZN2at6native32elementwise_kernel_manual_unrollILi128ELi4EZNS0_15gpu_kernel_implINS0_13AUnaryFunctorIhhhZZZNS0_18lshift_kernel_cudaERNS_18TensorIteratorBaseEENKUlvE_clEvENKUlvE_clEvEUlhhE_EEEEvS5_RKT_EUlibE0_EEviT1_.has_recursion, 0
	.set _ZN2at6native32elementwise_kernel_manual_unrollILi128ELi4EZNS0_15gpu_kernel_implINS0_13AUnaryFunctorIhhhZZZNS0_18lshift_kernel_cudaERNS_18TensorIteratorBaseEENKUlvE_clEvENKUlvE_clEvEUlhhE_EEEEvS5_RKT_EUlibE0_EEviT1_.has_indirect_call, 0
	.section	.AMDGPU.csdata,"",@progbits
; Kernel info:
; codeLenInByte = 38816
; TotalNumSgprs: 82
; NumVgprs: 18
; ScratchSize: 0
; MemoryBound: 1
; FloatMode: 240
; IeeeMode: 1
; LDSByteSize: 0 bytes/workgroup (compile time only)
; SGPRBlocks: 10
; VGPRBlocks: 4
; NumSGPRsForWavesPerEU: 82
; NumVGPRsForWavesPerEU: 18
; Occupancy: 9
; WaveLimiterHint : 1
; COMPUTE_PGM_RSRC2:SCRATCH_EN: 0
; COMPUTE_PGM_RSRC2:USER_SGPR: 6
; COMPUTE_PGM_RSRC2:TRAP_HANDLER: 0
; COMPUTE_PGM_RSRC2:TGID_X_EN: 1
; COMPUTE_PGM_RSRC2:TGID_Y_EN: 0
; COMPUTE_PGM_RSRC2:TGID_Z_EN: 0
; COMPUTE_PGM_RSRC2:TIDIG_COMP_CNT: 0
	.section	.text._ZN2at6native29vectorized_elementwise_kernelILi16ENS0_13BUnaryFunctorIhhhZZZNS0_18lshift_kernel_cudaERNS_18TensorIteratorBaseEENKUlvE_clEvENKUlvE_clEvEUlhhE_EESt5arrayIPcLm2EEEEviT0_T1_,"axG",@progbits,_ZN2at6native29vectorized_elementwise_kernelILi16ENS0_13BUnaryFunctorIhhhZZZNS0_18lshift_kernel_cudaERNS_18TensorIteratorBaseEENKUlvE_clEvENKUlvE_clEvEUlhhE_EESt5arrayIPcLm2EEEEviT0_T1_,comdat
	.globl	_ZN2at6native29vectorized_elementwise_kernelILi16ENS0_13BUnaryFunctorIhhhZZZNS0_18lshift_kernel_cudaERNS_18TensorIteratorBaseEENKUlvE_clEvENKUlvE_clEvEUlhhE_EESt5arrayIPcLm2EEEEviT0_T1_ ; -- Begin function _ZN2at6native29vectorized_elementwise_kernelILi16ENS0_13BUnaryFunctorIhhhZZZNS0_18lshift_kernel_cudaERNS_18TensorIteratorBaseEENKUlvE_clEvENKUlvE_clEvEUlhhE_EESt5arrayIPcLm2EEEEviT0_T1_
	.p2align	8
	.type	_ZN2at6native29vectorized_elementwise_kernelILi16ENS0_13BUnaryFunctorIhhhZZZNS0_18lshift_kernel_cudaERNS_18TensorIteratorBaseEENKUlvE_clEvENKUlvE_clEvEUlhhE_EESt5arrayIPcLm2EEEEviT0_T1_,@function
_ZN2at6native29vectorized_elementwise_kernelILi16ENS0_13BUnaryFunctorIhhhZZZNS0_18lshift_kernel_cudaERNS_18TensorIteratorBaseEENKUlvE_clEvENKUlvE_clEvEUlhhE_EESt5arrayIPcLm2EEEEviT0_T1_: ; @_ZN2at6native29vectorized_elementwise_kernelILi16ENS0_13BUnaryFunctorIhhhZZZNS0_18lshift_kernel_cudaERNS_18TensorIteratorBaseEENKUlvE_clEvENKUlvE_clEvEUlhhE_EESt5arrayIPcLm2EEEEviT0_T1_
; %bb.0:
	v_mov_b32_e32 v1, 0
	global_load_ushort v2, v1, s[4:5] offset:4
	s_load_dword s0, s[4:5], 0x0
	s_load_dwordx4 s[36:39], s[4:5], 0x8
	s_lshl_b32 s40, s6, 12
	s_waitcnt lgkmcnt(0)
	s_sub_i32 s33, s0, s40
	s_waitcnt vmcnt(0)
	v_readfirstlane_b32 s1, v2
	s_and_b32 s42, 0xffff, s1
	s_lshr_b32 s41, s42, 8
	s_cmpk_gt_i32 s33, 0xfff
	s_mov_b64 s[0:1], -1
	s_cbranch_scc0 .LBB8_2
; %bb.1:
	s_ashr_i32 s2, s40, 31
	s_add_u32 s0, s38, s40
	s_addc_u32 s1, s39, s2
	v_lshlrev_b32_e32 v6, 4, v0
	global_load_dwordx4 v[2:5], v6, s[0:1]
	s_cmpk_lt_u32 s42, 0x800
	s_cselect_b64 vcc, -1, 0
	s_and_b32 s0, 0xffff, s41
	s_waitcnt vmcnt(0)
	v_lshlrev_b32_sdwa v8, s0, v3 dst_sel:DWORD dst_unused:UNUSED_PAD src0_sel:DWORD src1_sel:BYTE_1
	v_lshlrev_b32_sdwa v9, s0, v3 dst_sel:DWORD dst_unused:UNUSED_PAD src0_sel:DWORD src1_sel:BYTE_3
	v_lshlrev_b32_e32 v7, s0, v3
	v_lshlrev_b32_sdwa v3, s0, v3 dst_sel:DWORD dst_unused:UNUSED_PAD src0_sel:DWORD src1_sel:WORD_1
	v_lshlrev_b32_sdwa v11, s0, v2 dst_sel:DWORD dst_unused:UNUSED_PAD src0_sel:DWORD src1_sel:BYTE_1
	v_cndmask_b32_e32 v8, 0, v8, vcc
	v_cndmask_b32_e32 v9, 0, v9, vcc
	v_lshlrev_b32_e32 v10, s0, v2
	v_lshlrev_b32_sdwa v12, s0, v2 dst_sel:DWORD dst_unused:UNUSED_PAD src0_sel:DWORD src1_sel:BYTE_3
	v_cndmask_b32_e32 v7, 0, v7, vcc
	v_cndmask_b32_e32 v3, 0, v3, vcc
	;; [unrolled: 1-line block ×3, first 2 shown]
	v_lshlrev_b16_e32 v8, 8, v8
	v_lshlrev_b16_e32 v9, 8, v9
	v_lshlrev_b32_sdwa v2, s0, v2 dst_sel:DWORD dst_unused:UNUSED_PAD src0_sel:DWORD src1_sel:WORD_1
	v_lshlrev_b32_e32 v13, s0, v5
	v_lshlrev_b32_sdwa v14, s0, v5 dst_sel:DWORD dst_unused:UNUSED_PAD src0_sel:DWORD src1_sel:BYTE_1
	v_lshlrev_b32_sdwa v15, s0, v5 dst_sel:DWORD dst_unused:UNUSED_PAD src0_sel:DWORD src1_sel:BYTE_3
	v_lshlrev_b32_sdwa v5, s0, v5 dst_sel:DWORD dst_unused:UNUSED_PAD src0_sel:DWORD src1_sel:WORD_1
	v_lshlrev_b32_e32 v16, s0, v4
	v_lshlrev_b32_sdwa v17, s0, v4 dst_sel:DWORD dst_unused:UNUSED_PAD src0_sel:DWORD src1_sel:BYTE_1
	v_lshlrev_b32_sdwa v18, s0, v4 dst_sel:DWORD dst_unused:UNUSED_PAD src0_sel:DWORD src1_sel:BYTE_3
	v_lshlrev_b32_sdwa v4, s0, v4 dst_sel:DWORD dst_unused:UNUSED_PAD src0_sel:DWORD src1_sel:WORD_1
	v_cndmask_b32_e32 v10, 0, v10, vcc
	v_cndmask_b32_e32 v12, 0, v12, vcc
	v_lshlrev_b16_e32 v11, 8, v11
	v_or_b32_sdwa v7, v7, v8 dst_sel:DWORD dst_unused:UNUSED_PAD src0_sel:BYTE_0 src1_sel:DWORD
	v_or_b32_sdwa v3, v3, v9 dst_sel:WORD_1 dst_unused:UNUSED_PAD src0_sel:BYTE_0 src1_sel:DWORD
	v_cndmask_b32_e32 v2, 0, v2, vcc
	v_cndmask_b32_e32 v13, 0, v13, vcc
	;; [unrolled: 1-line block ×5, first 2 shown]
	v_lshlrev_b16_e32 v12, 8, v12
	v_cndmask_b32_sdwa v14, v1, v14, vcc dst_sel:BYTE_1 dst_unused:UNUSED_PAD src0_sel:DWORD src1_sel:DWORD
	v_or_b32_sdwa v8, v10, v11 dst_sel:DWORD dst_unused:UNUSED_PAD src0_sel:BYTE_0 src1_sel:DWORD
	v_cndmask_b32_sdwa v10, v1, v15, vcc dst_sel:BYTE_1 dst_unused:UNUSED_PAD src0_sel:DWORD src1_sel:DWORD
	v_or_b32_sdwa v3, v7, v3 dst_sel:DWORD dst_unused:UNUSED_PAD src0_sel:WORD_0 src1_sel:DWORD
	v_cndmask_b32_sdwa v7, v1, v17, vcc dst_sel:BYTE_1 dst_unused:UNUSED_PAD src0_sel:DWORD src1_sel:DWORD
	v_cndmask_b32_sdwa v1, v1, v18, vcc dst_sel:BYTE_1 dst_unused:UNUSED_PAD src0_sel:DWORD src1_sel:DWORD
	s_add_u32 s0, s36, s40
	v_or_b32_sdwa v2, v2, v12 dst_sel:WORD_1 dst_unused:UNUSED_PAD src0_sel:BYTE_0 src1_sel:DWORD
	v_or_b32_sdwa v9, v13, v14 dst_sel:DWORD dst_unused:UNUSED_PAD src0_sel:BYTE_0 src1_sel:DWORD
	v_or_b32_sdwa v5, v5, v10 dst_sel:WORD_1 dst_unused:UNUSED_PAD src0_sel:BYTE_0 src1_sel:DWORD
	v_or_b32_sdwa v7, v16, v7 dst_sel:DWORD dst_unused:UNUSED_PAD src0_sel:BYTE_0 src1_sel:DWORD
	v_or_b32_sdwa v1, v4, v1 dst_sel:WORD_1 dst_unused:UNUSED_PAD src0_sel:BYTE_0 src1_sel:DWORD
	s_addc_u32 s1, s37, s2
	v_or_b32_sdwa v2, v8, v2 dst_sel:DWORD dst_unused:UNUSED_PAD src0_sel:WORD_0 src1_sel:DWORD
	v_or_b32_sdwa v5, v9, v5 dst_sel:DWORD dst_unused:UNUSED_PAD src0_sel:WORD_0 src1_sel:DWORD
	;; [unrolled: 1-line block ×3, first 2 shown]
	global_store_dwordx4 v6, v[2:5], s[0:1]
	s_mov_b64 s[0:1], 0
.LBB8_2:
	s_andn2_b64 vcc, exec, s[0:1]
	s_cbranch_vccnz .LBB8_52
; %bb.3:
	v_cmp_gt_i32_e32 vcc, s33, v0
	v_or_b32_e32 v5, 0x100, v0
	v_mov_b32_e32 v20, 0
	v_mov_b32_e32 v4, 0
	v_or_b32_e32 v3, s40, v0
	v_mov_b32_e32 v19, 0
	v_mov_b32_e32 v18, 0
	;; [unrolled: 1-line block ×14, first 2 shown]
	s_and_saveexec_b64 s[2:3], vcc
	s_cbranch_execz .LBB8_35
; %bb.4:
	global_load_ubyte v11, v3, s[38:39]
	v_cmp_gt_u32_e64 s[0:1], s33, v5
	v_mov_b32_e32 v4, 0
	v_mov_b32_e32 v12, 0
	;; [unrolled: 1-line block ×15, first 2 shown]
	s_and_saveexec_b64 s[4:5], s[0:1]
	s_cbranch_execz .LBB8_34
; %bb.5:
	v_add_u32_e32 v1, s40, v0
	global_load_ubyte v12, v1, s[38:39] offset:256
	v_or_b32_e32 v2, 0x200, v0
	v_mov_b32_e32 v15, 0
	v_cmp_gt_u32_e64 s[0:1], s33, v2
	v_mov_b32_e32 v13, 0
	v_mov_b32_e32 v6, 0
	;; [unrolled: 1-line block ×13, first 2 shown]
	s_and_saveexec_b64 s[6:7], s[0:1]
	s_cbranch_execz .LBB8_33
; %bb.6:
	v_mov_b32_e32 v2, s39
	v_add_co_u32_e64 v1, s[0:1], s38, v1
	v_addc_co_u32_e64 v2, s[0:1], 0, v2, s[0:1]
	global_load_ubyte v15, v[1:2], off offset:512
	v_or_b32_e32 v4, 0x300, v0
	v_cmp_gt_u32_e64 s[0:1], s33, v4
	v_mov_b32_e32 v4, 0
	v_mov_b32_e32 v13, 0
	;; [unrolled: 1-line block ×13, first 2 shown]
	s_and_saveexec_b64 s[8:9], s[0:1]
	s_cbranch_execz .LBB8_32
; %bb.7:
	global_load_ubyte v13, v[1:2], off offset:768
	v_or_b32_e32 v4, 0x400, v0
	v_cmp_gt_u32_e64 s[0:1], s33, v4
	v_mov_b32_e32 v4, 0
	v_mov_b32_e32 v6, 0
	;; [unrolled: 1-line block ×12, first 2 shown]
	s_and_saveexec_b64 s[10:11], s[0:1]
	s_cbranch_execz .LBB8_31
; %bb.8:
	global_load_ubyte v6, v[1:2], off offset:1024
	v_or_b32_e32 v4, 0x500, v0
	v_cmp_gt_u32_e64 s[0:1], s33, v4
	v_mov_b32_e32 v4, 0
	v_mov_b32_e32 v7, 0
	;; [unrolled: 1-line block ×11, first 2 shown]
	s_and_saveexec_b64 s[12:13], s[0:1]
	s_cbranch_execz .LBB8_30
; %bb.9:
	global_load_ubyte v7, v[1:2], off offset:1280
	v_or_b32_e32 v4, 0x600, v0
	v_cmp_gt_u32_e64 s[0:1], s33, v4
	v_mov_b32_e32 v4, 0
	v_mov_b32_e32 v8, 0
	;; [unrolled: 1-line block ×10, first 2 shown]
	s_and_saveexec_b64 s[14:15], s[0:1]
	s_cbranch_execz .LBB8_29
; %bb.10:
	global_load_ubyte v8, v[1:2], off offset:1536
	v_or_b32_e32 v4, 0x700, v0
	v_cmp_gt_u32_e64 s[0:1], s33, v4
	v_mov_b32_e32 v4, 0
	v_mov_b32_e32 v9, 0
	;; [unrolled: 1-line block ×9, first 2 shown]
	s_and_saveexec_b64 s[16:17], s[0:1]
	s_cbranch_execz .LBB8_28
; %bb.11:
	global_load_ubyte v9, v[1:2], off offset:1792
	v_or_b32_e32 v4, 0x800, v0
	v_cmp_gt_u32_e64 s[0:1], s33, v4
	v_mov_b32_e32 v4, 0
	v_mov_b32_e32 v10, 0
	;; [unrolled: 1-line block ×8, first 2 shown]
	s_and_saveexec_b64 s[18:19], s[0:1]
	s_cbranch_execz .LBB8_27
; %bb.12:
	global_load_ubyte v10, v[1:2], off offset:2048
	v_or_b32_e32 v4, 0x900, v0
	v_cmp_gt_u32_e64 s[0:1], s33, v4
	v_mov_b32_e32 v4, 0
	v_mov_b32_e32 v14, 0
	v_mov_b32_e32 v16, 0
	v_mov_b32_e32 v17, 0
	v_mov_b32_e32 v18, 0
	v_mov_b32_e32 v19, 0
	v_mov_b32_e32 v20, 0
	s_and_saveexec_b64 s[20:21], s[0:1]
	s_cbranch_execz .LBB8_26
; %bb.13:
	global_load_ubyte v14, v[1:2], off offset:2304
	v_or_b32_e32 v4, 0xa00, v0
	v_cmp_gt_u32_e64 s[0:1], s33, v4
	v_mov_b32_e32 v4, 0
	v_mov_b32_e32 v16, 0
	;; [unrolled: 1-line block ×6, first 2 shown]
	s_and_saveexec_b64 s[22:23], s[0:1]
	s_cbranch_execz .LBB8_25
; %bb.14:
	global_load_ubyte v16, v[1:2], off offset:2560
	v_or_b32_e32 v4, 0xb00, v0
	v_cmp_gt_u32_e64 s[0:1], s33, v4
	v_mov_b32_e32 v4, 0
	v_mov_b32_e32 v17, 0
	v_mov_b32_e32 v18, 0
	v_mov_b32_e32 v19, 0
	v_mov_b32_e32 v20, 0
	s_and_saveexec_b64 s[24:25], s[0:1]
	s_cbranch_execz .LBB8_24
; %bb.15:
	global_load_ubyte v17, v[1:2], off offset:2816
	v_or_b32_e32 v4, 0xc00, v0
	v_cmp_gt_u32_e64 s[0:1], s33, v4
	v_mov_b32_e32 v4, 0
	v_mov_b32_e32 v18, 0
	;; [unrolled: 1-line block ×4, first 2 shown]
	s_and_saveexec_b64 s[26:27], s[0:1]
	s_cbranch_execz .LBB8_23
; %bb.16:
	global_load_ubyte v18, v[1:2], off offset:3072
	v_or_b32_e32 v4, 0xd00, v0
	v_cmp_gt_u32_e64 s[0:1], s33, v4
	v_mov_b32_e32 v4, 0
	v_mov_b32_e32 v19, 0
	v_mov_b32_e32 v20, 0
	s_and_saveexec_b64 s[28:29], s[0:1]
	s_cbranch_execz .LBB8_22
; %bb.17:
	global_load_ubyte v19, v[1:2], off offset:3328
	v_or_b32_e32 v4, 0xe00, v0
	v_cmp_gt_u32_e64 s[0:1], s33, v4
	v_mov_b32_e32 v4, 0
	v_mov_b32_e32 v20, 0
	s_and_saveexec_b64 s[30:31], s[0:1]
	s_cbranch_execz .LBB8_21
; %bb.18:
	global_load_ubyte v20, v[1:2], off offset:3584
	v_or_b32_e32 v4, 0xf00, v0
	v_cmp_gt_u32_e64 s[0:1], s33, v4
	v_mov_b32_e32 v4, 0
	s_and_saveexec_b64 s[34:35], s[0:1]
	s_cbranch_execz .LBB8_20
; %bb.19:
	global_load_ubyte v4, v[1:2], off offset:3840
.LBB8_20:
	s_or_b64 exec, exec, s[34:35]
.LBB8_21:
	s_or_b64 exec, exec, s[30:31]
.LBB8_22:
	s_or_b64 exec, exec, s[28:29]
.LBB8_23:
	s_or_b64 exec, exec, s[26:27]
.LBB8_24:
	s_or_b64 exec, exec, s[24:25]
.LBB8_25:
	s_or_b64 exec, exec, s[22:23]
.LBB8_26:
	s_or_b64 exec, exec, s[20:21]
.LBB8_27:
	s_or_b64 exec, exec, s[18:19]
.LBB8_28:
	s_or_b64 exec, exec, s[16:17]
.LBB8_29:
	s_or_b64 exec, exec, s[14:15]
.LBB8_30:
	s_or_b64 exec, exec, s[12:13]
.LBB8_31:
	s_or_b64 exec, exec, s[10:11]
.LBB8_32:
	s_or_b64 exec, exec, s[8:9]
.LBB8_33:
	s_or_b64 exec, exec, s[6:7]
.LBB8_34:
	s_or_b64 exec, exec, s[4:5]
.LBB8_35:
	s_or_b64 exec, exec, s[2:3]
	s_and_saveexec_b64 s[0:1], vcc
	s_cbranch_execz .LBB8_52
; %bb.36:
	s_cmpk_lt_u32 s42, 0x800
	s_cselect_b64 s[18:19], -1, 0
	s_and_b32 s31, 0xffff, s41
	s_waitcnt vmcnt(0)
	v_lshlrev_b32_e32 v1, s31, v11
	s_mov_b32 s30, 0xffff
	v_cndmask_b32_e64 v1, 0, v1, s[18:19]
	v_lshlrev_b32_e32 v2, s31, v12
	v_and_b32_sdwa v1, s30, v1 dst_sel:DWORD dst_unused:UNUSED_PAD src0_sel:DWORD src1_sel:BYTE_0
	v_cndmask_b32_e64 v2, 0, v2, s[18:19]
	v_cndmask_b32_e32 v1, 0, v1, vcc
	v_lshlrev_b16_e32 v2, 8, v2
	v_or_b32_e32 v2, v1, v2
	v_and_b32_e32 v2, 0xffff, v2
	v_cmp_gt_i32_e32 vcc, s33, v5
	v_lshlrev_b32_e32 v5, s31, v15
	v_cndmask_b32_e32 v1, v1, v2, vcc
	v_cndmask_b32_e64 v5, 0, v5, s[18:19]
	s_mov_b32 s35, 0xc0c0304
	v_or_b32_e32 v2, 0x200, v0
	v_perm_b32 v5, v5, v1, s35
	v_lshl_or_b32 v5, v5, 16, v1
	v_cmp_gt_i32_e64 s[22:23], s33, v2
	v_lshlrev_b32_e32 v11, s31, v13
	s_movk_i32 s34, 0xff
	v_cndmask_b32_e64 v1, v1, v5, s[22:23]
	v_cndmask_b32_e64 v11, 0, v11, s[18:19]
	v_and_b32_sdwa v2, v1, s34 dst_sel:DWORD dst_unused:UNUSED_PAD src0_sel:WORD_1 src1_sel:DWORD
	v_lshlrev_b16_e32 v11, 8, v11
	v_or_b32_e32 v5, 0x300, v0
	v_or_b32_sdwa v2, v2, v11 dst_sel:WORD_1 dst_unused:UNUSED_PAD src0_sel:DWORD src1_sel:DWORD
	v_and_or_b32 v2, v1, s30, v2
	v_cmp_gt_i32_e64 s[20:21], s33, v5
	v_cndmask_b32_e64 v12, v1, v2, s[20:21]
	v_or_b32_e32 v1, 0x500, v0
	v_cmp_gt_i32_e64 s[16:17], s33, v1
	v_or_b32_e32 v1, 0x600, v0
	v_cmp_gt_i32_e64 s[14:15], s33, v1
	;; [unrolled: 2-line block ×7, first 2 shown]
	v_or_b32_e32 v1, 0xe00, v0
	v_or_b32_e32 v11, 0x400, v0
	;; [unrolled: 1-line block ×4, first 2 shown]
	v_cmp_gt_i32_e64 s[2:3], s33, v1
	v_or_b32_e32 v1, 0xf00, v0
	v_cmp_gt_i32_e64 s[28:29], s33, v11
	v_cmp_gt_i32_e64 s[26:27], s33, v5
	;; [unrolled: 1-line block ×4, first 2 shown]
	global_store_byte v3, v12, s[36:37]
	s_and_b64 exec, exec, vcc
	s_cbranch_execz .LBB8_52
; %bb.37:
	v_lshlrev_b32_e32 v1, s31, v6
	v_cndmask_b32_e64 v1, 0, v1, s[18:19]
	s_mov_b32 s38, 0x3020104
	s_mov_b64 vcc, s[18:19]
	v_perm_b32 v1, v1, 0, s38
	v_lshlrev_b32_e32 v3, s31, v7
	v_mov_b32_e32 v13, 0
	v_cndmask_b32_e64 v1, 0, v1, s[28:29]
	v_cndmask_b32_sdwa v3, v13, v3, vcc dst_sel:BYTE_1 dst_unused:UNUSED_PAD src0_sel:DWORD src1_sel:DWORD
	v_or_b32_sdwa v3, v1, v3 dst_sel:DWORD dst_unused:UNUSED_PAD src0_sel:BYTE_0 src1_sel:DWORD
	v_and_b32_e32 v3, 0xffff, v3
	s_mov_b32 s28, 0xffff0000
	v_and_or_b32 v3, v1, s28, v3
	v_cndmask_b32_e64 v1, v1, v3, s[16:17]
	v_lshlrev_b32_e32 v3, s31, v8
	v_cndmask_b32_e64 v3, 0, v3, s[18:19]
	s_mov_b32 s29, 0x7000504
	v_perm_b32 v3, v1, v3, s29
	v_lshlrev_b32_e32 v6, s31, v9
	v_cndmask_b32_e64 v1, v1, v3, s[14:15]
	v_cndmask_b32_e64 v6, 0, v6, s[18:19]
	v_and_b32_sdwa v3, v1, s34 dst_sel:DWORD dst_unused:UNUSED_PAD src0_sel:WORD_1 src1_sel:DWORD
	v_lshlrev_b16_e32 v6, 8, v6
	v_or_b32_sdwa v3, v3, v6 dst_sel:WORD_1 dst_unused:UNUSED_PAD src0_sel:DWORD src1_sel:DWORD
	v_and_or_b32 v3, v1, s30, v3
	v_cndmask_b32_e64 v7, v1, v3, s[12:13]
	v_lshlrev_b32_e32 v1, s31, v10
	v_cndmask_b32_e64 v1, 0, v1, s[18:19]
	v_lshlrev_b32_e32 v3, s31, v14
	v_and_b32_sdwa v1, s30, v1 dst_sel:DWORD dst_unused:UNUSED_PAD src0_sel:DWORD src1_sel:BYTE_0
	v_cndmask_b32_e64 v3, 0, v3, s[18:19]
	v_cndmask_b32_e64 v1, 0, v1, s[26:27]
	v_lshlrev_b16_e32 v3, 8, v3
	v_or_b32_e32 v3, v1, v3
	v_and_b32_e32 v3, 0xffff, v3
	v_cndmask_b32_e64 v1, v1, v3, s[10:11]
	v_lshlrev_b32_e32 v3, s31, v16
	v_cndmask_b32_e64 v3, 0, v3, s[18:19]
	v_perm_b32 v3, v3, v1, s35
	v_lshl_or_b32 v3, v3, 16, v1
	v_lshlrev_b32_e32 v6, s31, v17
	v_cndmask_b32_e64 v1, v1, v3, s[8:9]
	v_cndmask_b32_e64 v6, 0, v6, s[18:19]
	v_and_b32_sdwa v3, v1, s34 dst_sel:DWORD dst_unused:UNUSED_PAD src0_sel:WORD_1 src1_sel:DWORD
	v_lshlrev_b16_e32 v6, 8, v6
	v_or_b32_sdwa v3, v3, v6 dst_sel:WORD_1 dst_unused:UNUSED_PAD src0_sel:DWORD src1_sel:DWORD
	v_and_or_b32 v3, v1, s30, v3
	v_cndmask_b32_e64 v6, v1, v3, s[6:7]
	v_lshlrev_b32_e32 v1, s31, v18
	v_cndmask_b32_e64 v1, 0, v1, s[18:19]
	v_lshlrev_b32_e32 v3, s31, v19
	v_perm_b32 v1, v1, 0, s38
	v_cndmask_b32_e64 v3, 0, v3, s[18:19]
	v_cndmask_b32_e64 v1, 0, v1, s[24:25]
	v_lshlrev_b16_e32 v3, 8, v3
	v_or_b32_sdwa v3, v1, v3 dst_sel:DWORD dst_unused:UNUSED_PAD src0_sel:BYTE_0 src1_sel:DWORD
	v_and_b32_e32 v3, 0xffff, v3
	v_and_or_b32 v3, v1, s28, v3
	v_cndmask_b32_e64 v1, v1, v3, s[4:5]
	v_lshlrev_b32_e32 v3, s31, v20
	v_cndmask_b32_e64 v3, 0, v3, s[18:19]
	v_perm_b32 v3, v1, v3, s29
	v_cndmask_b32_e64 v1, v1, v3, s[2:3]
	v_lshlrev_b32_e32 v4, s31, v4
	v_and_b32_sdwa v3, v1, s34 dst_sel:DWORD dst_unused:UNUSED_PAD src0_sel:WORD_1 src1_sel:DWORD
	v_cndmask_b32_sdwa v4, v13, v4, vcc dst_sel:BYTE_1 dst_unused:UNUSED_PAD src0_sel:DWORD src1_sel:DWORD
	v_or_b32_sdwa v3, v3, v4 dst_sel:WORD_1 dst_unused:UNUSED_PAD src0_sel:DWORD src1_sel:DWORD
	v_and_or_b32 v3, v1, s30, v3
	v_cndmask_b32_e64 v3, v1, v3, s[0:1]
	v_lshrrev_b32_e32 v1, 8, v12
	v_add_u32_e32 v0, s40, v0
	global_store_byte v0, v1, s[36:37] offset:256
	s_and_b64 exec, exec, s[22:23]
	s_cbranch_execz .LBB8_52
; %bb.38:
	v_mov_b32_e32 v1, s37
	v_add_co_u32_e32 v0, vcc, s36, v0
	v_addc_co_u32_e32 v1, vcc, 0, v1, vcc
	global_store_byte_d16_hi v[0:1], v12, off offset:512
	s_and_b64 exec, exec, s[20:21]
	s_cbranch_execz .LBB8_52
; %bb.39:
	v_lshrrev_b32_e32 v4, 24, v12
	v_cmp_gt_u32_e32 vcc, s33, v11
	global_store_byte v[0:1], v4, off offset:768
	s_and_b64 exec, exec, vcc
	s_cbranch_execz .LBB8_52
; %bb.40:
	global_store_byte v[0:1], v7, off offset:1024
	s_and_b64 exec, exec, s[16:17]
	s_cbranch_execz .LBB8_52
; %bb.41:
	v_lshrrev_b32_e32 v4, 8, v7
	global_store_byte v[0:1], v4, off offset:1280
	s_and_b64 exec, exec, s[14:15]
	s_cbranch_execz .LBB8_52
; %bb.42:
	global_store_byte_d16_hi v[0:1], v7, off offset:1536
	s_and_b64 exec, exec, s[12:13]
	s_cbranch_execz .LBB8_52
; %bb.43:
	v_lshrrev_b32_e32 v4, 24, v7
	v_cmp_gt_u32_e32 vcc, s33, v5
	global_store_byte v[0:1], v4, off offset:1792
	s_and_b64 exec, exec, vcc
	s_cbranch_execz .LBB8_52
; %bb.44:
	global_store_byte v[0:1], v6, off offset:2048
	s_and_b64 exec, exec, s[10:11]
	s_cbranch_execz .LBB8_52
; %bb.45:
	v_lshrrev_b32_e32 v4, 8, v6
	global_store_byte v[0:1], v4, off offset:2304
	s_and_b64 exec, exec, s[8:9]
	s_cbranch_execz .LBB8_52
; %bb.46:
	;; [unrolled: 19-line block ×3, first 2 shown]
	global_store_byte_d16_hi v[0:1], v3, off offset:3584
	s_and_b64 exec, exec, s[0:1]
	s_cbranch_execz .LBB8_52
; %bb.51:
	v_lshrrev_b32_e32 v2, 24, v3
	global_store_byte v[0:1], v2, off offset:3840
.LBB8_52:
	s_endpgm
	.section	.rodata,"a",@progbits
	.p2align	6, 0x0
	.amdhsa_kernel _ZN2at6native29vectorized_elementwise_kernelILi16ENS0_13BUnaryFunctorIhhhZZZNS0_18lshift_kernel_cudaERNS_18TensorIteratorBaseEENKUlvE_clEvENKUlvE_clEvEUlhhE_EESt5arrayIPcLm2EEEEviT0_T1_
		.amdhsa_group_segment_fixed_size 0
		.amdhsa_private_segment_fixed_size 0
		.amdhsa_kernarg_size 24
		.amdhsa_user_sgpr_count 6
		.amdhsa_user_sgpr_private_segment_buffer 1
		.amdhsa_user_sgpr_dispatch_ptr 0
		.amdhsa_user_sgpr_queue_ptr 0
		.amdhsa_user_sgpr_kernarg_segment_ptr 1
		.amdhsa_user_sgpr_dispatch_id 0
		.amdhsa_user_sgpr_flat_scratch_init 0
		.amdhsa_user_sgpr_private_segment_size 0
		.amdhsa_uses_dynamic_stack 0
		.amdhsa_system_sgpr_private_segment_wavefront_offset 0
		.amdhsa_system_sgpr_workgroup_id_x 1
		.amdhsa_system_sgpr_workgroup_id_y 0
		.amdhsa_system_sgpr_workgroup_id_z 0
		.amdhsa_system_sgpr_workgroup_info 0
		.amdhsa_system_vgpr_workitem_id 0
		.amdhsa_next_free_vgpr 21
		.amdhsa_next_free_sgpr 43
		.amdhsa_reserve_vcc 1
		.amdhsa_reserve_flat_scratch 0
		.amdhsa_float_round_mode_32 0
		.amdhsa_float_round_mode_16_64 0
		.amdhsa_float_denorm_mode_32 3
		.amdhsa_float_denorm_mode_16_64 3
		.amdhsa_dx10_clamp 1
		.amdhsa_ieee_mode 1
		.amdhsa_fp16_overflow 0
		.amdhsa_exception_fp_ieee_invalid_op 0
		.amdhsa_exception_fp_denorm_src 0
		.amdhsa_exception_fp_ieee_div_zero 0
		.amdhsa_exception_fp_ieee_overflow 0
		.amdhsa_exception_fp_ieee_underflow 0
		.amdhsa_exception_fp_ieee_inexact 0
		.amdhsa_exception_int_div_zero 0
	.end_amdhsa_kernel
	.section	.text._ZN2at6native29vectorized_elementwise_kernelILi16ENS0_13BUnaryFunctorIhhhZZZNS0_18lshift_kernel_cudaERNS_18TensorIteratorBaseEENKUlvE_clEvENKUlvE_clEvEUlhhE_EESt5arrayIPcLm2EEEEviT0_T1_,"axG",@progbits,_ZN2at6native29vectorized_elementwise_kernelILi16ENS0_13BUnaryFunctorIhhhZZZNS0_18lshift_kernel_cudaERNS_18TensorIteratorBaseEENKUlvE_clEvENKUlvE_clEvEUlhhE_EESt5arrayIPcLm2EEEEviT0_T1_,comdat
.Lfunc_end8:
	.size	_ZN2at6native29vectorized_elementwise_kernelILi16ENS0_13BUnaryFunctorIhhhZZZNS0_18lshift_kernel_cudaERNS_18TensorIteratorBaseEENKUlvE_clEvENKUlvE_clEvEUlhhE_EESt5arrayIPcLm2EEEEviT0_T1_, .Lfunc_end8-_ZN2at6native29vectorized_elementwise_kernelILi16ENS0_13BUnaryFunctorIhhhZZZNS0_18lshift_kernel_cudaERNS_18TensorIteratorBaseEENKUlvE_clEvENKUlvE_clEvEUlhhE_EESt5arrayIPcLm2EEEEviT0_T1_
                                        ; -- End function
	.set _ZN2at6native29vectorized_elementwise_kernelILi16ENS0_13BUnaryFunctorIhhhZZZNS0_18lshift_kernel_cudaERNS_18TensorIteratorBaseEENKUlvE_clEvENKUlvE_clEvEUlhhE_EESt5arrayIPcLm2EEEEviT0_T1_.num_vgpr, 21
	.set _ZN2at6native29vectorized_elementwise_kernelILi16ENS0_13BUnaryFunctorIhhhZZZNS0_18lshift_kernel_cudaERNS_18TensorIteratorBaseEENKUlvE_clEvENKUlvE_clEvEUlhhE_EESt5arrayIPcLm2EEEEviT0_T1_.num_agpr, 0
	.set _ZN2at6native29vectorized_elementwise_kernelILi16ENS0_13BUnaryFunctorIhhhZZZNS0_18lshift_kernel_cudaERNS_18TensorIteratorBaseEENKUlvE_clEvENKUlvE_clEvEUlhhE_EESt5arrayIPcLm2EEEEviT0_T1_.numbered_sgpr, 43
	.set _ZN2at6native29vectorized_elementwise_kernelILi16ENS0_13BUnaryFunctorIhhhZZZNS0_18lshift_kernel_cudaERNS_18TensorIteratorBaseEENKUlvE_clEvENKUlvE_clEvEUlhhE_EESt5arrayIPcLm2EEEEviT0_T1_.num_named_barrier, 0
	.set _ZN2at6native29vectorized_elementwise_kernelILi16ENS0_13BUnaryFunctorIhhhZZZNS0_18lshift_kernel_cudaERNS_18TensorIteratorBaseEENKUlvE_clEvENKUlvE_clEvEUlhhE_EESt5arrayIPcLm2EEEEviT0_T1_.private_seg_size, 0
	.set _ZN2at6native29vectorized_elementwise_kernelILi16ENS0_13BUnaryFunctorIhhhZZZNS0_18lshift_kernel_cudaERNS_18TensorIteratorBaseEENKUlvE_clEvENKUlvE_clEvEUlhhE_EESt5arrayIPcLm2EEEEviT0_T1_.uses_vcc, 1
	.set _ZN2at6native29vectorized_elementwise_kernelILi16ENS0_13BUnaryFunctorIhhhZZZNS0_18lshift_kernel_cudaERNS_18TensorIteratorBaseEENKUlvE_clEvENKUlvE_clEvEUlhhE_EESt5arrayIPcLm2EEEEviT0_T1_.uses_flat_scratch, 0
	.set _ZN2at6native29vectorized_elementwise_kernelILi16ENS0_13BUnaryFunctorIhhhZZZNS0_18lshift_kernel_cudaERNS_18TensorIteratorBaseEENKUlvE_clEvENKUlvE_clEvEUlhhE_EESt5arrayIPcLm2EEEEviT0_T1_.has_dyn_sized_stack, 0
	.set _ZN2at6native29vectorized_elementwise_kernelILi16ENS0_13BUnaryFunctorIhhhZZZNS0_18lshift_kernel_cudaERNS_18TensorIteratorBaseEENKUlvE_clEvENKUlvE_clEvEUlhhE_EESt5arrayIPcLm2EEEEviT0_T1_.has_recursion, 0
	.set _ZN2at6native29vectorized_elementwise_kernelILi16ENS0_13BUnaryFunctorIhhhZZZNS0_18lshift_kernel_cudaERNS_18TensorIteratorBaseEENKUlvE_clEvENKUlvE_clEvEUlhhE_EESt5arrayIPcLm2EEEEviT0_T1_.has_indirect_call, 0
	.section	.AMDGPU.csdata,"",@progbits
; Kernel info:
; codeLenInByte = 2788
; TotalNumSgprs: 47
; NumVgprs: 21
; ScratchSize: 0
; MemoryBound: 0
; FloatMode: 240
; IeeeMode: 1
; LDSByteSize: 0 bytes/workgroup (compile time only)
; SGPRBlocks: 5
; VGPRBlocks: 5
; NumSGPRsForWavesPerEU: 47
; NumVGPRsForWavesPerEU: 21
; Occupancy: 10
; WaveLimiterHint : 0
; COMPUTE_PGM_RSRC2:SCRATCH_EN: 0
; COMPUTE_PGM_RSRC2:USER_SGPR: 6
; COMPUTE_PGM_RSRC2:TRAP_HANDLER: 0
; COMPUTE_PGM_RSRC2:TGID_X_EN: 1
; COMPUTE_PGM_RSRC2:TGID_Y_EN: 0
; COMPUTE_PGM_RSRC2:TGID_Z_EN: 0
; COMPUTE_PGM_RSRC2:TIDIG_COMP_CNT: 0
	.section	.text._ZN2at6native29vectorized_elementwise_kernelILi8ENS0_13BUnaryFunctorIhhhZZZNS0_18lshift_kernel_cudaERNS_18TensorIteratorBaseEENKUlvE_clEvENKUlvE_clEvEUlhhE_EESt5arrayIPcLm2EEEEviT0_T1_,"axG",@progbits,_ZN2at6native29vectorized_elementwise_kernelILi8ENS0_13BUnaryFunctorIhhhZZZNS0_18lshift_kernel_cudaERNS_18TensorIteratorBaseEENKUlvE_clEvENKUlvE_clEvEUlhhE_EESt5arrayIPcLm2EEEEviT0_T1_,comdat
	.globl	_ZN2at6native29vectorized_elementwise_kernelILi8ENS0_13BUnaryFunctorIhhhZZZNS0_18lshift_kernel_cudaERNS_18TensorIteratorBaseEENKUlvE_clEvENKUlvE_clEvEUlhhE_EESt5arrayIPcLm2EEEEviT0_T1_ ; -- Begin function _ZN2at6native29vectorized_elementwise_kernelILi8ENS0_13BUnaryFunctorIhhhZZZNS0_18lshift_kernel_cudaERNS_18TensorIteratorBaseEENKUlvE_clEvENKUlvE_clEvEUlhhE_EESt5arrayIPcLm2EEEEviT0_T1_
	.p2align	8
	.type	_ZN2at6native29vectorized_elementwise_kernelILi8ENS0_13BUnaryFunctorIhhhZZZNS0_18lshift_kernel_cudaERNS_18TensorIteratorBaseEENKUlvE_clEvENKUlvE_clEvEUlhhE_EESt5arrayIPcLm2EEEEviT0_T1_,@function
_ZN2at6native29vectorized_elementwise_kernelILi8ENS0_13BUnaryFunctorIhhhZZZNS0_18lshift_kernel_cudaERNS_18TensorIteratorBaseEENKUlvE_clEvENKUlvE_clEvEUlhhE_EESt5arrayIPcLm2EEEEviT0_T1_: ; @_ZN2at6native29vectorized_elementwise_kernelILi8ENS0_13BUnaryFunctorIhhhZZZNS0_18lshift_kernel_cudaERNS_18TensorIteratorBaseEENKUlvE_clEvENKUlvE_clEvEUlhhE_EESt5arrayIPcLm2EEEEviT0_T1_
; %bb.0:
	v_mov_b32_e32 v1, 0
	global_load_ushort v1, v1, s[4:5] offset:4
	s_load_dword s0, s[4:5], 0x0
	s_load_dwordx4 s[36:39], s[4:5], 0x8
	s_lshl_b32 s40, s6, 12
	s_waitcnt lgkmcnt(0)
	s_sub_i32 s33, s0, s40
	s_waitcnt vmcnt(0)
	v_readfirstlane_b32 s1, v1
	s_and_b32 s42, 0xffff, s1
	s_lshr_b32 s41, s42, 8
	s_cmpk_gt_i32 s33, 0xfff
	s_mov_b64 s[0:1], -1
	s_cbranch_scc0 .LBB9_2
; %bb.1:
	s_ashr_i32 s2, s40, 31
	s_add_u32 s0, s38, s40
	s_addc_u32 s1, s39, s2
	v_lshlrev_b32_e32 v5, 3, v0
	global_load_dwordx2 v[1:2], v5, s[0:1]
	global_load_dwordx2 v[3:4], v5, s[0:1] offset:2048
	s_cmpk_lt_u32 s42, 0x800
	s_cselect_b64 vcc, -1, 0
	s_and_b32 s3, 0xffff, s41
	s_add_u32 s0, s36, s40
	s_addc_u32 s1, s37, s2
	s_waitcnt vmcnt(1)
	v_lshrrev_b32_e32 v7, 8, v1
	v_lshlrev_b32_e32 v9, s3, v2
	v_lshrrev_b32_e32 v10, 8, v2
	v_lshlrev_b32_sdwa v11, s3, v2 dst_sel:DWORD dst_unused:UNUSED_PAD src0_sel:DWORD src1_sel:WORD_1
	v_lshlrev_b32_sdwa v2, s3, v2 dst_sel:DWORD dst_unused:UNUSED_PAD src0_sel:DWORD src1_sel:BYTE_3
	s_waitcnt vmcnt(0)
	v_lshrrev_b32_e32 v13, 8, v3
	v_lshrrev_b32_e32 v16, 8, v4
	v_lshlrev_b32_e32 v6, s3, v1
	v_lshlrev_b32_sdwa v8, s3, v1 dst_sel:DWORD dst_unused:UNUSED_PAD src0_sel:DWORD src1_sel:WORD_1
	v_lshlrev_b32_sdwa v1, s3, v1 dst_sel:DWORD dst_unused:UNUSED_PAD src0_sel:DWORD src1_sel:BYTE_3
	v_lshlrev_b32_e32 v12, s3, v3
	v_lshlrev_b32_sdwa v14, s3, v3 dst_sel:DWORD dst_unused:UNUSED_PAD src0_sel:DWORD src1_sel:WORD_1
	v_lshlrev_b32_sdwa v3, s3, v3 dst_sel:DWORD dst_unused:UNUSED_PAD src0_sel:DWORD src1_sel:BYTE_3
	;; [unrolled: 3-line block ×3, first 2 shown]
	v_lshlrev_b32_e32 v7, s3, v7
	v_lshlrev_b32_e32 v10, s3, v10
	v_cndmask_b32_e32 v2, 0, v2, vcc
	v_lshlrev_b32_e32 v13, s3, v13
	v_lshlrev_b32_e32 v16, s3, v16
	v_cndmask_b32_e32 v1, 0, v1, vcc
	v_cndmask_b32_e32 v11, 0, v11, vcc
	;; [unrolled: 1-line block ×8, first 2 shown]
	v_lshlrev_b16_e32 v2, 8, v2
	v_cndmask_b32_e32 v6, 0, v6, vcc
	v_cndmask_b32_e32 v8, 0, v8, vcc
	;; [unrolled: 1-line block ×7, first 2 shown]
	v_lshlrev_b16_e32 v4, 8, v4
	v_lshlrev_b16_e32 v3, 8, v3
	;; [unrolled: 1-line block ×6, first 2 shown]
	v_or_b32_sdwa v11, v11, v2 dst_sel:WORD_1 dst_unused:UNUSED_PAD src0_sel:BYTE_0 src1_sel:DWORD
	v_lshlrev_b16_e32 v2, 8, v7
	v_or_b32_sdwa v4, v17, v4 dst_sel:WORD_1 dst_unused:UNUSED_PAD src0_sel:BYTE_0 src1_sel:DWORD
	v_or_b32_sdwa v3, v14, v3 dst_sel:WORD_1 dst_unused:UNUSED_PAD src0_sel:BYTE_0 src1_sel:DWORD
	;; [unrolled: 1-line block ×3, first 2 shown]
	v_or_b32_sdwa v1, v15, v16 dst_sel:DWORD dst_unused:UNUSED_PAD src0_sel:BYTE_0 src1_sel:DWORD
	v_or_b32_sdwa v8, v12, v13 dst_sel:DWORD dst_unused:UNUSED_PAD src0_sel:BYTE_0 src1_sel:DWORD
	;; [unrolled: 1-line block ×4, first 2 shown]
	v_or_b32_sdwa v2, v1, v4 dst_sel:DWORD dst_unused:UNUSED_PAD src0_sel:WORD_0 src1_sel:DWORD
	v_or_b32_sdwa v1, v8, v3 dst_sel:DWORD dst_unused:UNUSED_PAD src0_sel:WORD_0 src1_sel:DWORD
	;; [unrolled: 1-line block ×4, first 2 shown]
	global_store_dwordx2 v5, v[3:4], s[0:1]
	global_store_dwordx2 v5, v[1:2], s[0:1] offset:2048
	s_mov_b64 s[0:1], 0
.LBB9_2:
	s_andn2_b64 vcc, exec, s[0:1]
	s_cbranch_vccnz .LBB9_52
; %bb.3:
	v_cmp_gt_i32_e32 vcc, s33, v0
	v_or_b32_e32 v5, 0x100, v0
	v_mov_b32_e32 v20, 0
	v_mov_b32_e32 v4, 0
	v_or_b32_e32 v3, s40, v0
	v_mov_b32_e32 v19, 0
	v_mov_b32_e32 v18, 0
	;; [unrolled: 1-line block ×14, first 2 shown]
	s_and_saveexec_b64 s[2:3], vcc
	s_cbranch_execz .LBB9_35
; %bb.4:
	global_load_ubyte v11, v3, s[38:39]
	v_cmp_gt_u32_e64 s[0:1], s33, v5
	v_mov_b32_e32 v4, 0
	v_mov_b32_e32 v12, 0
	;; [unrolled: 1-line block ×15, first 2 shown]
	s_and_saveexec_b64 s[4:5], s[0:1]
	s_cbranch_execz .LBB9_34
; %bb.5:
	v_add_u32_e32 v1, s40, v0
	global_load_ubyte v12, v1, s[38:39] offset:256
	v_or_b32_e32 v2, 0x200, v0
	v_mov_b32_e32 v15, 0
	v_cmp_gt_u32_e64 s[0:1], s33, v2
	v_mov_b32_e32 v13, 0
	v_mov_b32_e32 v6, 0
	;; [unrolled: 1-line block ×13, first 2 shown]
	s_and_saveexec_b64 s[6:7], s[0:1]
	s_cbranch_execz .LBB9_33
; %bb.6:
	v_mov_b32_e32 v2, s39
	v_add_co_u32_e64 v1, s[0:1], s38, v1
	v_addc_co_u32_e64 v2, s[0:1], 0, v2, s[0:1]
	global_load_ubyte v15, v[1:2], off offset:512
	v_or_b32_e32 v4, 0x300, v0
	v_cmp_gt_u32_e64 s[0:1], s33, v4
	v_mov_b32_e32 v4, 0
	v_mov_b32_e32 v13, 0
	;; [unrolled: 1-line block ×13, first 2 shown]
	s_and_saveexec_b64 s[8:9], s[0:1]
	s_cbranch_execz .LBB9_32
; %bb.7:
	global_load_ubyte v13, v[1:2], off offset:768
	v_or_b32_e32 v4, 0x400, v0
	v_cmp_gt_u32_e64 s[0:1], s33, v4
	v_mov_b32_e32 v4, 0
	v_mov_b32_e32 v6, 0
	;; [unrolled: 1-line block ×12, first 2 shown]
	s_and_saveexec_b64 s[10:11], s[0:1]
	s_cbranch_execz .LBB9_31
; %bb.8:
	global_load_ubyte v6, v[1:2], off offset:1024
	v_or_b32_e32 v4, 0x500, v0
	v_cmp_gt_u32_e64 s[0:1], s33, v4
	v_mov_b32_e32 v4, 0
	v_mov_b32_e32 v7, 0
	;; [unrolled: 1-line block ×11, first 2 shown]
	s_and_saveexec_b64 s[12:13], s[0:1]
	s_cbranch_execz .LBB9_30
; %bb.9:
	global_load_ubyte v7, v[1:2], off offset:1280
	v_or_b32_e32 v4, 0x600, v0
	v_cmp_gt_u32_e64 s[0:1], s33, v4
	v_mov_b32_e32 v4, 0
	v_mov_b32_e32 v8, 0
	;; [unrolled: 1-line block ×10, first 2 shown]
	s_and_saveexec_b64 s[14:15], s[0:1]
	s_cbranch_execz .LBB9_29
; %bb.10:
	global_load_ubyte v8, v[1:2], off offset:1536
	v_or_b32_e32 v4, 0x700, v0
	v_cmp_gt_u32_e64 s[0:1], s33, v4
	v_mov_b32_e32 v4, 0
	v_mov_b32_e32 v9, 0
	;; [unrolled: 1-line block ×9, first 2 shown]
	s_and_saveexec_b64 s[16:17], s[0:1]
	s_cbranch_execz .LBB9_28
; %bb.11:
	global_load_ubyte v9, v[1:2], off offset:1792
	v_or_b32_e32 v4, 0x800, v0
	v_cmp_gt_u32_e64 s[0:1], s33, v4
	v_mov_b32_e32 v4, 0
	v_mov_b32_e32 v10, 0
	;; [unrolled: 1-line block ×8, first 2 shown]
	s_and_saveexec_b64 s[18:19], s[0:1]
	s_cbranch_execz .LBB9_27
; %bb.12:
	global_load_ubyte v10, v[1:2], off offset:2048
	v_or_b32_e32 v4, 0x900, v0
	v_cmp_gt_u32_e64 s[0:1], s33, v4
	v_mov_b32_e32 v4, 0
	v_mov_b32_e32 v14, 0
	;; [unrolled: 1-line block ×7, first 2 shown]
	s_and_saveexec_b64 s[20:21], s[0:1]
	s_cbranch_execz .LBB9_26
; %bb.13:
	global_load_ubyte v14, v[1:2], off offset:2304
	v_or_b32_e32 v4, 0xa00, v0
	v_cmp_gt_u32_e64 s[0:1], s33, v4
	v_mov_b32_e32 v4, 0
	v_mov_b32_e32 v16, 0
	v_mov_b32_e32 v17, 0
	v_mov_b32_e32 v18, 0
	v_mov_b32_e32 v19, 0
	v_mov_b32_e32 v20, 0
	s_and_saveexec_b64 s[22:23], s[0:1]
	s_cbranch_execz .LBB9_25
; %bb.14:
	global_load_ubyte v16, v[1:2], off offset:2560
	v_or_b32_e32 v4, 0xb00, v0
	v_cmp_gt_u32_e64 s[0:1], s33, v4
	v_mov_b32_e32 v4, 0
	v_mov_b32_e32 v17, 0
	;; [unrolled: 1-line block ×5, first 2 shown]
	s_and_saveexec_b64 s[24:25], s[0:1]
	s_cbranch_execz .LBB9_24
; %bb.15:
	global_load_ubyte v17, v[1:2], off offset:2816
	v_or_b32_e32 v4, 0xc00, v0
	v_cmp_gt_u32_e64 s[0:1], s33, v4
	v_mov_b32_e32 v4, 0
	v_mov_b32_e32 v18, 0
	;; [unrolled: 1-line block ×4, first 2 shown]
	s_and_saveexec_b64 s[26:27], s[0:1]
	s_cbranch_execz .LBB9_23
; %bb.16:
	global_load_ubyte v18, v[1:2], off offset:3072
	v_or_b32_e32 v4, 0xd00, v0
	v_cmp_gt_u32_e64 s[0:1], s33, v4
	v_mov_b32_e32 v4, 0
	v_mov_b32_e32 v19, 0
	;; [unrolled: 1-line block ×3, first 2 shown]
	s_and_saveexec_b64 s[28:29], s[0:1]
	s_cbranch_execz .LBB9_22
; %bb.17:
	global_load_ubyte v19, v[1:2], off offset:3328
	v_or_b32_e32 v4, 0xe00, v0
	v_cmp_gt_u32_e64 s[0:1], s33, v4
	v_mov_b32_e32 v4, 0
	v_mov_b32_e32 v20, 0
	s_and_saveexec_b64 s[30:31], s[0:1]
	s_cbranch_execz .LBB9_21
; %bb.18:
	global_load_ubyte v20, v[1:2], off offset:3584
	v_or_b32_e32 v4, 0xf00, v0
	v_cmp_gt_u32_e64 s[0:1], s33, v4
	v_mov_b32_e32 v4, 0
	s_and_saveexec_b64 s[34:35], s[0:1]
	s_cbranch_execz .LBB9_20
; %bb.19:
	global_load_ubyte v4, v[1:2], off offset:3840
.LBB9_20:
	s_or_b64 exec, exec, s[34:35]
.LBB9_21:
	s_or_b64 exec, exec, s[30:31]
.LBB9_22:
	s_or_b64 exec, exec, s[28:29]
.LBB9_23:
	s_or_b64 exec, exec, s[26:27]
.LBB9_24:
	s_or_b64 exec, exec, s[24:25]
.LBB9_25:
	s_or_b64 exec, exec, s[22:23]
.LBB9_26:
	s_or_b64 exec, exec, s[20:21]
.LBB9_27:
	s_or_b64 exec, exec, s[18:19]
.LBB9_28:
	s_or_b64 exec, exec, s[16:17]
.LBB9_29:
	s_or_b64 exec, exec, s[14:15]
.LBB9_30:
	s_or_b64 exec, exec, s[12:13]
.LBB9_31:
	s_or_b64 exec, exec, s[10:11]
.LBB9_32:
	s_or_b64 exec, exec, s[8:9]
.LBB9_33:
	s_or_b64 exec, exec, s[6:7]
.LBB9_34:
	s_or_b64 exec, exec, s[4:5]
.LBB9_35:
	s_or_b64 exec, exec, s[2:3]
	s_and_saveexec_b64 s[0:1], vcc
	s_cbranch_execz .LBB9_52
; %bb.36:
	s_cmpk_lt_u32 s42, 0x800
	s_cselect_b64 s[18:19], -1, 0
	s_and_b32 s31, 0xffff, s41
	s_waitcnt vmcnt(0)
	v_lshlrev_b32_e32 v1, s31, v11
	s_mov_b32 s30, 0xffff
	v_cndmask_b32_e64 v1, 0, v1, s[18:19]
	v_lshlrev_b32_e32 v2, s31, v12
	v_and_b32_sdwa v1, s30, v1 dst_sel:DWORD dst_unused:UNUSED_PAD src0_sel:DWORD src1_sel:BYTE_0
	v_cndmask_b32_e64 v2, 0, v2, s[18:19]
	v_cndmask_b32_e32 v1, 0, v1, vcc
	v_lshlrev_b16_e32 v2, 8, v2
	v_or_b32_e32 v2, v1, v2
	v_and_b32_e32 v2, 0xffff, v2
	v_cmp_gt_i32_e32 vcc, s33, v5
	v_lshlrev_b32_e32 v5, s31, v15
	v_cndmask_b32_e32 v1, v1, v2, vcc
	v_cndmask_b32_e64 v5, 0, v5, s[18:19]
	s_mov_b32 s35, 0xc0c0304
	v_or_b32_e32 v2, 0x200, v0
	v_perm_b32 v5, v5, v1, s35
	v_lshl_or_b32 v5, v5, 16, v1
	v_cmp_gt_i32_e64 s[22:23], s33, v2
	v_lshlrev_b32_e32 v11, s31, v13
	s_movk_i32 s34, 0xff
	v_cndmask_b32_e64 v1, v1, v5, s[22:23]
	v_cndmask_b32_e64 v11, 0, v11, s[18:19]
	v_and_b32_sdwa v2, v1, s34 dst_sel:DWORD dst_unused:UNUSED_PAD src0_sel:WORD_1 src1_sel:DWORD
	v_lshlrev_b16_e32 v11, 8, v11
	v_or_b32_e32 v5, 0x300, v0
	v_or_b32_sdwa v2, v2, v11 dst_sel:WORD_1 dst_unused:UNUSED_PAD src0_sel:DWORD src1_sel:DWORD
	v_and_or_b32 v2, v1, s30, v2
	v_cmp_gt_i32_e64 s[20:21], s33, v5
	v_cndmask_b32_e64 v12, v1, v2, s[20:21]
	v_or_b32_e32 v1, 0x500, v0
	v_cmp_gt_i32_e64 s[16:17], s33, v1
	v_or_b32_e32 v1, 0x600, v0
	v_cmp_gt_i32_e64 s[14:15], s33, v1
	;; [unrolled: 2-line block ×7, first 2 shown]
	v_or_b32_e32 v1, 0xe00, v0
	v_or_b32_e32 v11, 0x400, v0
	;; [unrolled: 1-line block ×4, first 2 shown]
	v_cmp_gt_i32_e64 s[2:3], s33, v1
	v_or_b32_e32 v1, 0xf00, v0
	v_cmp_gt_i32_e64 s[28:29], s33, v11
	v_cmp_gt_i32_e64 s[26:27], s33, v5
	;; [unrolled: 1-line block ×4, first 2 shown]
	global_store_byte v3, v12, s[36:37]
	s_and_b64 exec, exec, vcc
	s_cbranch_execz .LBB9_52
; %bb.37:
	v_lshlrev_b32_e32 v1, s31, v6
	v_cndmask_b32_e64 v1, 0, v1, s[18:19]
	s_mov_b32 s38, 0x3020104
	s_mov_b64 vcc, s[18:19]
	v_perm_b32 v1, v1, 0, s38
	v_lshlrev_b32_e32 v3, s31, v7
	v_mov_b32_e32 v13, 0
	v_cndmask_b32_e64 v1, 0, v1, s[28:29]
	v_cndmask_b32_sdwa v3, v13, v3, vcc dst_sel:BYTE_1 dst_unused:UNUSED_PAD src0_sel:DWORD src1_sel:DWORD
	v_or_b32_sdwa v3, v1, v3 dst_sel:DWORD dst_unused:UNUSED_PAD src0_sel:BYTE_0 src1_sel:DWORD
	v_and_b32_e32 v3, 0xffff, v3
	s_mov_b32 s28, 0xffff0000
	v_and_or_b32 v3, v1, s28, v3
	v_cndmask_b32_e64 v1, v1, v3, s[16:17]
	v_lshlrev_b32_e32 v3, s31, v8
	v_cndmask_b32_e64 v3, 0, v3, s[18:19]
	s_mov_b32 s29, 0x7000504
	v_perm_b32 v3, v1, v3, s29
	v_lshlrev_b32_e32 v6, s31, v9
	v_cndmask_b32_e64 v1, v1, v3, s[14:15]
	v_cndmask_b32_e64 v6, 0, v6, s[18:19]
	v_and_b32_sdwa v3, v1, s34 dst_sel:DWORD dst_unused:UNUSED_PAD src0_sel:WORD_1 src1_sel:DWORD
	v_lshlrev_b16_e32 v6, 8, v6
	v_or_b32_sdwa v3, v3, v6 dst_sel:WORD_1 dst_unused:UNUSED_PAD src0_sel:DWORD src1_sel:DWORD
	v_and_or_b32 v3, v1, s30, v3
	v_cndmask_b32_e64 v7, v1, v3, s[12:13]
	v_lshlrev_b32_e32 v1, s31, v10
	v_cndmask_b32_e64 v1, 0, v1, s[18:19]
	v_lshlrev_b32_e32 v3, s31, v14
	v_and_b32_sdwa v1, s30, v1 dst_sel:DWORD dst_unused:UNUSED_PAD src0_sel:DWORD src1_sel:BYTE_0
	v_cndmask_b32_e64 v3, 0, v3, s[18:19]
	v_cndmask_b32_e64 v1, 0, v1, s[26:27]
	v_lshlrev_b16_e32 v3, 8, v3
	v_or_b32_e32 v3, v1, v3
	v_and_b32_e32 v3, 0xffff, v3
	v_cndmask_b32_e64 v1, v1, v3, s[10:11]
	v_lshlrev_b32_e32 v3, s31, v16
	v_cndmask_b32_e64 v3, 0, v3, s[18:19]
	v_perm_b32 v3, v3, v1, s35
	v_lshl_or_b32 v3, v3, 16, v1
	v_lshlrev_b32_e32 v6, s31, v17
	v_cndmask_b32_e64 v1, v1, v3, s[8:9]
	v_cndmask_b32_e64 v6, 0, v6, s[18:19]
	v_and_b32_sdwa v3, v1, s34 dst_sel:DWORD dst_unused:UNUSED_PAD src0_sel:WORD_1 src1_sel:DWORD
	v_lshlrev_b16_e32 v6, 8, v6
	v_or_b32_sdwa v3, v3, v6 dst_sel:WORD_1 dst_unused:UNUSED_PAD src0_sel:DWORD src1_sel:DWORD
	v_and_or_b32 v3, v1, s30, v3
	v_cndmask_b32_e64 v6, v1, v3, s[6:7]
	v_lshlrev_b32_e32 v1, s31, v18
	v_cndmask_b32_e64 v1, 0, v1, s[18:19]
	v_lshlrev_b32_e32 v3, s31, v19
	v_perm_b32 v1, v1, 0, s38
	v_cndmask_b32_e64 v3, 0, v3, s[18:19]
	v_cndmask_b32_e64 v1, 0, v1, s[24:25]
	v_lshlrev_b16_e32 v3, 8, v3
	v_or_b32_sdwa v3, v1, v3 dst_sel:DWORD dst_unused:UNUSED_PAD src0_sel:BYTE_0 src1_sel:DWORD
	v_and_b32_e32 v3, 0xffff, v3
	v_and_or_b32 v3, v1, s28, v3
	v_cndmask_b32_e64 v1, v1, v3, s[4:5]
	v_lshlrev_b32_e32 v3, s31, v20
	v_cndmask_b32_e64 v3, 0, v3, s[18:19]
	v_perm_b32 v3, v1, v3, s29
	v_cndmask_b32_e64 v1, v1, v3, s[2:3]
	v_lshlrev_b32_e32 v4, s31, v4
	v_and_b32_sdwa v3, v1, s34 dst_sel:DWORD dst_unused:UNUSED_PAD src0_sel:WORD_1 src1_sel:DWORD
	v_cndmask_b32_sdwa v4, v13, v4, vcc dst_sel:BYTE_1 dst_unused:UNUSED_PAD src0_sel:DWORD src1_sel:DWORD
	v_or_b32_sdwa v3, v3, v4 dst_sel:WORD_1 dst_unused:UNUSED_PAD src0_sel:DWORD src1_sel:DWORD
	v_and_or_b32 v3, v1, s30, v3
	v_cndmask_b32_e64 v3, v1, v3, s[0:1]
	v_lshrrev_b32_e32 v1, 8, v12
	v_add_u32_e32 v0, s40, v0
	global_store_byte v0, v1, s[36:37] offset:256
	s_and_b64 exec, exec, s[22:23]
	s_cbranch_execz .LBB9_52
; %bb.38:
	v_mov_b32_e32 v1, s37
	v_add_co_u32_e32 v0, vcc, s36, v0
	v_addc_co_u32_e32 v1, vcc, 0, v1, vcc
	global_store_byte_d16_hi v[0:1], v12, off offset:512
	s_and_b64 exec, exec, s[20:21]
	s_cbranch_execz .LBB9_52
; %bb.39:
	v_lshrrev_b32_e32 v4, 24, v12
	v_cmp_gt_u32_e32 vcc, s33, v11
	global_store_byte v[0:1], v4, off offset:768
	s_and_b64 exec, exec, vcc
	s_cbranch_execz .LBB9_52
; %bb.40:
	global_store_byte v[0:1], v7, off offset:1024
	s_and_b64 exec, exec, s[16:17]
	s_cbranch_execz .LBB9_52
; %bb.41:
	v_lshrrev_b32_e32 v4, 8, v7
	global_store_byte v[0:1], v4, off offset:1280
	s_and_b64 exec, exec, s[14:15]
	s_cbranch_execz .LBB9_52
; %bb.42:
	global_store_byte_d16_hi v[0:1], v7, off offset:1536
	s_and_b64 exec, exec, s[12:13]
	s_cbranch_execz .LBB9_52
; %bb.43:
	v_lshrrev_b32_e32 v4, 24, v7
	v_cmp_gt_u32_e32 vcc, s33, v5
	global_store_byte v[0:1], v4, off offset:1792
	s_and_b64 exec, exec, vcc
	s_cbranch_execz .LBB9_52
; %bb.44:
	global_store_byte v[0:1], v6, off offset:2048
	s_and_b64 exec, exec, s[10:11]
	s_cbranch_execz .LBB9_52
; %bb.45:
	v_lshrrev_b32_e32 v4, 8, v6
	global_store_byte v[0:1], v4, off offset:2304
	s_and_b64 exec, exec, s[8:9]
	s_cbranch_execz .LBB9_52
; %bb.46:
	;; [unrolled: 19-line block ×3, first 2 shown]
	global_store_byte_d16_hi v[0:1], v3, off offset:3584
	s_and_b64 exec, exec, s[0:1]
	s_cbranch_execz .LBB9_52
; %bb.51:
	v_lshrrev_b32_e32 v2, 24, v3
	global_store_byte v[0:1], v2, off offset:3840
.LBB9_52:
	s_endpgm
	.section	.rodata,"a",@progbits
	.p2align	6, 0x0
	.amdhsa_kernel _ZN2at6native29vectorized_elementwise_kernelILi8ENS0_13BUnaryFunctorIhhhZZZNS0_18lshift_kernel_cudaERNS_18TensorIteratorBaseEENKUlvE_clEvENKUlvE_clEvEUlhhE_EESt5arrayIPcLm2EEEEviT0_T1_
		.amdhsa_group_segment_fixed_size 0
		.amdhsa_private_segment_fixed_size 0
		.amdhsa_kernarg_size 24
		.amdhsa_user_sgpr_count 6
		.amdhsa_user_sgpr_private_segment_buffer 1
		.amdhsa_user_sgpr_dispatch_ptr 0
		.amdhsa_user_sgpr_queue_ptr 0
		.amdhsa_user_sgpr_kernarg_segment_ptr 1
		.amdhsa_user_sgpr_dispatch_id 0
		.amdhsa_user_sgpr_flat_scratch_init 0
		.amdhsa_user_sgpr_private_segment_size 0
		.amdhsa_uses_dynamic_stack 0
		.amdhsa_system_sgpr_private_segment_wavefront_offset 0
		.amdhsa_system_sgpr_workgroup_id_x 1
		.amdhsa_system_sgpr_workgroup_id_y 0
		.amdhsa_system_sgpr_workgroup_id_z 0
		.amdhsa_system_sgpr_workgroup_info 0
		.amdhsa_system_vgpr_workitem_id 0
		.amdhsa_next_free_vgpr 21
		.amdhsa_next_free_sgpr 43
		.amdhsa_reserve_vcc 1
		.amdhsa_reserve_flat_scratch 0
		.amdhsa_float_round_mode_32 0
		.amdhsa_float_round_mode_16_64 0
		.amdhsa_float_denorm_mode_32 3
		.amdhsa_float_denorm_mode_16_64 3
		.amdhsa_dx10_clamp 1
		.amdhsa_ieee_mode 1
		.amdhsa_fp16_overflow 0
		.amdhsa_exception_fp_ieee_invalid_op 0
		.amdhsa_exception_fp_denorm_src 0
		.amdhsa_exception_fp_ieee_div_zero 0
		.amdhsa_exception_fp_ieee_overflow 0
		.amdhsa_exception_fp_ieee_underflow 0
		.amdhsa_exception_fp_ieee_inexact 0
		.amdhsa_exception_int_div_zero 0
	.end_amdhsa_kernel
	.section	.text._ZN2at6native29vectorized_elementwise_kernelILi8ENS0_13BUnaryFunctorIhhhZZZNS0_18lshift_kernel_cudaERNS_18TensorIteratorBaseEENKUlvE_clEvENKUlvE_clEvEUlhhE_EESt5arrayIPcLm2EEEEviT0_T1_,"axG",@progbits,_ZN2at6native29vectorized_elementwise_kernelILi8ENS0_13BUnaryFunctorIhhhZZZNS0_18lshift_kernel_cudaERNS_18TensorIteratorBaseEENKUlvE_clEvENKUlvE_clEvEUlhhE_EESt5arrayIPcLm2EEEEviT0_T1_,comdat
.Lfunc_end9:
	.size	_ZN2at6native29vectorized_elementwise_kernelILi8ENS0_13BUnaryFunctorIhhhZZZNS0_18lshift_kernel_cudaERNS_18TensorIteratorBaseEENKUlvE_clEvENKUlvE_clEvEUlhhE_EESt5arrayIPcLm2EEEEviT0_T1_, .Lfunc_end9-_ZN2at6native29vectorized_elementwise_kernelILi8ENS0_13BUnaryFunctorIhhhZZZNS0_18lshift_kernel_cudaERNS_18TensorIteratorBaseEENKUlvE_clEvENKUlvE_clEvEUlhhE_EESt5arrayIPcLm2EEEEviT0_T1_
                                        ; -- End function
	.set _ZN2at6native29vectorized_elementwise_kernelILi8ENS0_13BUnaryFunctorIhhhZZZNS0_18lshift_kernel_cudaERNS_18TensorIteratorBaseEENKUlvE_clEvENKUlvE_clEvEUlhhE_EESt5arrayIPcLm2EEEEviT0_T1_.num_vgpr, 21
	.set _ZN2at6native29vectorized_elementwise_kernelILi8ENS0_13BUnaryFunctorIhhhZZZNS0_18lshift_kernel_cudaERNS_18TensorIteratorBaseEENKUlvE_clEvENKUlvE_clEvEUlhhE_EESt5arrayIPcLm2EEEEviT0_T1_.num_agpr, 0
	.set _ZN2at6native29vectorized_elementwise_kernelILi8ENS0_13BUnaryFunctorIhhhZZZNS0_18lshift_kernel_cudaERNS_18TensorIteratorBaseEENKUlvE_clEvENKUlvE_clEvEUlhhE_EESt5arrayIPcLm2EEEEviT0_T1_.numbered_sgpr, 43
	.set _ZN2at6native29vectorized_elementwise_kernelILi8ENS0_13BUnaryFunctorIhhhZZZNS0_18lshift_kernel_cudaERNS_18TensorIteratorBaseEENKUlvE_clEvENKUlvE_clEvEUlhhE_EESt5arrayIPcLm2EEEEviT0_T1_.num_named_barrier, 0
	.set _ZN2at6native29vectorized_elementwise_kernelILi8ENS0_13BUnaryFunctorIhhhZZZNS0_18lshift_kernel_cudaERNS_18TensorIteratorBaseEENKUlvE_clEvENKUlvE_clEvEUlhhE_EESt5arrayIPcLm2EEEEviT0_T1_.private_seg_size, 0
	.set _ZN2at6native29vectorized_elementwise_kernelILi8ENS0_13BUnaryFunctorIhhhZZZNS0_18lshift_kernel_cudaERNS_18TensorIteratorBaseEENKUlvE_clEvENKUlvE_clEvEUlhhE_EESt5arrayIPcLm2EEEEviT0_T1_.uses_vcc, 1
	.set _ZN2at6native29vectorized_elementwise_kernelILi8ENS0_13BUnaryFunctorIhhhZZZNS0_18lshift_kernel_cudaERNS_18TensorIteratorBaseEENKUlvE_clEvENKUlvE_clEvEUlhhE_EESt5arrayIPcLm2EEEEviT0_T1_.uses_flat_scratch, 0
	.set _ZN2at6native29vectorized_elementwise_kernelILi8ENS0_13BUnaryFunctorIhhhZZZNS0_18lshift_kernel_cudaERNS_18TensorIteratorBaseEENKUlvE_clEvENKUlvE_clEvEUlhhE_EESt5arrayIPcLm2EEEEviT0_T1_.has_dyn_sized_stack, 0
	.set _ZN2at6native29vectorized_elementwise_kernelILi8ENS0_13BUnaryFunctorIhhhZZZNS0_18lshift_kernel_cudaERNS_18TensorIteratorBaseEENKUlvE_clEvENKUlvE_clEvEUlhhE_EESt5arrayIPcLm2EEEEviT0_T1_.has_recursion, 0
	.set _ZN2at6native29vectorized_elementwise_kernelILi8ENS0_13BUnaryFunctorIhhhZZZNS0_18lshift_kernel_cudaERNS_18TensorIteratorBaseEENKUlvE_clEvENKUlvE_clEvEUlhhE_EESt5arrayIPcLm2EEEEviT0_T1_.has_indirect_call, 0
	.section	.AMDGPU.csdata,"",@progbits
; Kernel info:
; codeLenInByte = 2808
; TotalNumSgprs: 47
; NumVgprs: 21
; ScratchSize: 0
; MemoryBound: 0
; FloatMode: 240
; IeeeMode: 1
; LDSByteSize: 0 bytes/workgroup (compile time only)
; SGPRBlocks: 5
; VGPRBlocks: 5
; NumSGPRsForWavesPerEU: 47
; NumVGPRsForWavesPerEU: 21
; Occupancy: 10
; WaveLimiterHint : 1
; COMPUTE_PGM_RSRC2:SCRATCH_EN: 0
; COMPUTE_PGM_RSRC2:USER_SGPR: 6
; COMPUTE_PGM_RSRC2:TRAP_HANDLER: 0
; COMPUTE_PGM_RSRC2:TGID_X_EN: 1
; COMPUTE_PGM_RSRC2:TGID_Y_EN: 0
; COMPUTE_PGM_RSRC2:TGID_Z_EN: 0
; COMPUTE_PGM_RSRC2:TIDIG_COMP_CNT: 0
	.section	.text._ZN2at6native29vectorized_elementwise_kernelILi4ENS0_13BUnaryFunctorIhhhZZZNS0_18lshift_kernel_cudaERNS_18TensorIteratorBaseEENKUlvE_clEvENKUlvE_clEvEUlhhE_EESt5arrayIPcLm2EEEEviT0_T1_,"axG",@progbits,_ZN2at6native29vectorized_elementwise_kernelILi4ENS0_13BUnaryFunctorIhhhZZZNS0_18lshift_kernel_cudaERNS_18TensorIteratorBaseEENKUlvE_clEvENKUlvE_clEvEUlhhE_EESt5arrayIPcLm2EEEEviT0_T1_,comdat
	.globl	_ZN2at6native29vectorized_elementwise_kernelILi4ENS0_13BUnaryFunctorIhhhZZZNS0_18lshift_kernel_cudaERNS_18TensorIteratorBaseEENKUlvE_clEvENKUlvE_clEvEUlhhE_EESt5arrayIPcLm2EEEEviT0_T1_ ; -- Begin function _ZN2at6native29vectorized_elementwise_kernelILi4ENS0_13BUnaryFunctorIhhhZZZNS0_18lshift_kernel_cudaERNS_18TensorIteratorBaseEENKUlvE_clEvENKUlvE_clEvEUlhhE_EESt5arrayIPcLm2EEEEviT0_T1_
	.p2align	8
	.type	_ZN2at6native29vectorized_elementwise_kernelILi4ENS0_13BUnaryFunctorIhhhZZZNS0_18lshift_kernel_cudaERNS_18TensorIteratorBaseEENKUlvE_clEvENKUlvE_clEvEUlhhE_EESt5arrayIPcLm2EEEEviT0_T1_,@function
_ZN2at6native29vectorized_elementwise_kernelILi4ENS0_13BUnaryFunctorIhhhZZZNS0_18lshift_kernel_cudaERNS_18TensorIteratorBaseEENKUlvE_clEvENKUlvE_clEvEUlhhE_EESt5arrayIPcLm2EEEEviT0_T1_: ; @_ZN2at6native29vectorized_elementwise_kernelILi4ENS0_13BUnaryFunctorIhhhZZZNS0_18lshift_kernel_cudaERNS_18TensorIteratorBaseEENKUlvE_clEvENKUlvE_clEvEUlhhE_EESt5arrayIPcLm2EEEEviT0_T1_
; %bb.0:
	v_mov_b32_e32 v1, 0
	global_load_ushort v1, v1, s[4:5] offset:4
	s_load_dword s0, s[4:5], 0x0
	s_load_dwordx4 s[36:39], s[4:5], 0x8
	s_lshl_b32 s40, s6, 12
	s_waitcnt lgkmcnt(0)
	s_sub_i32 s33, s0, s40
	s_waitcnt vmcnt(0)
	v_readfirstlane_b32 s1, v1
	s_and_b32 s42, 0xffff, s1
	s_lshr_b32 s41, s42, 8
	s_cmpk_gt_i32 s33, 0xfff
	s_mov_b64 s[0:1], -1
	s_cbranch_scc0 .LBB10_2
; %bb.1:
	s_ashr_i32 s2, s40, 31
	s_add_u32 s0, s38, s40
	s_addc_u32 s1, s39, s2
	v_lshlrev_b32_e32 v1, 2, v0
	global_load_dword v2, v1, s[0:1]
	global_load_dword v3, v1, s[0:1] offset:1024
	global_load_dword v4, v1, s[0:1] offset:2048
	;; [unrolled: 1-line block ×3, first 2 shown]
	s_cmpk_lt_u32 s42, 0x800
	s_cselect_b64 vcc, -1, 0
	s_and_b32 s3, 0xffff, s41
	s_add_u32 s0, s36, s40
	s_addc_u32 s1, s37, s2
	s_waitcnt vmcnt(3)
	v_lshrrev_b32_e32 v7, 8, v2
	v_lshlrev_b32_e32 v6, s3, v2
	v_lshlrev_b32_sdwa v8, s3, v2 dst_sel:DWORD dst_unused:UNUSED_PAD src0_sel:DWORD src1_sel:WORD_1
	v_lshlrev_b32_sdwa v2, s3, v2 dst_sel:DWORD dst_unused:UNUSED_PAD src0_sel:DWORD src1_sel:BYTE_3
	s_waitcnt vmcnt(2)
	v_lshrrev_b32_e32 v10, 8, v3
	s_waitcnt vmcnt(1)
	v_lshrrev_b32_e32 v13, 8, v4
	;; [unrolled: 2-line block ×3, first 2 shown]
	v_lshlrev_b32_e32 v7, s3, v7
	v_lshlrev_b32_e32 v9, s3, v3
	v_lshlrev_b32_sdwa v11, s3, v3 dst_sel:DWORD dst_unused:UNUSED_PAD src0_sel:DWORD src1_sel:WORD_1
	v_lshlrev_b32_sdwa v3, s3, v3 dst_sel:DWORD dst_unused:UNUSED_PAD src0_sel:DWORD src1_sel:BYTE_3
	v_lshlrev_b32_e32 v12, s3, v4
	v_lshlrev_b32_sdwa v14, s3, v4 dst_sel:DWORD dst_unused:UNUSED_PAD src0_sel:DWORD src1_sel:WORD_1
	v_lshlrev_b32_sdwa v4, s3, v4 dst_sel:DWORD dst_unused:UNUSED_PAD src0_sel:DWORD src1_sel:BYTE_3
	;; [unrolled: 3-line block ×3, first 2 shown]
	v_cndmask_b32_e32 v2, 0, v2, vcc
	v_lshlrev_b32_e32 v10, s3, v10
	v_lshlrev_b32_e32 v13, s3, v13
	;; [unrolled: 1-line block ×3, first 2 shown]
	v_cndmask_b32_e32 v7, 0, v7, vcc
	v_cndmask_b32_e32 v6, 0, v6, vcc
	;; [unrolled: 1-line block ×9, first 2 shown]
	v_lshlrev_b16_e32 v2, 8, v2
	v_lshlrev_b16_e32 v7, 8, v7
	v_cndmask_b32_e32 v9, 0, v9, vcc
	v_cndmask_b32_e32 v11, 0, v11, vcc
	;; [unrolled: 1-line block ×6, first 2 shown]
	v_lshlrev_b16_e32 v5, 8, v5
	v_lshlrev_b16_e32 v4, 8, v4
	;; [unrolled: 1-line block ×6, first 2 shown]
	v_or_b32_sdwa v2, v8, v2 dst_sel:WORD_1 dst_unused:UNUSED_PAD src0_sel:BYTE_0 src1_sel:DWORD
	v_or_b32_sdwa v6, v6, v7 dst_sel:DWORD dst_unused:UNUSED_PAD src0_sel:BYTE_0 src1_sel:DWORD
	v_or_b32_sdwa v5, v17, v5 dst_sel:WORD_1 dst_unused:UNUSED_PAD src0_sel:BYTE_0 src1_sel:DWORD
	v_or_b32_sdwa v4, v14, v4 dst_sel:WORD_1 dst_unused:UNUSED_PAD src0_sel:BYTE_0 src1_sel:DWORD
	v_or_b32_sdwa v3, v11, v3 dst_sel:WORD_1 dst_unused:UNUSED_PAD src0_sel:BYTE_0 src1_sel:DWORD
	v_or_b32_sdwa v8, v15, v16 dst_sel:DWORD dst_unused:UNUSED_PAD src0_sel:BYTE_0 src1_sel:DWORD
	v_or_b32_sdwa v11, v12, v13 dst_sel:DWORD dst_unused:UNUSED_PAD src0_sel:BYTE_0 src1_sel:DWORD
	;; [unrolled: 1-line block ×3, first 2 shown]
	v_or_b32_sdwa v2, v6, v2 dst_sel:DWORD dst_unused:UNUSED_PAD src0_sel:WORD_0 src1_sel:DWORD
	v_or_b32_sdwa v5, v8, v5 dst_sel:DWORD dst_unused:UNUSED_PAD src0_sel:WORD_0 src1_sel:DWORD
	v_or_b32_sdwa v4, v11, v4 dst_sel:DWORD dst_unused:UNUSED_PAD src0_sel:WORD_0 src1_sel:DWORD
	v_or_b32_sdwa v3, v9, v3 dst_sel:DWORD dst_unused:UNUSED_PAD src0_sel:WORD_0 src1_sel:DWORD
	global_store_dword v1, v2, s[0:1]
	global_store_dword v1, v3, s[0:1] offset:1024
	global_store_dword v1, v4, s[0:1] offset:2048
	;; [unrolled: 1-line block ×3, first 2 shown]
	s_mov_b64 s[0:1], 0
.LBB10_2:
	s_andn2_b64 vcc, exec, s[0:1]
	s_cbranch_vccnz .LBB10_52
; %bb.3:
	v_cmp_gt_i32_e32 vcc, s33, v0
	v_or_b32_e32 v5, 0x100, v0
	v_mov_b32_e32 v20, 0
	v_mov_b32_e32 v4, 0
	v_or_b32_e32 v3, s40, v0
	v_mov_b32_e32 v19, 0
	v_mov_b32_e32 v18, 0
	;; [unrolled: 1-line block ×14, first 2 shown]
	s_and_saveexec_b64 s[2:3], vcc
	s_cbranch_execz .LBB10_35
; %bb.4:
	global_load_ubyte v11, v3, s[38:39]
	v_cmp_gt_u32_e64 s[0:1], s33, v5
	v_mov_b32_e32 v4, 0
	v_mov_b32_e32 v12, 0
	;; [unrolled: 1-line block ×15, first 2 shown]
	s_and_saveexec_b64 s[4:5], s[0:1]
	s_cbranch_execz .LBB10_34
; %bb.5:
	v_add_u32_e32 v1, s40, v0
	global_load_ubyte v12, v1, s[38:39] offset:256
	v_or_b32_e32 v2, 0x200, v0
	v_mov_b32_e32 v15, 0
	v_cmp_gt_u32_e64 s[0:1], s33, v2
	v_mov_b32_e32 v13, 0
	v_mov_b32_e32 v6, 0
	v_mov_b32_e32 v7, 0
	v_mov_b32_e32 v8, 0
	v_mov_b32_e32 v9, 0
	v_mov_b32_e32 v10, 0
	v_mov_b32_e32 v14, 0
	v_mov_b32_e32 v16, 0
	v_mov_b32_e32 v17, 0
	v_mov_b32_e32 v18, 0
	v_mov_b32_e32 v19, 0
	v_mov_b32_e32 v20, 0
	v_mov_b32_e32 v4, 0
	s_and_saveexec_b64 s[6:7], s[0:1]
	s_cbranch_execz .LBB10_33
; %bb.6:
	v_mov_b32_e32 v2, s39
	v_add_co_u32_e64 v1, s[0:1], s38, v1
	v_addc_co_u32_e64 v2, s[0:1], 0, v2, s[0:1]
	global_load_ubyte v15, v[1:2], off offset:512
	v_or_b32_e32 v4, 0x300, v0
	v_cmp_gt_u32_e64 s[0:1], s33, v4
	v_mov_b32_e32 v4, 0
	v_mov_b32_e32 v13, 0
	;; [unrolled: 1-line block ×13, first 2 shown]
	s_and_saveexec_b64 s[8:9], s[0:1]
	s_cbranch_execz .LBB10_32
; %bb.7:
	global_load_ubyte v13, v[1:2], off offset:768
	v_or_b32_e32 v4, 0x400, v0
	v_cmp_gt_u32_e64 s[0:1], s33, v4
	v_mov_b32_e32 v4, 0
	v_mov_b32_e32 v6, 0
	;; [unrolled: 1-line block ×12, first 2 shown]
	s_and_saveexec_b64 s[10:11], s[0:1]
	s_cbranch_execz .LBB10_31
; %bb.8:
	global_load_ubyte v6, v[1:2], off offset:1024
	v_or_b32_e32 v4, 0x500, v0
	v_cmp_gt_u32_e64 s[0:1], s33, v4
	v_mov_b32_e32 v4, 0
	v_mov_b32_e32 v7, 0
	;; [unrolled: 1-line block ×11, first 2 shown]
	s_and_saveexec_b64 s[12:13], s[0:1]
	s_cbranch_execz .LBB10_30
; %bb.9:
	global_load_ubyte v7, v[1:2], off offset:1280
	v_or_b32_e32 v4, 0x600, v0
	v_cmp_gt_u32_e64 s[0:1], s33, v4
	v_mov_b32_e32 v4, 0
	v_mov_b32_e32 v8, 0
	;; [unrolled: 1-line block ×10, first 2 shown]
	s_and_saveexec_b64 s[14:15], s[0:1]
	s_cbranch_execz .LBB10_29
; %bb.10:
	global_load_ubyte v8, v[1:2], off offset:1536
	v_or_b32_e32 v4, 0x700, v0
	v_cmp_gt_u32_e64 s[0:1], s33, v4
	v_mov_b32_e32 v4, 0
	v_mov_b32_e32 v9, 0
	;; [unrolled: 1-line block ×9, first 2 shown]
	s_and_saveexec_b64 s[16:17], s[0:1]
	s_cbranch_execz .LBB10_28
; %bb.11:
	global_load_ubyte v9, v[1:2], off offset:1792
	v_or_b32_e32 v4, 0x800, v0
	v_cmp_gt_u32_e64 s[0:1], s33, v4
	v_mov_b32_e32 v4, 0
	v_mov_b32_e32 v10, 0
	v_mov_b32_e32 v14, 0
	v_mov_b32_e32 v16, 0
	v_mov_b32_e32 v17, 0
	v_mov_b32_e32 v18, 0
	v_mov_b32_e32 v19, 0
	v_mov_b32_e32 v20, 0
	s_and_saveexec_b64 s[18:19], s[0:1]
	s_cbranch_execz .LBB10_27
; %bb.12:
	global_load_ubyte v10, v[1:2], off offset:2048
	v_or_b32_e32 v4, 0x900, v0
	v_cmp_gt_u32_e64 s[0:1], s33, v4
	v_mov_b32_e32 v4, 0
	v_mov_b32_e32 v14, 0
	;; [unrolled: 1-line block ×7, first 2 shown]
	s_and_saveexec_b64 s[20:21], s[0:1]
	s_cbranch_execz .LBB10_26
; %bb.13:
	global_load_ubyte v14, v[1:2], off offset:2304
	v_or_b32_e32 v4, 0xa00, v0
	v_cmp_gt_u32_e64 s[0:1], s33, v4
	v_mov_b32_e32 v4, 0
	v_mov_b32_e32 v16, 0
	v_mov_b32_e32 v17, 0
	v_mov_b32_e32 v18, 0
	v_mov_b32_e32 v19, 0
	v_mov_b32_e32 v20, 0
	s_and_saveexec_b64 s[22:23], s[0:1]
	s_cbranch_execz .LBB10_25
; %bb.14:
	global_load_ubyte v16, v[1:2], off offset:2560
	v_or_b32_e32 v4, 0xb00, v0
	v_cmp_gt_u32_e64 s[0:1], s33, v4
	v_mov_b32_e32 v4, 0
	v_mov_b32_e32 v17, 0
	;; [unrolled: 1-line block ×5, first 2 shown]
	s_and_saveexec_b64 s[24:25], s[0:1]
	s_cbranch_execz .LBB10_24
; %bb.15:
	global_load_ubyte v17, v[1:2], off offset:2816
	v_or_b32_e32 v4, 0xc00, v0
	v_cmp_gt_u32_e64 s[0:1], s33, v4
	v_mov_b32_e32 v4, 0
	v_mov_b32_e32 v18, 0
	;; [unrolled: 1-line block ×4, first 2 shown]
	s_and_saveexec_b64 s[26:27], s[0:1]
	s_cbranch_execz .LBB10_23
; %bb.16:
	global_load_ubyte v18, v[1:2], off offset:3072
	v_or_b32_e32 v4, 0xd00, v0
	v_cmp_gt_u32_e64 s[0:1], s33, v4
	v_mov_b32_e32 v4, 0
	v_mov_b32_e32 v19, 0
	;; [unrolled: 1-line block ×3, first 2 shown]
	s_and_saveexec_b64 s[28:29], s[0:1]
	s_cbranch_execz .LBB10_22
; %bb.17:
	global_load_ubyte v19, v[1:2], off offset:3328
	v_or_b32_e32 v4, 0xe00, v0
	v_cmp_gt_u32_e64 s[0:1], s33, v4
	v_mov_b32_e32 v4, 0
	v_mov_b32_e32 v20, 0
	s_and_saveexec_b64 s[30:31], s[0:1]
	s_cbranch_execz .LBB10_21
; %bb.18:
	global_load_ubyte v20, v[1:2], off offset:3584
	v_or_b32_e32 v4, 0xf00, v0
	v_cmp_gt_u32_e64 s[0:1], s33, v4
	v_mov_b32_e32 v4, 0
	s_and_saveexec_b64 s[34:35], s[0:1]
	s_cbranch_execz .LBB10_20
; %bb.19:
	global_load_ubyte v4, v[1:2], off offset:3840
.LBB10_20:
	s_or_b64 exec, exec, s[34:35]
.LBB10_21:
	s_or_b64 exec, exec, s[30:31]
.LBB10_22:
	s_or_b64 exec, exec, s[28:29]
.LBB10_23:
	s_or_b64 exec, exec, s[26:27]
.LBB10_24:
	s_or_b64 exec, exec, s[24:25]
.LBB10_25:
	s_or_b64 exec, exec, s[22:23]
.LBB10_26:
	s_or_b64 exec, exec, s[20:21]
.LBB10_27:
	s_or_b64 exec, exec, s[18:19]
.LBB10_28:
	s_or_b64 exec, exec, s[16:17]
.LBB10_29:
	s_or_b64 exec, exec, s[14:15]
.LBB10_30:
	s_or_b64 exec, exec, s[12:13]
.LBB10_31:
	s_or_b64 exec, exec, s[10:11]
.LBB10_32:
	s_or_b64 exec, exec, s[8:9]
.LBB10_33:
	s_or_b64 exec, exec, s[6:7]
.LBB10_34:
	s_or_b64 exec, exec, s[4:5]
.LBB10_35:
	s_or_b64 exec, exec, s[2:3]
	s_and_saveexec_b64 s[0:1], vcc
	s_cbranch_execz .LBB10_52
; %bb.36:
	s_cmpk_lt_u32 s42, 0x800
	s_cselect_b64 s[18:19], -1, 0
	s_and_b32 s31, 0xffff, s41
	s_waitcnt vmcnt(0)
	v_lshlrev_b32_e32 v1, s31, v11
	s_mov_b32 s30, 0xffff
	v_cndmask_b32_e64 v1, 0, v1, s[18:19]
	v_lshlrev_b32_e32 v2, s31, v12
	v_and_b32_sdwa v1, s30, v1 dst_sel:DWORD dst_unused:UNUSED_PAD src0_sel:DWORD src1_sel:BYTE_0
	v_cndmask_b32_e64 v2, 0, v2, s[18:19]
	v_cndmask_b32_e32 v1, 0, v1, vcc
	v_lshlrev_b16_e32 v2, 8, v2
	v_or_b32_e32 v2, v1, v2
	v_and_b32_e32 v2, 0xffff, v2
	v_cmp_gt_i32_e32 vcc, s33, v5
	v_lshlrev_b32_e32 v5, s31, v15
	v_cndmask_b32_e32 v1, v1, v2, vcc
	v_cndmask_b32_e64 v5, 0, v5, s[18:19]
	s_mov_b32 s35, 0xc0c0304
	v_or_b32_e32 v2, 0x200, v0
	v_perm_b32 v5, v5, v1, s35
	v_lshl_or_b32 v5, v5, 16, v1
	v_cmp_gt_i32_e64 s[22:23], s33, v2
	v_lshlrev_b32_e32 v11, s31, v13
	s_movk_i32 s34, 0xff
	v_cndmask_b32_e64 v1, v1, v5, s[22:23]
	v_cndmask_b32_e64 v11, 0, v11, s[18:19]
	v_and_b32_sdwa v2, v1, s34 dst_sel:DWORD dst_unused:UNUSED_PAD src0_sel:WORD_1 src1_sel:DWORD
	v_lshlrev_b16_e32 v11, 8, v11
	v_or_b32_e32 v5, 0x300, v0
	v_or_b32_sdwa v2, v2, v11 dst_sel:WORD_1 dst_unused:UNUSED_PAD src0_sel:DWORD src1_sel:DWORD
	v_and_or_b32 v2, v1, s30, v2
	v_cmp_gt_i32_e64 s[20:21], s33, v5
	v_cndmask_b32_e64 v12, v1, v2, s[20:21]
	v_or_b32_e32 v1, 0x500, v0
	v_cmp_gt_i32_e64 s[16:17], s33, v1
	v_or_b32_e32 v1, 0x600, v0
	v_cmp_gt_i32_e64 s[14:15], s33, v1
	;; [unrolled: 2-line block ×7, first 2 shown]
	v_or_b32_e32 v1, 0xe00, v0
	v_or_b32_e32 v11, 0x400, v0
	;; [unrolled: 1-line block ×4, first 2 shown]
	v_cmp_gt_i32_e64 s[2:3], s33, v1
	v_or_b32_e32 v1, 0xf00, v0
	v_cmp_gt_i32_e64 s[28:29], s33, v11
	v_cmp_gt_i32_e64 s[26:27], s33, v5
	;; [unrolled: 1-line block ×4, first 2 shown]
	global_store_byte v3, v12, s[36:37]
	s_and_b64 exec, exec, vcc
	s_cbranch_execz .LBB10_52
; %bb.37:
	v_lshlrev_b32_e32 v1, s31, v6
	v_cndmask_b32_e64 v1, 0, v1, s[18:19]
	s_mov_b32 s38, 0x3020104
	s_mov_b64 vcc, s[18:19]
	v_perm_b32 v1, v1, 0, s38
	v_lshlrev_b32_e32 v3, s31, v7
	v_mov_b32_e32 v13, 0
	v_cndmask_b32_e64 v1, 0, v1, s[28:29]
	v_cndmask_b32_sdwa v3, v13, v3, vcc dst_sel:BYTE_1 dst_unused:UNUSED_PAD src0_sel:DWORD src1_sel:DWORD
	v_or_b32_sdwa v3, v1, v3 dst_sel:DWORD dst_unused:UNUSED_PAD src0_sel:BYTE_0 src1_sel:DWORD
	v_and_b32_e32 v3, 0xffff, v3
	s_mov_b32 s28, 0xffff0000
	v_and_or_b32 v3, v1, s28, v3
	v_cndmask_b32_e64 v1, v1, v3, s[16:17]
	v_lshlrev_b32_e32 v3, s31, v8
	v_cndmask_b32_e64 v3, 0, v3, s[18:19]
	s_mov_b32 s29, 0x7000504
	v_perm_b32 v3, v1, v3, s29
	v_lshlrev_b32_e32 v6, s31, v9
	v_cndmask_b32_e64 v1, v1, v3, s[14:15]
	v_cndmask_b32_e64 v6, 0, v6, s[18:19]
	v_and_b32_sdwa v3, v1, s34 dst_sel:DWORD dst_unused:UNUSED_PAD src0_sel:WORD_1 src1_sel:DWORD
	v_lshlrev_b16_e32 v6, 8, v6
	v_or_b32_sdwa v3, v3, v6 dst_sel:WORD_1 dst_unused:UNUSED_PAD src0_sel:DWORD src1_sel:DWORD
	v_and_or_b32 v3, v1, s30, v3
	v_cndmask_b32_e64 v7, v1, v3, s[12:13]
	v_lshlrev_b32_e32 v1, s31, v10
	v_cndmask_b32_e64 v1, 0, v1, s[18:19]
	v_lshlrev_b32_e32 v3, s31, v14
	v_and_b32_sdwa v1, s30, v1 dst_sel:DWORD dst_unused:UNUSED_PAD src0_sel:DWORD src1_sel:BYTE_0
	v_cndmask_b32_e64 v3, 0, v3, s[18:19]
	v_cndmask_b32_e64 v1, 0, v1, s[26:27]
	v_lshlrev_b16_e32 v3, 8, v3
	v_or_b32_e32 v3, v1, v3
	v_and_b32_e32 v3, 0xffff, v3
	v_cndmask_b32_e64 v1, v1, v3, s[10:11]
	v_lshlrev_b32_e32 v3, s31, v16
	v_cndmask_b32_e64 v3, 0, v3, s[18:19]
	v_perm_b32 v3, v3, v1, s35
	v_lshl_or_b32 v3, v3, 16, v1
	v_lshlrev_b32_e32 v6, s31, v17
	v_cndmask_b32_e64 v1, v1, v3, s[8:9]
	v_cndmask_b32_e64 v6, 0, v6, s[18:19]
	v_and_b32_sdwa v3, v1, s34 dst_sel:DWORD dst_unused:UNUSED_PAD src0_sel:WORD_1 src1_sel:DWORD
	v_lshlrev_b16_e32 v6, 8, v6
	v_or_b32_sdwa v3, v3, v6 dst_sel:WORD_1 dst_unused:UNUSED_PAD src0_sel:DWORD src1_sel:DWORD
	v_and_or_b32 v3, v1, s30, v3
	v_cndmask_b32_e64 v6, v1, v3, s[6:7]
	v_lshlrev_b32_e32 v1, s31, v18
	v_cndmask_b32_e64 v1, 0, v1, s[18:19]
	v_lshlrev_b32_e32 v3, s31, v19
	v_perm_b32 v1, v1, 0, s38
	v_cndmask_b32_e64 v3, 0, v3, s[18:19]
	v_cndmask_b32_e64 v1, 0, v1, s[24:25]
	v_lshlrev_b16_e32 v3, 8, v3
	v_or_b32_sdwa v3, v1, v3 dst_sel:DWORD dst_unused:UNUSED_PAD src0_sel:BYTE_0 src1_sel:DWORD
	v_and_b32_e32 v3, 0xffff, v3
	v_and_or_b32 v3, v1, s28, v3
	v_cndmask_b32_e64 v1, v1, v3, s[4:5]
	v_lshlrev_b32_e32 v3, s31, v20
	v_cndmask_b32_e64 v3, 0, v3, s[18:19]
	v_perm_b32 v3, v1, v3, s29
	v_cndmask_b32_e64 v1, v1, v3, s[2:3]
	v_lshlrev_b32_e32 v4, s31, v4
	v_and_b32_sdwa v3, v1, s34 dst_sel:DWORD dst_unused:UNUSED_PAD src0_sel:WORD_1 src1_sel:DWORD
	v_cndmask_b32_sdwa v4, v13, v4, vcc dst_sel:BYTE_1 dst_unused:UNUSED_PAD src0_sel:DWORD src1_sel:DWORD
	v_or_b32_sdwa v3, v3, v4 dst_sel:WORD_1 dst_unused:UNUSED_PAD src0_sel:DWORD src1_sel:DWORD
	v_and_or_b32 v3, v1, s30, v3
	v_cndmask_b32_e64 v3, v1, v3, s[0:1]
	v_lshrrev_b32_e32 v1, 8, v12
	v_add_u32_e32 v0, s40, v0
	global_store_byte v0, v1, s[36:37] offset:256
	s_and_b64 exec, exec, s[22:23]
	s_cbranch_execz .LBB10_52
; %bb.38:
	v_mov_b32_e32 v1, s37
	v_add_co_u32_e32 v0, vcc, s36, v0
	v_addc_co_u32_e32 v1, vcc, 0, v1, vcc
	global_store_byte_d16_hi v[0:1], v12, off offset:512
	s_and_b64 exec, exec, s[20:21]
	s_cbranch_execz .LBB10_52
; %bb.39:
	v_lshrrev_b32_e32 v4, 24, v12
	v_cmp_gt_u32_e32 vcc, s33, v11
	global_store_byte v[0:1], v4, off offset:768
	s_and_b64 exec, exec, vcc
	s_cbranch_execz .LBB10_52
; %bb.40:
	global_store_byte v[0:1], v7, off offset:1024
	s_and_b64 exec, exec, s[16:17]
	s_cbranch_execz .LBB10_52
; %bb.41:
	v_lshrrev_b32_e32 v4, 8, v7
	global_store_byte v[0:1], v4, off offset:1280
	s_and_b64 exec, exec, s[14:15]
	s_cbranch_execz .LBB10_52
; %bb.42:
	global_store_byte_d16_hi v[0:1], v7, off offset:1536
	s_and_b64 exec, exec, s[12:13]
	s_cbranch_execz .LBB10_52
; %bb.43:
	v_lshrrev_b32_e32 v4, 24, v7
	v_cmp_gt_u32_e32 vcc, s33, v5
	global_store_byte v[0:1], v4, off offset:1792
	s_and_b64 exec, exec, vcc
	s_cbranch_execz .LBB10_52
; %bb.44:
	global_store_byte v[0:1], v6, off offset:2048
	s_and_b64 exec, exec, s[10:11]
	s_cbranch_execz .LBB10_52
; %bb.45:
	v_lshrrev_b32_e32 v4, 8, v6
	global_store_byte v[0:1], v4, off offset:2304
	s_and_b64 exec, exec, s[8:9]
	s_cbranch_execz .LBB10_52
; %bb.46:
	global_store_byte_d16_hi v[0:1], v6, off offset:2560
	s_and_b64 exec, exec, s[6:7]
	s_cbranch_execz .LBB10_52
; %bb.47:
	v_lshrrev_b32_e32 v4, 24, v6
	v_cmp_gt_u32_e32 vcc, s33, v2
	global_store_byte v[0:1], v4, off offset:2816
	s_and_b64 exec, exec, vcc
	s_cbranch_execz .LBB10_52
; %bb.48:
	global_store_byte v[0:1], v3, off offset:3072
	s_and_b64 exec, exec, s[4:5]
	s_cbranch_execz .LBB10_52
; %bb.49:
	v_lshrrev_b32_e32 v2, 8, v3
	global_store_byte v[0:1], v2, off offset:3328
	s_and_b64 exec, exec, s[2:3]
	s_cbranch_execz .LBB10_52
; %bb.50:
	global_store_byte_d16_hi v[0:1], v3, off offset:3584
	s_and_b64 exec, exec, s[0:1]
	s_cbranch_execz .LBB10_52
; %bb.51:
	v_lshrrev_b32_e32 v2, 24, v3
	global_store_byte v[0:1], v2, off offset:3840
.LBB10_52:
	s_endpgm
	.section	.rodata,"a",@progbits
	.p2align	6, 0x0
	.amdhsa_kernel _ZN2at6native29vectorized_elementwise_kernelILi4ENS0_13BUnaryFunctorIhhhZZZNS0_18lshift_kernel_cudaERNS_18TensorIteratorBaseEENKUlvE_clEvENKUlvE_clEvEUlhhE_EESt5arrayIPcLm2EEEEviT0_T1_
		.amdhsa_group_segment_fixed_size 0
		.amdhsa_private_segment_fixed_size 0
		.amdhsa_kernarg_size 24
		.amdhsa_user_sgpr_count 6
		.amdhsa_user_sgpr_private_segment_buffer 1
		.amdhsa_user_sgpr_dispatch_ptr 0
		.amdhsa_user_sgpr_queue_ptr 0
		.amdhsa_user_sgpr_kernarg_segment_ptr 1
		.amdhsa_user_sgpr_dispatch_id 0
		.amdhsa_user_sgpr_flat_scratch_init 0
		.amdhsa_user_sgpr_private_segment_size 0
		.amdhsa_uses_dynamic_stack 0
		.amdhsa_system_sgpr_private_segment_wavefront_offset 0
		.amdhsa_system_sgpr_workgroup_id_x 1
		.amdhsa_system_sgpr_workgroup_id_y 0
		.amdhsa_system_sgpr_workgroup_id_z 0
		.amdhsa_system_sgpr_workgroup_info 0
		.amdhsa_system_vgpr_workitem_id 0
		.amdhsa_next_free_vgpr 21
		.amdhsa_next_free_sgpr 43
		.amdhsa_reserve_vcc 1
		.amdhsa_reserve_flat_scratch 0
		.amdhsa_float_round_mode_32 0
		.amdhsa_float_round_mode_16_64 0
		.amdhsa_float_denorm_mode_32 3
		.amdhsa_float_denorm_mode_16_64 3
		.amdhsa_dx10_clamp 1
		.amdhsa_ieee_mode 1
		.amdhsa_fp16_overflow 0
		.amdhsa_exception_fp_ieee_invalid_op 0
		.amdhsa_exception_fp_denorm_src 0
		.amdhsa_exception_fp_ieee_div_zero 0
		.amdhsa_exception_fp_ieee_overflow 0
		.amdhsa_exception_fp_ieee_underflow 0
		.amdhsa_exception_fp_ieee_inexact 0
		.amdhsa_exception_int_div_zero 0
	.end_amdhsa_kernel
	.section	.text._ZN2at6native29vectorized_elementwise_kernelILi4ENS0_13BUnaryFunctorIhhhZZZNS0_18lshift_kernel_cudaERNS_18TensorIteratorBaseEENKUlvE_clEvENKUlvE_clEvEUlhhE_EESt5arrayIPcLm2EEEEviT0_T1_,"axG",@progbits,_ZN2at6native29vectorized_elementwise_kernelILi4ENS0_13BUnaryFunctorIhhhZZZNS0_18lshift_kernel_cudaERNS_18TensorIteratorBaseEENKUlvE_clEvENKUlvE_clEvEUlhhE_EESt5arrayIPcLm2EEEEviT0_T1_,comdat
.Lfunc_end10:
	.size	_ZN2at6native29vectorized_elementwise_kernelILi4ENS0_13BUnaryFunctorIhhhZZZNS0_18lshift_kernel_cudaERNS_18TensorIteratorBaseEENKUlvE_clEvENKUlvE_clEvEUlhhE_EESt5arrayIPcLm2EEEEviT0_T1_, .Lfunc_end10-_ZN2at6native29vectorized_elementwise_kernelILi4ENS0_13BUnaryFunctorIhhhZZZNS0_18lshift_kernel_cudaERNS_18TensorIteratorBaseEENKUlvE_clEvENKUlvE_clEvEUlhhE_EESt5arrayIPcLm2EEEEviT0_T1_
                                        ; -- End function
	.set _ZN2at6native29vectorized_elementwise_kernelILi4ENS0_13BUnaryFunctorIhhhZZZNS0_18lshift_kernel_cudaERNS_18TensorIteratorBaseEENKUlvE_clEvENKUlvE_clEvEUlhhE_EESt5arrayIPcLm2EEEEviT0_T1_.num_vgpr, 21
	.set _ZN2at6native29vectorized_elementwise_kernelILi4ENS0_13BUnaryFunctorIhhhZZZNS0_18lshift_kernel_cudaERNS_18TensorIteratorBaseEENKUlvE_clEvENKUlvE_clEvEUlhhE_EESt5arrayIPcLm2EEEEviT0_T1_.num_agpr, 0
	.set _ZN2at6native29vectorized_elementwise_kernelILi4ENS0_13BUnaryFunctorIhhhZZZNS0_18lshift_kernel_cudaERNS_18TensorIteratorBaseEENKUlvE_clEvENKUlvE_clEvEUlhhE_EESt5arrayIPcLm2EEEEviT0_T1_.numbered_sgpr, 43
	.set _ZN2at6native29vectorized_elementwise_kernelILi4ENS0_13BUnaryFunctorIhhhZZZNS0_18lshift_kernel_cudaERNS_18TensorIteratorBaseEENKUlvE_clEvENKUlvE_clEvEUlhhE_EESt5arrayIPcLm2EEEEviT0_T1_.num_named_barrier, 0
	.set _ZN2at6native29vectorized_elementwise_kernelILi4ENS0_13BUnaryFunctorIhhhZZZNS0_18lshift_kernel_cudaERNS_18TensorIteratorBaseEENKUlvE_clEvENKUlvE_clEvEUlhhE_EESt5arrayIPcLm2EEEEviT0_T1_.private_seg_size, 0
	.set _ZN2at6native29vectorized_elementwise_kernelILi4ENS0_13BUnaryFunctorIhhhZZZNS0_18lshift_kernel_cudaERNS_18TensorIteratorBaseEENKUlvE_clEvENKUlvE_clEvEUlhhE_EESt5arrayIPcLm2EEEEviT0_T1_.uses_vcc, 1
	.set _ZN2at6native29vectorized_elementwise_kernelILi4ENS0_13BUnaryFunctorIhhhZZZNS0_18lshift_kernel_cudaERNS_18TensorIteratorBaseEENKUlvE_clEvENKUlvE_clEvEUlhhE_EESt5arrayIPcLm2EEEEviT0_T1_.uses_flat_scratch, 0
	.set _ZN2at6native29vectorized_elementwise_kernelILi4ENS0_13BUnaryFunctorIhhhZZZNS0_18lshift_kernel_cudaERNS_18TensorIteratorBaseEENKUlvE_clEvENKUlvE_clEvEUlhhE_EESt5arrayIPcLm2EEEEviT0_T1_.has_dyn_sized_stack, 0
	.set _ZN2at6native29vectorized_elementwise_kernelILi4ENS0_13BUnaryFunctorIhhhZZZNS0_18lshift_kernel_cudaERNS_18TensorIteratorBaseEENKUlvE_clEvENKUlvE_clEvEUlhhE_EESt5arrayIPcLm2EEEEviT0_T1_.has_recursion, 0
	.set _ZN2at6native29vectorized_elementwise_kernelILi4ENS0_13BUnaryFunctorIhhhZZZNS0_18lshift_kernel_cudaERNS_18TensorIteratorBaseEENKUlvE_clEvENKUlvE_clEvEUlhhE_EESt5arrayIPcLm2EEEEviT0_T1_.has_indirect_call, 0
	.section	.AMDGPU.csdata,"",@progbits
; Kernel info:
; codeLenInByte = 2848
; TotalNumSgprs: 47
; NumVgprs: 21
; ScratchSize: 0
; MemoryBound: 0
; FloatMode: 240
; IeeeMode: 1
; LDSByteSize: 0 bytes/workgroup (compile time only)
; SGPRBlocks: 5
; VGPRBlocks: 5
; NumSGPRsForWavesPerEU: 47
; NumVGPRsForWavesPerEU: 21
; Occupancy: 10
; WaveLimiterHint : 1
; COMPUTE_PGM_RSRC2:SCRATCH_EN: 0
; COMPUTE_PGM_RSRC2:USER_SGPR: 6
; COMPUTE_PGM_RSRC2:TRAP_HANDLER: 0
; COMPUTE_PGM_RSRC2:TGID_X_EN: 1
; COMPUTE_PGM_RSRC2:TGID_Y_EN: 0
; COMPUTE_PGM_RSRC2:TGID_Z_EN: 0
; COMPUTE_PGM_RSRC2:TIDIG_COMP_CNT: 0
	.section	.text._ZN2at6native29vectorized_elementwise_kernelILi2ENS0_13BUnaryFunctorIhhhZZZNS0_18lshift_kernel_cudaERNS_18TensorIteratorBaseEENKUlvE_clEvENKUlvE_clEvEUlhhE_EESt5arrayIPcLm2EEEEviT0_T1_,"axG",@progbits,_ZN2at6native29vectorized_elementwise_kernelILi2ENS0_13BUnaryFunctorIhhhZZZNS0_18lshift_kernel_cudaERNS_18TensorIteratorBaseEENKUlvE_clEvENKUlvE_clEvEUlhhE_EESt5arrayIPcLm2EEEEviT0_T1_,comdat
	.globl	_ZN2at6native29vectorized_elementwise_kernelILi2ENS0_13BUnaryFunctorIhhhZZZNS0_18lshift_kernel_cudaERNS_18TensorIteratorBaseEENKUlvE_clEvENKUlvE_clEvEUlhhE_EESt5arrayIPcLm2EEEEviT0_T1_ ; -- Begin function _ZN2at6native29vectorized_elementwise_kernelILi2ENS0_13BUnaryFunctorIhhhZZZNS0_18lshift_kernel_cudaERNS_18TensorIteratorBaseEENKUlvE_clEvENKUlvE_clEvEUlhhE_EESt5arrayIPcLm2EEEEviT0_T1_
	.p2align	8
	.type	_ZN2at6native29vectorized_elementwise_kernelILi2ENS0_13BUnaryFunctorIhhhZZZNS0_18lshift_kernel_cudaERNS_18TensorIteratorBaseEENKUlvE_clEvENKUlvE_clEvEUlhhE_EESt5arrayIPcLm2EEEEviT0_T1_,@function
_ZN2at6native29vectorized_elementwise_kernelILi2ENS0_13BUnaryFunctorIhhhZZZNS0_18lshift_kernel_cudaERNS_18TensorIteratorBaseEENKUlvE_clEvENKUlvE_clEvEUlhhE_EESt5arrayIPcLm2EEEEviT0_T1_: ; @_ZN2at6native29vectorized_elementwise_kernelILi2ENS0_13BUnaryFunctorIhhhZZZNS0_18lshift_kernel_cudaERNS_18TensorIteratorBaseEENKUlvE_clEvENKUlvE_clEvEUlhhE_EESt5arrayIPcLm2EEEEviT0_T1_
; %bb.0:
	v_mov_b32_e32 v1, 0
	global_load_ushort v1, v1, s[4:5] offset:4
	s_load_dword s0, s[4:5], 0x0
	s_load_dwordx4 s[36:39], s[4:5], 0x8
	s_lshl_b32 s40, s6, 12
	s_waitcnt lgkmcnt(0)
	s_sub_i32 s33, s0, s40
	s_waitcnt vmcnt(0)
	v_readfirstlane_b32 s1, v1
	s_and_b32 s42, 0xffff, s1
	s_lshr_b32 s41, s42, 8
	s_cmpk_gt_i32 s33, 0xfff
	s_mov_b64 s[0:1], -1
	s_cbranch_scc0 .LBB11_2
; %bb.1:
	s_ashr_i32 s2, s40, 31
	s_add_u32 s0, s38, s40
	s_addc_u32 s1, s39, s2
	v_lshlrev_b32_e32 v1, 1, v0
	global_load_ushort v2, v1, s[0:1]
	global_load_ushort v3, v1, s[0:1] offset:512
	global_load_ushort v4, v1, s[0:1] offset:1024
	global_load_ushort v5, v1, s[0:1] offset:1536
	global_load_ushort v6, v1, s[0:1] offset:2048
	global_load_ushort v7, v1, s[0:1] offset:2560
	global_load_ushort v8, v1, s[0:1] offset:3072
	global_load_ushort v9, v1, s[0:1] offset:3584
	s_cmpk_lt_u32 s42, 0x800
	s_cselect_b64 vcc, -1, 0
	s_and_b32 s3, 0xffff, s41
	s_add_u32 s0, s36, s40
	s_addc_u32 s1, s37, s2
	s_waitcnt vmcnt(7)
	v_lshlrev_b32_e32 v10, s3, v2
	v_lshlrev_b32_sdwa v2, s3, v2 dst_sel:DWORD dst_unused:UNUSED_PAD src0_sel:DWORD src1_sel:BYTE_1
	s_waitcnt vmcnt(6)
	v_lshlrev_b32_e32 v11, s3, v3
	v_lshlrev_b32_sdwa v3, s3, v3 dst_sel:DWORD dst_unused:UNUSED_PAD src0_sel:DWORD src1_sel:BYTE_1
	;; [unrolled: 3-line block ×8, first 2 shown]
	v_cndmask_b32_e32 v2, 0, v2, vcc
	v_cndmask_b32_e32 v10, 0, v10, vcc
	;; [unrolled: 1-line block ×9, first 2 shown]
	v_lshlrev_b16_e32 v2, 8, v2
	v_cndmask_b32_e32 v11, 0, v11, vcc
	v_cndmask_b32_e32 v12, 0, v12, vcc
	v_cndmask_b32_e32 v13, 0, v13, vcc
	v_cndmask_b32_e32 v14, 0, v14, vcc
	v_cndmask_b32_e32 v15, 0, v15, vcc
	v_cndmask_b32_e32 v16, 0, v16, vcc
	v_cndmask_b32_e32 v17, 0, v17, vcc
	v_lshlrev_b16_e32 v9, 8, v9
	v_lshlrev_b16_e32 v8, 8, v8
	;; [unrolled: 1-line block ×7, first 2 shown]
	v_or_b32_sdwa v2, v10, v2 dst_sel:DWORD dst_unused:UNUSED_PAD src0_sel:BYTE_0 src1_sel:DWORD
	v_or_b32_sdwa v9, v17, v9 dst_sel:DWORD dst_unused:UNUSED_PAD src0_sel:BYTE_0 src1_sel:DWORD
	;; [unrolled: 1-line block ×8, first 2 shown]
	global_store_short v1, v2, s[0:1]
	global_store_short v1, v3, s[0:1] offset:512
	global_store_short v1, v4, s[0:1] offset:1024
	;; [unrolled: 1-line block ×7, first 2 shown]
	s_mov_b64 s[0:1], 0
.LBB11_2:
	s_andn2_b64 vcc, exec, s[0:1]
	s_cbranch_vccnz .LBB11_52
; %bb.3:
	v_cmp_gt_i32_e32 vcc, s33, v0
	v_or_b32_e32 v5, 0x100, v0
	v_mov_b32_e32 v20, 0
	v_mov_b32_e32 v4, 0
	v_or_b32_e32 v3, s40, v0
	v_mov_b32_e32 v19, 0
	v_mov_b32_e32 v18, 0
	v_mov_b32_e32 v17, 0
	v_mov_b32_e32 v16, 0
	v_mov_b32_e32 v14, 0
	v_mov_b32_e32 v10, 0
	v_mov_b32_e32 v9, 0
	v_mov_b32_e32 v8, 0
	v_mov_b32_e32 v7, 0
	v_mov_b32_e32 v6, 0
	v_mov_b32_e32 v13, 0
	v_mov_b32_e32 v15, 0
	v_mov_b32_e32 v12, 0
	v_mov_b32_e32 v11, 0
	s_and_saveexec_b64 s[2:3], vcc
	s_cbranch_execz .LBB11_35
; %bb.4:
	global_load_ubyte v11, v3, s[38:39]
	v_cmp_gt_u32_e64 s[0:1], s33, v5
	v_mov_b32_e32 v4, 0
	v_mov_b32_e32 v12, 0
	;; [unrolled: 1-line block ×15, first 2 shown]
	s_and_saveexec_b64 s[4:5], s[0:1]
	s_cbranch_execz .LBB11_34
; %bb.5:
	v_add_u32_e32 v1, s40, v0
	global_load_ubyte v12, v1, s[38:39] offset:256
	v_or_b32_e32 v2, 0x200, v0
	v_mov_b32_e32 v15, 0
	v_cmp_gt_u32_e64 s[0:1], s33, v2
	v_mov_b32_e32 v13, 0
	v_mov_b32_e32 v6, 0
	;; [unrolled: 1-line block ×13, first 2 shown]
	s_and_saveexec_b64 s[6:7], s[0:1]
	s_cbranch_execz .LBB11_33
; %bb.6:
	v_mov_b32_e32 v2, s39
	v_add_co_u32_e64 v1, s[0:1], s38, v1
	v_addc_co_u32_e64 v2, s[0:1], 0, v2, s[0:1]
	global_load_ubyte v15, v[1:2], off offset:512
	v_or_b32_e32 v4, 0x300, v0
	v_cmp_gt_u32_e64 s[0:1], s33, v4
	v_mov_b32_e32 v4, 0
	v_mov_b32_e32 v13, 0
	;; [unrolled: 1-line block ×13, first 2 shown]
	s_and_saveexec_b64 s[8:9], s[0:1]
	s_cbranch_execz .LBB11_32
; %bb.7:
	global_load_ubyte v13, v[1:2], off offset:768
	v_or_b32_e32 v4, 0x400, v0
	v_cmp_gt_u32_e64 s[0:1], s33, v4
	v_mov_b32_e32 v4, 0
	v_mov_b32_e32 v6, 0
	;; [unrolled: 1-line block ×12, first 2 shown]
	s_and_saveexec_b64 s[10:11], s[0:1]
	s_cbranch_execz .LBB11_31
; %bb.8:
	global_load_ubyte v6, v[1:2], off offset:1024
	v_or_b32_e32 v4, 0x500, v0
	v_cmp_gt_u32_e64 s[0:1], s33, v4
	v_mov_b32_e32 v4, 0
	v_mov_b32_e32 v7, 0
	;; [unrolled: 1-line block ×11, first 2 shown]
	s_and_saveexec_b64 s[12:13], s[0:1]
	s_cbranch_execz .LBB11_30
; %bb.9:
	global_load_ubyte v7, v[1:2], off offset:1280
	v_or_b32_e32 v4, 0x600, v0
	v_cmp_gt_u32_e64 s[0:1], s33, v4
	v_mov_b32_e32 v4, 0
	v_mov_b32_e32 v8, 0
	;; [unrolled: 1-line block ×10, first 2 shown]
	s_and_saveexec_b64 s[14:15], s[0:1]
	s_cbranch_execz .LBB11_29
; %bb.10:
	global_load_ubyte v8, v[1:2], off offset:1536
	v_or_b32_e32 v4, 0x700, v0
	v_cmp_gt_u32_e64 s[0:1], s33, v4
	v_mov_b32_e32 v4, 0
	v_mov_b32_e32 v9, 0
	;; [unrolled: 1-line block ×9, first 2 shown]
	s_and_saveexec_b64 s[16:17], s[0:1]
	s_cbranch_execz .LBB11_28
; %bb.11:
	global_load_ubyte v9, v[1:2], off offset:1792
	v_or_b32_e32 v4, 0x800, v0
	v_cmp_gt_u32_e64 s[0:1], s33, v4
	v_mov_b32_e32 v4, 0
	v_mov_b32_e32 v10, 0
	;; [unrolled: 1-line block ×8, first 2 shown]
	s_and_saveexec_b64 s[18:19], s[0:1]
	s_cbranch_execz .LBB11_27
; %bb.12:
	global_load_ubyte v10, v[1:2], off offset:2048
	v_or_b32_e32 v4, 0x900, v0
	v_cmp_gt_u32_e64 s[0:1], s33, v4
	v_mov_b32_e32 v4, 0
	v_mov_b32_e32 v14, 0
	;; [unrolled: 1-line block ×7, first 2 shown]
	s_and_saveexec_b64 s[20:21], s[0:1]
	s_cbranch_execz .LBB11_26
; %bb.13:
	global_load_ubyte v14, v[1:2], off offset:2304
	v_or_b32_e32 v4, 0xa00, v0
	v_cmp_gt_u32_e64 s[0:1], s33, v4
	v_mov_b32_e32 v4, 0
	v_mov_b32_e32 v16, 0
	;; [unrolled: 1-line block ×6, first 2 shown]
	s_and_saveexec_b64 s[22:23], s[0:1]
	s_cbranch_execz .LBB11_25
; %bb.14:
	global_load_ubyte v16, v[1:2], off offset:2560
	v_or_b32_e32 v4, 0xb00, v0
	v_cmp_gt_u32_e64 s[0:1], s33, v4
	v_mov_b32_e32 v4, 0
	v_mov_b32_e32 v17, 0
	;; [unrolled: 1-line block ×5, first 2 shown]
	s_and_saveexec_b64 s[24:25], s[0:1]
	s_cbranch_execz .LBB11_24
; %bb.15:
	global_load_ubyte v17, v[1:2], off offset:2816
	v_or_b32_e32 v4, 0xc00, v0
	v_cmp_gt_u32_e64 s[0:1], s33, v4
	v_mov_b32_e32 v4, 0
	v_mov_b32_e32 v18, 0
	;; [unrolled: 1-line block ×4, first 2 shown]
	s_and_saveexec_b64 s[26:27], s[0:1]
	s_cbranch_execz .LBB11_23
; %bb.16:
	global_load_ubyte v18, v[1:2], off offset:3072
	v_or_b32_e32 v4, 0xd00, v0
	v_cmp_gt_u32_e64 s[0:1], s33, v4
	v_mov_b32_e32 v4, 0
	v_mov_b32_e32 v19, 0
	;; [unrolled: 1-line block ×3, first 2 shown]
	s_and_saveexec_b64 s[28:29], s[0:1]
	s_cbranch_execz .LBB11_22
; %bb.17:
	global_load_ubyte v19, v[1:2], off offset:3328
	v_or_b32_e32 v4, 0xe00, v0
	v_cmp_gt_u32_e64 s[0:1], s33, v4
	v_mov_b32_e32 v4, 0
	v_mov_b32_e32 v20, 0
	s_and_saveexec_b64 s[30:31], s[0:1]
	s_cbranch_execz .LBB11_21
; %bb.18:
	global_load_ubyte v20, v[1:2], off offset:3584
	v_or_b32_e32 v4, 0xf00, v0
	v_cmp_gt_u32_e64 s[0:1], s33, v4
	v_mov_b32_e32 v4, 0
	s_and_saveexec_b64 s[34:35], s[0:1]
	s_cbranch_execz .LBB11_20
; %bb.19:
	global_load_ubyte v4, v[1:2], off offset:3840
.LBB11_20:
	s_or_b64 exec, exec, s[34:35]
.LBB11_21:
	s_or_b64 exec, exec, s[30:31]
.LBB11_22:
	s_or_b64 exec, exec, s[28:29]
.LBB11_23:
	s_or_b64 exec, exec, s[26:27]
.LBB11_24:
	s_or_b64 exec, exec, s[24:25]
.LBB11_25:
	s_or_b64 exec, exec, s[22:23]
.LBB11_26:
	s_or_b64 exec, exec, s[20:21]
.LBB11_27:
	s_or_b64 exec, exec, s[18:19]
.LBB11_28:
	s_or_b64 exec, exec, s[16:17]
.LBB11_29:
	s_or_b64 exec, exec, s[14:15]
.LBB11_30:
	s_or_b64 exec, exec, s[12:13]
.LBB11_31:
	s_or_b64 exec, exec, s[10:11]
.LBB11_32:
	s_or_b64 exec, exec, s[8:9]
.LBB11_33:
	s_or_b64 exec, exec, s[6:7]
.LBB11_34:
	s_or_b64 exec, exec, s[4:5]
.LBB11_35:
	s_or_b64 exec, exec, s[2:3]
	s_and_saveexec_b64 s[0:1], vcc
	s_cbranch_execz .LBB11_52
; %bb.36:
	s_cmpk_lt_u32 s42, 0x800
	s_cselect_b64 s[18:19], -1, 0
	s_and_b32 s31, 0xffff, s41
	s_waitcnt vmcnt(0)
	v_lshlrev_b32_e32 v1, s31, v11
	s_mov_b32 s30, 0xffff
	v_cndmask_b32_e64 v1, 0, v1, s[18:19]
	v_lshlrev_b32_e32 v2, s31, v12
	v_and_b32_sdwa v1, s30, v1 dst_sel:DWORD dst_unused:UNUSED_PAD src0_sel:DWORD src1_sel:BYTE_0
	v_cndmask_b32_e64 v2, 0, v2, s[18:19]
	v_cndmask_b32_e32 v1, 0, v1, vcc
	v_lshlrev_b16_e32 v2, 8, v2
	v_or_b32_e32 v2, v1, v2
	v_and_b32_e32 v2, 0xffff, v2
	v_cmp_gt_i32_e32 vcc, s33, v5
	v_lshlrev_b32_e32 v5, s31, v15
	v_cndmask_b32_e32 v1, v1, v2, vcc
	v_cndmask_b32_e64 v5, 0, v5, s[18:19]
	s_mov_b32 s35, 0xc0c0304
	v_or_b32_e32 v2, 0x200, v0
	v_perm_b32 v5, v5, v1, s35
	v_lshl_or_b32 v5, v5, 16, v1
	v_cmp_gt_i32_e64 s[22:23], s33, v2
	v_lshlrev_b32_e32 v11, s31, v13
	s_movk_i32 s34, 0xff
	v_cndmask_b32_e64 v1, v1, v5, s[22:23]
	v_cndmask_b32_e64 v11, 0, v11, s[18:19]
	v_and_b32_sdwa v2, v1, s34 dst_sel:DWORD dst_unused:UNUSED_PAD src0_sel:WORD_1 src1_sel:DWORD
	v_lshlrev_b16_e32 v11, 8, v11
	v_or_b32_e32 v5, 0x300, v0
	v_or_b32_sdwa v2, v2, v11 dst_sel:WORD_1 dst_unused:UNUSED_PAD src0_sel:DWORD src1_sel:DWORD
	v_and_or_b32 v2, v1, s30, v2
	v_cmp_gt_i32_e64 s[20:21], s33, v5
	v_cndmask_b32_e64 v12, v1, v2, s[20:21]
	v_or_b32_e32 v1, 0x500, v0
	v_cmp_gt_i32_e64 s[16:17], s33, v1
	v_or_b32_e32 v1, 0x600, v0
	v_cmp_gt_i32_e64 s[14:15], s33, v1
	;; [unrolled: 2-line block ×7, first 2 shown]
	v_or_b32_e32 v1, 0xe00, v0
	v_or_b32_e32 v11, 0x400, v0
	;; [unrolled: 1-line block ×4, first 2 shown]
	v_cmp_gt_i32_e64 s[2:3], s33, v1
	v_or_b32_e32 v1, 0xf00, v0
	v_cmp_gt_i32_e64 s[28:29], s33, v11
	v_cmp_gt_i32_e64 s[26:27], s33, v5
	;; [unrolled: 1-line block ×4, first 2 shown]
	global_store_byte v3, v12, s[36:37]
	s_and_b64 exec, exec, vcc
	s_cbranch_execz .LBB11_52
; %bb.37:
	v_lshlrev_b32_e32 v1, s31, v6
	v_cndmask_b32_e64 v1, 0, v1, s[18:19]
	s_mov_b32 s38, 0x3020104
	s_mov_b64 vcc, s[18:19]
	v_perm_b32 v1, v1, 0, s38
	v_lshlrev_b32_e32 v3, s31, v7
	v_mov_b32_e32 v13, 0
	v_cndmask_b32_e64 v1, 0, v1, s[28:29]
	v_cndmask_b32_sdwa v3, v13, v3, vcc dst_sel:BYTE_1 dst_unused:UNUSED_PAD src0_sel:DWORD src1_sel:DWORD
	v_or_b32_sdwa v3, v1, v3 dst_sel:DWORD dst_unused:UNUSED_PAD src0_sel:BYTE_0 src1_sel:DWORD
	v_and_b32_e32 v3, 0xffff, v3
	s_mov_b32 s28, 0xffff0000
	v_and_or_b32 v3, v1, s28, v3
	v_cndmask_b32_e64 v1, v1, v3, s[16:17]
	v_lshlrev_b32_e32 v3, s31, v8
	v_cndmask_b32_e64 v3, 0, v3, s[18:19]
	s_mov_b32 s29, 0x7000504
	v_perm_b32 v3, v1, v3, s29
	v_lshlrev_b32_e32 v6, s31, v9
	v_cndmask_b32_e64 v1, v1, v3, s[14:15]
	v_cndmask_b32_e64 v6, 0, v6, s[18:19]
	v_and_b32_sdwa v3, v1, s34 dst_sel:DWORD dst_unused:UNUSED_PAD src0_sel:WORD_1 src1_sel:DWORD
	v_lshlrev_b16_e32 v6, 8, v6
	v_or_b32_sdwa v3, v3, v6 dst_sel:WORD_1 dst_unused:UNUSED_PAD src0_sel:DWORD src1_sel:DWORD
	v_and_or_b32 v3, v1, s30, v3
	v_cndmask_b32_e64 v7, v1, v3, s[12:13]
	v_lshlrev_b32_e32 v1, s31, v10
	v_cndmask_b32_e64 v1, 0, v1, s[18:19]
	v_lshlrev_b32_e32 v3, s31, v14
	v_and_b32_sdwa v1, s30, v1 dst_sel:DWORD dst_unused:UNUSED_PAD src0_sel:DWORD src1_sel:BYTE_0
	v_cndmask_b32_e64 v3, 0, v3, s[18:19]
	v_cndmask_b32_e64 v1, 0, v1, s[26:27]
	v_lshlrev_b16_e32 v3, 8, v3
	v_or_b32_e32 v3, v1, v3
	v_and_b32_e32 v3, 0xffff, v3
	v_cndmask_b32_e64 v1, v1, v3, s[10:11]
	v_lshlrev_b32_e32 v3, s31, v16
	v_cndmask_b32_e64 v3, 0, v3, s[18:19]
	v_perm_b32 v3, v3, v1, s35
	v_lshl_or_b32 v3, v3, 16, v1
	v_lshlrev_b32_e32 v6, s31, v17
	v_cndmask_b32_e64 v1, v1, v3, s[8:9]
	v_cndmask_b32_e64 v6, 0, v6, s[18:19]
	v_and_b32_sdwa v3, v1, s34 dst_sel:DWORD dst_unused:UNUSED_PAD src0_sel:WORD_1 src1_sel:DWORD
	v_lshlrev_b16_e32 v6, 8, v6
	v_or_b32_sdwa v3, v3, v6 dst_sel:WORD_1 dst_unused:UNUSED_PAD src0_sel:DWORD src1_sel:DWORD
	v_and_or_b32 v3, v1, s30, v3
	v_cndmask_b32_e64 v6, v1, v3, s[6:7]
	v_lshlrev_b32_e32 v1, s31, v18
	v_cndmask_b32_e64 v1, 0, v1, s[18:19]
	v_lshlrev_b32_e32 v3, s31, v19
	v_perm_b32 v1, v1, 0, s38
	v_cndmask_b32_e64 v3, 0, v3, s[18:19]
	v_cndmask_b32_e64 v1, 0, v1, s[24:25]
	v_lshlrev_b16_e32 v3, 8, v3
	v_or_b32_sdwa v3, v1, v3 dst_sel:DWORD dst_unused:UNUSED_PAD src0_sel:BYTE_0 src1_sel:DWORD
	v_and_b32_e32 v3, 0xffff, v3
	v_and_or_b32 v3, v1, s28, v3
	v_cndmask_b32_e64 v1, v1, v3, s[4:5]
	v_lshlrev_b32_e32 v3, s31, v20
	v_cndmask_b32_e64 v3, 0, v3, s[18:19]
	v_perm_b32 v3, v1, v3, s29
	v_cndmask_b32_e64 v1, v1, v3, s[2:3]
	v_lshlrev_b32_e32 v4, s31, v4
	v_and_b32_sdwa v3, v1, s34 dst_sel:DWORD dst_unused:UNUSED_PAD src0_sel:WORD_1 src1_sel:DWORD
	v_cndmask_b32_sdwa v4, v13, v4, vcc dst_sel:BYTE_1 dst_unused:UNUSED_PAD src0_sel:DWORD src1_sel:DWORD
	v_or_b32_sdwa v3, v3, v4 dst_sel:WORD_1 dst_unused:UNUSED_PAD src0_sel:DWORD src1_sel:DWORD
	v_and_or_b32 v3, v1, s30, v3
	v_cndmask_b32_e64 v3, v1, v3, s[0:1]
	v_lshrrev_b32_e32 v1, 8, v12
	v_add_u32_e32 v0, s40, v0
	global_store_byte v0, v1, s[36:37] offset:256
	s_and_b64 exec, exec, s[22:23]
	s_cbranch_execz .LBB11_52
; %bb.38:
	v_mov_b32_e32 v1, s37
	v_add_co_u32_e32 v0, vcc, s36, v0
	v_addc_co_u32_e32 v1, vcc, 0, v1, vcc
	global_store_byte_d16_hi v[0:1], v12, off offset:512
	s_and_b64 exec, exec, s[20:21]
	s_cbranch_execz .LBB11_52
; %bb.39:
	v_lshrrev_b32_e32 v4, 24, v12
	v_cmp_gt_u32_e32 vcc, s33, v11
	global_store_byte v[0:1], v4, off offset:768
	s_and_b64 exec, exec, vcc
	s_cbranch_execz .LBB11_52
; %bb.40:
	global_store_byte v[0:1], v7, off offset:1024
	s_and_b64 exec, exec, s[16:17]
	s_cbranch_execz .LBB11_52
; %bb.41:
	v_lshrrev_b32_e32 v4, 8, v7
	global_store_byte v[0:1], v4, off offset:1280
	s_and_b64 exec, exec, s[14:15]
	s_cbranch_execz .LBB11_52
; %bb.42:
	global_store_byte_d16_hi v[0:1], v7, off offset:1536
	s_and_b64 exec, exec, s[12:13]
	s_cbranch_execz .LBB11_52
; %bb.43:
	v_lshrrev_b32_e32 v4, 24, v7
	v_cmp_gt_u32_e32 vcc, s33, v5
	global_store_byte v[0:1], v4, off offset:1792
	s_and_b64 exec, exec, vcc
	s_cbranch_execz .LBB11_52
; %bb.44:
	global_store_byte v[0:1], v6, off offset:2048
	s_and_b64 exec, exec, s[10:11]
	s_cbranch_execz .LBB11_52
; %bb.45:
	v_lshrrev_b32_e32 v4, 8, v6
	global_store_byte v[0:1], v4, off offset:2304
	s_and_b64 exec, exec, s[8:9]
	s_cbranch_execz .LBB11_52
; %bb.46:
	;; [unrolled: 19-line block ×3, first 2 shown]
	global_store_byte_d16_hi v[0:1], v3, off offset:3584
	s_and_b64 exec, exec, s[0:1]
	s_cbranch_execz .LBB11_52
; %bb.51:
	v_lshrrev_b32_e32 v2, 24, v3
	global_store_byte v[0:1], v2, off offset:3840
.LBB11_52:
	s_endpgm
	.section	.rodata,"a",@progbits
	.p2align	6, 0x0
	.amdhsa_kernel _ZN2at6native29vectorized_elementwise_kernelILi2ENS0_13BUnaryFunctorIhhhZZZNS0_18lshift_kernel_cudaERNS_18TensorIteratorBaseEENKUlvE_clEvENKUlvE_clEvEUlhhE_EESt5arrayIPcLm2EEEEviT0_T1_
		.amdhsa_group_segment_fixed_size 0
		.amdhsa_private_segment_fixed_size 0
		.amdhsa_kernarg_size 24
		.amdhsa_user_sgpr_count 6
		.amdhsa_user_sgpr_private_segment_buffer 1
		.amdhsa_user_sgpr_dispatch_ptr 0
		.amdhsa_user_sgpr_queue_ptr 0
		.amdhsa_user_sgpr_kernarg_segment_ptr 1
		.amdhsa_user_sgpr_dispatch_id 0
		.amdhsa_user_sgpr_flat_scratch_init 0
		.amdhsa_user_sgpr_private_segment_size 0
		.amdhsa_uses_dynamic_stack 0
		.amdhsa_system_sgpr_private_segment_wavefront_offset 0
		.amdhsa_system_sgpr_workgroup_id_x 1
		.amdhsa_system_sgpr_workgroup_id_y 0
		.amdhsa_system_sgpr_workgroup_id_z 0
		.amdhsa_system_sgpr_workgroup_info 0
		.amdhsa_system_vgpr_workitem_id 0
		.amdhsa_next_free_vgpr 21
		.amdhsa_next_free_sgpr 43
		.amdhsa_reserve_vcc 1
		.amdhsa_reserve_flat_scratch 0
		.amdhsa_float_round_mode_32 0
		.amdhsa_float_round_mode_16_64 0
		.amdhsa_float_denorm_mode_32 3
		.amdhsa_float_denorm_mode_16_64 3
		.amdhsa_dx10_clamp 1
		.amdhsa_ieee_mode 1
		.amdhsa_fp16_overflow 0
		.amdhsa_exception_fp_ieee_invalid_op 0
		.amdhsa_exception_fp_denorm_src 0
		.amdhsa_exception_fp_ieee_div_zero 0
		.amdhsa_exception_fp_ieee_overflow 0
		.amdhsa_exception_fp_ieee_underflow 0
		.amdhsa_exception_fp_ieee_inexact 0
		.amdhsa_exception_int_div_zero 0
	.end_amdhsa_kernel
	.section	.text._ZN2at6native29vectorized_elementwise_kernelILi2ENS0_13BUnaryFunctorIhhhZZZNS0_18lshift_kernel_cudaERNS_18TensorIteratorBaseEENKUlvE_clEvENKUlvE_clEvEUlhhE_EESt5arrayIPcLm2EEEEviT0_T1_,"axG",@progbits,_ZN2at6native29vectorized_elementwise_kernelILi2ENS0_13BUnaryFunctorIhhhZZZNS0_18lshift_kernel_cudaERNS_18TensorIteratorBaseEENKUlvE_clEvENKUlvE_clEvEUlhhE_EESt5arrayIPcLm2EEEEviT0_T1_,comdat
.Lfunc_end11:
	.size	_ZN2at6native29vectorized_elementwise_kernelILi2ENS0_13BUnaryFunctorIhhhZZZNS0_18lshift_kernel_cudaERNS_18TensorIteratorBaseEENKUlvE_clEvENKUlvE_clEvEUlhhE_EESt5arrayIPcLm2EEEEviT0_T1_, .Lfunc_end11-_ZN2at6native29vectorized_elementwise_kernelILi2ENS0_13BUnaryFunctorIhhhZZZNS0_18lshift_kernel_cudaERNS_18TensorIteratorBaseEENKUlvE_clEvENKUlvE_clEvEUlhhE_EESt5arrayIPcLm2EEEEviT0_T1_
                                        ; -- End function
	.set _ZN2at6native29vectorized_elementwise_kernelILi2ENS0_13BUnaryFunctorIhhhZZZNS0_18lshift_kernel_cudaERNS_18TensorIteratorBaseEENKUlvE_clEvENKUlvE_clEvEUlhhE_EESt5arrayIPcLm2EEEEviT0_T1_.num_vgpr, 21
	.set _ZN2at6native29vectorized_elementwise_kernelILi2ENS0_13BUnaryFunctorIhhhZZZNS0_18lshift_kernel_cudaERNS_18TensorIteratorBaseEENKUlvE_clEvENKUlvE_clEvEUlhhE_EESt5arrayIPcLm2EEEEviT0_T1_.num_agpr, 0
	.set _ZN2at6native29vectorized_elementwise_kernelILi2ENS0_13BUnaryFunctorIhhhZZZNS0_18lshift_kernel_cudaERNS_18TensorIteratorBaseEENKUlvE_clEvENKUlvE_clEvEUlhhE_EESt5arrayIPcLm2EEEEviT0_T1_.numbered_sgpr, 43
	.set _ZN2at6native29vectorized_elementwise_kernelILi2ENS0_13BUnaryFunctorIhhhZZZNS0_18lshift_kernel_cudaERNS_18TensorIteratorBaseEENKUlvE_clEvENKUlvE_clEvEUlhhE_EESt5arrayIPcLm2EEEEviT0_T1_.num_named_barrier, 0
	.set _ZN2at6native29vectorized_elementwise_kernelILi2ENS0_13BUnaryFunctorIhhhZZZNS0_18lshift_kernel_cudaERNS_18TensorIteratorBaseEENKUlvE_clEvENKUlvE_clEvEUlhhE_EESt5arrayIPcLm2EEEEviT0_T1_.private_seg_size, 0
	.set _ZN2at6native29vectorized_elementwise_kernelILi2ENS0_13BUnaryFunctorIhhhZZZNS0_18lshift_kernel_cudaERNS_18TensorIteratorBaseEENKUlvE_clEvENKUlvE_clEvEUlhhE_EESt5arrayIPcLm2EEEEviT0_T1_.uses_vcc, 1
	.set _ZN2at6native29vectorized_elementwise_kernelILi2ENS0_13BUnaryFunctorIhhhZZZNS0_18lshift_kernel_cudaERNS_18TensorIteratorBaseEENKUlvE_clEvENKUlvE_clEvEUlhhE_EESt5arrayIPcLm2EEEEviT0_T1_.uses_flat_scratch, 0
	.set _ZN2at6native29vectorized_elementwise_kernelILi2ENS0_13BUnaryFunctorIhhhZZZNS0_18lshift_kernel_cudaERNS_18TensorIteratorBaseEENKUlvE_clEvENKUlvE_clEvEUlhhE_EESt5arrayIPcLm2EEEEviT0_T1_.has_dyn_sized_stack, 0
	.set _ZN2at6native29vectorized_elementwise_kernelILi2ENS0_13BUnaryFunctorIhhhZZZNS0_18lshift_kernel_cudaERNS_18TensorIteratorBaseEENKUlvE_clEvENKUlvE_clEvEUlhhE_EESt5arrayIPcLm2EEEEviT0_T1_.has_recursion, 0
	.set _ZN2at6native29vectorized_elementwise_kernelILi2ENS0_13BUnaryFunctorIhhhZZZNS0_18lshift_kernel_cudaERNS_18TensorIteratorBaseEENKUlvE_clEvENKUlvE_clEvEUlhhE_EESt5arrayIPcLm2EEEEviT0_T1_.has_indirect_call, 0
	.section	.AMDGPU.csdata,"",@progbits
; Kernel info:
; codeLenInByte = 2880
; TotalNumSgprs: 47
; NumVgprs: 21
; ScratchSize: 0
; MemoryBound: 0
; FloatMode: 240
; IeeeMode: 1
; LDSByteSize: 0 bytes/workgroup (compile time only)
; SGPRBlocks: 5
; VGPRBlocks: 5
; NumSGPRsForWavesPerEU: 47
; NumVGPRsForWavesPerEU: 21
; Occupancy: 10
; WaveLimiterHint : 1
; COMPUTE_PGM_RSRC2:SCRATCH_EN: 0
; COMPUTE_PGM_RSRC2:USER_SGPR: 6
; COMPUTE_PGM_RSRC2:TRAP_HANDLER: 0
; COMPUTE_PGM_RSRC2:TGID_X_EN: 1
; COMPUTE_PGM_RSRC2:TGID_Y_EN: 0
; COMPUTE_PGM_RSRC2:TGID_Z_EN: 0
; COMPUTE_PGM_RSRC2:TIDIG_COMP_CNT: 0
	.section	.text._ZN2at6native27unrolled_elementwise_kernelINS0_13BUnaryFunctorIhhhZZZNS0_18lshift_kernel_cudaERNS_18TensorIteratorBaseEENKUlvE_clEvENKUlvE_clEvEUlhhE_EESt5arrayIPcLm2EELi4E23TrivialOffsetCalculatorILi1EjESD_NS0_6memory15LoadWithoutCastENSE_16StoreWithoutCastEEEviT_T0_T2_T3_T4_T5_,"axG",@progbits,_ZN2at6native27unrolled_elementwise_kernelINS0_13BUnaryFunctorIhhhZZZNS0_18lshift_kernel_cudaERNS_18TensorIteratorBaseEENKUlvE_clEvENKUlvE_clEvEUlhhE_EESt5arrayIPcLm2EELi4E23TrivialOffsetCalculatorILi1EjESD_NS0_6memory15LoadWithoutCastENSE_16StoreWithoutCastEEEviT_T0_T2_T3_T4_T5_,comdat
	.globl	_ZN2at6native27unrolled_elementwise_kernelINS0_13BUnaryFunctorIhhhZZZNS0_18lshift_kernel_cudaERNS_18TensorIteratorBaseEENKUlvE_clEvENKUlvE_clEvEUlhhE_EESt5arrayIPcLm2EELi4E23TrivialOffsetCalculatorILi1EjESD_NS0_6memory15LoadWithoutCastENSE_16StoreWithoutCastEEEviT_T0_T2_T3_T4_T5_ ; -- Begin function _ZN2at6native27unrolled_elementwise_kernelINS0_13BUnaryFunctorIhhhZZZNS0_18lshift_kernel_cudaERNS_18TensorIteratorBaseEENKUlvE_clEvENKUlvE_clEvEUlhhE_EESt5arrayIPcLm2EELi4E23TrivialOffsetCalculatorILi1EjESD_NS0_6memory15LoadWithoutCastENSE_16StoreWithoutCastEEEviT_T0_T2_T3_T4_T5_
	.p2align	8
	.type	_ZN2at6native27unrolled_elementwise_kernelINS0_13BUnaryFunctorIhhhZZZNS0_18lshift_kernel_cudaERNS_18TensorIteratorBaseEENKUlvE_clEvENKUlvE_clEvEUlhhE_EESt5arrayIPcLm2EELi4E23TrivialOffsetCalculatorILi1EjESD_NS0_6memory15LoadWithoutCastENSE_16StoreWithoutCastEEEviT_T0_T2_T3_T4_T5_,@function
_ZN2at6native27unrolled_elementwise_kernelINS0_13BUnaryFunctorIhhhZZZNS0_18lshift_kernel_cudaERNS_18TensorIteratorBaseEENKUlvE_clEvENKUlvE_clEvEUlhhE_EESt5arrayIPcLm2EELi4E23TrivialOffsetCalculatorILi1EjESD_NS0_6memory15LoadWithoutCastENSE_16StoreWithoutCastEEEviT_T0_T2_T3_T4_T5_: ; @_ZN2at6native27unrolled_elementwise_kernelINS0_13BUnaryFunctorIhhhZZZNS0_18lshift_kernel_cudaERNS_18TensorIteratorBaseEENKUlvE_clEvENKUlvE_clEvEUlhhE_EESt5arrayIPcLm2EELi4E23TrivialOffsetCalculatorILi1EjESD_NS0_6memory15LoadWithoutCastENSE_16StoreWithoutCastEEEviT_T0_T2_T3_T4_T5_
; %bb.0:
	v_mov_b32_e32 v3, 0
	global_load_ushort v4, v3, s[4:5] offset:4
	s_load_dword s0, s[4:5], 0x0
	s_load_dwordx4 s[8:11], s[4:5], 0x8
	s_lshl_b32 s14, s6, 10
	v_or_b32_e32 v1, 0x100, v0
	v_or_b32_e32 v2, s14, v0
	s_waitcnt lgkmcnt(0)
	s_sub_i32 s15, s0, s14
	v_cmp_gt_i32_e32 vcc, s15, v0
	v_mov_b32_e32 v5, 0
	v_mov_b32_e32 v6, 0
	;; [unrolled: 1-line block ×3, first 2 shown]
	s_and_saveexec_b64 s[2:3], vcc
	s_cbranch_execz .LBB12_8
; %bb.1:
	global_load_ubyte v7, v2, s[10:11]
	v_cmp_gt_u32_e64 s[0:1], s15, v1
	v_mov_b32_e32 v3, 0
	v_mov_b32_e32 v6, 0
	;; [unrolled: 1-line block ×3, first 2 shown]
	s_and_saveexec_b64 s[4:5], s[0:1]
	s_cbranch_execz .LBB12_7
; %bb.2:
	v_add_u32_e32 v3, s14, v1
	global_load_ubyte v6, v3, s[10:11]
	v_or_b32_e32 v8, 0x200, v0
	v_cmp_gt_u32_e64 s[0:1], s15, v8
	v_mov_b32_e32 v3, 0
	v_mov_b32_e32 v5, 0
	s_and_saveexec_b64 s[6:7], s[0:1]
	s_cbranch_execz .LBB12_6
; %bb.3:
	v_add_u32_e32 v3, s14, v8
	global_load_ubyte v5, v3, s[10:11]
	v_or_b32_e32 v8, 0x300, v0
	v_cmp_gt_u32_e64 s[0:1], s15, v8
	v_mov_b32_e32 v3, 0
	s_and_saveexec_b64 s[12:13], s[0:1]
	s_cbranch_execz .LBB12_5
; %bb.4:
	v_add_u32_e32 v3, s14, v8
	global_load_ubyte v3, v3, s[10:11]
.LBB12_5:
	s_or_b64 exec, exec, s[12:13]
.LBB12_6:
	s_or_b64 exec, exec, s[6:7]
.LBB12_7:
	s_or_b64 exec, exec, s[4:5]
.LBB12_8:
	s_or_b64 exec, exec, s[2:3]
	s_and_saveexec_b64 s[0:1], vcc
	s_cbranch_execz .LBB12_13
; %bb.9:
	v_mov_b32_e32 v8, 8
	s_waitcnt vmcnt(0)
	v_lshrrev_b32_sdwa v8, v8, v4 dst_sel:DWORD dst_unused:UNUSED_PAD src0_sel:DWORD src1_sel:WORD_0
	s_movk_i32 s0, 0x800
	v_lshlrev_b32_e32 v7, v8, v7
	v_cmp_lt_u32_sdwa s[2:3], v4, s0 src0_sel:WORD_0 src1_sel:DWORD
	s_mov_b32 s6, 0xffff
	v_cndmask_b32_e64 v4, 0, v7, s[2:3]
	v_lshlrev_b32_e32 v6, v8, v6
	v_and_b32_sdwa v4, s6, v4 dst_sel:DWORD dst_unused:UNUSED_PAD src0_sel:DWORD src1_sel:BYTE_0
	v_cndmask_b32_e64 v6, 0, v6, s[2:3]
	v_cndmask_b32_e32 v4, 0, v4, vcc
	v_lshlrev_b16_e32 v6, 8, v6
	v_or_b32_e32 v6, v4, v6
	v_and_b32_e32 v6, 0xffff, v6
	v_cmp_gt_i32_e64 s[4:5], s15, v1
	v_lshlrev_b32_e32 v5, v8, v5
	v_cndmask_b32_e64 v6, v4, v6, s[4:5]
	v_cndmask_b32_e64 v5, 0, v5, s[2:3]
	s_mov_b32 s0, 0xc0c0304
	v_or_b32_e32 v4, 0x200, v0
	v_perm_b32 v5, v5, v6, s0
	v_lshl_or_b32 v5, v5, 16, v6
	v_cmp_gt_i32_e64 s[0:1], s15, v4
	s_movk_i32 s7, 0xff
	v_cndmask_b32_e64 v5, v6, v5, s[0:1]
	v_lshlrev_b32_e32 v3, v8, v3
	v_mov_b32_e32 v7, 0
	s_mov_b64 vcc, s[2:3]
	v_and_b32_sdwa v6, v5, s7 dst_sel:DWORD dst_unused:UNUSED_PAD src0_sel:WORD_1 src1_sel:DWORD
	v_cndmask_b32_sdwa v3, v7, v3, vcc dst_sel:BYTE_1 dst_unused:UNUSED_PAD src0_sel:DWORD src1_sel:DWORD
	v_or_b32_e32 v0, 0x300, v0
	v_or_b32_sdwa v3, v6, v3 dst_sel:WORD_1 dst_unused:UNUSED_PAD src0_sel:DWORD src1_sel:DWORD
	v_and_or_b32 v3, v5, s6, v3
	v_cmp_gt_i32_e32 vcc, s15, v0
	v_cndmask_b32_e32 v3, v5, v3, vcc
	global_store_byte v2, v3, s[8:9]
	s_and_b64 exec, exec, s[4:5]
	s_cbranch_execz .LBB12_13
; %bb.10:
	v_add_u32_e32 v1, s14, v1
	v_lshrrev_b32_e32 v2, 8, v3
	global_store_byte v1, v2, s[8:9]
	s_and_b64 exec, exec, s[0:1]
	s_cbranch_execz .LBB12_13
; %bb.11:
	v_add_u32_e32 v1, s14, v4
	global_store_byte_d16_hi v1, v3, s[8:9]
	s_and_b64 exec, exec, vcc
	s_cbranch_execz .LBB12_13
; %bb.12:
	v_lshrrev_b32_e32 v1, 24, v3
	v_add_u32_e32 v0, s14, v0
	global_store_byte v0, v1, s[8:9]
.LBB12_13:
	s_endpgm
	.section	.rodata,"a",@progbits
	.p2align	6, 0x0
	.amdhsa_kernel _ZN2at6native27unrolled_elementwise_kernelINS0_13BUnaryFunctorIhhhZZZNS0_18lshift_kernel_cudaERNS_18TensorIteratorBaseEENKUlvE_clEvENKUlvE_clEvEUlhhE_EESt5arrayIPcLm2EELi4E23TrivialOffsetCalculatorILi1EjESD_NS0_6memory15LoadWithoutCastENSE_16StoreWithoutCastEEEviT_T0_T2_T3_T4_T5_
		.amdhsa_group_segment_fixed_size 0
		.amdhsa_private_segment_fixed_size 0
		.amdhsa_kernarg_size 28
		.amdhsa_user_sgpr_count 6
		.amdhsa_user_sgpr_private_segment_buffer 1
		.amdhsa_user_sgpr_dispatch_ptr 0
		.amdhsa_user_sgpr_queue_ptr 0
		.amdhsa_user_sgpr_kernarg_segment_ptr 1
		.amdhsa_user_sgpr_dispatch_id 0
		.amdhsa_user_sgpr_flat_scratch_init 0
		.amdhsa_user_sgpr_private_segment_size 0
		.amdhsa_uses_dynamic_stack 0
		.amdhsa_system_sgpr_private_segment_wavefront_offset 0
		.amdhsa_system_sgpr_workgroup_id_x 1
		.amdhsa_system_sgpr_workgroup_id_y 0
		.amdhsa_system_sgpr_workgroup_id_z 0
		.amdhsa_system_sgpr_workgroup_info 0
		.amdhsa_system_vgpr_workitem_id 0
		.amdhsa_next_free_vgpr 9
		.amdhsa_next_free_sgpr 16
		.amdhsa_reserve_vcc 1
		.amdhsa_reserve_flat_scratch 0
		.amdhsa_float_round_mode_32 0
		.amdhsa_float_round_mode_16_64 0
		.amdhsa_float_denorm_mode_32 3
		.amdhsa_float_denorm_mode_16_64 3
		.amdhsa_dx10_clamp 1
		.amdhsa_ieee_mode 1
		.amdhsa_fp16_overflow 0
		.amdhsa_exception_fp_ieee_invalid_op 0
		.amdhsa_exception_fp_denorm_src 0
		.amdhsa_exception_fp_ieee_div_zero 0
		.amdhsa_exception_fp_ieee_overflow 0
		.amdhsa_exception_fp_ieee_underflow 0
		.amdhsa_exception_fp_ieee_inexact 0
		.amdhsa_exception_int_div_zero 0
	.end_amdhsa_kernel
	.section	.text._ZN2at6native27unrolled_elementwise_kernelINS0_13BUnaryFunctorIhhhZZZNS0_18lshift_kernel_cudaERNS_18TensorIteratorBaseEENKUlvE_clEvENKUlvE_clEvEUlhhE_EESt5arrayIPcLm2EELi4E23TrivialOffsetCalculatorILi1EjESD_NS0_6memory15LoadWithoutCastENSE_16StoreWithoutCastEEEviT_T0_T2_T3_T4_T5_,"axG",@progbits,_ZN2at6native27unrolled_elementwise_kernelINS0_13BUnaryFunctorIhhhZZZNS0_18lshift_kernel_cudaERNS_18TensorIteratorBaseEENKUlvE_clEvENKUlvE_clEvEUlhhE_EESt5arrayIPcLm2EELi4E23TrivialOffsetCalculatorILi1EjESD_NS0_6memory15LoadWithoutCastENSE_16StoreWithoutCastEEEviT_T0_T2_T3_T4_T5_,comdat
.Lfunc_end12:
	.size	_ZN2at6native27unrolled_elementwise_kernelINS0_13BUnaryFunctorIhhhZZZNS0_18lshift_kernel_cudaERNS_18TensorIteratorBaseEENKUlvE_clEvENKUlvE_clEvEUlhhE_EESt5arrayIPcLm2EELi4E23TrivialOffsetCalculatorILi1EjESD_NS0_6memory15LoadWithoutCastENSE_16StoreWithoutCastEEEviT_T0_T2_T3_T4_T5_, .Lfunc_end12-_ZN2at6native27unrolled_elementwise_kernelINS0_13BUnaryFunctorIhhhZZZNS0_18lshift_kernel_cudaERNS_18TensorIteratorBaseEENKUlvE_clEvENKUlvE_clEvEUlhhE_EESt5arrayIPcLm2EELi4E23TrivialOffsetCalculatorILi1EjESD_NS0_6memory15LoadWithoutCastENSE_16StoreWithoutCastEEEviT_T0_T2_T3_T4_T5_
                                        ; -- End function
	.set _ZN2at6native27unrolled_elementwise_kernelINS0_13BUnaryFunctorIhhhZZZNS0_18lshift_kernel_cudaERNS_18TensorIteratorBaseEENKUlvE_clEvENKUlvE_clEvEUlhhE_EESt5arrayIPcLm2EELi4E23TrivialOffsetCalculatorILi1EjESD_NS0_6memory15LoadWithoutCastENSE_16StoreWithoutCastEEEviT_T0_T2_T3_T4_T5_.num_vgpr, 9
	.set _ZN2at6native27unrolled_elementwise_kernelINS0_13BUnaryFunctorIhhhZZZNS0_18lshift_kernel_cudaERNS_18TensorIteratorBaseEENKUlvE_clEvENKUlvE_clEvEUlhhE_EESt5arrayIPcLm2EELi4E23TrivialOffsetCalculatorILi1EjESD_NS0_6memory15LoadWithoutCastENSE_16StoreWithoutCastEEEviT_T0_T2_T3_T4_T5_.num_agpr, 0
	.set _ZN2at6native27unrolled_elementwise_kernelINS0_13BUnaryFunctorIhhhZZZNS0_18lshift_kernel_cudaERNS_18TensorIteratorBaseEENKUlvE_clEvENKUlvE_clEvEUlhhE_EESt5arrayIPcLm2EELi4E23TrivialOffsetCalculatorILi1EjESD_NS0_6memory15LoadWithoutCastENSE_16StoreWithoutCastEEEviT_T0_T2_T3_T4_T5_.numbered_sgpr, 16
	.set _ZN2at6native27unrolled_elementwise_kernelINS0_13BUnaryFunctorIhhhZZZNS0_18lshift_kernel_cudaERNS_18TensorIteratorBaseEENKUlvE_clEvENKUlvE_clEvEUlhhE_EESt5arrayIPcLm2EELi4E23TrivialOffsetCalculatorILi1EjESD_NS0_6memory15LoadWithoutCastENSE_16StoreWithoutCastEEEviT_T0_T2_T3_T4_T5_.num_named_barrier, 0
	.set _ZN2at6native27unrolled_elementwise_kernelINS0_13BUnaryFunctorIhhhZZZNS0_18lshift_kernel_cudaERNS_18TensorIteratorBaseEENKUlvE_clEvENKUlvE_clEvEUlhhE_EESt5arrayIPcLm2EELi4E23TrivialOffsetCalculatorILi1EjESD_NS0_6memory15LoadWithoutCastENSE_16StoreWithoutCastEEEviT_T0_T2_T3_T4_T5_.private_seg_size, 0
	.set _ZN2at6native27unrolled_elementwise_kernelINS0_13BUnaryFunctorIhhhZZZNS0_18lshift_kernel_cudaERNS_18TensorIteratorBaseEENKUlvE_clEvENKUlvE_clEvEUlhhE_EESt5arrayIPcLm2EELi4E23TrivialOffsetCalculatorILi1EjESD_NS0_6memory15LoadWithoutCastENSE_16StoreWithoutCastEEEviT_T0_T2_T3_T4_T5_.uses_vcc, 1
	.set _ZN2at6native27unrolled_elementwise_kernelINS0_13BUnaryFunctorIhhhZZZNS0_18lshift_kernel_cudaERNS_18TensorIteratorBaseEENKUlvE_clEvENKUlvE_clEvEUlhhE_EESt5arrayIPcLm2EELi4E23TrivialOffsetCalculatorILi1EjESD_NS0_6memory15LoadWithoutCastENSE_16StoreWithoutCastEEEviT_T0_T2_T3_T4_T5_.uses_flat_scratch, 0
	.set _ZN2at6native27unrolled_elementwise_kernelINS0_13BUnaryFunctorIhhhZZZNS0_18lshift_kernel_cudaERNS_18TensorIteratorBaseEENKUlvE_clEvENKUlvE_clEvEUlhhE_EESt5arrayIPcLm2EELi4E23TrivialOffsetCalculatorILi1EjESD_NS0_6memory15LoadWithoutCastENSE_16StoreWithoutCastEEEviT_T0_T2_T3_T4_T5_.has_dyn_sized_stack, 0
	.set _ZN2at6native27unrolled_elementwise_kernelINS0_13BUnaryFunctorIhhhZZZNS0_18lshift_kernel_cudaERNS_18TensorIteratorBaseEENKUlvE_clEvENKUlvE_clEvEUlhhE_EESt5arrayIPcLm2EELi4E23TrivialOffsetCalculatorILi1EjESD_NS0_6memory15LoadWithoutCastENSE_16StoreWithoutCastEEEviT_T0_T2_T3_T4_T5_.has_recursion, 0
	.set _ZN2at6native27unrolled_elementwise_kernelINS0_13BUnaryFunctorIhhhZZZNS0_18lshift_kernel_cudaERNS_18TensorIteratorBaseEENKUlvE_clEvENKUlvE_clEvEUlhhE_EESt5arrayIPcLm2EELi4E23TrivialOffsetCalculatorILi1EjESD_NS0_6memory15LoadWithoutCastENSE_16StoreWithoutCastEEEviT_T0_T2_T3_T4_T5_.has_indirect_call, 0
	.section	.AMDGPU.csdata,"",@progbits
; Kernel info:
; codeLenInByte = 540
; TotalNumSgprs: 20
; NumVgprs: 9
; ScratchSize: 0
; MemoryBound: 0
; FloatMode: 240
; IeeeMode: 1
; LDSByteSize: 0 bytes/workgroup (compile time only)
; SGPRBlocks: 2
; VGPRBlocks: 2
; NumSGPRsForWavesPerEU: 20
; NumVGPRsForWavesPerEU: 9
; Occupancy: 10
; WaveLimiterHint : 0
; COMPUTE_PGM_RSRC2:SCRATCH_EN: 0
; COMPUTE_PGM_RSRC2:USER_SGPR: 6
; COMPUTE_PGM_RSRC2:TRAP_HANDLER: 0
; COMPUTE_PGM_RSRC2:TGID_X_EN: 1
; COMPUTE_PGM_RSRC2:TGID_Y_EN: 0
; COMPUTE_PGM_RSRC2:TGID_Z_EN: 0
; COMPUTE_PGM_RSRC2:TIDIG_COMP_CNT: 0
	.section	.text._ZN2at6native32elementwise_kernel_manual_unrollILi128ELi8EZNS0_22gpu_kernel_impl_nocastINS0_13BUnaryFunctorIhhhZZZNS0_18lshift_kernel_cudaERNS_18TensorIteratorBaseEENKUlvE_clEvENKUlvE_clEvEUlhhE_EEEEvS5_RKT_EUlibE_EEviT1_,"axG",@progbits,_ZN2at6native32elementwise_kernel_manual_unrollILi128ELi8EZNS0_22gpu_kernel_impl_nocastINS0_13BUnaryFunctorIhhhZZZNS0_18lshift_kernel_cudaERNS_18TensorIteratorBaseEENKUlvE_clEvENKUlvE_clEvEUlhhE_EEEEvS5_RKT_EUlibE_EEviT1_,comdat
	.globl	_ZN2at6native32elementwise_kernel_manual_unrollILi128ELi8EZNS0_22gpu_kernel_impl_nocastINS0_13BUnaryFunctorIhhhZZZNS0_18lshift_kernel_cudaERNS_18TensorIteratorBaseEENKUlvE_clEvENKUlvE_clEvEUlhhE_EEEEvS5_RKT_EUlibE_EEviT1_ ; -- Begin function _ZN2at6native32elementwise_kernel_manual_unrollILi128ELi8EZNS0_22gpu_kernel_impl_nocastINS0_13BUnaryFunctorIhhhZZZNS0_18lshift_kernel_cudaERNS_18TensorIteratorBaseEENKUlvE_clEvENKUlvE_clEvEUlhhE_EEEEvS5_RKT_EUlibE_EEviT1_
	.p2align	8
	.type	_ZN2at6native32elementwise_kernel_manual_unrollILi128ELi8EZNS0_22gpu_kernel_impl_nocastINS0_13BUnaryFunctorIhhhZZZNS0_18lshift_kernel_cudaERNS_18TensorIteratorBaseEENKUlvE_clEvENKUlvE_clEvEUlhhE_EEEEvS5_RKT_EUlibE_EEviT1_,@function
_ZN2at6native32elementwise_kernel_manual_unrollILi128ELi8EZNS0_22gpu_kernel_impl_nocastINS0_13BUnaryFunctorIhhhZZZNS0_18lshift_kernel_cudaERNS_18TensorIteratorBaseEENKUlvE_clEvENKUlvE_clEvEUlhhE_EEEEvS5_RKT_EUlibE_EEviT1_: ; @_ZN2at6native32elementwise_kernel_manual_unrollILi128ELi8EZNS0_22gpu_kernel_impl_nocastINS0_13BUnaryFunctorIhhhZZZNS0_18lshift_kernel_cudaERNS_18TensorIteratorBaseEENKUlvE_clEvENKUlvE_clEvEUlhhE_EEEEvS5_RKT_EUlibE_EEviT1_
; %bb.0:
	s_load_dword s60, s[4:5], 0x0
	s_load_dword s33, s[4:5], 0x8
	s_add_u32 s34, s4, 8
	s_addc_u32 s35, s5, 0
	v_lshl_or_b32 v19, s6, 10, v0
	v_or_b32_e32 v25, 0x380, v19
	s_waitcnt lgkmcnt(0)
	s_add_i32 s58, s33, -1
	s_cmp_gt_u32 s58, 1
	v_cmp_le_i32_e32 vcc, s60, v25
	s_cselect_b64 s[6:7], -1, 0
	s_and_saveexec_b64 s[0:1], vcc
	s_xor_b64 s[40:41], exec, s[0:1]
	s_cbranch_execz .LBB13_7
; %bb.1:
	s_load_dwordx4 s[24:27], s[34:35], 0x4
	s_load_dwordx2 s[44:45], s[34:35], 0x14
	s_load_dword s8, s[4:5], 0x160
	s_cmp_lg_u32 s33, 0
	s_cselect_b64 s[50:51], -1, 0
	s_add_u32 s48, s34, 0xc4
	s_addc_u32 s49, s35, 0
	s_min_u32 s61, s58, 15
	s_load_dwordx4 s[28:31], s[34:35], 0xc4
	s_load_dwordx4 s[0:3], s[34:35], 0x148
	s_cmp_gt_u32 s33, 1
	s_cselect_b64 s[46:47], -1, 0
	s_waitcnt lgkmcnt(0)
	s_bfe_u32 s59, s8, 0x80008
	s_cmp_gt_u32 s59, 7
	s_cselect_b64 s[42:43], -1, 0
	v_cmp_gt_i32_e32 vcc, s60, v19
	s_and_saveexec_b64 s[52:53], vcc
	s_cbranch_execz .LBB13_14
; %bb.2:
	s_andn2_b64 vcc, exec, s[6:7]
	s_cbranch_vccnz .LBB13_21
; %bb.3:
	s_andn2_b64 vcc, exec, s[50:51]
	s_cbranch_vccnz .LBB13_129
; %bb.4:
	s_add_i32 s63, s61, 1
	s_cmp_eq_u32 s58, 2
	s_cbranch_scc1 .LBB13_131
; %bb.5:
	s_and_b32 s62, s63, 28
	v_mov_b32_e32 v2, 0
	s_mov_b32 s64, 0
	s_mov_b64 s[54:55], s[34:35]
	s_mov_b64 s[56:57], s[48:49]
	v_mov_b32_e32 v0, 0
	v_mov_b32_e32 v1, v19
.LBB13_6:                               ; =>This Inner Loop Header: Depth=1
	s_load_dwordx8 s[16:23], s[54:55], 0x4
	s_load_dwordx4 s[36:39], s[54:55], 0x24
	s_load_dwordx8 s[8:15], s[56:57], 0x0
	s_add_u32 s54, s54, 48
	s_addc_u32 s55, s55, 0
	s_waitcnt lgkmcnt(0)
	v_mul_hi_u32 v3, s17, v1
	s_add_i32 s64, s64, 4
	s_add_u32 s56, s56, 32
	s_addc_u32 s57, s57, 0
	v_add_u32_e32 v3, v1, v3
	v_lshrrev_b32_e32 v3, s18, v3
	v_mul_lo_u32 v4, v3, s16
	v_mul_hi_u32 v5, s20, v3
	s_cmp_lg_u32 s62, s64
	v_sub_u32_e32 v1, v1, v4
	v_add_u32_e32 v4, v3, v5
	v_mul_lo_u32 v5, v1, s8
	v_mul_lo_u32 v6, v1, s9
	v_lshrrev_b32_e32 v1, s21, v4
	v_mul_lo_u32 v4, v1, s19
	v_mul_hi_u32 v7, s23, v1
	v_sub_u32_e32 v3, v3, v4
	v_add_u32_e32 v4, v1, v7
	v_lshrrev_b32_e32 v4, s36, v4
	v_mul_hi_u32 v8, s38, v4
	v_mul_lo_u32 v9, v4, s22
	v_mul_lo_u32 v7, v3, s10
	;; [unrolled: 1-line block ×3, first 2 shown]
	v_sub_u32_e32 v9, v1, v9
	v_add_u32_e32 v1, v4, v8
	v_lshrrev_b32_e32 v1, s39, v1
	v_mul_lo_u32 v8, v1, s37
	v_mul_lo_u32 v10, v9, s12
	;; [unrolled: 1-line block ×3, first 2 shown]
	v_add3_u32 v0, v5, v0, v7
	v_sub_u32_e32 v4, v4, v8
	v_mul_lo_u32 v8, v4, s14
	v_mul_lo_u32 v4, v4, s15
	v_add3_u32 v2, v6, v2, v3
	v_add3_u32 v0, v10, v0, v8
	;; [unrolled: 1-line block ×3, first 2 shown]
	s_cbranch_scc1 .LBB13_6
	s_branch .LBB13_132
.LBB13_7:
	s_andn2_saveexec_b64 s[0:1], s[40:41]
	s_cbranch_execz .LBB13_221
.LBB13_8:
	v_cndmask_b32_e64 v0, 0, 1, s[6:7]
	v_cmp_ne_u32_e64 s[0:1], 1, v0
	s_andn2_b64 vcc, exec, s[6:7]
	s_cbranch_vccnz .LBB13_20
; %bb.9:
	s_cmp_lg_u32 s33, 0
	s_mov_b32 s28, 0
	s_cbranch_scc0 .LBB13_23
; %bb.10:
	s_min_u32 s29, s58, 15
	s_add_i32 s29, s29, 1
	s_cmp_eq_u32 s58, 2
	s_cbranch_scc1 .LBB13_24
; %bb.11:
	s_and_b32 s28, s29, 28
	s_add_u32 s2, s34, 0xc4
	s_addc_u32 s3, s35, 0
	v_mov_b32_e32 v2, 0
	s_mov_b32 s30, 0
	s_mov_b64 s[6:7], s[34:35]
	v_mov_b32_e32 v0, 0
	v_mov_b32_e32 v1, v19
.LBB13_12:                              ; =>This Inner Loop Header: Depth=1
	s_load_dwordx8 s[16:23], s[6:7], 0x4
	s_load_dwordx4 s[24:27], s[6:7], 0x24
	s_load_dwordx8 s[8:15], s[2:3], 0x0
	s_add_u32 s6, s6, 48
	s_addc_u32 s7, s7, 0
	s_waitcnt lgkmcnt(0)
	v_mul_hi_u32 v3, s17, v1
	s_add_i32 s30, s30, 4
	s_add_u32 s2, s2, 32
	s_addc_u32 s3, s3, 0
	v_add_u32_e32 v3, v1, v3
	v_lshrrev_b32_e32 v3, s18, v3
	v_mul_lo_u32 v4, v3, s16
	v_mul_hi_u32 v5, s20, v3
	s_cmp_lg_u32 s28, s30
	v_sub_u32_e32 v1, v1, v4
	v_add_u32_e32 v4, v3, v5
	v_mul_lo_u32 v5, v1, s8
	v_mul_lo_u32 v6, v1, s9
	v_lshrrev_b32_e32 v1, s21, v4
	v_mul_lo_u32 v4, v1, s19
	v_mul_hi_u32 v7, s23, v1
	v_sub_u32_e32 v3, v3, v4
	v_add_u32_e32 v4, v1, v7
	v_lshrrev_b32_e32 v4, s24, v4
	v_mul_hi_u32 v8, s26, v4
	v_mul_lo_u32 v9, v4, s22
	v_mul_lo_u32 v7, v3, s10
	;; [unrolled: 1-line block ×3, first 2 shown]
	v_sub_u32_e32 v9, v1, v9
	v_add_u32_e32 v1, v4, v8
	v_lshrrev_b32_e32 v1, s27, v1
	v_mul_lo_u32 v8, v1, s25
	v_mul_lo_u32 v10, v9, s12
	;; [unrolled: 1-line block ×3, first 2 shown]
	v_add3_u32 v0, v5, v0, v7
	v_sub_u32_e32 v4, v4, v8
	v_mul_lo_u32 v8, v4, s14
	v_mul_lo_u32 v4, v4, s15
	v_add3_u32 v2, v6, v2, v3
	v_add3_u32 v0, v10, v0, v8
	;; [unrolled: 1-line block ×3, first 2 shown]
	s_cbranch_scc1 .LBB13_12
; %bb.13:
	s_and_b32 s8, s29, 3
	s_cmp_eq_u32 s8, 0
	s_cbranch_scc0 .LBB13_25
	s_branch .LBB13_27
.LBB13_14:
	s_or_b64 exec, exec, s[52:53]
	v_cmp_gt_i32_e32 vcc, s60, v19
	s_and_saveexec_b64 s[52:53], vcc
	s_cbranch_execz .LBB13_139
.LBB13_15:
	s_andn2_b64 vcc, exec, s[6:7]
	s_cbranch_vccnz .LBB13_22
; %bb.16:
	s_andn2_b64 vcc, exec, s[50:51]
	s_cbranch_vccnz .LBB13_130
; %bb.17:
	s_add_i32 s63, s61, 1
	s_cmp_eq_u32 s58, 2
	s_cbranch_scc1 .LBB13_147
; %bb.18:
	s_and_b32 s62, s63, 28
	v_mov_b32_e32 v2, 0
	s_mov_b32 s64, 0
	s_mov_b64 s[54:55], s[34:35]
	s_mov_b64 s[56:57], s[48:49]
	v_mov_b32_e32 v0, 0
	v_mov_b32_e32 v1, v19
.LBB13_19:                              ; =>This Inner Loop Header: Depth=1
	s_load_dwordx8 s[16:23], s[54:55], 0x4
	s_load_dwordx4 s[36:39], s[54:55], 0x24
	s_load_dwordx8 s[8:15], s[56:57], 0x0
	s_add_u32 s54, s54, 48
	s_addc_u32 s55, s55, 0
	s_waitcnt lgkmcnt(0)
	v_mul_hi_u32 v3, s17, v1
	s_add_i32 s64, s64, 4
	s_add_u32 s56, s56, 32
	s_addc_u32 s57, s57, 0
	v_add_u32_e32 v3, v1, v3
	v_lshrrev_b32_e32 v3, s18, v3
	v_mul_lo_u32 v4, v3, s16
	v_mul_hi_u32 v5, s20, v3
	s_cmp_eq_u32 s62, s64
	v_sub_u32_e32 v1, v1, v4
	v_add_u32_e32 v4, v3, v5
	v_mul_lo_u32 v5, v1, s8
	v_mul_lo_u32 v6, v1, s9
	v_lshrrev_b32_e32 v1, s21, v4
	v_mul_lo_u32 v4, v1, s19
	v_mul_hi_u32 v7, s23, v1
	v_sub_u32_e32 v3, v3, v4
	v_add_u32_e32 v4, v1, v7
	v_lshrrev_b32_e32 v4, s36, v4
	v_mul_hi_u32 v8, s38, v4
	v_mul_lo_u32 v9, v4, s22
	v_mul_lo_u32 v7, v3, s10
	;; [unrolled: 1-line block ×3, first 2 shown]
	v_sub_u32_e32 v9, v1, v9
	v_add_u32_e32 v1, v4, v8
	v_lshrrev_b32_e32 v1, s39, v1
	v_mul_lo_u32 v8, v1, s37
	v_mul_lo_u32 v10, v9, s12
	;; [unrolled: 1-line block ×3, first 2 shown]
	v_add3_u32 v0, v5, v0, v7
	v_sub_u32_e32 v4, v4, v8
	v_mul_lo_u32 v8, v4, s14
	v_mul_lo_u32 v4, v4, s15
	v_add3_u32 v2, v6, v2, v3
	v_add3_u32 v0, v10, v0, v8
	;; [unrolled: 1-line block ×3, first 2 shown]
	s_cbranch_scc0 .LBB13_19
	s_branch .LBB13_148
.LBB13_20:
                                        ; implicit-def: $vgpr0
                                        ; implicit-def: $vgpr2
	s_branch .LBB13_28
.LBB13_21:
                                        ; implicit-def: $vgpr0
                                        ; implicit-def: $vgpr2
	s_branch .LBB13_136
.LBB13_22:
                                        ; implicit-def: $vgpr0
                                        ; implicit-def: $vgpr2
	s_branch .LBB13_152
.LBB13_23:
	v_mov_b32_e32 v0, 0
	v_mov_b32_e32 v2, 0
	s_branch .LBB13_27
.LBB13_24:
	v_mov_b32_e32 v0, 0
	v_mov_b32_e32 v2, 0
	;; [unrolled: 1-line block ×3, first 2 shown]
	s_and_b32 s8, s29, 3
	s_cmp_eq_u32 s8, 0
	s_cbranch_scc1 .LBB13_27
.LBB13_25:
	s_lshl_b32 s2, s28, 3
	s_add_u32 s2, s34, s2
	s_addc_u32 s3, s35, 0
	s_add_u32 s2, s2, 0xc4
	s_addc_u32 s3, s3, 0
	s_mul_i32 s6, s28, 12
	s_add_u32 s6, s34, s6
	s_addc_u32 s7, s35, 0
.LBB13_26:                              ; =>This Inner Loop Header: Depth=1
	s_load_dwordx2 s[10:11], s[6:7], 0x4
	s_load_dword s9, s[6:7], 0xc
	s_load_dwordx2 s[12:13], s[2:3], 0x0
	s_add_u32 s6, s6, 12
	s_addc_u32 s7, s7, 0
	s_waitcnt lgkmcnt(0)
	v_mul_hi_u32 v4, s11, v1
	s_add_u32 s2, s2, 8
	s_addc_u32 s3, s3, 0
	s_add_i32 s8, s8, -1
	v_add_u32_e32 v4, v1, v4
	v_lshrrev_b32_e32 v4, s9, v4
	v_mul_lo_u32 v5, v4, s10
	s_cmp_lg_u32 s8, 0
	v_sub_u32_e32 v5, v1, v5
	v_mad_u64_u32 v[0:1], s[10:11], v5, s12, v[0:1]
	v_mad_u64_u32 v[2:3], s[10:11], v5, s13, v[2:3]
	v_mov_b32_e32 v1, v4
	s_cbranch_scc1 .LBB13_26
.LBB13_27:
	s_cbranch_execnz .LBB13_30
.LBB13_28:
	s_load_dwordx4 s[8:11], s[34:35], 0x4
	s_load_dwordx2 s[2:3], s[34:35], 0xc4
	s_cmp_lt_u32 s33, 2
	s_waitcnt lgkmcnt(0)
	v_mul_hi_u32 v0, s9, v19
	v_add_u32_e32 v0, v19, v0
	v_lshrrev_b32_e32 v1, s10, v0
	v_mul_lo_u32 v0, v1, s8
	v_sub_u32_e32 v2, v19, v0
	v_mul_lo_u32 v0, v2, s2
	v_mul_lo_u32 v2, v2, s3
	s_cbranch_scc1 .LBB13_30
; %bb.29:
	s_load_dwordx4 s[8:11], s[34:35], 0x10
	s_load_dwordx2 s[2:3], s[34:35], 0xcc
	s_waitcnt lgkmcnt(0)
	v_mul_hi_u32 v3, s9, v1
	v_add_u32_e32 v3, v1, v3
	v_lshrrev_b32_e32 v3, s10, v3
	v_mul_lo_u32 v3, v3, s8
	v_sub_u32_e32 v3, v1, v3
	v_mad_u64_u32 v[0:1], s[6:7], v3, s2, v[0:1]
	v_mad_u64_u32 v[2:3], s[2:3], v3, s3, v[2:3]
.LBB13_30:
	s_and_b64 vcc, exec, s[0:1]
	v_add_u32_e32 v1, 0x80, v19
	s_cbranch_vccnz .LBB13_36
; %bb.31:
	s_cmp_lg_u32 s33, 0
	s_mov_b32 s28, 0
	s_cbranch_scc0 .LBB13_37
; %bb.32:
	s_min_u32 s29, s58, 15
	s_add_i32 s29, s29, 1
	s_cmp_eq_u32 s58, 2
	s_cbranch_scc1 .LBB13_38
; %bb.33:
	s_and_b32 s28, s29, 28
	s_add_u32 s2, s34, 0xc4
	s_addc_u32 s3, s35, 0
	v_mov_b32_e32 v5, 0
	s_mov_b32 s30, 0
	s_mov_b64 s[6:7], s[34:35]
	v_mov_b32_e32 v3, 0
	v_mov_b32_e32 v4, v1
.LBB13_34:                              ; =>This Inner Loop Header: Depth=1
	s_load_dwordx8 s[16:23], s[6:7], 0x4
	s_load_dwordx4 s[24:27], s[6:7], 0x24
	s_load_dwordx8 s[8:15], s[2:3], 0x0
	s_add_u32 s6, s6, 48
	s_addc_u32 s7, s7, 0
	s_waitcnt lgkmcnt(0)
	v_mul_hi_u32 v6, s17, v4
	s_add_i32 s30, s30, 4
	s_add_u32 s2, s2, 32
	s_addc_u32 s3, s3, 0
	v_add_u32_e32 v6, v4, v6
	v_lshrrev_b32_e32 v6, s18, v6
	v_mul_lo_u32 v7, v6, s16
	v_mul_hi_u32 v8, s20, v6
	s_cmp_lg_u32 s28, s30
	v_sub_u32_e32 v4, v4, v7
	v_add_u32_e32 v7, v6, v8
	v_mul_lo_u32 v8, v4, s8
	v_mul_lo_u32 v9, v4, s9
	v_lshrrev_b32_e32 v4, s21, v7
	v_mul_lo_u32 v7, v4, s19
	v_mul_hi_u32 v10, s23, v4
	v_sub_u32_e32 v6, v6, v7
	v_add_u32_e32 v7, v4, v10
	v_lshrrev_b32_e32 v7, s24, v7
	v_mul_hi_u32 v11, s26, v7
	v_mul_lo_u32 v12, v7, s22
	v_mul_lo_u32 v10, v6, s10
	;; [unrolled: 1-line block ×3, first 2 shown]
	v_sub_u32_e32 v12, v4, v12
	v_add_u32_e32 v4, v7, v11
	v_lshrrev_b32_e32 v4, s27, v4
	v_mul_lo_u32 v11, v4, s25
	v_mul_lo_u32 v13, v12, s12
	;; [unrolled: 1-line block ×3, first 2 shown]
	v_add3_u32 v3, v8, v3, v10
	v_sub_u32_e32 v7, v7, v11
	v_mul_lo_u32 v11, v7, s14
	v_mul_lo_u32 v7, v7, s15
	v_add3_u32 v5, v9, v5, v6
	v_add3_u32 v3, v13, v3, v11
	;; [unrolled: 1-line block ×3, first 2 shown]
	s_cbranch_scc1 .LBB13_34
; %bb.35:
	s_and_b32 s8, s29, 3
	s_cmp_eq_u32 s8, 0
	s_cbranch_scc0 .LBB13_39
	s_branch .LBB13_41
.LBB13_36:
                                        ; implicit-def: $vgpr3
                                        ; implicit-def: $vgpr5
	s_branch .LBB13_42
.LBB13_37:
	v_mov_b32_e32 v3, 0
	v_mov_b32_e32 v5, 0
	s_branch .LBB13_41
.LBB13_38:
	v_mov_b32_e32 v3, 0
	v_mov_b32_e32 v5, 0
	;; [unrolled: 1-line block ×3, first 2 shown]
	s_and_b32 s8, s29, 3
	s_cmp_eq_u32 s8, 0
	s_cbranch_scc1 .LBB13_41
.LBB13_39:
	s_lshl_b32 s2, s28, 3
	s_add_u32 s2, s34, s2
	s_addc_u32 s3, s35, 0
	s_add_u32 s2, s2, 0xc4
	s_addc_u32 s3, s3, 0
	s_mul_i32 s6, s28, 12
	s_add_u32 s6, s34, s6
	s_addc_u32 s7, s35, 0
.LBB13_40:                              ; =>This Inner Loop Header: Depth=1
	s_load_dwordx2 s[10:11], s[6:7], 0x4
	s_load_dword s9, s[6:7], 0xc
	s_load_dwordx2 s[12:13], s[2:3], 0x0
	s_add_u32 s6, s6, 12
	s_addc_u32 s7, s7, 0
	s_waitcnt lgkmcnt(0)
	v_mul_hi_u32 v7, s11, v4
	s_add_u32 s2, s2, 8
	s_addc_u32 s3, s3, 0
	s_add_i32 s8, s8, -1
	v_add_u32_e32 v7, v4, v7
	v_lshrrev_b32_e32 v7, s9, v7
	v_mul_lo_u32 v8, v7, s10
	s_cmp_lg_u32 s8, 0
	v_sub_u32_e32 v8, v4, v8
	v_mad_u64_u32 v[3:4], s[10:11], v8, s12, v[3:4]
	v_mad_u64_u32 v[5:6], s[10:11], v8, s13, v[5:6]
	v_mov_b32_e32 v4, v7
	s_cbranch_scc1 .LBB13_40
.LBB13_41:
	s_cbranch_execnz .LBB13_44
.LBB13_42:
	s_load_dwordx4 s[8:11], s[34:35], 0x4
	s_load_dwordx2 s[2:3], s[34:35], 0xc4
	s_cmp_lt_u32 s33, 2
	s_waitcnt lgkmcnt(0)
	v_mul_hi_u32 v3, s9, v1
	v_add_u32_e32 v3, v1, v3
	v_lshrrev_b32_e32 v4, s10, v3
	v_mul_lo_u32 v3, v4, s8
	v_sub_u32_e32 v1, v1, v3
	v_mul_lo_u32 v3, v1, s2
	v_mul_lo_u32 v5, v1, s3
	s_cbranch_scc1 .LBB13_44
; %bb.43:
	s_load_dwordx4 s[8:11], s[34:35], 0x10
	s_load_dwordx2 s[2:3], s[34:35], 0xcc
	s_waitcnt lgkmcnt(0)
	v_mul_hi_u32 v1, s9, v4
	v_add_u32_e32 v1, v4, v1
	v_lshrrev_b32_e32 v1, s10, v1
	v_mul_lo_u32 v1, v1, s8
	v_sub_u32_e32 v1, v4, v1
	v_mad_u64_u32 v[3:4], s[6:7], v1, s2, v[3:4]
	v_mad_u64_u32 v[5:6], s[2:3], v1, s3, v[5:6]
.LBB13_44:
	s_and_b64 vcc, exec, s[0:1]
	v_add_u32_e32 v1, 0x100, v19
	s_cbranch_vccnz .LBB13_50
; %bb.45:
	s_cmp_lg_u32 s33, 0
	s_mov_b32 s28, 0
	s_cbranch_scc0 .LBB13_51
; %bb.46:
	s_min_u32 s29, s58, 15
	s_add_i32 s29, s29, 1
	s_cmp_eq_u32 s58, 2
	s_cbranch_scc1 .LBB13_52
; %bb.47:
	s_and_b32 s28, s29, 28
	s_add_u32 s2, s34, 0xc4
	s_addc_u32 s3, s35, 0
	v_mov_b32_e32 v8, 0
	s_mov_b32 s30, 0
	s_mov_b64 s[6:7], s[34:35]
	v_mov_b32_e32 v6, 0
	v_mov_b32_e32 v4, v1
.LBB13_48:                              ; =>This Inner Loop Header: Depth=1
	s_load_dwordx8 s[16:23], s[6:7], 0x4
	s_load_dwordx4 s[24:27], s[6:7], 0x24
	s_load_dwordx8 s[8:15], s[2:3], 0x0
	s_add_u32 s6, s6, 48
	s_addc_u32 s7, s7, 0
	s_waitcnt lgkmcnt(0)
	v_mul_hi_u32 v7, s17, v4
	s_add_i32 s30, s30, 4
	s_add_u32 s2, s2, 32
	s_addc_u32 s3, s3, 0
	v_add_u32_e32 v7, v4, v7
	v_lshrrev_b32_e32 v7, s18, v7
	v_mul_lo_u32 v9, v7, s16
	v_mul_hi_u32 v10, s20, v7
	s_cmp_lg_u32 s28, s30
	v_sub_u32_e32 v4, v4, v9
	v_add_u32_e32 v9, v7, v10
	v_mul_lo_u32 v10, v4, s8
	v_mul_lo_u32 v11, v4, s9
	v_lshrrev_b32_e32 v4, s21, v9
	v_mul_lo_u32 v9, v4, s19
	v_mul_hi_u32 v12, s23, v4
	v_sub_u32_e32 v7, v7, v9
	v_add_u32_e32 v9, v4, v12
	v_lshrrev_b32_e32 v9, s24, v9
	v_mul_hi_u32 v13, s26, v9
	v_mul_lo_u32 v14, v9, s22
	v_mul_lo_u32 v12, v7, s10
	;; [unrolled: 1-line block ×3, first 2 shown]
	v_sub_u32_e32 v14, v4, v14
	v_add_u32_e32 v4, v9, v13
	v_lshrrev_b32_e32 v4, s27, v4
	v_mul_lo_u32 v13, v4, s25
	v_mul_lo_u32 v15, v14, s12
	;; [unrolled: 1-line block ×3, first 2 shown]
	v_add3_u32 v6, v10, v6, v12
	v_sub_u32_e32 v9, v9, v13
	v_mul_lo_u32 v13, v9, s14
	v_mul_lo_u32 v9, v9, s15
	v_add3_u32 v7, v11, v8, v7
	v_add3_u32 v6, v15, v6, v13
	;; [unrolled: 1-line block ×3, first 2 shown]
	s_cbranch_scc1 .LBB13_48
; %bb.49:
	s_and_b32 s8, s29, 3
	s_cmp_eq_u32 s8, 0
	s_cbranch_scc0 .LBB13_53
	s_branch .LBB13_55
.LBB13_50:
                                        ; implicit-def: $vgpr6
                                        ; implicit-def: $vgpr8
	s_branch .LBB13_56
.LBB13_51:
	v_mov_b32_e32 v6, 0
	v_mov_b32_e32 v8, 0
	s_branch .LBB13_55
.LBB13_52:
	v_mov_b32_e32 v6, 0
	v_mov_b32_e32 v8, 0
	;; [unrolled: 1-line block ×3, first 2 shown]
	s_and_b32 s8, s29, 3
	s_cmp_eq_u32 s8, 0
	s_cbranch_scc1 .LBB13_55
.LBB13_53:
	s_lshl_b32 s2, s28, 3
	s_add_u32 s2, s34, s2
	s_addc_u32 s3, s35, 0
	s_add_u32 s2, s2, 0xc4
	s_addc_u32 s3, s3, 0
	s_mul_i32 s6, s28, 12
	s_add_u32 s6, s34, s6
	s_addc_u32 s7, s35, 0
.LBB13_54:                              ; =>This Inner Loop Header: Depth=1
	s_load_dwordx2 s[10:11], s[6:7], 0x4
	s_load_dword s9, s[6:7], 0xc
	s_load_dwordx2 s[12:13], s[2:3], 0x0
	s_add_u32 s6, s6, 12
	s_addc_u32 s7, s7, 0
	s_waitcnt lgkmcnt(0)
	v_mul_hi_u32 v7, s11, v4
	s_add_u32 s2, s2, 8
	s_addc_u32 s3, s3, 0
	s_add_i32 s8, s8, -1
	v_add_u32_e32 v7, v4, v7
	v_lshrrev_b32_e32 v10, s9, v7
	v_mul_lo_u32 v7, v10, s10
	s_cmp_lg_u32 s8, 0
	v_sub_u32_e32 v4, v4, v7
	v_mad_u64_u32 v[6:7], s[10:11], v4, s12, v[6:7]
	v_mad_u64_u32 v[8:9], s[10:11], v4, s13, v[8:9]
	v_mov_b32_e32 v4, v10
	s_cbranch_scc1 .LBB13_54
.LBB13_55:
	s_cbranch_execnz .LBB13_58
.LBB13_56:
	s_load_dwordx4 s[8:11], s[34:35], 0x4
	s_load_dwordx2 s[2:3], s[34:35], 0xc4
	s_cmp_lt_u32 s33, 2
	s_waitcnt lgkmcnt(0)
	v_mul_hi_u32 v4, s9, v1
	v_add_u32_e32 v4, v1, v4
	v_lshrrev_b32_e32 v4, s10, v4
	v_mul_lo_u32 v6, v4, s8
	v_sub_u32_e32 v1, v1, v6
	v_mul_lo_u32 v6, v1, s2
	v_mul_lo_u32 v8, v1, s3
	s_cbranch_scc1 .LBB13_58
; %bb.57:
	s_load_dwordx4 s[8:11], s[34:35], 0x10
	s_load_dwordx2 s[2:3], s[34:35], 0xcc
	s_waitcnt lgkmcnt(0)
	v_mul_hi_u32 v1, s9, v4
	v_add_u32_e32 v1, v4, v1
	v_lshrrev_b32_e32 v1, s10, v1
	v_mul_lo_u32 v1, v1, s8
	v_sub_u32_e32 v1, v4, v1
	v_mad_u64_u32 v[6:7], s[6:7], v1, s2, v[6:7]
	v_mad_u64_u32 v[8:9], s[2:3], v1, s3, v[8:9]
.LBB13_58:
	s_and_b64 vcc, exec, s[0:1]
	v_add_u32_e32 v1, 0x180, v19
	s_cbranch_vccnz .LBB13_64
; %bb.59:
	s_cmp_lg_u32 s33, 0
	s_mov_b32 s28, 0
	s_cbranch_scc0 .LBB13_65
; %bb.60:
	s_min_u32 s29, s58, 15
	s_add_i32 s29, s29, 1
	s_cmp_eq_u32 s58, 2
	s_cbranch_scc1 .LBB13_66
; %bb.61:
	s_and_b32 s28, s29, 28
	s_add_u32 s2, s34, 0xc4
	s_addc_u32 s3, s35, 0
	v_mov_b32_e32 v11, 0
	s_mov_b32 s30, 0
	s_mov_b64 s[6:7], s[34:35]
	v_mov_b32_e32 v9, 0
	v_mov_b32_e32 v4, v1
.LBB13_62:                              ; =>This Inner Loop Header: Depth=1
	s_load_dwordx8 s[16:23], s[6:7], 0x4
	s_load_dwordx4 s[24:27], s[6:7], 0x24
	s_load_dwordx8 s[8:15], s[2:3], 0x0
	s_add_u32 s6, s6, 48
	s_addc_u32 s7, s7, 0
	s_waitcnt lgkmcnt(0)
	v_mul_hi_u32 v7, s17, v4
	s_add_i32 s30, s30, 4
	s_add_u32 s2, s2, 32
	s_addc_u32 s3, s3, 0
	v_add_u32_e32 v7, v4, v7
	v_lshrrev_b32_e32 v7, s18, v7
	v_mul_lo_u32 v10, v7, s16
	v_mul_hi_u32 v12, s20, v7
	s_cmp_lg_u32 s28, s30
	v_sub_u32_e32 v4, v4, v10
	v_add_u32_e32 v10, v7, v12
	v_mul_lo_u32 v12, v4, s8
	v_mul_lo_u32 v13, v4, s9
	v_lshrrev_b32_e32 v4, s21, v10
	v_mul_lo_u32 v10, v4, s19
	v_mul_hi_u32 v14, s23, v4
	v_sub_u32_e32 v7, v7, v10
	v_add_u32_e32 v10, v4, v14
	v_lshrrev_b32_e32 v10, s24, v10
	v_mul_hi_u32 v15, s26, v10
	v_mul_lo_u32 v16, v10, s22
	v_mul_lo_u32 v14, v7, s10
	;; [unrolled: 1-line block ×3, first 2 shown]
	v_sub_u32_e32 v16, v4, v16
	v_add_u32_e32 v4, v10, v15
	v_lshrrev_b32_e32 v4, s27, v4
	v_mul_lo_u32 v15, v4, s25
	v_mul_lo_u32 v17, v16, s12
	;; [unrolled: 1-line block ×3, first 2 shown]
	v_add3_u32 v9, v12, v9, v14
	v_sub_u32_e32 v10, v10, v15
	v_mul_lo_u32 v15, v10, s14
	v_mul_lo_u32 v10, v10, s15
	v_add3_u32 v7, v13, v11, v7
	v_add3_u32 v9, v17, v9, v15
	;; [unrolled: 1-line block ×3, first 2 shown]
	s_cbranch_scc1 .LBB13_62
; %bb.63:
	s_and_b32 s8, s29, 3
	s_cmp_eq_u32 s8, 0
	s_cbranch_scc0 .LBB13_67
	s_branch .LBB13_69
.LBB13_64:
                                        ; implicit-def: $vgpr9
                                        ; implicit-def: $vgpr11
	s_branch .LBB13_70
.LBB13_65:
	v_mov_b32_e32 v9, 0
	v_mov_b32_e32 v11, 0
	s_branch .LBB13_69
.LBB13_66:
	v_mov_b32_e32 v9, 0
	v_mov_b32_e32 v11, 0
	;; [unrolled: 1-line block ×3, first 2 shown]
	s_and_b32 s8, s29, 3
	s_cmp_eq_u32 s8, 0
	s_cbranch_scc1 .LBB13_69
.LBB13_67:
	s_lshl_b32 s2, s28, 3
	s_add_u32 s2, s34, s2
	s_addc_u32 s3, s35, 0
	s_add_u32 s2, s2, 0xc4
	s_addc_u32 s3, s3, 0
	s_mul_i32 s6, s28, 12
	s_add_u32 s6, s34, s6
	s_addc_u32 s7, s35, 0
.LBB13_68:                              ; =>This Inner Loop Header: Depth=1
	s_load_dwordx2 s[10:11], s[6:7], 0x4
	s_load_dword s9, s[6:7], 0xc
	s_load_dwordx2 s[12:13], s[2:3], 0x0
	s_add_u32 s6, s6, 12
	s_addc_u32 s7, s7, 0
	s_waitcnt lgkmcnt(0)
	v_mul_hi_u32 v7, s11, v4
	s_add_u32 s2, s2, 8
	s_addc_u32 s3, s3, 0
	s_add_i32 s8, s8, -1
	v_add_u32_e32 v7, v4, v7
	v_lshrrev_b32_e32 v7, s9, v7
	v_mul_lo_u32 v10, v7, s10
	s_cmp_lg_u32 s8, 0
	v_sub_u32_e32 v4, v4, v10
	v_mad_u64_u32 v[9:10], s[10:11], v4, s12, v[9:10]
	v_mad_u64_u32 v[11:12], s[10:11], v4, s13, v[11:12]
	v_mov_b32_e32 v4, v7
	s_cbranch_scc1 .LBB13_68
.LBB13_69:
	s_cbranch_execnz .LBB13_72
.LBB13_70:
	s_load_dwordx4 s[8:11], s[34:35], 0x4
	s_load_dwordx2 s[2:3], s[34:35], 0xc4
	s_cmp_lt_u32 s33, 2
	s_waitcnt lgkmcnt(0)
	v_mul_hi_u32 v4, s9, v1
	v_add_u32_e32 v4, v1, v4
	v_lshrrev_b32_e32 v4, s10, v4
	v_mul_lo_u32 v7, v4, s8
	v_sub_u32_e32 v1, v1, v7
	v_mul_lo_u32 v9, v1, s2
	v_mul_lo_u32 v11, v1, s3
	s_cbranch_scc1 .LBB13_72
; %bb.71:
	s_load_dwordx4 s[8:11], s[34:35], 0x10
	s_load_dwordx2 s[2:3], s[34:35], 0xcc
	s_waitcnt lgkmcnt(0)
	v_mul_hi_u32 v1, s9, v4
	v_add_u32_e32 v1, v4, v1
	v_lshrrev_b32_e32 v1, s10, v1
	v_mul_lo_u32 v1, v1, s8
	v_sub_u32_e32 v1, v4, v1
	v_mad_u64_u32 v[9:10], s[6:7], v1, s2, v[9:10]
	v_mad_u64_u32 v[11:12], s[2:3], v1, s3, v[11:12]
.LBB13_72:
	s_and_b64 vcc, exec, s[0:1]
	v_add_u32_e32 v1, 0x200, v19
	s_cbranch_vccnz .LBB13_78
; %bb.73:
	s_cmp_lg_u32 s33, 0
	s_mov_b32 s28, 0
	s_cbranch_scc0 .LBB13_79
; %bb.74:
	s_min_u32 s29, s58, 15
	s_add_i32 s29, s29, 1
	s_cmp_eq_u32 s58, 2
	s_cbranch_scc1 .LBB13_80
; %bb.75:
	s_and_b32 s28, s29, 28
	s_add_u32 s2, s34, 0xc4
	s_addc_u32 s3, s35, 0
	v_mov_b32_e32 v14, 0
	s_mov_b32 s30, 0
	s_mov_b64 s[6:7], s[34:35]
	v_mov_b32_e32 v12, 0
	v_mov_b32_e32 v4, v1
.LBB13_76:                              ; =>This Inner Loop Header: Depth=1
	s_load_dwordx8 s[16:23], s[6:7], 0x4
	s_load_dwordx4 s[24:27], s[6:7], 0x24
	s_load_dwordx8 s[8:15], s[2:3], 0x0
	s_add_u32 s6, s6, 48
	s_addc_u32 s7, s7, 0
	s_waitcnt lgkmcnt(0)
	v_mul_hi_u32 v7, s17, v4
	s_add_i32 s30, s30, 4
	s_add_u32 s2, s2, 32
	s_addc_u32 s3, s3, 0
	v_add_u32_e32 v7, v4, v7
	v_lshrrev_b32_e32 v7, s18, v7
	v_mul_lo_u32 v10, v7, s16
	v_mul_hi_u32 v13, s20, v7
	s_cmp_lg_u32 s28, s30
	v_sub_u32_e32 v4, v4, v10
	v_add_u32_e32 v10, v7, v13
	v_mul_lo_u32 v13, v4, s8
	v_mul_lo_u32 v15, v4, s9
	v_lshrrev_b32_e32 v4, s21, v10
	v_mul_lo_u32 v10, v4, s19
	v_mul_hi_u32 v16, s23, v4
	v_sub_u32_e32 v7, v7, v10
	v_add_u32_e32 v10, v4, v16
	v_lshrrev_b32_e32 v10, s24, v10
	v_mul_hi_u32 v17, s26, v10
	v_mul_lo_u32 v18, v10, s22
	v_mul_lo_u32 v16, v7, s10
	;; [unrolled: 1-line block ×3, first 2 shown]
	v_sub_u32_e32 v18, v4, v18
	v_add_u32_e32 v4, v10, v17
	v_lshrrev_b32_e32 v4, s27, v4
	v_mul_lo_u32 v17, v4, s25
	v_mul_lo_u32 v20, v18, s12
	;; [unrolled: 1-line block ×3, first 2 shown]
	v_add3_u32 v12, v13, v12, v16
	v_sub_u32_e32 v10, v10, v17
	v_mul_lo_u32 v17, v10, s14
	v_mul_lo_u32 v10, v10, s15
	v_add3_u32 v7, v15, v14, v7
	v_add3_u32 v12, v20, v12, v17
	v_add3_u32 v14, v18, v7, v10
	s_cbranch_scc1 .LBB13_76
; %bb.77:
	s_and_b32 s8, s29, 3
	s_cmp_eq_u32 s8, 0
	s_cbranch_scc0 .LBB13_81
	s_branch .LBB13_83
.LBB13_78:
                                        ; implicit-def: $vgpr12
                                        ; implicit-def: $vgpr14
	s_branch .LBB13_84
.LBB13_79:
	v_mov_b32_e32 v12, 0
	v_mov_b32_e32 v14, 0
	s_branch .LBB13_83
.LBB13_80:
	v_mov_b32_e32 v12, 0
	v_mov_b32_e32 v14, 0
	;; [unrolled: 1-line block ×3, first 2 shown]
	s_and_b32 s8, s29, 3
	s_cmp_eq_u32 s8, 0
	s_cbranch_scc1 .LBB13_83
.LBB13_81:
	s_lshl_b32 s2, s28, 3
	s_add_u32 s2, s34, s2
	s_addc_u32 s3, s35, 0
	s_add_u32 s2, s2, 0xc4
	s_addc_u32 s3, s3, 0
	s_mul_i32 s6, s28, 12
	s_add_u32 s6, s34, s6
	s_addc_u32 s7, s35, 0
.LBB13_82:                              ; =>This Inner Loop Header: Depth=1
	s_load_dwordx2 s[10:11], s[6:7], 0x4
	s_load_dword s9, s[6:7], 0xc
	s_load_dwordx2 s[12:13], s[2:3], 0x0
	s_add_u32 s6, s6, 12
	s_addc_u32 s7, s7, 0
	s_waitcnt lgkmcnt(0)
	v_mul_hi_u32 v7, s11, v4
	s_add_u32 s2, s2, 8
	s_addc_u32 s3, s3, 0
	s_add_i32 s8, s8, -1
	v_add_u32_e32 v7, v4, v7
	v_lshrrev_b32_e32 v7, s9, v7
	v_mul_lo_u32 v10, v7, s10
	s_cmp_lg_u32 s8, 0
	v_sub_u32_e32 v4, v4, v10
	v_mad_u64_u32 v[12:13], s[10:11], v4, s12, v[12:13]
	v_mad_u64_u32 v[14:15], s[10:11], v4, s13, v[14:15]
	v_mov_b32_e32 v4, v7
	s_cbranch_scc1 .LBB13_82
.LBB13_83:
	s_cbranch_execnz .LBB13_86
.LBB13_84:
	s_load_dwordx4 s[8:11], s[34:35], 0x4
	s_load_dwordx2 s[2:3], s[34:35], 0xc4
	s_cmp_lt_u32 s33, 2
	s_waitcnt lgkmcnt(0)
	v_mul_hi_u32 v4, s9, v1
	v_add_u32_e32 v4, v1, v4
	v_lshrrev_b32_e32 v4, s10, v4
	v_mul_lo_u32 v7, v4, s8
	v_sub_u32_e32 v1, v1, v7
	v_mul_lo_u32 v12, v1, s2
	v_mul_lo_u32 v14, v1, s3
	s_cbranch_scc1 .LBB13_86
; %bb.85:
	s_load_dwordx4 s[8:11], s[34:35], 0x10
	s_load_dwordx2 s[2:3], s[34:35], 0xcc
	s_waitcnt lgkmcnt(0)
	v_mul_hi_u32 v1, s9, v4
	v_add_u32_e32 v1, v4, v1
	v_lshrrev_b32_e32 v1, s10, v1
	v_mul_lo_u32 v1, v1, s8
	v_sub_u32_e32 v1, v4, v1
	v_mad_u64_u32 v[12:13], s[6:7], v1, s2, v[12:13]
	v_mad_u64_u32 v[14:15], s[2:3], v1, s3, v[14:15]
.LBB13_86:
	s_and_b64 vcc, exec, s[0:1]
	v_add_u32_e32 v1, 0x280, v19
	s_cbranch_vccnz .LBB13_92
; %bb.87:
	s_cmp_lg_u32 s33, 0
	s_mov_b32 s28, 0
	s_cbranch_scc0 .LBB13_93
; %bb.88:
	s_min_u32 s29, s58, 15
	s_add_i32 s29, s29, 1
	s_cmp_eq_u32 s58, 2
	s_cbranch_scc1 .LBB13_94
; %bb.89:
	s_and_b32 s28, s29, 28
	s_add_u32 s2, s34, 0xc4
	s_addc_u32 s3, s35, 0
	v_mov_b32_e32 v17, 0
	s_mov_b32 s30, 0
	s_mov_b64 s[6:7], s[34:35]
	v_mov_b32_e32 v15, 0
	v_mov_b32_e32 v4, v1
.LBB13_90:                              ; =>This Inner Loop Header: Depth=1
	s_load_dwordx8 s[16:23], s[6:7], 0x4
	s_load_dwordx4 s[24:27], s[6:7], 0x24
	s_load_dwordx8 s[8:15], s[2:3], 0x0
	s_add_u32 s6, s6, 48
	s_addc_u32 s7, s7, 0
	s_waitcnt lgkmcnt(0)
	v_mul_hi_u32 v7, s17, v4
	s_add_i32 s30, s30, 4
	s_add_u32 s2, s2, 32
	s_addc_u32 s3, s3, 0
	v_add_u32_e32 v7, v4, v7
	v_lshrrev_b32_e32 v7, s18, v7
	v_mul_lo_u32 v10, v7, s16
	v_mul_hi_u32 v13, s20, v7
	s_cmp_lg_u32 s28, s30
	v_sub_u32_e32 v4, v4, v10
	v_add_u32_e32 v10, v7, v13
	v_mul_lo_u32 v13, v4, s8
	v_mul_lo_u32 v16, v4, s9
	v_lshrrev_b32_e32 v4, s21, v10
	v_mul_lo_u32 v10, v4, s19
	v_mul_hi_u32 v18, s23, v4
	v_sub_u32_e32 v7, v7, v10
	v_add_u32_e32 v10, v4, v18
	v_lshrrev_b32_e32 v10, s24, v10
	v_mul_hi_u32 v20, s26, v10
	v_mul_lo_u32 v21, v10, s22
	v_mul_lo_u32 v18, v7, s10
	;; [unrolled: 1-line block ×3, first 2 shown]
	v_sub_u32_e32 v21, v4, v21
	v_add_u32_e32 v4, v10, v20
	v_lshrrev_b32_e32 v4, s27, v4
	v_mul_lo_u32 v20, v4, s25
	v_mul_lo_u32 v22, v21, s12
	v_mul_lo_u32 v21, v21, s13
	v_add3_u32 v13, v13, v15, v18
	v_sub_u32_e32 v10, v10, v20
	v_mul_lo_u32 v20, v10, s14
	v_mul_lo_u32 v10, v10, s15
	v_add3_u32 v7, v16, v17, v7
	v_add3_u32 v15, v22, v13, v20
	;; [unrolled: 1-line block ×3, first 2 shown]
	s_cbranch_scc1 .LBB13_90
; %bb.91:
	s_and_b32 s8, s29, 3
	s_cmp_eq_u32 s8, 0
	s_cbranch_scc0 .LBB13_95
	s_branch .LBB13_97
.LBB13_92:
                                        ; implicit-def: $vgpr15
                                        ; implicit-def: $vgpr17
	s_branch .LBB13_98
.LBB13_93:
	v_mov_b32_e32 v15, 0
	v_mov_b32_e32 v17, 0
	s_branch .LBB13_97
.LBB13_94:
	v_mov_b32_e32 v15, 0
	v_mov_b32_e32 v17, 0
	;; [unrolled: 1-line block ×3, first 2 shown]
	s_and_b32 s8, s29, 3
	s_cmp_eq_u32 s8, 0
	s_cbranch_scc1 .LBB13_97
.LBB13_95:
	s_lshl_b32 s2, s28, 3
	s_add_u32 s2, s34, s2
	s_addc_u32 s3, s35, 0
	s_add_u32 s2, s2, 0xc4
	s_addc_u32 s3, s3, 0
	s_mul_i32 s6, s28, 12
	s_add_u32 s6, s34, s6
	s_addc_u32 s7, s35, 0
.LBB13_96:                              ; =>This Inner Loop Header: Depth=1
	s_load_dwordx2 s[10:11], s[6:7], 0x4
	s_load_dword s9, s[6:7], 0xc
	s_load_dwordx2 s[12:13], s[2:3], 0x0
	s_add_u32 s6, s6, 12
	s_addc_u32 s7, s7, 0
	s_waitcnt lgkmcnt(0)
	v_mul_hi_u32 v7, s11, v4
	s_add_u32 s2, s2, 8
	s_addc_u32 s3, s3, 0
	s_add_i32 s8, s8, -1
	v_add_u32_e32 v7, v4, v7
	v_lshrrev_b32_e32 v7, s9, v7
	v_mul_lo_u32 v10, v7, s10
	s_cmp_lg_u32 s8, 0
	v_sub_u32_e32 v4, v4, v10
	v_mad_u64_u32 v[15:16], s[10:11], v4, s12, v[15:16]
	v_mad_u64_u32 v[17:18], s[10:11], v4, s13, v[17:18]
	v_mov_b32_e32 v4, v7
	s_cbranch_scc1 .LBB13_96
.LBB13_97:
	s_cbranch_execnz .LBB13_100
.LBB13_98:
	s_load_dwordx4 s[8:11], s[34:35], 0x4
	s_load_dwordx2 s[2:3], s[34:35], 0xc4
	s_cmp_lt_u32 s33, 2
	s_waitcnt lgkmcnt(0)
	v_mul_hi_u32 v4, s9, v1
	v_add_u32_e32 v4, v1, v4
	v_lshrrev_b32_e32 v4, s10, v4
	v_mul_lo_u32 v7, v4, s8
	v_sub_u32_e32 v1, v1, v7
	v_mul_lo_u32 v15, v1, s2
	v_mul_lo_u32 v17, v1, s3
	s_cbranch_scc1 .LBB13_100
; %bb.99:
	s_load_dwordx4 s[8:11], s[34:35], 0x10
	s_load_dwordx2 s[2:3], s[34:35], 0xcc
	s_waitcnt lgkmcnt(0)
	v_mul_hi_u32 v1, s9, v4
	v_add_u32_e32 v1, v4, v1
	v_lshrrev_b32_e32 v1, s10, v1
	v_mul_lo_u32 v1, v1, s8
	v_sub_u32_e32 v1, v4, v1
	v_mad_u64_u32 v[15:16], s[6:7], v1, s2, v[15:16]
	v_mad_u64_u32 v[17:18], s[2:3], v1, s3, v[17:18]
.LBB13_100:
	s_and_b64 vcc, exec, s[0:1]
	v_add_u32_e32 v1, 0x300, v19
	s_cbranch_vccnz .LBB13_106
; %bb.101:
	s_cmp_lg_u32 s33, 0
	s_mov_b32 s28, 0
	s_cbranch_scc0 .LBB13_107
; %bb.102:
	s_min_u32 s29, s58, 15
	s_add_i32 s29, s29, 1
	s_cmp_eq_u32 s58, 2
	s_cbranch_scc1 .LBB13_108
; %bb.103:
	s_and_b32 s28, s29, 28
	s_add_u32 s2, s34, 0xc4
	s_addc_u32 s3, s35, 0
	v_mov_b32_e32 v20, 0
	s_mov_b32 s30, 0
	s_mov_b64 s[6:7], s[34:35]
	v_mov_b32_e32 v18, 0
	v_mov_b32_e32 v4, v1
.LBB13_104:                             ; =>This Inner Loop Header: Depth=1
	s_load_dwordx8 s[16:23], s[6:7], 0x4
	s_load_dwordx4 s[24:27], s[6:7], 0x24
	s_load_dwordx8 s[8:15], s[2:3], 0x0
	s_add_u32 s6, s6, 48
	s_addc_u32 s7, s7, 0
	s_waitcnt lgkmcnt(0)
	v_mul_hi_u32 v7, s17, v4
	s_add_i32 s30, s30, 4
	s_add_u32 s2, s2, 32
	s_addc_u32 s3, s3, 0
	v_add_u32_e32 v7, v4, v7
	v_lshrrev_b32_e32 v7, s18, v7
	v_mul_lo_u32 v10, v7, s16
	v_mul_hi_u32 v13, s20, v7
	s_cmp_lg_u32 s28, s30
	v_sub_u32_e32 v4, v4, v10
	v_add_u32_e32 v10, v7, v13
	v_mul_lo_u32 v13, v4, s8
	v_mul_lo_u32 v16, v4, s9
	v_lshrrev_b32_e32 v4, s21, v10
	v_mul_lo_u32 v10, v4, s19
	v_mul_hi_u32 v19, s23, v4
	v_sub_u32_e32 v7, v7, v10
	v_add_u32_e32 v10, v4, v19
	v_lshrrev_b32_e32 v10, s24, v10
	v_mul_hi_u32 v21, s26, v10
	v_mul_lo_u32 v22, v10, s22
	v_mul_lo_u32 v19, v7, s10
	;; [unrolled: 1-line block ×3, first 2 shown]
	v_sub_u32_e32 v22, v4, v22
	v_add_u32_e32 v4, v10, v21
	v_lshrrev_b32_e32 v4, s27, v4
	v_mul_lo_u32 v21, v4, s25
	v_mul_lo_u32 v23, v22, s12
	;; [unrolled: 1-line block ×3, first 2 shown]
	v_add3_u32 v13, v13, v18, v19
	v_sub_u32_e32 v10, v10, v21
	v_mul_lo_u32 v21, v10, s14
	v_mul_lo_u32 v10, v10, s15
	v_add3_u32 v7, v16, v20, v7
	v_add3_u32 v18, v23, v13, v21
	;; [unrolled: 1-line block ×3, first 2 shown]
	s_cbranch_scc1 .LBB13_104
; %bb.105:
	s_and_b32 s8, s29, 3
	s_cmp_eq_u32 s8, 0
	s_cbranch_scc0 .LBB13_109
	s_branch .LBB13_111
.LBB13_106:
                                        ; implicit-def: $vgpr18
                                        ; implicit-def: $vgpr20
	s_branch .LBB13_112
.LBB13_107:
	v_mov_b32_e32 v18, 0
	v_mov_b32_e32 v20, 0
	s_branch .LBB13_111
.LBB13_108:
	v_mov_b32_e32 v18, 0
	v_mov_b32_e32 v20, 0
	;; [unrolled: 1-line block ×3, first 2 shown]
	s_and_b32 s8, s29, 3
	s_cmp_eq_u32 s8, 0
	s_cbranch_scc1 .LBB13_111
.LBB13_109:
	s_lshl_b32 s2, s28, 3
	s_add_u32 s2, s34, s2
	s_addc_u32 s3, s35, 0
	s_add_u32 s2, s2, 0xc4
	s_addc_u32 s3, s3, 0
	s_mul_i32 s6, s28, 12
	s_add_u32 s6, s34, s6
	s_addc_u32 s7, s35, 0
.LBB13_110:                             ; =>This Inner Loop Header: Depth=1
	s_load_dwordx2 s[10:11], s[6:7], 0x4
	s_load_dword s9, s[6:7], 0xc
	s_load_dwordx2 s[12:13], s[2:3], 0x0
	s_add_u32 s6, s6, 12
	s_addc_u32 s7, s7, 0
	s_waitcnt lgkmcnt(0)
	v_mul_hi_u32 v7, s11, v4
	s_add_u32 s2, s2, 8
	s_addc_u32 s3, s3, 0
	s_add_i32 s8, s8, -1
	v_add_u32_e32 v7, v4, v7
	v_lshrrev_b32_e32 v7, s9, v7
	v_mul_lo_u32 v10, v7, s10
	s_cmp_lg_u32 s8, 0
	v_sub_u32_e32 v4, v4, v10
	v_mad_u64_u32 v[18:19], s[10:11], v4, s12, v[18:19]
	v_mad_u64_u32 v[20:21], s[10:11], v4, s13, v[20:21]
	v_mov_b32_e32 v4, v7
	s_cbranch_scc1 .LBB13_110
.LBB13_111:
	s_cbranch_execnz .LBB13_114
.LBB13_112:
	s_load_dwordx4 s[8:11], s[34:35], 0x4
	s_load_dwordx2 s[2:3], s[34:35], 0xc4
	s_cmp_lt_u32 s33, 2
	s_waitcnt lgkmcnt(0)
	v_mul_hi_u32 v4, s9, v1
	v_add_u32_e32 v4, v1, v4
	v_lshrrev_b32_e32 v4, s10, v4
	v_mul_lo_u32 v7, v4, s8
	v_sub_u32_e32 v1, v1, v7
	v_mul_lo_u32 v18, v1, s2
	v_mul_lo_u32 v20, v1, s3
	s_cbranch_scc1 .LBB13_114
; %bb.113:
	s_load_dwordx4 s[8:11], s[34:35], 0x10
	s_load_dwordx2 s[2:3], s[34:35], 0xcc
	s_waitcnt lgkmcnt(0)
	v_mul_hi_u32 v1, s9, v4
	v_add_u32_e32 v1, v4, v1
	v_lshrrev_b32_e32 v1, s10, v1
	v_mul_lo_u32 v1, v1, s8
	v_sub_u32_e32 v1, v4, v1
	v_mad_u64_u32 v[18:19], s[6:7], v1, s2, v[18:19]
	v_mad_u64_u32 v[20:21], s[2:3], v1, s3, v[20:21]
.LBB13_114:
	s_and_b64 vcc, exec, s[0:1]
	s_cbranch_vccnz .LBB13_120
; %bb.115:
	s_cmp_lg_u32 s33, 0
	s_mov_b32 s26, 0
	s_cbranch_scc0 .LBB13_121
; %bb.116:
	s_min_u32 s27, s58, 15
	s_add_i32 s27, s27, 1
	s_cmp_eq_u32 s58, 2
	s_cbranch_scc1 .LBB13_122
; %bb.117:
	s_and_b32 s26, s27, 28
	s_add_u32 s6, s34, 0xc4
	s_addc_u32 s7, s35, 0
	v_mov_b32_e32 v23, 0
	s_mov_b32 s28, 0
	s_mov_b64 s[24:25], s[34:35]
	v_mov_b32_e32 v21, 0
	v_mov_b32_e32 v1, v25
.LBB13_118:                             ; =>This Inner Loop Header: Depth=1
	s_load_dwordx8 s[16:23], s[24:25], 0x4
	s_load_dwordx4 s[0:3], s[24:25], 0x24
	s_load_dwordx8 s[8:15], s[6:7], 0x0
	s_add_u32 s24, s24, 48
	s_addc_u32 s25, s25, 0
	s_waitcnt lgkmcnt(0)
	v_mul_hi_u32 v4, s17, v1
	s_add_i32 s28, s28, 4
	s_add_u32 s6, s6, 32
	s_addc_u32 s7, s7, 0
	v_add_u32_e32 v4, v1, v4
	v_lshrrev_b32_e32 v4, s18, v4
	v_mul_lo_u32 v7, v4, s16
	v_mul_hi_u32 v10, s20, v4
	s_cmp_lg_u32 s26, s28
	v_sub_u32_e32 v1, v1, v7
	v_add_u32_e32 v7, v4, v10
	v_mul_lo_u32 v10, v1, s8
	v_mul_lo_u32 v13, v1, s9
	v_lshrrev_b32_e32 v1, s21, v7
	v_mul_lo_u32 v7, v1, s19
	v_mul_hi_u32 v16, s23, v1
	v_sub_u32_e32 v4, v4, v7
	v_add_u32_e32 v7, v1, v16
	v_lshrrev_b32_e32 v7, s0, v7
	v_mul_hi_u32 v19, s2, v7
	v_mul_lo_u32 v22, v7, s22
	v_mul_lo_u32 v16, v4, s10
	;; [unrolled: 1-line block ×3, first 2 shown]
	v_sub_u32_e32 v22, v1, v22
	v_add_u32_e32 v1, v7, v19
	v_lshrrev_b32_e32 v1, s3, v1
	v_mul_lo_u32 v19, v1, s1
	v_mul_lo_u32 v24, v22, s12
	;; [unrolled: 1-line block ×3, first 2 shown]
	v_add3_u32 v10, v10, v21, v16
	v_sub_u32_e32 v7, v7, v19
	v_mul_lo_u32 v19, v7, s14
	v_mul_lo_u32 v7, v7, s15
	v_add3_u32 v4, v13, v23, v4
	v_add3_u32 v21, v24, v10, v19
	;; [unrolled: 1-line block ×3, first 2 shown]
	s_cbranch_scc1 .LBB13_118
; %bb.119:
	s_and_b32 s6, s27, 3
	s_cmp_eq_u32 s6, 0
	s_cbranch_scc0 .LBB13_123
	s_branch .LBB13_125
.LBB13_120:
                                        ; implicit-def: $vgpr21
                                        ; implicit-def: $vgpr23
	s_branch .LBB13_126
.LBB13_121:
	v_mov_b32_e32 v21, 0
	v_mov_b32_e32 v23, 0
	s_branch .LBB13_125
.LBB13_122:
	v_mov_b32_e32 v21, 0
	v_mov_b32_e32 v23, 0
	;; [unrolled: 1-line block ×3, first 2 shown]
	s_and_b32 s6, s27, 3
	s_cmp_eq_u32 s6, 0
	s_cbranch_scc1 .LBB13_125
.LBB13_123:
	s_lshl_b32 s0, s26, 3
	s_add_u32 s0, s34, s0
	s_addc_u32 s1, s35, 0
	s_add_u32 s0, s0, 0xc4
	s_addc_u32 s1, s1, 0
	s_mul_i32 s2, s26, 12
	s_add_u32 s2, s34, s2
	s_addc_u32 s3, s35, 0
.LBB13_124:                             ; =>This Inner Loop Header: Depth=1
	s_load_dwordx2 s[8:9], s[2:3], 0x4
	s_load_dword s7, s[2:3], 0xc
	s_load_dwordx2 s[10:11], s[0:1], 0x0
	s_add_u32 s2, s2, 12
	s_addc_u32 s3, s3, 0
	s_waitcnt lgkmcnt(0)
	v_mul_hi_u32 v4, s9, v1
	s_add_u32 s0, s0, 8
	s_addc_u32 s1, s1, 0
	s_add_i32 s6, s6, -1
	v_add_u32_e32 v4, v1, v4
	v_lshrrev_b32_e32 v4, s7, v4
	v_mul_lo_u32 v7, v4, s8
	s_cmp_lg_u32 s6, 0
	v_sub_u32_e32 v1, v1, v7
	v_mad_u64_u32 v[21:22], s[8:9], v1, s10, v[21:22]
	v_mad_u64_u32 v[23:24], s[8:9], v1, s11, v[23:24]
	v_mov_b32_e32 v1, v4
	s_cbranch_scc1 .LBB13_124
.LBB13_125:
	s_cbranch_execnz .LBB13_128
.LBB13_126:
	s_load_dwordx4 s[0:3], s[34:35], 0x4
	s_load_dwordx2 s[6:7], s[34:35], 0xc4
	s_cmp_lt_u32 s33, 2
	s_waitcnt lgkmcnt(0)
	v_mul_hi_u32 v1, s1, v25
	v_add_u32_e32 v1, v25, v1
	v_lshrrev_b32_e32 v1, s2, v1
	v_mul_lo_u32 v4, v1, s0
	v_sub_u32_e32 v4, v25, v4
	v_mul_lo_u32 v21, v4, s6
	v_mul_lo_u32 v23, v4, s7
	s_cbranch_scc1 .LBB13_128
; %bb.127:
	s_load_dwordx4 s[0:3], s[34:35], 0x10
	s_load_dwordx2 s[6:7], s[34:35], 0xcc
	s_waitcnt lgkmcnt(0)
	v_mul_hi_u32 v4, s1, v1
	v_add_u32_e32 v4, v1, v4
	v_lshrrev_b32_e32 v4, s2, v4
	v_mul_lo_u32 v4, v4, s0
	v_sub_u32_e32 v1, v1, v4
	v_mad_u64_u32 v[21:22], s[0:1], v1, s6, v[21:22]
	v_mad_u64_u32 v[23:24], s[0:1], v1, s7, v[23:24]
.LBB13_128:
	s_load_dwordx4 s[0:3], s[34:35], 0x148
	s_load_dword s6, s[4:5], 0x160
	s_waitcnt lgkmcnt(0)
	global_load_ubyte v1, v2, s[2:3]
	global_load_ubyte v4, v5, s[2:3]
	global_load_ubyte v7, v8, s[2:3]
	global_load_ubyte v10, v11, s[2:3]
	global_load_ubyte v13, v14, s[2:3]
	global_load_ubyte v16, v17, s[2:3]
	global_load_ubyte v19, v20, s[2:3]
	global_load_ubyte v22, v23, s[2:3]
	s_lshr_b32 s2, s6, 8
	s_bfe_u32 s3, s6, 0x80008
	s_cmp_gt_u32 s3, 7
	s_waitcnt vmcnt(7)
	v_lshlrev_b32_e32 v1, s2, v1
	s_waitcnt vmcnt(6)
	v_lshlrev_b32_e32 v2, s2, v4
	;; [unrolled: 2-line block ×8, first 2 shown]
	s_cselect_b64 s[2:3], -1, 0
	v_cndmask_b32_e64 v1, v1, 0, s[2:3]
	v_cndmask_b32_e64 v2, v2, 0, s[2:3]
	;; [unrolled: 1-line block ×8, first 2 shown]
	global_store_byte v0, v1, s[0:1]
	global_store_byte v3, v2, s[0:1]
	;; [unrolled: 1-line block ×8, first 2 shown]
	s_endpgm
.LBB13_129:
	v_mov_b32_e32 v0, 0
	v_mov_b32_e32 v2, 0
	s_branch .LBB13_135
.LBB13_130:
	v_mov_b32_e32 v0, 0
	v_mov_b32_e32 v2, 0
	s_branch .LBB13_151
.LBB13_131:
	s_mov_b32 s62, 0
	v_mov_b32_e32 v0, 0
	v_mov_b32_e32 v2, 0
	;; [unrolled: 1-line block ×3, first 2 shown]
.LBB13_132:
	s_and_b32 s12, s63, 3
	s_cmp_eq_u32 s12, 0
	s_cbranch_scc1 .LBB13_135
; %bb.133:
	s_lshl_b32 s8, s62, 3
	s_add_u32 s8, s34, s8
	s_addc_u32 s9, s35, 0
	s_add_u32 s8, s8, 0xc4
	s_addc_u32 s9, s9, 0
	s_mul_i32 s10, s62, 12
	s_add_u32 s10, s34, s10
	s_addc_u32 s11, s35, 0
.LBB13_134:                             ; =>This Inner Loop Header: Depth=1
	s_load_dwordx2 s[14:15], s[10:11], 0x4
	s_load_dword s13, s[10:11], 0xc
	s_load_dwordx2 s[16:17], s[8:9], 0x0
	s_add_u32 s10, s10, 12
	s_addc_u32 s11, s11, 0
	s_waitcnt lgkmcnt(0)
	v_mul_hi_u32 v3, s15, v1
	s_add_u32 s8, s8, 8
	s_addc_u32 s9, s9, 0
	s_add_i32 s12, s12, -1
	v_add_u32_e32 v3, v1, v3
	v_lshrrev_b32_e32 v4, s13, v3
	v_mul_lo_u32 v3, v4, s14
	s_cmp_lg_u32 s12, 0
	v_sub_u32_e32 v3, v1, v3
	v_mad_u64_u32 v[0:1], s[14:15], v3, s16, v[0:1]
	v_mad_u64_u32 v[2:3], s[14:15], v3, s17, v[2:3]
	v_mov_b32_e32 v1, v4
	s_cbranch_scc1 .LBB13_134
.LBB13_135:
	s_cbranch_execnz .LBB13_138
.LBB13_136:
	v_mul_hi_u32 v0, s25, v19
	s_andn2_b64 vcc, exec, s[46:47]
	v_add_u32_e32 v0, v19, v0
	v_lshrrev_b32_e32 v1, s26, v0
	v_mul_lo_u32 v0, v1, s24
	v_sub_u32_e32 v2, v19, v0
	v_mul_lo_u32 v0, v2, s28
	v_mul_lo_u32 v2, v2, s29
	s_cbranch_vccnz .LBB13_138
; %bb.137:
	v_mul_hi_u32 v3, s44, v1
	v_add_u32_e32 v3, v1, v3
	v_lshrrev_b32_e32 v3, s45, v3
	v_mul_lo_u32 v3, v3, s27
	v_sub_u32_e32 v3, v1, v3
	v_mad_u64_u32 v[0:1], s[8:9], v3, s30, v[0:1]
	v_mad_u64_u32 v[2:3], s[8:9], v3, s31, v[2:3]
.LBB13_138:
	global_load_ubyte v1, v2, s[2:3]
	v_add_u32_e32 v19, 0x80, v19
	s_waitcnt vmcnt(0)
	v_lshlrev_b32_e32 v1, s59, v1
	v_cndmask_b32_e64 v1, v1, 0, s[42:43]
	global_store_byte v0, v1, s[0:1]
	s_or_b64 exec, exec, s[52:53]
	v_cmp_gt_i32_e32 vcc, s60, v19
	s_and_saveexec_b64 s[52:53], vcc
	s_cbranch_execnz .LBB13_15
.LBB13_139:
	s_or_b64 exec, exec, s[52:53]
	v_cmp_gt_i32_e32 vcc, s60, v19
	s_and_saveexec_b64 s[52:53], vcc
	s_cbranch_execz .LBB13_155
.LBB13_140:
	s_andn2_b64 vcc, exec, s[6:7]
	s_cbranch_vccnz .LBB13_145
; %bb.141:
	s_andn2_b64 vcc, exec, s[50:51]
	s_cbranch_vccnz .LBB13_146
; %bb.142:
	s_add_i32 s63, s61, 1
	s_cmp_eq_u32 s58, 2
	s_cbranch_scc1 .LBB13_163
; %bb.143:
	s_and_b32 s62, s63, 28
	v_mov_b32_e32 v2, 0
	s_mov_b32 s64, 0
	s_mov_b64 s[54:55], s[34:35]
	s_mov_b64 s[56:57], s[48:49]
	v_mov_b32_e32 v0, 0
	v_mov_b32_e32 v1, v19
.LBB13_144:                             ; =>This Inner Loop Header: Depth=1
	s_load_dwordx8 s[16:23], s[54:55], 0x4
	s_load_dwordx4 s[36:39], s[54:55], 0x24
	s_load_dwordx8 s[8:15], s[56:57], 0x0
	s_add_u32 s54, s54, 48
	s_addc_u32 s55, s55, 0
	s_waitcnt lgkmcnt(0)
	v_mul_hi_u32 v3, s17, v1
	s_add_i32 s64, s64, 4
	s_add_u32 s56, s56, 32
	s_addc_u32 s57, s57, 0
	v_add_u32_e32 v3, v1, v3
	v_lshrrev_b32_e32 v3, s18, v3
	v_mul_lo_u32 v4, v3, s16
	v_mul_hi_u32 v5, s20, v3
	s_cmp_eq_u32 s62, s64
	v_sub_u32_e32 v1, v1, v4
	v_add_u32_e32 v4, v3, v5
	v_mul_lo_u32 v5, v1, s8
	v_mul_lo_u32 v6, v1, s9
	v_lshrrev_b32_e32 v1, s21, v4
	v_mul_lo_u32 v4, v1, s19
	v_mul_hi_u32 v7, s23, v1
	v_sub_u32_e32 v3, v3, v4
	v_add_u32_e32 v4, v1, v7
	v_lshrrev_b32_e32 v4, s36, v4
	v_mul_hi_u32 v8, s38, v4
	v_mul_lo_u32 v9, v4, s22
	v_mul_lo_u32 v7, v3, s10
	;; [unrolled: 1-line block ×3, first 2 shown]
	v_sub_u32_e32 v9, v1, v9
	v_add_u32_e32 v1, v4, v8
	v_lshrrev_b32_e32 v1, s39, v1
	v_mul_lo_u32 v8, v1, s37
	v_mul_lo_u32 v10, v9, s12
	;; [unrolled: 1-line block ×3, first 2 shown]
	v_add3_u32 v0, v5, v0, v7
	v_sub_u32_e32 v4, v4, v8
	v_mul_lo_u32 v8, v4, s14
	v_mul_lo_u32 v4, v4, s15
	v_add3_u32 v2, v6, v2, v3
	v_add3_u32 v0, v10, v0, v8
	;; [unrolled: 1-line block ×3, first 2 shown]
	s_cbranch_scc0 .LBB13_144
	s_branch .LBB13_164
.LBB13_145:
                                        ; implicit-def: $vgpr0
                                        ; implicit-def: $vgpr2
	s_branch .LBB13_168
.LBB13_146:
	v_mov_b32_e32 v0, 0
	v_mov_b32_e32 v2, 0
	s_branch .LBB13_167
.LBB13_147:
	s_mov_b32 s62, 0
	v_mov_b32_e32 v0, 0
	v_mov_b32_e32 v2, 0
	v_mov_b32_e32 v1, v19
.LBB13_148:
	s_and_b32 s12, s63, 3
	s_cmp_eq_u32 s12, 0
	s_cbranch_scc1 .LBB13_151
; %bb.149:
	s_lshl_b32 s8, s62, 3
	s_add_u32 s8, s34, s8
	s_addc_u32 s9, s35, 0
	s_add_u32 s8, s8, 0xc4
	s_addc_u32 s9, s9, 0
	s_mul_i32 s10, s62, 12
	s_add_u32 s10, s34, s10
	s_addc_u32 s11, s35, 0
.LBB13_150:                             ; =>This Inner Loop Header: Depth=1
	s_load_dwordx2 s[14:15], s[10:11], 0x4
	s_load_dword s13, s[10:11], 0xc
	s_load_dwordx2 s[16:17], s[8:9], 0x0
	s_add_u32 s10, s10, 12
	s_addc_u32 s11, s11, 0
	s_waitcnt lgkmcnt(0)
	v_mul_hi_u32 v3, s15, v1
	s_add_u32 s8, s8, 8
	s_addc_u32 s9, s9, 0
	s_add_i32 s12, s12, -1
	v_add_u32_e32 v3, v1, v3
	v_lshrrev_b32_e32 v4, s13, v3
	v_mul_lo_u32 v3, v4, s14
	s_cmp_lg_u32 s12, 0
	v_sub_u32_e32 v3, v1, v3
	v_mad_u64_u32 v[0:1], s[14:15], v3, s16, v[0:1]
	v_mad_u64_u32 v[2:3], s[14:15], v3, s17, v[2:3]
	v_mov_b32_e32 v1, v4
	s_cbranch_scc1 .LBB13_150
.LBB13_151:
	s_cbranch_execnz .LBB13_154
.LBB13_152:
	v_mul_hi_u32 v0, s25, v19
	s_andn2_b64 vcc, exec, s[46:47]
	v_add_u32_e32 v0, v19, v0
	v_lshrrev_b32_e32 v1, s26, v0
	v_mul_lo_u32 v0, v1, s24
	v_sub_u32_e32 v2, v19, v0
	v_mul_lo_u32 v0, v2, s28
	v_mul_lo_u32 v2, v2, s29
	s_cbranch_vccnz .LBB13_154
; %bb.153:
	v_mul_hi_u32 v3, s44, v1
	v_add_u32_e32 v3, v1, v3
	v_lshrrev_b32_e32 v3, s45, v3
	v_mul_lo_u32 v3, v3, s27
	v_sub_u32_e32 v3, v1, v3
	v_mad_u64_u32 v[0:1], s[8:9], v3, s30, v[0:1]
	v_mad_u64_u32 v[2:3], s[8:9], v3, s31, v[2:3]
.LBB13_154:
	global_load_ubyte v1, v2, s[2:3]
	v_add_u32_e32 v19, 0x80, v19
	s_waitcnt vmcnt(0)
	v_lshlrev_b32_e32 v1, s59, v1
	v_cndmask_b32_e64 v1, v1, 0, s[42:43]
	global_store_byte v0, v1, s[0:1]
	s_or_b64 exec, exec, s[52:53]
	v_cmp_gt_i32_e32 vcc, s60, v19
	s_and_saveexec_b64 s[52:53], vcc
	s_cbranch_execnz .LBB13_140
.LBB13_155:
	s_or_b64 exec, exec, s[52:53]
	v_cmp_gt_i32_e32 vcc, s60, v19
	s_and_saveexec_b64 s[52:53], vcc
	s_cbranch_execz .LBB13_171
.LBB13_156:
	s_andn2_b64 vcc, exec, s[6:7]
	s_cbranch_vccnz .LBB13_161
; %bb.157:
	s_andn2_b64 vcc, exec, s[50:51]
	s_cbranch_vccnz .LBB13_162
; %bb.158:
	s_add_i32 s63, s61, 1
	s_cmp_eq_u32 s58, 2
	s_cbranch_scc1 .LBB13_179
; %bb.159:
	s_and_b32 s62, s63, 28
	v_mov_b32_e32 v2, 0
	s_mov_b32 s64, 0
	s_mov_b64 s[54:55], s[34:35]
	s_mov_b64 s[56:57], s[48:49]
	v_mov_b32_e32 v0, 0
	v_mov_b32_e32 v1, v19
.LBB13_160:                             ; =>This Inner Loop Header: Depth=1
	s_load_dwordx8 s[16:23], s[54:55], 0x4
	s_load_dwordx4 s[36:39], s[54:55], 0x24
	s_load_dwordx8 s[8:15], s[56:57], 0x0
	s_add_u32 s54, s54, 48
	s_addc_u32 s55, s55, 0
	s_waitcnt lgkmcnt(0)
	v_mul_hi_u32 v3, s17, v1
	s_add_i32 s64, s64, 4
	s_add_u32 s56, s56, 32
	s_addc_u32 s57, s57, 0
	v_add_u32_e32 v3, v1, v3
	v_lshrrev_b32_e32 v3, s18, v3
	v_mul_lo_u32 v4, v3, s16
	v_mul_hi_u32 v5, s20, v3
	s_cmp_eq_u32 s62, s64
	v_sub_u32_e32 v1, v1, v4
	v_add_u32_e32 v4, v3, v5
	v_mul_lo_u32 v5, v1, s8
	v_mul_lo_u32 v6, v1, s9
	v_lshrrev_b32_e32 v1, s21, v4
	v_mul_lo_u32 v4, v1, s19
	v_mul_hi_u32 v7, s23, v1
	v_sub_u32_e32 v3, v3, v4
	v_add_u32_e32 v4, v1, v7
	v_lshrrev_b32_e32 v4, s36, v4
	v_mul_hi_u32 v8, s38, v4
	v_mul_lo_u32 v9, v4, s22
	v_mul_lo_u32 v7, v3, s10
	;; [unrolled: 1-line block ×3, first 2 shown]
	v_sub_u32_e32 v9, v1, v9
	v_add_u32_e32 v1, v4, v8
	v_lshrrev_b32_e32 v1, s39, v1
	v_mul_lo_u32 v8, v1, s37
	v_mul_lo_u32 v10, v9, s12
	;; [unrolled: 1-line block ×3, first 2 shown]
	v_add3_u32 v0, v5, v0, v7
	v_sub_u32_e32 v4, v4, v8
	v_mul_lo_u32 v8, v4, s14
	v_mul_lo_u32 v4, v4, s15
	v_add3_u32 v2, v6, v2, v3
	v_add3_u32 v0, v10, v0, v8
	;; [unrolled: 1-line block ×3, first 2 shown]
	s_cbranch_scc0 .LBB13_160
	s_branch .LBB13_180
.LBB13_161:
                                        ; implicit-def: $vgpr0
                                        ; implicit-def: $vgpr2
	s_branch .LBB13_184
.LBB13_162:
	v_mov_b32_e32 v0, 0
	v_mov_b32_e32 v2, 0
	s_branch .LBB13_183
.LBB13_163:
	s_mov_b32 s62, 0
	v_mov_b32_e32 v0, 0
	v_mov_b32_e32 v2, 0
	;; [unrolled: 1-line block ×3, first 2 shown]
.LBB13_164:
	s_and_b32 s12, s63, 3
	s_cmp_eq_u32 s12, 0
	s_cbranch_scc1 .LBB13_167
; %bb.165:
	s_lshl_b32 s8, s62, 3
	s_add_u32 s8, s34, s8
	s_addc_u32 s9, s35, 0
	s_add_u32 s8, s8, 0xc4
	s_addc_u32 s9, s9, 0
	s_mul_i32 s10, s62, 12
	s_add_u32 s10, s34, s10
	s_addc_u32 s11, s35, 0
.LBB13_166:                             ; =>This Inner Loop Header: Depth=1
	s_load_dwordx2 s[14:15], s[10:11], 0x4
	s_load_dword s13, s[10:11], 0xc
	s_load_dwordx2 s[16:17], s[8:9], 0x0
	s_add_u32 s10, s10, 12
	s_addc_u32 s11, s11, 0
	s_waitcnt lgkmcnt(0)
	v_mul_hi_u32 v3, s15, v1
	s_add_u32 s8, s8, 8
	s_addc_u32 s9, s9, 0
	s_add_i32 s12, s12, -1
	v_add_u32_e32 v3, v1, v3
	v_lshrrev_b32_e32 v4, s13, v3
	v_mul_lo_u32 v3, v4, s14
	s_cmp_lg_u32 s12, 0
	v_sub_u32_e32 v3, v1, v3
	v_mad_u64_u32 v[0:1], s[14:15], v3, s16, v[0:1]
	v_mad_u64_u32 v[2:3], s[14:15], v3, s17, v[2:3]
	v_mov_b32_e32 v1, v4
	s_cbranch_scc1 .LBB13_166
.LBB13_167:
	s_cbranch_execnz .LBB13_170
.LBB13_168:
	v_mul_hi_u32 v0, s25, v19
	s_andn2_b64 vcc, exec, s[46:47]
	v_add_u32_e32 v0, v19, v0
	v_lshrrev_b32_e32 v1, s26, v0
	v_mul_lo_u32 v0, v1, s24
	v_sub_u32_e32 v2, v19, v0
	v_mul_lo_u32 v0, v2, s28
	v_mul_lo_u32 v2, v2, s29
	s_cbranch_vccnz .LBB13_170
; %bb.169:
	v_mul_hi_u32 v3, s44, v1
	v_add_u32_e32 v3, v1, v3
	v_lshrrev_b32_e32 v3, s45, v3
	v_mul_lo_u32 v3, v3, s27
	v_sub_u32_e32 v3, v1, v3
	v_mad_u64_u32 v[0:1], s[8:9], v3, s30, v[0:1]
	v_mad_u64_u32 v[2:3], s[8:9], v3, s31, v[2:3]
.LBB13_170:
	global_load_ubyte v1, v2, s[2:3]
	v_add_u32_e32 v19, 0x80, v19
	s_waitcnt vmcnt(0)
	v_lshlrev_b32_e32 v1, s59, v1
	v_cndmask_b32_e64 v1, v1, 0, s[42:43]
	global_store_byte v0, v1, s[0:1]
	s_or_b64 exec, exec, s[52:53]
	v_cmp_gt_i32_e32 vcc, s60, v19
	s_and_saveexec_b64 s[52:53], vcc
	s_cbranch_execnz .LBB13_156
.LBB13_171:
	s_or_b64 exec, exec, s[52:53]
	v_cmp_gt_i32_e32 vcc, s60, v19
	s_and_saveexec_b64 s[52:53], vcc
	s_cbranch_execz .LBB13_187
.LBB13_172:
	s_andn2_b64 vcc, exec, s[6:7]
	s_cbranch_vccnz .LBB13_177
; %bb.173:
	s_andn2_b64 vcc, exec, s[50:51]
	s_cbranch_vccnz .LBB13_178
; %bb.174:
	s_add_i32 s63, s61, 1
	s_cmp_eq_u32 s58, 2
	s_cbranch_scc1 .LBB13_195
; %bb.175:
	s_and_b32 s62, s63, 28
	v_mov_b32_e32 v2, 0
	s_mov_b32 s64, 0
	s_mov_b64 s[54:55], s[34:35]
	s_mov_b64 s[56:57], s[48:49]
	v_mov_b32_e32 v0, 0
	v_mov_b32_e32 v1, v19
.LBB13_176:                             ; =>This Inner Loop Header: Depth=1
	s_load_dwordx8 s[16:23], s[54:55], 0x4
	s_load_dwordx4 s[36:39], s[54:55], 0x24
	s_load_dwordx8 s[8:15], s[56:57], 0x0
	s_add_u32 s54, s54, 48
	s_addc_u32 s55, s55, 0
	s_waitcnt lgkmcnt(0)
	v_mul_hi_u32 v3, s17, v1
	s_add_i32 s64, s64, 4
	s_add_u32 s56, s56, 32
	s_addc_u32 s57, s57, 0
	v_add_u32_e32 v3, v1, v3
	v_lshrrev_b32_e32 v3, s18, v3
	v_mul_lo_u32 v4, v3, s16
	v_mul_hi_u32 v5, s20, v3
	s_cmp_eq_u32 s62, s64
	v_sub_u32_e32 v1, v1, v4
	v_add_u32_e32 v4, v3, v5
	v_mul_lo_u32 v5, v1, s8
	v_mul_lo_u32 v6, v1, s9
	v_lshrrev_b32_e32 v1, s21, v4
	v_mul_lo_u32 v4, v1, s19
	v_mul_hi_u32 v7, s23, v1
	v_sub_u32_e32 v3, v3, v4
	v_add_u32_e32 v4, v1, v7
	v_lshrrev_b32_e32 v4, s36, v4
	v_mul_hi_u32 v8, s38, v4
	v_mul_lo_u32 v9, v4, s22
	v_mul_lo_u32 v7, v3, s10
	;; [unrolled: 1-line block ×3, first 2 shown]
	v_sub_u32_e32 v9, v1, v9
	v_add_u32_e32 v1, v4, v8
	v_lshrrev_b32_e32 v1, s39, v1
	v_mul_lo_u32 v8, v1, s37
	v_mul_lo_u32 v10, v9, s12
	;; [unrolled: 1-line block ×3, first 2 shown]
	v_add3_u32 v0, v5, v0, v7
	v_sub_u32_e32 v4, v4, v8
	v_mul_lo_u32 v8, v4, s14
	v_mul_lo_u32 v4, v4, s15
	v_add3_u32 v2, v6, v2, v3
	v_add3_u32 v0, v10, v0, v8
	;; [unrolled: 1-line block ×3, first 2 shown]
	s_cbranch_scc0 .LBB13_176
	s_branch .LBB13_196
.LBB13_177:
                                        ; implicit-def: $vgpr0
                                        ; implicit-def: $vgpr2
	s_branch .LBB13_200
.LBB13_178:
	v_mov_b32_e32 v0, 0
	v_mov_b32_e32 v2, 0
	s_branch .LBB13_199
.LBB13_179:
	s_mov_b32 s62, 0
	v_mov_b32_e32 v0, 0
	v_mov_b32_e32 v2, 0
	v_mov_b32_e32 v1, v19
.LBB13_180:
	s_and_b32 s12, s63, 3
	s_cmp_eq_u32 s12, 0
	s_cbranch_scc1 .LBB13_183
; %bb.181:
	s_lshl_b32 s8, s62, 3
	s_add_u32 s8, s34, s8
	s_addc_u32 s9, s35, 0
	s_add_u32 s8, s8, 0xc4
	s_addc_u32 s9, s9, 0
	s_mul_i32 s10, s62, 12
	s_add_u32 s10, s34, s10
	s_addc_u32 s11, s35, 0
.LBB13_182:                             ; =>This Inner Loop Header: Depth=1
	s_load_dwordx2 s[14:15], s[10:11], 0x4
	s_load_dword s13, s[10:11], 0xc
	s_load_dwordx2 s[16:17], s[8:9], 0x0
	s_add_u32 s10, s10, 12
	s_addc_u32 s11, s11, 0
	s_waitcnt lgkmcnt(0)
	v_mul_hi_u32 v3, s15, v1
	s_add_u32 s8, s8, 8
	s_addc_u32 s9, s9, 0
	s_add_i32 s12, s12, -1
	v_add_u32_e32 v3, v1, v3
	v_lshrrev_b32_e32 v4, s13, v3
	v_mul_lo_u32 v3, v4, s14
	s_cmp_lg_u32 s12, 0
	v_sub_u32_e32 v3, v1, v3
	v_mad_u64_u32 v[0:1], s[14:15], v3, s16, v[0:1]
	v_mad_u64_u32 v[2:3], s[14:15], v3, s17, v[2:3]
	v_mov_b32_e32 v1, v4
	s_cbranch_scc1 .LBB13_182
.LBB13_183:
	s_cbranch_execnz .LBB13_186
.LBB13_184:
	v_mul_hi_u32 v0, s25, v19
	s_andn2_b64 vcc, exec, s[46:47]
	v_add_u32_e32 v0, v19, v0
	v_lshrrev_b32_e32 v1, s26, v0
	v_mul_lo_u32 v0, v1, s24
	v_sub_u32_e32 v2, v19, v0
	v_mul_lo_u32 v0, v2, s28
	v_mul_lo_u32 v2, v2, s29
	s_cbranch_vccnz .LBB13_186
; %bb.185:
	v_mul_hi_u32 v3, s44, v1
	v_add_u32_e32 v3, v1, v3
	v_lshrrev_b32_e32 v3, s45, v3
	v_mul_lo_u32 v3, v3, s27
	v_sub_u32_e32 v3, v1, v3
	v_mad_u64_u32 v[0:1], s[8:9], v3, s30, v[0:1]
	v_mad_u64_u32 v[2:3], s[8:9], v3, s31, v[2:3]
.LBB13_186:
	global_load_ubyte v1, v2, s[2:3]
	v_add_u32_e32 v19, 0x80, v19
	s_waitcnt vmcnt(0)
	v_lshlrev_b32_e32 v1, s59, v1
	v_cndmask_b32_e64 v1, v1, 0, s[42:43]
	global_store_byte v0, v1, s[0:1]
	s_or_b64 exec, exec, s[52:53]
	v_cmp_gt_i32_e32 vcc, s60, v19
	s_and_saveexec_b64 s[52:53], vcc
	s_cbranch_execnz .LBB13_172
.LBB13_187:
	s_or_b64 exec, exec, s[52:53]
	v_cmp_gt_i32_e32 vcc, s60, v19
	s_and_saveexec_b64 s[52:53], vcc
	s_cbranch_execz .LBB13_203
.LBB13_188:
	s_andn2_b64 vcc, exec, s[6:7]
	s_cbranch_vccnz .LBB13_193
; %bb.189:
	s_andn2_b64 vcc, exec, s[50:51]
	s_cbranch_vccnz .LBB13_194
; %bb.190:
	s_add_i32 s63, s61, 1
	s_cmp_eq_u32 s58, 2
	s_cbranch_scc1 .LBB13_211
; %bb.191:
	s_and_b32 s62, s63, 28
	v_mov_b32_e32 v2, 0
	s_mov_b32 s64, 0
	s_mov_b64 s[54:55], s[34:35]
	s_mov_b64 s[56:57], s[48:49]
	v_mov_b32_e32 v0, 0
	v_mov_b32_e32 v1, v19
.LBB13_192:                             ; =>This Inner Loop Header: Depth=1
	s_load_dwordx8 s[16:23], s[54:55], 0x4
	s_load_dwordx4 s[36:39], s[54:55], 0x24
	s_load_dwordx8 s[8:15], s[56:57], 0x0
	s_add_u32 s54, s54, 48
	s_addc_u32 s55, s55, 0
	s_waitcnt lgkmcnt(0)
	v_mul_hi_u32 v3, s17, v1
	s_add_i32 s64, s64, 4
	s_add_u32 s56, s56, 32
	s_addc_u32 s57, s57, 0
	v_add_u32_e32 v3, v1, v3
	v_lshrrev_b32_e32 v3, s18, v3
	v_mul_lo_u32 v4, v3, s16
	v_mul_hi_u32 v5, s20, v3
	s_cmp_eq_u32 s62, s64
	v_sub_u32_e32 v1, v1, v4
	v_add_u32_e32 v4, v3, v5
	v_mul_lo_u32 v5, v1, s8
	v_mul_lo_u32 v6, v1, s9
	v_lshrrev_b32_e32 v1, s21, v4
	v_mul_lo_u32 v4, v1, s19
	v_mul_hi_u32 v7, s23, v1
	v_sub_u32_e32 v3, v3, v4
	v_add_u32_e32 v4, v1, v7
	v_lshrrev_b32_e32 v4, s36, v4
	v_mul_hi_u32 v8, s38, v4
	v_mul_lo_u32 v9, v4, s22
	v_mul_lo_u32 v7, v3, s10
	;; [unrolled: 1-line block ×3, first 2 shown]
	v_sub_u32_e32 v9, v1, v9
	v_add_u32_e32 v1, v4, v8
	v_lshrrev_b32_e32 v1, s39, v1
	v_mul_lo_u32 v8, v1, s37
	v_mul_lo_u32 v10, v9, s12
	;; [unrolled: 1-line block ×3, first 2 shown]
	v_add3_u32 v0, v5, v0, v7
	v_sub_u32_e32 v4, v4, v8
	v_mul_lo_u32 v8, v4, s14
	v_mul_lo_u32 v4, v4, s15
	v_add3_u32 v2, v6, v2, v3
	v_add3_u32 v0, v10, v0, v8
	;; [unrolled: 1-line block ×3, first 2 shown]
	s_cbranch_scc0 .LBB13_192
	s_branch .LBB13_212
.LBB13_193:
                                        ; implicit-def: $vgpr0
                                        ; implicit-def: $vgpr2
	s_branch .LBB13_216
.LBB13_194:
	v_mov_b32_e32 v0, 0
	v_mov_b32_e32 v2, 0
	s_branch .LBB13_215
.LBB13_195:
	s_mov_b32 s62, 0
	v_mov_b32_e32 v0, 0
	v_mov_b32_e32 v2, 0
	v_mov_b32_e32 v1, v19
.LBB13_196:
	s_and_b32 s12, s63, 3
	s_cmp_eq_u32 s12, 0
	s_cbranch_scc1 .LBB13_199
; %bb.197:
	s_lshl_b32 s8, s62, 3
	s_add_u32 s8, s34, s8
	s_addc_u32 s9, s35, 0
	s_add_u32 s8, s8, 0xc4
	s_addc_u32 s9, s9, 0
	s_mul_i32 s10, s62, 12
	s_add_u32 s10, s34, s10
	s_addc_u32 s11, s35, 0
.LBB13_198:                             ; =>This Inner Loop Header: Depth=1
	s_load_dwordx2 s[14:15], s[10:11], 0x4
	s_load_dword s13, s[10:11], 0xc
	s_load_dwordx2 s[16:17], s[8:9], 0x0
	s_add_u32 s10, s10, 12
	s_addc_u32 s11, s11, 0
	s_waitcnt lgkmcnt(0)
	v_mul_hi_u32 v3, s15, v1
	s_add_u32 s8, s8, 8
	s_addc_u32 s9, s9, 0
	s_add_i32 s12, s12, -1
	v_add_u32_e32 v3, v1, v3
	v_lshrrev_b32_e32 v4, s13, v3
	v_mul_lo_u32 v3, v4, s14
	s_cmp_lg_u32 s12, 0
	v_sub_u32_e32 v3, v1, v3
	v_mad_u64_u32 v[0:1], s[14:15], v3, s16, v[0:1]
	v_mad_u64_u32 v[2:3], s[14:15], v3, s17, v[2:3]
	v_mov_b32_e32 v1, v4
	s_cbranch_scc1 .LBB13_198
.LBB13_199:
	s_cbranch_execnz .LBB13_202
.LBB13_200:
	v_mul_hi_u32 v0, s25, v19
	s_andn2_b64 vcc, exec, s[46:47]
	v_add_u32_e32 v0, v19, v0
	v_lshrrev_b32_e32 v1, s26, v0
	v_mul_lo_u32 v0, v1, s24
	v_sub_u32_e32 v2, v19, v0
	v_mul_lo_u32 v0, v2, s28
	v_mul_lo_u32 v2, v2, s29
	s_cbranch_vccnz .LBB13_202
; %bb.201:
	v_mul_hi_u32 v3, s44, v1
	v_add_u32_e32 v3, v1, v3
	v_lshrrev_b32_e32 v3, s45, v3
	v_mul_lo_u32 v3, v3, s27
	v_sub_u32_e32 v3, v1, v3
	v_mad_u64_u32 v[0:1], s[8:9], v3, s30, v[0:1]
	v_mad_u64_u32 v[2:3], s[8:9], v3, s31, v[2:3]
.LBB13_202:
	global_load_ubyte v1, v2, s[2:3]
	v_add_u32_e32 v19, 0x80, v19
	s_waitcnt vmcnt(0)
	v_lshlrev_b32_e32 v1, s59, v1
	v_cndmask_b32_e64 v1, v1, 0, s[42:43]
	global_store_byte v0, v1, s[0:1]
	s_or_b64 exec, exec, s[52:53]
	v_cmp_gt_i32_e32 vcc, s60, v19
	s_and_saveexec_b64 s[52:53], vcc
	s_cbranch_execnz .LBB13_188
.LBB13_203:
	s_or_b64 exec, exec, s[52:53]
	v_cmp_gt_i32_e32 vcc, s60, v19
	s_and_saveexec_b64 s[52:53], vcc
	s_cbranch_execz .LBB13_219
.LBB13_204:
	s_andn2_b64 vcc, exec, s[6:7]
	s_cbranch_vccnz .LBB13_209
; %bb.205:
	s_andn2_b64 vcc, exec, s[50:51]
	s_cbranch_vccnz .LBB13_210
; %bb.206:
	s_add_i32 s63, s61, 1
	s_cmp_eq_u32 s58, 2
	s_cbranch_scc1 .LBB13_222
; %bb.207:
	s_and_b32 s62, s63, 28
	v_mov_b32_e32 v2, 0
	s_mov_b32 s64, 0
	s_mov_b64 s[54:55], s[34:35]
	s_mov_b64 s[56:57], s[48:49]
	v_mov_b32_e32 v0, 0
	v_mov_b32_e32 v1, v19
.LBB13_208:                             ; =>This Inner Loop Header: Depth=1
	s_load_dwordx8 s[16:23], s[54:55], 0x4
	s_load_dwordx4 s[36:39], s[54:55], 0x24
	s_load_dwordx8 s[8:15], s[56:57], 0x0
	s_add_u32 s54, s54, 48
	s_addc_u32 s55, s55, 0
	s_waitcnt lgkmcnt(0)
	v_mul_hi_u32 v3, s17, v1
	s_add_i32 s64, s64, 4
	s_add_u32 s56, s56, 32
	s_addc_u32 s57, s57, 0
	v_add_u32_e32 v3, v1, v3
	v_lshrrev_b32_e32 v3, s18, v3
	v_mul_lo_u32 v4, v3, s16
	v_mul_hi_u32 v5, s20, v3
	s_cmp_eq_u32 s62, s64
	v_sub_u32_e32 v1, v1, v4
	v_add_u32_e32 v4, v3, v5
	v_mul_lo_u32 v5, v1, s8
	v_mul_lo_u32 v6, v1, s9
	v_lshrrev_b32_e32 v1, s21, v4
	v_mul_lo_u32 v4, v1, s19
	v_mul_hi_u32 v7, s23, v1
	v_sub_u32_e32 v3, v3, v4
	v_add_u32_e32 v4, v1, v7
	v_lshrrev_b32_e32 v4, s36, v4
	v_mul_hi_u32 v8, s38, v4
	v_mul_lo_u32 v9, v4, s22
	v_mul_lo_u32 v7, v3, s10
	v_mul_lo_u32 v3, v3, s11
	v_sub_u32_e32 v9, v1, v9
	v_add_u32_e32 v1, v4, v8
	v_lshrrev_b32_e32 v1, s39, v1
	v_mul_lo_u32 v8, v1, s37
	v_mul_lo_u32 v10, v9, s12
	;; [unrolled: 1-line block ×3, first 2 shown]
	v_add3_u32 v0, v5, v0, v7
	v_sub_u32_e32 v4, v4, v8
	v_mul_lo_u32 v8, v4, s14
	v_mul_lo_u32 v4, v4, s15
	v_add3_u32 v2, v6, v2, v3
	v_add3_u32 v0, v10, v0, v8
	v_add3_u32 v2, v9, v2, v4
	s_cbranch_scc0 .LBB13_208
	s_branch .LBB13_223
.LBB13_209:
                                        ; implicit-def: $vgpr0
                                        ; implicit-def: $vgpr2
	s_branch .LBB13_227
.LBB13_210:
	v_mov_b32_e32 v0, 0
	v_mov_b32_e32 v2, 0
	s_branch .LBB13_226
.LBB13_211:
	s_mov_b32 s62, 0
	v_mov_b32_e32 v0, 0
	v_mov_b32_e32 v2, 0
	;; [unrolled: 1-line block ×3, first 2 shown]
.LBB13_212:
	s_and_b32 s12, s63, 3
	s_cmp_eq_u32 s12, 0
	s_cbranch_scc1 .LBB13_215
; %bb.213:
	s_lshl_b32 s8, s62, 3
	s_add_u32 s8, s34, s8
	s_addc_u32 s9, s35, 0
	s_add_u32 s8, s8, 0xc4
	s_addc_u32 s9, s9, 0
	s_mul_i32 s10, s62, 12
	s_add_u32 s10, s34, s10
	s_addc_u32 s11, s35, 0
.LBB13_214:                             ; =>This Inner Loop Header: Depth=1
	s_load_dwordx2 s[14:15], s[10:11], 0x4
	s_load_dword s13, s[10:11], 0xc
	s_load_dwordx2 s[16:17], s[8:9], 0x0
	s_add_u32 s10, s10, 12
	s_addc_u32 s11, s11, 0
	s_waitcnt lgkmcnt(0)
	v_mul_hi_u32 v3, s15, v1
	s_add_u32 s8, s8, 8
	s_addc_u32 s9, s9, 0
	s_add_i32 s12, s12, -1
	v_add_u32_e32 v3, v1, v3
	v_lshrrev_b32_e32 v4, s13, v3
	v_mul_lo_u32 v3, v4, s14
	s_cmp_lg_u32 s12, 0
	v_sub_u32_e32 v3, v1, v3
	v_mad_u64_u32 v[0:1], s[14:15], v3, s16, v[0:1]
	v_mad_u64_u32 v[2:3], s[14:15], v3, s17, v[2:3]
	v_mov_b32_e32 v1, v4
	s_cbranch_scc1 .LBB13_214
.LBB13_215:
	s_cbranch_execnz .LBB13_218
.LBB13_216:
	v_mul_hi_u32 v0, s25, v19
	s_andn2_b64 vcc, exec, s[46:47]
	v_add_u32_e32 v0, v19, v0
	v_lshrrev_b32_e32 v1, s26, v0
	v_mul_lo_u32 v0, v1, s24
	v_sub_u32_e32 v2, v19, v0
	v_mul_lo_u32 v0, v2, s28
	v_mul_lo_u32 v2, v2, s29
	s_cbranch_vccnz .LBB13_218
; %bb.217:
	v_mul_hi_u32 v3, s44, v1
	v_add_u32_e32 v3, v1, v3
	v_lshrrev_b32_e32 v3, s45, v3
	v_mul_lo_u32 v3, v3, s27
	v_sub_u32_e32 v3, v1, v3
	v_mad_u64_u32 v[0:1], s[8:9], v3, s30, v[0:1]
	v_mad_u64_u32 v[2:3], s[8:9], v3, s31, v[2:3]
.LBB13_218:
	global_load_ubyte v1, v2, s[2:3]
	v_add_u32_e32 v19, 0x80, v19
	s_waitcnt vmcnt(0)
	v_lshlrev_b32_e32 v1, s59, v1
	v_cndmask_b32_e64 v1, v1, 0, s[42:43]
	global_store_byte v0, v1, s[0:1]
	s_or_b64 exec, exec, s[52:53]
	v_cmp_gt_i32_e32 vcc, s60, v19
	s_and_saveexec_b64 s[52:53], vcc
	s_cbranch_execnz .LBB13_204
.LBB13_219:
	s_or_b64 exec, exec, s[52:53]
	v_cmp_gt_i32_e32 vcc, s60, v19
	s_and_saveexec_b64 s[52:53], vcc
	s_cbranch_execnz .LBB13_230
.LBB13_220:
	s_or_b64 exec, exec, s[52:53]
                                        ; implicit-def: $vgpr25
                                        ; implicit-def: $vgpr19
	s_andn2_saveexec_b64 s[0:1], s[40:41]
	s_cbranch_execnz .LBB13_8
.LBB13_221:
	s_endpgm
.LBB13_222:
	s_mov_b32 s62, 0
	v_mov_b32_e32 v0, 0
	v_mov_b32_e32 v2, 0
	;; [unrolled: 1-line block ×3, first 2 shown]
.LBB13_223:
	s_and_b32 s12, s63, 3
	s_cmp_eq_u32 s12, 0
	s_cbranch_scc1 .LBB13_226
; %bb.224:
	s_lshl_b32 s8, s62, 3
	s_add_u32 s8, s34, s8
	s_addc_u32 s9, s35, 0
	s_add_u32 s8, s8, 0xc4
	s_addc_u32 s9, s9, 0
	s_mul_i32 s10, s62, 12
	s_add_u32 s10, s34, s10
	s_addc_u32 s11, s35, 0
.LBB13_225:                             ; =>This Inner Loop Header: Depth=1
	s_load_dwordx2 s[14:15], s[10:11], 0x4
	s_load_dword s13, s[10:11], 0xc
	s_load_dwordx2 s[16:17], s[8:9], 0x0
	s_add_u32 s10, s10, 12
	s_addc_u32 s11, s11, 0
	s_waitcnt lgkmcnt(0)
	v_mul_hi_u32 v3, s15, v1
	s_add_u32 s8, s8, 8
	s_addc_u32 s9, s9, 0
	s_add_i32 s12, s12, -1
	v_add_u32_e32 v3, v1, v3
	v_lshrrev_b32_e32 v4, s13, v3
	v_mul_lo_u32 v3, v4, s14
	s_cmp_lg_u32 s12, 0
	v_sub_u32_e32 v3, v1, v3
	v_mad_u64_u32 v[0:1], s[14:15], v3, s16, v[0:1]
	v_mad_u64_u32 v[2:3], s[14:15], v3, s17, v[2:3]
	v_mov_b32_e32 v1, v4
	s_cbranch_scc1 .LBB13_225
.LBB13_226:
	s_cbranch_execnz .LBB13_229
.LBB13_227:
	v_mul_hi_u32 v0, s25, v19
	s_andn2_b64 vcc, exec, s[46:47]
	v_add_u32_e32 v0, v19, v0
	v_lshrrev_b32_e32 v1, s26, v0
	v_mul_lo_u32 v0, v1, s24
	v_sub_u32_e32 v2, v19, v0
	v_mul_lo_u32 v0, v2, s28
	v_mul_lo_u32 v2, v2, s29
	s_cbranch_vccnz .LBB13_229
; %bb.228:
	v_mul_hi_u32 v3, s44, v1
	v_add_u32_e32 v3, v1, v3
	v_lshrrev_b32_e32 v3, s45, v3
	v_mul_lo_u32 v3, v3, s27
	v_sub_u32_e32 v3, v1, v3
	v_mad_u64_u32 v[0:1], s[8:9], v3, s30, v[0:1]
	v_mad_u64_u32 v[2:3], s[8:9], v3, s31, v[2:3]
.LBB13_229:
	global_load_ubyte v1, v2, s[2:3]
	v_add_u32_e32 v19, 0x80, v19
	s_waitcnt vmcnt(0)
	v_lshlrev_b32_e32 v1, s59, v1
	v_cndmask_b32_e64 v1, v1, 0, s[42:43]
	global_store_byte v0, v1, s[0:1]
	s_or_b64 exec, exec, s[52:53]
	v_cmp_gt_i32_e32 vcc, s60, v19
	s_and_saveexec_b64 s[52:53], vcc
	s_cbranch_execz .LBB13_220
.LBB13_230:
	s_andn2_b64 vcc, exec, s[6:7]
	s_cbranch_vccnz .LBB13_235
; %bb.231:
	s_andn2_b64 vcc, exec, s[50:51]
	s_cbranch_vccnz .LBB13_236
; %bb.232:
	s_add_i32 s61, s61, 1
	s_cmp_eq_u32 s58, 2
	s_cbranch_scc1 .LBB13_237
; %bb.233:
	s_and_b32 s54, s61, 28
	v_mov_b32_e32 v2, 0
	s_mov_b32 s55, 0
	s_mov_b64 s[50:51], s[34:35]
	v_mov_b32_e32 v0, 0
	v_mov_b32_e32 v1, v19
.LBB13_234:                             ; =>This Inner Loop Header: Depth=1
	s_load_dwordx8 s[16:23], s[50:51], 0x4
	s_load_dwordx4 s[36:39], s[50:51], 0x24
	s_load_dwordx8 s[8:15], s[48:49], 0x0
	s_add_u32 s50, s50, 48
	s_addc_u32 s51, s51, 0
	s_waitcnt lgkmcnt(0)
	v_mul_hi_u32 v3, s17, v1
	s_add_i32 s55, s55, 4
	s_add_u32 s48, s48, 32
	s_addc_u32 s49, s49, 0
	v_add_u32_e32 v3, v1, v3
	v_lshrrev_b32_e32 v3, s18, v3
	v_mul_lo_u32 v4, v3, s16
	v_mul_hi_u32 v5, s20, v3
	s_cmp_eq_u32 s54, s55
	v_sub_u32_e32 v1, v1, v4
	v_add_u32_e32 v4, v3, v5
	v_mul_lo_u32 v5, v1, s8
	v_mul_lo_u32 v6, v1, s9
	v_lshrrev_b32_e32 v1, s21, v4
	v_mul_lo_u32 v4, v1, s19
	v_mul_hi_u32 v7, s23, v1
	v_sub_u32_e32 v3, v3, v4
	v_add_u32_e32 v4, v1, v7
	v_lshrrev_b32_e32 v4, s36, v4
	v_mul_hi_u32 v8, s38, v4
	v_mul_lo_u32 v9, v4, s22
	v_mul_lo_u32 v7, v3, s10
	;; [unrolled: 1-line block ×3, first 2 shown]
	v_sub_u32_e32 v9, v1, v9
	v_add_u32_e32 v1, v4, v8
	v_lshrrev_b32_e32 v1, s39, v1
	v_mul_lo_u32 v8, v1, s37
	v_mul_lo_u32 v10, v9, s12
	;; [unrolled: 1-line block ×3, first 2 shown]
	v_add3_u32 v0, v5, v0, v7
	v_sub_u32_e32 v4, v4, v8
	v_mul_lo_u32 v8, v4, s14
	v_mul_lo_u32 v4, v4, s15
	v_add3_u32 v2, v6, v2, v3
	v_add3_u32 v0, v10, v0, v8
	;; [unrolled: 1-line block ×3, first 2 shown]
	s_cbranch_scc0 .LBB13_234
	s_branch .LBB13_238
.LBB13_235:
                                        ; implicit-def: $vgpr0
                                        ; implicit-def: $vgpr2
	s_branch .LBB13_242
.LBB13_236:
	v_mov_b32_e32 v0, 0
	v_mov_b32_e32 v2, 0
	s_branch .LBB13_241
.LBB13_237:
	s_mov_b32 s54, 0
	v_mov_b32_e32 v0, 0
	v_mov_b32_e32 v2, 0
	;; [unrolled: 1-line block ×3, first 2 shown]
.LBB13_238:
	s_and_b32 s12, s61, 3
	s_cmp_eq_u32 s12, 0
	s_cbranch_scc1 .LBB13_241
; %bb.239:
	s_lshl_b32 s8, s54, 3
	s_add_u32 s8, s34, s8
	s_addc_u32 s9, s35, 0
	s_add_u32 s8, s8, 0xc4
	s_addc_u32 s9, s9, 0
	s_mul_i32 s10, s54, 12
	s_add_u32 s10, s34, s10
	s_addc_u32 s11, s35, 0
.LBB13_240:                             ; =>This Inner Loop Header: Depth=1
	s_load_dwordx2 s[14:15], s[10:11], 0x4
	s_load_dword s13, s[10:11], 0xc
	s_load_dwordx2 s[16:17], s[8:9], 0x0
	s_add_u32 s10, s10, 12
	s_addc_u32 s11, s11, 0
	s_waitcnt lgkmcnt(0)
	v_mul_hi_u32 v3, s15, v1
	s_add_u32 s8, s8, 8
	s_addc_u32 s9, s9, 0
	s_add_i32 s12, s12, -1
	v_add_u32_e32 v3, v1, v3
	v_lshrrev_b32_e32 v4, s13, v3
	v_mul_lo_u32 v3, v4, s14
	s_cmp_lg_u32 s12, 0
	v_sub_u32_e32 v3, v1, v3
	v_mad_u64_u32 v[0:1], s[14:15], v3, s16, v[0:1]
	v_mad_u64_u32 v[2:3], s[14:15], v3, s17, v[2:3]
	v_mov_b32_e32 v1, v4
	s_cbranch_scc1 .LBB13_240
.LBB13_241:
	s_cbranch_execnz .LBB13_244
.LBB13_242:
	v_mul_hi_u32 v0, s25, v19
	s_andn2_b64 vcc, exec, s[46:47]
	v_add_u32_e32 v0, v19, v0
	v_lshrrev_b32_e32 v1, s26, v0
	v_mul_lo_u32 v0, v1, s24
	v_sub_u32_e32 v2, v19, v0
	v_mul_lo_u32 v0, v2, s28
	v_mul_lo_u32 v2, v2, s29
	s_cbranch_vccnz .LBB13_244
; %bb.243:
	v_mul_hi_u32 v3, s44, v1
	v_add_u32_e32 v3, v1, v3
	v_lshrrev_b32_e32 v3, s45, v3
	v_mul_lo_u32 v3, v3, s27
	v_sub_u32_e32 v3, v1, v3
	v_mad_u64_u32 v[0:1], s[8:9], v3, s30, v[0:1]
	v_mad_u64_u32 v[2:3], s[8:9], v3, s31, v[2:3]
.LBB13_244:
	global_load_ubyte v1, v2, s[2:3]
	s_waitcnt vmcnt(0)
	v_lshlrev_b32_e32 v1, s59, v1
	v_cndmask_b32_e64 v1, v1, 0, s[42:43]
	global_store_byte v0, v1, s[0:1]
	s_or_b64 exec, exec, s[52:53]
                                        ; implicit-def: $vgpr25
                                        ; implicit-def: $vgpr19
	s_andn2_saveexec_b64 s[0:1], s[40:41]
	s_cbranch_execz .LBB13_221
	s_branch .LBB13_8
	.section	.rodata,"a",@progbits
	.p2align	6, 0x0
	.amdhsa_kernel _ZN2at6native32elementwise_kernel_manual_unrollILi128ELi8EZNS0_22gpu_kernel_impl_nocastINS0_13BUnaryFunctorIhhhZZZNS0_18lshift_kernel_cudaERNS_18TensorIteratorBaseEENKUlvE_clEvENKUlvE_clEvEUlhhE_EEEEvS5_RKT_EUlibE_EEviT1_
		.amdhsa_group_segment_fixed_size 0
		.amdhsa_private_segment_fixed_size 0
		.amdhsa_kernarg_size 360
		.amdhsa_user_sgpr_count 6
		.amdhsa_user_sgpr_private_segment_buffer 1
		.amdhsa_user_sgpr_dispatch_ptr 0
		.amdhsa_user_sgpr_queue_ptr 0
		.amdhsa_user_sgpr_kernarg_segment_ptr 1
		.amdhsa_user_sgpr_dispatch_id 0
		.amdhsa_user_sgpr_flat_scratch_init 0
		.amdhsa_user_sgpr_private_segment_size 0
		.amdhsa_uses_dynamic_stack 0
		.amdhsa_system_sgpr_private_segment_wavefront_offset 0
		.amdhsa_system_sgpr_workgroup_id_x 1
		.amdhsa_system_sgpr_workgroup_id_y 0
		.amdhsa_system_sgpr_workgroup_id_z 0
		.amdhsa_system_sgpr_workgroup_info 0
		.amdhsa_system_vgpr_workitem_id 0
		.amdhsa_next_free_vgpr 26
		.amdhsa_next_free_sgpr 65
		.amdhsa_reserve_vcc 1
		.amdhsa_reserve_flat_scratch 0
		.amdhsa_float_round_mode_32 0
		.amdhsa_float_round_mode_16_64 0
		.amdhsa_float_denorm_mode_32 3
		.amdhsa_float_denorm_mode_16_64 3
		.amdhsa_dx10_clamp 1
		.amdhsa_ieee_mode 1
		.amdhsa_fp16_overflow 0
		.amdhsa_exception_fp_ieee_invalid_op 0
		.amdhsa_exception_fp_denorm_src 0
		.amdhsa_exception_fp_ieee_div_zero 0
		.amdhsa_exception_fp_ieee_overflow 0
		.amdhsa_exception_fp_ieee_underflow 0
		.amdhsa_exception_fp_ieee_inexact 0
		.amdhsa_exception_int_div_zero 0
	.end_amdhsa_kernel
	.section	.text._ZN2at6native32elementwise_kernel_manual_unrollILi128ELi8EZNS0_22gpu_kernel_impl_nocastINS0_13BUnaryFunctorIhhhZZZNS0_18lshift_kernel_cudaERNS_18TensorIteratorBaseEENKUlvE_clEvENKUlvE_clEvEUlhhE_EEEEvS5_RKT_EUlibE_EEviT1_,"axG",@progbits,_ZN2at6native32elementwise_kernel_manual_unrollILi128ELi8EZNS0_22gpu_kernel_impl_nocastINS0_13BUnaryFunctorIhhhZZZNS0_18lshift_kernel_cudaERNS_18TensorIteratorBaseEENKUlvE_clEvENKUlvE_clEvEUlhhE_EEEEvS5_RKT_EUlibE_EEviT1_,comdat
.Lfunc_end13:
	.size	_ZN2at6native32elementwise_kernel_manual_unrollILi128ELi8EZNS0_22gpu_kernel_impl_nocastINS0_13BUnaryFunctorIhhhZZZNS0_18lshift_kernel_cudaERNS_18TensorIteratorBaseEENKUlvE_clEvENKUlvE_clEvEUlhhE_EEEEvS5_RKT_EUlibE_EEviT1_, .Lfunc_end13-_ZN2at6native32elementwise_kernel_manual_unrollILi128ELi8EZNS0_22gpu_kernel_impl_nocastINS0_13BUnaryFunctorIhhhZZZNS0_18lshift_kernel_cudaERNS_18TensorIteratorBaseEENKUlvE_clEvENKUlvE_clEvEUlhhE_EEEEvS5_RKT_EUlibE_EEviT1_
                                        ; -- End function
	.set _ZN2at6native32elementwise_kernel_manual_unrollILi128ELi8EZNS0_22gpu_kernel_impl_nocastINS0_13BUnaryFunctorIhhhZZZNS0_18lshift_kernel_cudaERNS_18TensorIteratorBaseEENKUlvE_clEvENKUlvE_clEvEUlhhE_EEEEvS5_RKT_EUlibE_EEviT1_.num_vgpr, 26
	.set _ZN2at6native32elementwise_kernel_manual_unrollILi128ELi8EZNS0_22gpu_kernel_impl_nocastINS0_13BUnaryFunctorIhhhZZZNS0_18lshift_kernel_cudaERNS_18TensorIteratorBaseEENKUlvE_clEvENKUlvE_clEvEUlhhE_EEEEvS5_RKT_EUlibE_EEviT1_.num_agpr, 0
	.set _ZN2at6native32elementwise_kernel_manual_unrollILi128ELi8EZNS0_22gpu_kernel_impl_nocastINS0_13BUnaryFunctorIhhhZZZNS0_18lshift_kernel_cudaERNS_18TensorIteratorBaseEENKUlvE_clEvENKUlvE_clEvEUlhhE_EEEEvS5_RKT_EUlibE_EEviT1_.numbered_sgpr, 65
	.set _ZN2at6native32elementwise_kernel_manual_unrollILi128ELi8EZNS0_22gpu_kernel_impl_nocastINS0_13BUnaryFunctorIhhhZZZNS0_18lshift_kernel_cudaERNS_18TensorIteratorBaseEENKUlvE_clEvENKUlvE_clEvEUlhhE_EEEEvS5_RKT_EUlibE_EEviT1_.num_named_barrier, 0
	.set _ZN2at6native32elementwise_kernel_manual_unrollILi128ELi8EZNS0_22gpu_kernel_impl_nocastINS0_13BUnaryFunctorIhhhZZZNS0_18lshift_kernel_cudaERNS_18TensorIteratorBaseEENKUlvE_clEvENKUlvE_clEvEUlhhE_EEEEvS5_RKT_EUlibE_EEviT1_.private_seg_size, 0
	.set _ZN2at6native32elementwise_kernel_manual_unrollILi128ELi8EZNS0_22gpu_kernel_impl_nocastINS0_13BUnaryFunctorIhhhZZZNS0_18lshift_kernel_cudaERNS_18TensorIteratorBaseEENKUlvE_clEvENKUlvE_clEvEUlhhE_EEEEvS5_RKT_EUlibE_EEviT1_.uses_vcc, 1
	.set _ZN2at6native32elementwise_kernel_manual_unrollILi128ELi8EZNS0_22gpu_kernel_impl_nocastINS0_13BUnaryFunctorIhhhZZZNS0_18lshift_kernel_cudaERNS_18TensorIteratorBaseEENKUlvE_clEvENKUlvE_clEvEUlhhE_EEEEvS5_RKT_EUlibE_EEviT1_.uses_flat_scratch, 0
	.set _ZN2at6native32elementwise_kernel_manual_unrollILi128ELi8EZNS0_22gpu_kernel_impl_nocastINS0_13BUnaryFunctorIhhhZZZNS0_18lshift_kernel_cudaERNS_18TensorIteratorBaseEENKUlvE_clEvENKUlvE_clEvEUlhhE_EEEEvS5_RKT_EUlibE_EEviT1_.has_dyn_sized_stack, 0
	.set _ZN2at6native32elementwise_kernel_manual_unrollILi128ELi8EZNS0_22gpu_kernel_impl_nocastINS0_13BUnaryFunctorIhhhZZZNS0_18lshift_kernel_cudaERNS_18TensorIteratorBaseEENKUlvE_clEvENKUlvE_clEvEUlhhE_EEEEvS5_RKT_EUlibE_EEviT1_.has_recursion, 0
	.set _ZN2at6native32elementwise_kernel_manual_unrollILi128ELi8EZNS0_22gpu_kernel_impl_nocastINS0_13BUnaryFunctorIhhhZZZNS0_18lshift_kernel_cudaERNS_18TensorIteratorBaseEENKUlvE_clEvENKUlvE_clEvEUlhhE_EEEEvS5_RKT_EUlibE_EEviT1_.has_indirect_call, 0
	.section	.AMDGPU.csdata,"",@progbits
; Kernel info:
; codeLenInByte = 11352
; TotalNumSgprs: 69
; NumVgprs: 26
; ScratchSize: 0
; MemoryBound: 0
; FloatMode: 240
; IeeeMode: 1
; LDSByteSize: 0 bytes/workgroup (compile time only)
; SGPRBlocks: 8
; VGPRBlocks: 6
; NumSGPRsForWavesPerEU: 69
; NumVGPRsForWavesPerEU: 26
; Occupancy: 9
; WaveLimiterHint : 1
; COMPUTE_PGM_RSRC2:SCRATCH_EN: 0
; COMPUTE_PGM_RSRC2:USER_SGPR: 6
; COMPUTE_PGM_RSRC2:TRAP_HANDLER: 0
; COMPUTE_PGM_RSRC2:TGID_X_EN: 1
; COMPUTE_PGM_RSRC2:TGID_Y_EN: 0
; COMPUTE_PGM_RSRC2:TGID_Z_EN: 0
; COMPUTE_PGM_RSRC2:TIDIG_COMP_CNT: 0
	.section	.text._ZN2at6native32elementwise_kernel_manual_unrollILi128ELi4EZNS0_15gpu_kernel_implINS0_13BUnaryFunctorIhhhZZZNS0_18lshift_kernel_cudaERNS_18TensorIteratorBaseEENKUlvE_clEvENKUlvE_clEvEUlhhE_EEEEvS5_RKT_EUlibE_EEviT1_,"axG",@progbits,_ZN2at6native32elementwise_kernel_manual_unrollILi128ELi4EZNS0_15gpu_kernel_implINS0_13BUnaryFunctorIhhhZZZNS0_18lshift_kernel_cudaERNS_18TensorIteratorBaseEENKUlvE_clEvENKUlvE_clEvEUlhhE_EEEEvS5_RKT_EUlibE_EEviT1_,comdat
	.globl	_ZN2at6native32elementwise_kernel_manual_unrollILi128ELi4EZNS0_15gpu_kernel_implINS0_13BUnaryFunctorIhhhZZZNS0_18lshift_kernel_cudaERNS_18TensorIteratorBaseEENKUlvE_clEvENKUlvE_clEvEUlhhE_EEEEvS5_RKT_EUlibE_EEviT1_ ; -- Begin function _ZN2at6native32elementwise_kernel_manual_unrollILi128ELi4EZNS0_15gpu_kernel_implINS0_13BUnaryFunctorIhhhZZZNS0_18lshift_kernel_cudaERNS_18TensorIteratorBaseEENKUlvE_clEvENKUlvE_clEvEUlhhE_EEEEvS5_RKT_EUlibE_EEviT1_
	.p2align	8
	.type	_ZN2at6native32elementwise_kernel_manual_unrollILi128ELi4EZNS0_15gpu_kernel_implINS0_13BUnaryFunctorIhhhZZZNS0_18lshift_kernel_cudaERNS_18TensorIteratorBaseEENKUlvE_clEvENKUlvE_clEvEUlhhE_EEEEvS5_RKT_EUlibE_EEviT1_,@function
_ZN2at6native32elementwise_kernel_manual_unrollILi128ELi4EZNS0_15gpu_kernel_implINS0_13BUnaryFunctorIhhhZZZNS0_18lshift_kernel_cudaERNS_18TensorIteratorBaseEENKUlvE_clEvENKUlvE_clEvEUlhhE_EEEEvS5_RKT_EUlibE_EEviT1_: ; @_ZN2at6native32elementwise_kernel_manual_unrollILi128ELi4EZNS0_15gpu_kernel_implINS0_13BUnaryFunctorIhhhZZZNS0_18lshift_kernel_cudaERNS_18TensorIteratorBaseEENKUlvE_clEvENKUlvE_clEvEUlhhE_EEEEvS5_RKT_EUlibE_EEviT1_
; %bb.0:
	v_mov_b32_e32 v1, 0
	global_load_ushort v2, v1, s[4:5] offset:33
	global_load_sbyte v3, v1, s[4:5] offset:35
	s_load_dwordx2 s[2:3], s[4:5], 0x18
	s_load_dword s40, s[4:5], 0x0
	s_load_dwordx4 s[8:11], s[4:5], 0x8
	v_lshl_or_b32 v7, s6, 9, v0
	v_or_b32_e32 v0, 0x180, v7
	s_mov_b64 s[12:13], 0
	s_waitcnt lgkmcnt(0)
	v_cmp_le_i32_e32 vcc, s40, v0
	s_mov_b64 s[6:7], 0
	s_waitcnt vmcnt(1)
	v_readfirstlane_b32 s44, v2
	s_waitcnt vmcnt(0)
	v_readfirstlane_b32 s45, v3
	s_lshr_b32 s33, s44, 8
	s_and_saveexec_b64 s[0:1], vcc
	s_xor_b64 s[4:5], exec, s[0:1]
	s_cbranch_execz .LBB14_1011
; %bb.1:
	s_and_b32 s46, s44, 0xff
	s_cmp_gt_u32 s46, 7
	s_cselect_b64 s[6:7], -1, 0
	v_cmp_gt_i32_e32 vcc, s40, v7
	s_mov_b64 s[20:21], -1
	s_mov_b64 s[22:23], 0
	s_mov_b64 s[16:17], 0
	;; [unrolled: 1-line block ×3, first 2 shown]
	s_and_saveexec_b64 s[18:19], vcc
	s_cbranch_execz .LBB14_248
; %bb.2:
	v_mul_lo_u32 v0, v7, s3
	v_mov_b32_e32 v1, s11
	s_and_b32 s20, s45, 0xff
	s_cmp_lt_i32 s20, 11
	v_ashrrev_i32_e32 v2, 31, v0
	v_add_co_u32_e32 v0, vcc, s10, v0
	v_addc_co_u32_e32 v1, vcc, v1, v2, vcc
	s_cbranch_scc1 .LBB14_9
; %bb.3:
	s_and_b32 s21, 0xffff, s20
	s_cmp_gt_i32 s21, 25
	s_cbranch_scc0 .LBB14_18
; %bb.4:
	s_cmp_gt_i32 s21, 28
	s_cbranch_scc0 .LBB14_22
; %bb.5:
	;; [unrolled: 3-line block ×4, first 2 shown]
	s_cmp_eq_u32 s21, 46
	s_cbranch_scc0 .LBB14_28
; %bb.8:
	global_load_dword v2, v[0:1], off
	s_mov_b32 s0, 0x2f800000
	s_mov_b32 s1, 0xcf800000
	s_waitcnt vmcnt(0)
	v_lshlrev_b32_e32 v2, 16, v2
	v_trunc_f32_e32 v2, v2
	v_mul_f32_e64 v3, |v2|, s0
	v_floor_f32_e32 v3, v3
	v_fma_f32 v3, v3, s1, |v2|
	v_cvt_u32_f32_e32 v3, v3
	v_ashrrev_i32_e32 v2, 31, v2
	s_mov_b64 s[0:1], -1
	v_xor_b32_e32 v3, v3, v2
	v_sub_u32_e32 v2, v3, v2
	s_branch .LBB14_30
.LBB14_9:
                                        ; implicit-def: $vgpr2
	s_mov_b64 s[0:1], 0
	s_cbranch_execnz .LBB14_199
.LBB14_10:
	s_andn2_b64 vcc, exec, s[0:1]
	s_cbranch_vccnz .LBB14_246
.LBB14_11:
	v_mul_lo_u32 v0, v7, s2
	s_waitcnt vmcnt(0)
	v_lshlrev_b32_e32 v1, s46, v2
	v_mov_b32_e32 v3, s9
	v_cndmask_b32_e64 v2, v1, 0, s[6:7]
	v_ashrrev_i32_e32 v1, 31, v0
	s_and_b32 s26, s33, 0xff
	v_add_co_u32_e32 v0, vcc, s8, v0
	s_cmp_lt_i32 s26, 11
	v_addc_co_u32_e32 v1, vcc, v3, v1, vcc
	s_cbranch_scc1 .LBB14_19
; %bb.12:
	s_and_b32 s27, 0xffff, s26
	s_cmp_gt_i32 s27, 25
	s_cbranch_scc0 .LBB14_23
; %bb.13:
	s_cmp_gt_i32 s27, 28
	s_cbranch_scc0 .LBB14_25
; %bb.14:
	;; [unrolled: 3-line block ×4, first 2 shown]
	s_mov_b64 s[20:21], 0
	s_mov_b64 s[0:1], -1
	s_cmp_eq_u32 s27, 46
	s_mov_b64 s[14:15], 0
	s_cbranch_scc0 .LBB14_34
; %bb.17:
	v_cvt_f32_ubyte0_e32 v3, v2
	v_bfe_u32 v4, v3, 16, 1
	s_movk_i32 s0, 0x7fff
	v_add3_u32 v3, v3, v4, s0
	v_lshrrev_b32_e32 v3, 16, v3
	global_store_dword v[0:1], v3, off
	s_mov_b64 s[14:15], -1
	s_mov_b64 s[0:1], 0
	s_branch .LBB14_34
.LBB14_18:
	s_mov_b64 s[0:1], 0
                                        ; implicit-def: $vgpr2
	s_cbranch_execnz .LBB14_166
	s_branch .LBB14_198
.LBB14_19:
	s_mov_b64 s[0:1], 0
	s_mov_b64 s[14:15], 0
	s_cbranch_execnz .LBB14_103
.LBB14_20:
	s_andn2_b64 vcc, exec, s[14:15]
	s_cbranch_vccnz .LBB14_141
.LBB14_21:
	v_add_u32_e32 v7, 0x80, v7
	s_mov_b64 s[20:21], -1
	s_branch .LBB14_247
.LBB14_22:
	s_mov_b64 s[14:15], -1
	s_mov_b64 s[0:1], 0
                                        ; implicit-def: $vgpr2
	s_branch .LBB14_149
.LBB14_23:
	s_mov_b64 s[20:21], -1
	s_mov_b64 s[0:1], 0
	s_mov_b64 s[14:15], 0
	s_branch .LBB14_61
.LBB14_24:
	s_mov_b64 s[14:15], -1
	s_mov_b64 s[0:1], 0
                                        ; implicit-def: $vgpr2
	s_branch .LBB14_144
.LBB14_25:
	s_mov_b64 s[20:21], -1
	s_mov_b64 s[0:1], 0
	s_mov_b64 s[14:15], 0
	s_branch .LBB14_44
.LBB14_26:
	s_mov_b64 s[14:15], -1
	s_branch .LBB14_29
.LBB14_27:
	s_mov_b64 s[20:21], -1
	s_mov_b64 s[0:1], 0
	s_mov_b64 s[14:15], 0
	s_branch .LBB14_40
.LBB14_28:
	s_mov_b64 s[16:17], -1
.LBB14_29:
	s_mov_b64 s[0:1], 0
                                        ; implicit-def: $vgpr2
.LBB14_30:
	s_and_b64 vcc, exec, s[14:15]
	s_cbranch_vccz .LBB14_143
; %bb.31:
	s_cmp_eq_u32 s21, 44
	s_cbranch_scc0 .LBB14_142
; %bb.32:
	global_load_ubyte v2, v[0:1], off
	s_mov_b32 s0, 0x2f800000
	s_mov_b32 s1, 0xcf800000
	s_mov_b64 s[16:17], 0
	s_waitcnt vmcnt(0)
	v_lshlrev_b32_e32 v3, 23, v2
	v_trunc_f32_e32 v3, v3
	v_mul_f32_e64 v4, |v3|, s0
	v_floor_f32_e32 v4, v4
	v_fma_f32 v4, v4, s1, |v3|
	v_cvt_u32_f32_e32 v4, v4
	v_ashrrev_i32_e32 v3, 31, v3
	v_cmp_ne_u32_e32 vcc, 0, v2
	s_mov_b64 s[0:1], -1
	v_xor_b32_e32 v4, v4, v3
	v_sub_u32_e32 v3, v4, v3
	v_cndmask_b32_e32 v2, 0, v3, vcc
	s_branch .LBB14_143
.LBB14_33:
	s_mov_b64 s[20:21], -1
	s_mov_b64 s[0:1], 0
	s_mov_b64 s[14:15], 0
.LBB14_34:
	s_and_b64 vcc, exec, s[20:21]
	s_cbranch_vccz .LBB14_39
; %bb.35:
	s_cmp_eq_u32 s27, 44
	s_mov_b64 s[0:1], -1
	s_cbranch_scc0 .LBB14_39
; %bb.36:
	v_cvt_f32_ubyte0_e32 v4, v2
	v_lshrrev_b32_e32 v3, 23, v4
	s_movk_i32 s0, 0xff
	v_cmp_ne_u32_e32 vcc, s0, v3
	v_mov_b32_e32 v5, 0xff
	s_and_saveexec_b64 s[14:15], vcc
; %bb.37:
	s_mov_b32 s0, 0x3fffff
	v_and_b32_e32 v5, 0x400000, v4
	v_and_or_b32 v4, v4, s0, v3
	v_cmp_ne_u32_e32 vcc, 0, v5
	v_cmp_ne_u32_e64 s[0:1], 0, v4
	s_and_b64 s[0:1], vcc, s[0:1]
	v_cndmask_b32_e64 v4, 0, 1, s[0:1]
	v_add_u32_e32 v5, v3, v4
; %bb.38:
	s_or_b64 exec, exec, s[14:15]
	s_mov_b64 s[14:15], -1
	s_mov_b64 s[0:1], 0
	global_store_byte v[0:1], v5, off
.LBB14_39:
	s_mov_b64 s[20:21], 0
.LBB14_40:
	s_and_b64 vcc, exec, s[20:21]
	s_cbranch_vccz .LBB14_43
; %bb.41:
	s_cmp_eq_u32 s27, 29
	s_mov_b64 s[0:1], -1
	s_cbranch_scc0 .LBB14_43
; %bb.42:
	v_and_b32_e32 v3, 0xff, v2
	v_mov_b32_e32 v4, 0
	global_store_dwordx2 v[0:1], v[3:4], off
	s_mov_b64 s[14:15], -1
	s_mov_b64 s[0:1], 0
.LBB14_43:
	s_mov_b64 s[20:21], 0
.LBB14_44:
	s_and_b64 vcc, exec, s[20:21]
	s_cbranch_vccz .LBB14_60
; %bb.45:
	s_cmp_lt_i32 s27, 27
	s_mov_b64 s[14:15], -1
	s_cbranch_scc1 .LBB14_51
; %bb.46:
	s_cmp_gt_i32 s27, 27
	s_cbranch_scc0 .LBB14_48
; %bb.47:
	v_and_b32_e32 v3, 0xff, v2
	s_mov_b64 s[14:15], 0
	global_store_dword v[0:1], v3, off
.LBB14_48:
	s_andn2_b64 vcc, exec, s[14:15]
	s_cbranch_vccnz .LBB14_50
; %bb.49:
	v_and_b32_e32 v3, 0xff, v2
	global_store_short v[0:1], v3, off
.LBB14_50:
	s_mov_b64 s[14:15], 0
.LBB14_51:
	s_andn2_b64 vcc, exec, s[14:15]
	s_cbranch_vccnz .LBB14_59
; %bb.52:
	v_cvt_f32_ubyte0_e32 v4, v2
	s_mov_b32 s14, 0x43800000
	v_cmp_gt_u32_e32 vcc, s14, v4
	v_mov_b32_e32 v5, 0x80
	s_and_saveexec_b64 s[14:15], vcc
	s_cbranch_execz .LBB14_58
; %bb.53:
	s_mov_b32 s20, 0x3bffffff
	v_cmp_lt_u32_e32 vcc, s20, v4
	s_mov_b64 s[20:21], 0
                                        ; implicit-def: $vgpr3
	s_and_saveexec_b64 s[24:25], vcc
	s_xor_b64 s[24:25], exec, s[24:25]
	s_cbranch_execz .LBB14_275
; %bb.54:
	v_bfe_u32 v3, v4, 20, 1
	s_mov_b32 s28, 0x487ffff
	v_add3_u32 v3, v4, v3, s28
	s_mov_b64 s[20:21], exec
	v_lshrrev_b32_e32 v3, 20, v3
                                        ; implicit-def: $vgpr4
	s_andn2_saveexec_b64 s[24:25], s[24:25]
	s_cbranch_execnz .LBB14_276
.LBB14_55:
	s_or_b64 exec, exec, s[24:25]
	v_mov_b32_e32 v5, 0
	s_and_saveexec_b64 s[24:25], s[20:21]
.LBB14_56:
	v_mov_b32_e32 v5, v3
.LBB14_57:
	s_or_b64 exec, exec, s[24:25]
.LBB14_58:
	s_or_b64 exec, exec, s[14:15]
	global_store_byte v[0:1], v5, off
.LBB14_59:
	s_mov_b64 s[14:15], -1
.LBB14_60:
	s_mov_b64 s[20:21], 0
.LBB14_61:
	s_and_b64 vcc, exec, s[20:21]
	s_cbranch_vccz .LBB14_102
; %bb.62:
	s_cmp_gt_i32 s27, 22
	s_mov_b64 s[20:21], -1
	s_cbranch_scc0 .LBB14_94
; %bb.63:
	s_cmp_lt_i32 s27, 24
	s_mov_b64 s[14:15], -1
	s_cbranch_scc1 .LBB14_83
; %bb.64:
	s_cmp_gt_i32 s27, 24
	s_cbranch_scc0 .LBB14_72
; %bb.65:
	v_cvt_f32_ubyte0_e32 v4, v2
	s_mov_b32 s14, 0x47800000
	v_cmp_gt_u32_e32 vcc, s14, v4
	v_mov_b32_e32 v5, 0x80
	s_and_saveexec_b64 s[14:15], vcc
	s_cbranch_execz .LBB14_71
; %bb.66:
	s_mov_b32 s20, 0x37ffffff
	v_cmp_lt_u32_e32 vcc, s20, v4
	s_mov_b64 s[20:21], 0
                                        ; implicit-def: $vgpr3
	s_and_saveexec_b64 s[24:25], vcc
	s_xor_b64 s[24:25], exec, s[24:25]
	s_cbranch_execz .LBB14_279
; %bb.67:
	v_bfe_u32 v3, v4, 21, 1
	s_mov_b32 s28, 0x88fffff
	v_add3_u32 v3, v4, v3, s28
	s_mov_b64 s[20:21], exec
	v_lshrrev_b32_e32 v3, 21, v3
                                        ; implicit-def: $vgpr4
	s_andn2_saveexec_b64 s[24:25], s[24:25]
	s_cbranch_execnz .LBB14_280
.LBB14_68:
	s_or_b64 exec, exec, s[24:25]
	v_mov_b32_e32 v5, 0
	s_and_saveexec_b64 s[24:25], s[20:21]
.LBB14_69:
	v_mov_b32_e32 v5, v3
.LBB14_70:
	s_or_b64 exec, exec, s[24:25]
.LBB14_71:
	s_or_b64 exec, exec, s[14:15]
	s_mov_b64 s[14:15], 0
	global_store_byte v[0:1], v5, off
.LBB14_72:
	s_and_b64 vcc, exec, s[14:15]
	s_cbranch_vccz .LBB14_82
; %bb.73:
	v_cvt_f32_ubyte0_e32 v3, v2
	s_mov_b32 s14, 0x43f00000
	v_cmp_gt_u32_e32 vcc, s14, v3
                                        ; implicit-def: $vgpr4
	s_and_saveexec_b64 s[14:15], vcc
	s_xor_b64 s[14:15], exec, s[14:15]
	s_cbranch_execz .LBB14_79
; %bb.74:
	s_mov_b32 s20, 0x3c7fffff
	v_cmp_lt_u32_e32 vcc, s20, v3
                                        ; implicit-def: $vgpr4
	s_and_saveexec_b64 s[20:21], vcc
	s_xor_b64 s[20:21], exec, s[20:21]
; %bb.75:
	v_bfe_u32 v4, v3, 20, 1
	s_mov_b32 s24, 0x407ffff
	v_add3_u32 v3, v3, v4, s24
	v_lshrrev_b32_e32 v4, 20, v3
	v_and_b32_e32 v3, 0xff00000, v3
	s_mov_b32 s24, 0x7f00000
	v_mov_b32_e32 v5, 0x7e
	v_cmp_ne_u32_e32 vcc, s24, v3
	v_cndmask_b32_e32 v4, v5, v4, vcc
                                        ; implicit-def: $vgpr3
; %bb.76:
	s_andn2_saveexec_b64 s[20:21], s[20:21]
; %bb.77:
	v_add_f32_e32 v4, 0x46800000, v3
; %bb.78:
	s_or_b64 exec, exec, s[20:21]
                                        ; implicit-def: $vgpr3
.LBB14_79:
	s_andn2_saveexec_b64 s[14:15], s[14:15]
; %bb.80:
	s_mov_b32 s20, 0x7f800000
	v_mov_b32_e32 v4, 0x7e
	v_mov_b32_e32 v5, 0x7f
	v_cmp_lt_u32_e32 vcc, s20, v3
	v_cndmask_b32_e32 v4, v4, v5, vcc
; %bb.81:
	s_or_b64 exec, exec, s[14:15]
	global_store_byte v[0:1], v4, off
.LBB14_82:
	s_mov_b64 s[14:15], 0
.LBB14_83:
	s_andn2_b64 vcc, exec, s[14:15]
	s_cbranch_vccnz .LBB14_93
; %bb.84:
	v_cvt_f32_ubyte0_e32 v3, v2
	s_mov_b32 s14, 0x47800000
	v_cmp_gt_u32_e32 vcc, s14, v3
                                        ; implicit-def: $vgpr4
	s_and_saveexec_b64 s[14:15], vcc
	s_xor_b64 s[14:15], exec, s[14:15]
	s_cbranch_execz .LBB14_90
; %bb.85:
	s_mov_b32 s20, 0x387fffff
	v_cmp_lt_u32_e32 vcc, s20, v3
                                        ; implicit-def: $vgpr4
	s_and_saveexec_b64 s[20:21], vcc
	s_xor_b64 s[20:21], exec, s[20:21]
; %bb.86:
	v_bfe_u32 v4, v3, 21, 1
	s_mov_b32 s24, 0x80fffff
	v_add3_u32 v3, v3, v4, s24
	v_lshrrev_b32_e32 v4, 21, v3
                                        ; implicit-def: $vgpr3
; %bb.87:
	s_andn2_saveexec_b64 s[20:21], s[20:21]
; %bb.88:
	v_add_f32_e32 v4, 0x43000000, v3
; %bb.89:
	s_or_b64 exec, exec, s[20:21]
                                        ; implicit-def: $vgpr3
.LBB14_90:
	s_andn2_saveexec_b64 s[14:15], s[14:15]
; %bb.91:
	s_mov_b32 s20, 0x7f800000
	v_mov_b32_e32 v4, 0x7c
	v_mov_b32_e32 v5, 0x7f
	v_cmp_lt_u32_e32 vcc, s20, v3
	v_cndmask_b32_e32 v4, v4, v5, vcc
; %bb.92:
	s_or_b64 exec, exec, s[14:15]
	global_store_byte v[0:1], v4, off
.LBB14_93:
	s_mov_b64 s[20:21], 0
	s_mov_b64 s[14:15], -1
.LBB14_94:
	s_andn2_b64 vcc, exec, s[20:21]
	s_cbranch_vccnz .LBB14_102
; %bb.95:
	s_cmp_gt_i32 s27, 14
	s_mov_b64 s[20:21], -1
	s_cbranch_scc0 .LBB14_99
; %bb.96:
	s_cmp_eq_u32 s27, 15
	s_mov_b64 s[0:1], -1
	s_cbranch_scc0 .LBB14_98
; %bb.97:
	v_cvt_f32_ubyte0_e32 v3, v2
	v_bfe_u32 v4, v3, 16, 1
	s_movk_i32 s0, 0x7fff
	v_add3_u32 v3, v3, v4, s0
	global_store_short_d16_hi v[0:1], v3, off
	s_mov_b64 s[14:15], -1
	s_mov_b64 s[0:1], 0
.LBB14_98:
	s_mov_b64 s[20:21], 0
.LBB14_99:
	s_and_b64 vcc, exec, s[20:21]
	s_cbranch_vccz .LBB14_102
; %bb.100:
	s_cmp_eq_u32 s27, 11
	s_mov_b64 s[0:1], -1
	s_cbranch_scc0 .LBB14_102
; %bb.101:
	v_mov_b32_e32 v3, 0
	v_cmp_ne_u16_sdwa s[0:1], v2, v3 src0_sel:BYTE_0 src1_sel:DWORD
	v_cndmask_b32_e64 v3, 0, 1, s[0:1]
	s_mov_b64 s[14:15], -1
	s_mov_b64 s[0:1], 0
	global_store_byte v[0:1], v3, off
.LBB14_102:
	s_branch .LBB14_20
.LBB14_103:
	s_and_b32 s20, 0xffff, s26
	s_cmp_lt_i32 s20, 5
	s_mov_b64 s[14:15], -1
	s_cbranch_scc1 .LBB14_124
; %bb.104:
	s_cmp_lt_i32 s20, 8
	s_cbranch_scc1 .LBB14_114
; %bb.105:
	s_cmp_lt_i32 s20, 9
	s_cbranch_scc1 .LBB14_111
; %bb.106:
	s_cmp_gt_i32 s20, 9
	s_cbranch_scc0 .LBB14_108
; %bb.107:
	s_mov_b32 s14, 0xffff
	v_and_b32_sdwa v3, s14, v2 dst_sel:DWORD dst_unused:UNUSED_PAD src0_sel:DWORD src1_sel:BYTE_0
	v_cvt_f64_u32_e32 v[3:4], v3
	v_mov_b32_e32 v5, 0
	v_mov_b32_e32 v6, v5
	s_mov_b64 s[14:15], 0
	global_store_dwordx4 v[0:1], v[3:6], off
.LBB14_108:
	s_andn2_b64 vcc, exec, s[14:15]
	s_cbranch_vccnz .LBB14_110
; %bb.109:
	v_cvt_f32_ubyte0_e32 v3, v2
	v_mov_b32_e32 v4, 0
	global_store_dwordx2 v[0:1], v[3:4], off
.LBB14_110:
	s_mov_b64 s[14:15], 0
.LBB14_111:
	s_andn2_b64 vcc, exec, s[14:15]
	s_cbranch_vccnz .LBB14_113
; %bb.112:
	v_cvt_f16_u16_sdwa v3, v2 dst_sel:DWORD dst_unused:UNUSED_PAD src0_sel:BYTE_0
	global_store_dword v[0:1], v3, off
.LBB14_113:
	s_mov_b64 s[14:15], 0
.LBB14_114:
	s_andn2_b64 vcc, exec, s[14:15]
	s_cbranch_vccnz .LBB14_123
; %bb.115:
	s_cmp_lt_i32 s20, 6
	s_mov_b64 s[14:15], -1
	s_cbranch_scc1 .LBB14_121
; %bb.116:
	s_cmp_gt_i32 s20, 6
	s_cbranch_scc0 .LBB14_118
; %bb.117:
	s_mov_b32 s14, 0xffff
	v_and_b32_sdwa v3, s14, v2 dst_sel:DWORD dst_unused:UNUSED_PAD src0_sel:DWORD src1_sel:BYTE_0
	v_cvt_f64_u32_e32 v[3:4], v3
	s_mov_b64 s[14:15], 0
	global_store_dwordx2 v[0:1], v[3:4], off
.LBB14_118:
	s_andn2_b64 vcc, exec, s[14:15]
	s_cbranch_vccnz .LBB14_120
; %bb.119:
	v_cvt_f32_ubyte0_e32 v3, v2
	global_store_dword v[0:1], v3, off
.LBB14_120:
	s_mov_b64 s[14:15], 0
.LBB14_121:
	s_andn2_b64 vcc, exec, s[14:15]
	s_cbranch_vccnz .LBB14_123
; %bb.122:
	v_cvt_f16_u16_sdwa v3, v2 dst_sel:DWORD dst_unused:UNUSED_PAD src0_sel:BYTE_0
	global_store_short v[0:1], v3, off
.LBB14_123:
	s_mov_b64 s[14:15], 0
.LBB14_124:
	s_andn2_b64 vcc, exec, s[14:15]
	s_cbranch_vccnz .LBB14_140
; %bb.125:
	s_cmp_lt_i32 s20, 2
	s_mov_b64 s[14:15], -1
	s_cbranch_scc1 .LBB14_135
; %bb.126:
	s_cmp_lt_i32 s20, 3
	s_cbranch_scc1 .LBB14_132
; %bb.127:
	s_cmp_gt_i32 s20, 3
	s_cbranch_scc0 .LBB14_129
; %bb.128:
	v_and_b32_e32 v3, 0xff, v2
	v_mov_b32_e32 v4, 0
	global_store_dwordx2 v[0:1], v[3:4], off
	s_mov_b64 s[14:15], 0
.LBB14_129:
	s_andn2_b64 vcc, exec, s[14:15]
	s_cbranch_vccnz .LBB14_131
; %bb.130:
	v_and_b32_e32 v3, 0xff, v2
	global_store_dword v[0:1], v3, off
.LBB14_131:
	s_mov_b64 s[14:15], 0
.LBB14_132:
	s_andn2_b64 vcc, exec, s[14:15]
	s_cbranch_vccnz .LBB14_134
; %bb.133:
	v_and_b32_e32 v3, 0xff, v2
	global_store_short v[0:1], v3, off
.LBB14_134:
	s_mov_b64 s[14:15], 0
.LBB14_135:
	s_andn2_b64 vcc, exec, s[14:15]
	s_cbranch_vccnz .LBB14_140
; %bb.136:
	s_cmp_gt_i32 s20, 0
	s_mov_b64 s[14:15], -1
	s_cbranch_scc0 .LBB14_138
; %bb.137:
	global_store_byte v[0:1], v2, off
	s_mov_b64 s[14:15], 0
.LBB14_138:
	s_andn2_b64 vcc, exec, s[14:15]
	s_cbranch_vccnz .LBB14_140
; %bb.139:
	global_store_byte v[0:1], v2, off
.LBB14_140:
	s_branch .LBB14_21
.LBB14_141:
	s_mov_b64 s[20:21], 0
                                        ; implicit-def: $vgpr7
	s_branch .LBB14_247
.LBB14_142:
	s_mov_b64 s[16:17], -1
                                        ; implicit-def: $vgpr2
.LBB14_143:
	s_mov_b64 s[14:15], 0
.LBB14_144:
	s_and_b64 vcc, exec, s[14:15]
	s_cbranch_vccz .LBB14_148
; %bb.145:
	s_cmp_eq_u32 s21, 29
	s_cbranch_scc0 .LBB14_147
; %bb.146:
	global_load_dwordx2 v[2:3], v[0:1], off
	s_mov_b64 s[0:1], -1
	s_mov_b64 s[16:17], 0
	s_branch .LBB14_148
.LBB14_147:
	s_mov_b64 s[16:17], -1
                                        ; implicit-def: $vgpr2
.LBB14_148:
	s_mov_b64 s[14:15], 0
.LBB14_149:
	s_and_b64 vcc, exec, s[14:15]
	s_cbranch_vccz .LBB14_165
; %bb.150:
	s_cmp_lt_i32 s21, 27
	s_cbranch_scc1 .LBB14_153
; %bb.151:
	s_cmp_gt_i32 s21, 27
	s_cbranch_scc0 .LBB14_154
; %bb.152:
	global_load_dword v2, v[0:1], off
	s_mov_b64 s[0:1], 0
	s_branch .LBB14_155
.LBB14_153:
	s_mov_b64 s[0:1], -1
                                        ; implicit-def: $vgpr2
	s_branch .LBB14_158
.LBB14_154:
	s_mov_b64 s[0:1], -1
                                        ; implicit-def: $vgpr2
.LBB14_155:
	s_andn2_b64 vcc, exec, s[0:1]
	s_cbranch_vccnz .LBB14_157
; %bb.156:
	global_load_ushort v2, v[0:1], off
.LBB14_157:
	s_mov_b64 s[0:1], 0
.LBB14_158:
	s_andn2_b64 vcc, exec, s[0:1]
	s_cbranch_vccnz .LBB14_164
; %bb.159:
	global_load_ubyte v3, v[0:1], off
	s_movk_i32 s0, 0x7f
	s_mov_b64 s[14:15], 0
	s_waitcnt vmcnt(0)
	v_cmp_lt_i16_e32 vcc, s0, v3
	s_and_saveexec_b64 s[0:1], vcc
	s_xor_b64 s[0:1], exec, s[0:1]
	s_cbranch_execz .LBB14_175
; %bb.160:
	s_movk_i32 s14, 0x80
	v_cmp_ne_u16_e32 vcc, s14, v3
	s_and_b64 s[14:15], vcc, exec
	s_andn2_saveexec_b64 s[0:1], s[0:1]
	s_cbranch_execnz .LBB14_176
.LBB14_161:
	s_or_b64 exec, exec, s[0:1]
	v_mov_b32_e32 v2, 0
	s_and_saveexec_b64 s[0:1], s[14:15]
	s_cbranch_execz .LBB14_163
.LBB14_162:
	v_lshlrev_b32_e32 v2, 24, v3
	v_and_b32_e32 v3, 0xffff, v3
	v_and_b32_e32 v4, 7, v3
	v_ffbh_u32_e32 v6, v4
	v_min_u32_e32 v6, 32, v6
	v_subrev_u32_e32 v8, 28, v6
	v_bfe_u32 v5, v3, 3, 4
	v_lshlrev_b32_e32 v3, v8, v3
	v_sub_u32_e32 v6, 29, v6
	v_and_b32_e32 v3, 7, v3
	v_cmp_eq_u32_e32 vcc, 0, v5
	v_cndmask_b32_e32 v5, v5, v6, vcc
	v_cndmask_b32_e32 v3, v4, v3, vcc
	v_mov_b32_e32 v4, 0x3b800000
	v_lshlrev_b32_e32 v3, 20, v3
	v_and_b32_e32 v2, 0x80000000, v2
	v_lshl_add_u32 v4, v5, 23, v4
	v_or3_b32 v2, v2, v4, v3
	v_trunc_f32_e32 v2, v2
	s_mov_b32 s14, 0x2f800000
	v_mul_f32_e64 v3, |v2|, s14
	v_floor_f32_e32 v3, v3
	s_mov_b32 s14, 0xcf800000
	v_fma_f32 v3, v3, s14, |v2|
	v_cvt_u32_f32_e32 v3, v3
	v_ashrrev_i32_e32 v2, 31, v2
	v_xor_b32_e32 v3, v3, v2
	v_sub_u32_e32 v2, v3, v2
.LBB14_163:
	s_or_b64 exec, exec, s[0:1]
.LBB14_164:
	s_mov_b64 s[0:1], -1
.LBB14_165:
	s_branch .LBB14_198
.LBB14_166:
	s_cmp_gt_i32 s21, 22
	s_cbranch_scc0 .LBB14_174
; %bb.167:
	s_cmp_lt_i32 s21, 24
	s_cbranch_scc1 .LBB14_177
; %bb.168:
	s_cmp_gt_i32 s21, 24
	s_cbranch_scc0 .LBB14_178
; %bb.169:
	global_load_ubyte v3, v[0:1], off
	s_movk_i32 s0, 0x7f
	s_mov_b64 s[14:15], 0
	s_waitcnt vmcnt(0)
	v_cmp_lt_i16_e32 vcc, s0, v3
	s_and_saveexec_b64 s[0:1], vcc
	s_xor_b64 s[0:1], exec, s[0:1]
	s_cbranch_execz .LBB14_190
; %bb.170:
	s_movk_i32 s14, 0x80
	v_cmp_ne_u16_e32 vcc, s14, v3
	s_and_b64 s[14:15], vcc, exec
	s_andn2_saveexec_b64 s[0:1], s[0:1]
	s_cbranch_execnz .LBB14_191
.LBB14_171:
	s_or_b64 exec, exec, s[0:1]
	v_mov_b32_e32 v2, 0
	s_and_saveexec_b64 s[0:1], s[14:15]
	s_cbranch_execz .LBB14_173
.LBB14_172:
	v_lshlrev_b32_e32 v2, 24, v3
	v_and_b32_e32 v3, 0xffff, v3
	v_and_b32_e32 v4, 3, v3
	v_ffbh_u32_e32 v6, v4
	v_min_u32_e32 v6, 32, v6
	v_subrev_u32_e32 v8, 29, v6
	v_bfe_u32 v5, v3, 2, 5
	v_lshlrev_b32_e32 v3, v8, v3
	v_sub_u32_e32 v6, 30, v6
	v_and_b32_e32 v3, 3, v3
	v_cmp_eq_u32_e32 vcc, 0, v5
	v_cndmask_b32_e32 v5, v5, v6, vcc
	v_cndmask_b32_e32 v3, v4, v3, vcc
	v_mov_b32_e32 v4, 0x37800000
	v_lshlrev_b32_e32 v3, 21, v3
	v_and_b32_e32 v2, 0x80000000, v2
	v_lshl_add_u32 v4, v5, 23, v4
	v_or3_b32 v2, v2, v4, v3
	v_trunc_f32_e32 v2, v2
	s_mov_b32 s14, 0x2f800000
	v_mul_f32_e64 v3, |v2|, s14
	v_floor_f32_e32 v3, v3
	s_mov_b32 s14, 0xcf800000
	v_fma_f32 v3, v3, s14, |v2|
	v_cvt_u32_f32_e32 v3, v3
	v_ashrrev_i32_e32 v2, 31, v2
	v_xor_b32_e32 v3, v3, v2
	v_sub_u32_e32 v2, v3, v2
.LBB14_173:
	s_or_b64 exec, exec, s[0:1]
	s_mov_b64 s[0:1], 0
	s_branch .LBB14_179
.LBB14_174:
	s_mov_b64 s[14:15], -1
                                        ; implicit-def: $vgpr2
	s_branch .LBB14_185
.LBB14_175:
	s_andn2_saveexec_b64 s[0:1], s[0:1]
	s_cbranch_execz .LBB14_161
.LBB14_176:
	v_cmp_ne_u16_e32 vcc, 0, v3
	s_andn2_b64 s[14:15], s[14:15], exec
	s_and_b64 s[24:25], vcc, exec
	s_or_b64 s[14:15], s[14:15], s[24:25]
	s_or_b64 exec, exec, s[0:1]
	v_mov_b32_e32 v2, 0
	s_and_saveexec_b64 s[0:1], s[14:15]
	s_cbranch_execnz .LBB14_162
	s_branch .LBB14_163
.LBB14_177:
	s_mov_b64 s[0:1], -1
                                        ; implicit-def: $vgpr2
	s_branch .LBB14_182
.LBB14_178:
	s_mov_b64 s[0:1], -1
                                        ; implicit-def: $vgpr2
.LBB14_179:
	s_and_b64 vcc, exec, s[0:1]
	s_cbranch_vccz .LBB14_181
; %bb.180:
	global_load_ubyte v2, v[0:1], off
	s_mov_b32 s0, 0x7f800000
	s_brev_b32 s1, 1
	s_mov_b32 s14, 0x2f800000
	s_waitcnt vmcnt(0)
	v_lshlrev_b32_e32 v2, 24, v2
	v_and_b32_e32 v3, 0x7f000000, v2
	v_ffbh_u32_e32 v4, v3
	v_min_u32_e32 v4, 32, v4
	v_sub_u32_e64 v4, v4, 4 clamp
	v_lshlrev_b32_e32 v6, v4, v3
	v_lshlrev_b32_e32 v4, 23, v4
	v_lshrrev_b32_e32 v6, 4, v6
	v_add_u32_e32 v5, 0x1000000, v3
	v_sub_u32_e32 v4, v6, v4
	v_ashrrev_i32_e32 v5, 8, v5
	v_add_u32_e32 v4, 0x3c000000, v4
	v_and_or_b32 v4, v5, s0, v4
	v_cmp_ne_u32_e32 vcc, 0, v3
	v_cndmask_b32_e32 v3, 0, v4, vcc
	v_and_or_b32 v2, v2, s1, v3
	v_trunc_f32_e32 v2, v2
	v_mul_f32_e64 v3, |v2|, s14
	v_floor_f32_e32 v3, v3
	s_mov_b32 s0, 0xcf800000
	v_fma_f32 v3, v3, s0, |v2|
	v_cvt_u32_f32_e32 v3, v3
	v_ashrrev_i32_e32 v2, 31, v2
	v_xor_b32_e32 v3, v3, v2
	v_sub_u32_e32 v2, v3, v2
.LBB14_181:
	s_mov_b64 s[0:1], 0
.LBB14_182:
	s_andn2_b64 vcc, exec, s[0:1]
	s_cbranch_vccnz .LBB14_184
; %bb.183:
	global_load_ubyte v2, v[0:1], off
	s_movk_i32 s0, 0x7f00
	s_brev_b32 s1, 16
	s_brev_b32 s14, 1
	s_mov_b32 s15, 0x2f800000
	s_waitcnt vmcnt(0)
	v_lshlrev_b16_e32 v3, 8, v2
	v_lshlrev_b32_e32 v2, 25, v2
	v_lshrrev_b32_e32 v4, 4, v2
	v_and_or_b32 v5, v3, s0, 0.5
	v_or_b32_e32 v4, 0x70000000, v4
	v_add_f32_e32 v5, -0.5, v5
	v_mul_f32_e32 v4, 0x7800000, v4
	v_cmp_gt_u32_e32 vcc, s1, v2
	v_bfe_i32 v3, v3, 0, 16
	v_cndmask_b32_e32 v2, v4, v5, vcc
	v_and_or_b32 v2, v3, s14, v2
	v_trunc_f32_e32 v2, v2
	v_mul_f32_e64 v3, |v2|, s15
	v_floor_f32_e32 v3, v3
	s_mov_b32 s0, 0xcf800000
	v_fma_f32 v3, v3, s0, |v2|
	v_cvt_u32_f32_e32 v3, v3
	v_ashrrev_i32_e32 v2, 31, v2
	v_xor_b32_e32 v3, v3, v2
	v_sub_u32_e32 v2, v3, v2
.LBB14_184:
	s_mov_b64 s[14:15], 0
	s_mov_b64 s[0:1], -1
.LBB14_185:
	s_andn2_b64 vcc, exec, s[14:15]
	s_cbranch_vccnz .LBB14_198
; %bb.186:
	s_cmp_gt_i32 s21, 14
	s_cbranch_scc0 .LBB14_189
; %bb.187:
	s_cmp_eq_u32 s21, 15
	s_cbranch_scc0 .LBB14_192
; %bb.188:
	global_load_ushort v2, v[0:1], off
	s_mov_b32 s0, 0x2f800000
	s_mov_b32 s1, 0xcf800000
	s_mov_b64 s[16:17], 0
	s_waitcnt vmcnt(0)
	v_lshlrev_b32_e32 v2, 16, v2
	v_trunc_f32_e32 v2, v2
	v_mul_f32_e64 v3, |v2|, s0
	v_floor_f32_e32 v3, v3
	v_fma_f32 v3, v3, s1, |v2|
	v_cvt_u32_f32_e32 v3, v3
	v_ashrrev_i32_e32 v2, 31, v2
	s_mov_b64 s[0:1], -1
	v_xor_b32_e32 v3, v3, v2
	v_sub_u32_e32 v2, v3, v2
	s_branch .LBB14_193
.LBB14_189:
	s_mov_b64 s[14:15], -1
                                        ; implicit-def: $vgpr2
	s_branch .LBB14_194
.LBB14_190:
	s_andn2_saveexec_b64 s[0:1], s[0:1]
	s_cbranch_execz .LBB14_171
.LBB14_191:
	v_cmp_ne_u16_e32 vcc, 0, v3
	s_andn2_b64 s[14:15], s[14:15], exec
	s_and_b64 s[24:25], vcc, exec
	s_or_b64 s[14:15], s[14:15], s[24:25]
	s_or_b64 exec, exec, s[0:1]
	v_mov_b32_e32 v2, 0
	s_and_saveexec_b64 s[0:1], s[14:15]
	s_cbranch_execnz .LBB14_172
	s_branch .LBB14_173
.LBB14_192:
	s_mov_b64 s[16:17], -1
                                        ; implicit-def: $vgpr2
.LBB14_193:
	s_mov_b64 s[14:15], 0
.LBB14_194:
	s_and_b64 vcc, exec, s[14:15]
	s_cbranch_vccz .LBB14_198
; %bb.195:
	s_cmp_eq_u32 s21, 11
	s_cbranch_scc0 .LBB14_197
; %bb.196:
	global_load_ubyte v2, v[0:1], off
	s_mov_b64 s[0:1], -1
	s_mov_b64 s[16:17], 0
	s_waitcnt vmcnt(0)
	v_cmp_ne_u16_e32 vcc, 0, v2
	v_cndmask_b32_e64 v2, 0, 1, vcc
	s_branch .LBB14_198
.LBB14_197:
	s_mov_b64 s[16:17], -1
                                        ; implicit-def: $vgpr2
.LBB14_198:
	s_branch .LBB14_10
.LBB14_199:
	s_and_b32 s14, 0xffff, s20
	s_cmp_lt_i32 s14, 5
	s_cbranch_scc1 .LBB14_204
; %bb.200:
	s_cmp_lt_i32 s14, 8
	s_cbranch_scc1 .LBB14_205
; %bb.201:
	s_cmp_lt_i32 s14, 9
	s_cbranch_scc1 .LBB14_206
; %bb.202:
	s_cmp_gt_i32 s14, 9
	s_cbranch_scc0 .LBB14_207
; %bb.203:
	global_load_dwordx2 v[2:3], v[0:1], off
	s_movk_i32 s0, 0xffe0
	s_waitcnt vmcnt(0)
	v_trunc_f64_e32 v[2:3], v[2:3]
	v_ldexp_f64 v[4:5], v[2:3], s0
	s_mov_b32 s0, 0
	s_mov_b32 s1, 0xc1f00000
	v_floor_f64_e32 v[4:5], v[4:5]
	v_fma_f64 v[2:3], v[4:5], s[0:1], v[2:3]
	s_mov_b64 s[0:1], 0
	v_cvt_u32_f64_e32 v2, v[2:3]
	s_branch .LBB14_208
.LBB14_204:
                                        ; implicit-def: $vgpr2
	s_branch .LBB14_226
.LBB14_205:
	s_mov_b64 s[0:1], -1
                                        ; implicit-def: $vgpr2
	s_branch .LBB14_214
.LBB14_206:
	s_mov_b64 s[0:1], -1
                                        ; implicit-def: $vgpr2
	s_branch .LBB14_211
.LBB14_207:
	s_mov_b64 s[0:1], -1
                                        ; implicit-def: $vgpr2
.LBB14_208:
	s_andn2_b64 vcc, exec, s[0:1]
	s_cbranch_vccnz .LBB14_210
; %bb.209:
	global_load_dword v2, v[0:1], off
	s_mov_b32 s0, 0x2f800000
	s_waitcnt vmcnt(0)
	v_trunc_f32_e32 v2, v2
	v_mul_f32_e64 v3, |v2|, s0
	v_floor_f32_e32 v3, v3
	s_mov_b32 s0, 0xcf800000
	v_fma_f32 v3, v3, s0, |v2|
	v_cvt_u32_f32_e32 v3, v3
	v_ashrrev_i32_e32 v2, 31, v2
	v_xor_b32_e32 v3, v3, v2
	v_sub_u32_e32 v2, v3, v2
.LBB14_210:
	s_mov_b64 s[0:1], 0
.LBB14_211:
	s_andn2_b64 vcc, exec, s[0:1]
	s_cbranch_vccnz .LBB14_213
; %bb.212:
	global_load_dword v2, v[0:1], off
	s_waitcnt vmcnt(0)
	v_cvt_f32_f16_e32 v2, v2
	v_cvt_i32_f32_e32 v2, v2
.LBB14_213:
	s_mov_b64 s[0:1], 0
.LBB14_214:
	s_andn2_b64 vcc, exec, s[0:1]
	s_cbranch_vccnz .LBB14_225
; %bb.215:
	s_cmp_lt_i32 s14, 6
	s_cbranch_scc1 .LBB14_218
; %bb.216:
	s_cmp_gt_i32 s14, 6
	s_cbranch_scc0 .LBB14_219
; %bb.217:
	global_load_dwordx2 v[2:3], v[0:1], off
	s_movk_i32 s0, 0xffe0
	s_waitcnt vmcnt(0)
	v_trunc_f64_e32 v[2:3], v[2:3]
	v_ldexp_f64 v[4:5], v[2:3], s0
	s_mov_b32 s0, 0
	s_mov_b32 s1, 0xc1f00000
	v_floor_f64_e32 v[4:5], v[4:5]
	v_fma_f64 v[2:3], v[4:5], s[0:1], v[2:3]
	s_mov_b64 s[0:1], 0
	v_cvt_u32_f64_e32 v2, v[2:3]
	s_branch .LBB14_220
.LBB14_218:
	s_mov_b64 s[0:1], -1
                                        ; implicit-def: $vgpr2
	s_branch .LBB14_223
.LBB14_219:
	s_mov_b64 s[0:1], -1
                                        ; implicit-def: $vgpr2
.LBB14_220:
	s_andn2_b64 vcc, exec, s[0:1]
	s_cbranch_vccnz .LBB14_222
; %bb.221:
	global_load_dword v2, v[0:1], off
	s_mov_b32 s0, 0x2f800000
	s_waitcnt vmcnt(0)
	v_trunc_f32_e32 v2, v2
	v_mul_f32_e64 v3, |v2|, s0
	v_floor_f32_e32 v3, v3
	s_mov_b32 s0, 0xcf800000
	v_fma_f32 v3, v3, s0, |v2|
	v_cvt_u32_f32_e32 v3, v3
	v_ashrrev_i32_e32 v2, 31, v2
	v_xor_b32_e32 v3, v3, v2
	v_sub_u32_e32 v2, v3, v2
.LBB14_222:
	s_mov_b64 s[0:1], 0
.LBB14_223:
	s_andn2_b64 vcc, exec, s[0:1]
	s_cbranch_vccnz .LBB14_225
; %bb.224:
	global_load_ushort v2, v[0:1], off
	s_waitcnt vmcnt(0)
	v_cvt_f32_f16_e32 v2, v2
	v_cvt_i32_f32_e32 v2, v2
.LBB14_225:
	s_cbranch_execnz .LBB14_245
.LBB14_226:
	s_cmp_lt_i32 s14, 2
	s_cbranch_scc1 .LBB14_230
; %bb.227:
	s_cmp_lt_i32 s14, 3
	s_cbranch_scc1 .LBB14_231
; %bb.228:
	s_cmp_gt_i32 s14, 3
	s_cbranch_scc0 .LBB14_232
; %bb.229:
	global_load_dwordx2 v[2:3], v[0:1], off
	s_mov_b64 s[0:1], 0
	s_branch .LBB14_233
.LBB14_230:
	s_mov_b64 s[0:1], -1
                                        ; implicit-def: $vgpr2
	s_branch .LBB14_239
.LBB14_231:
	s_mov_b64 s[0:1], -1
                                        ; implicit-def: $vgpr2
	s_branch .LBB14_236
.LBB14_232:
	s_mov_b64 s[0:1], -1
                                        ; implicit-def: $vgpr2
.LBB14_233:
	s_andn2_b64 vcc, exec, s[0:1]
	s_cbranch_vccnz .LBB14_235
; %bb.234:
	global_load_dword v2, v[0:1], off
.LBB14_235:
	s_mov_b64 s[0:1], 0
.LBB14_236:
	s_andn2_b64 vcc, exec, s[0:1]
	s_cbranch_vccnz .LBB14_238
; %bb.237:
	global_load_ushort v2, v[0:1], off
.LBB14_238:
	s_mov_b64 s[0:1], 0
.LBB14_239:
	s_andn2_b64 vcc, exec, s[0:1]
	s_cbranch_vccnz .LBB14_245
; %bb.240:
	s_cmp_gt_i32 s14, 0
	s_cbranch_scc0 .LBB14_242
; %bb.241:
	global_load_ubyte v2, v[0:1], off
	s_mov_b64 s[0:1], 0
	s_branch .LBB14_243
.LBB14_242:
	s_mov_b64 s[0:1], -1
                                        ; implicit-def: $vgpr2
.LBB14_243:
	s_andn2_b64 vcc, exec, s[0:1]
	s_cbranch_vccnz .LBB14_245
; %bb.244:
	global_load_ubyte v2, v[0:1], off
.LBB14_245:
	s_branch .LBB14_11
.LBB14_246:
	s_mov_b64 s[0:1], 0
                                        ; implicit-def: $vgpr7
	s_mov_b64 s[20:21], 0
.LBB14_247:
	s_and_b64 s[14:15], s[0:1], exec
	s_and_b64 s[16:17], s[16:17], exec
	s_orn2_b64 s[20:21], s[20:21], exec
.LBB14_248:
	s_or_b64 exec, exec, s[18:19]
	s_mov_b64 s[24:25], 0
	s_mov_b64 s[0:1], 0
                                        ; implicit-def: $sgpr47
                                        ; implicit-def: $vgpr0_vgpr1
                                        ; implicit-def: $vgpr2
	s_and_saveexec_b64 s[18:19], s[20:21]
	s_cbranch_execz .LBB14_257
; %bb.249:
	v_cmp_gt_i32_e32 vcc, s40, v7
	s_mov_b64 s[0:1], -1
	s_mov_b64 s[20:21], s[16:17]
	s_mov_b64 s[22:23], s[14:15]
	s_and_saveexec_b64 s[24:25], vcc
	s_cbranch_execz .LBB14_505
; %bb.250:
	v_mul_lo_u32 v0, v7, s3
	v_mov_b32_e32 v1, s11
	s_and_b32 s26, s45, 0xff
	s_cmp_lt_i32 s26, 11
	s_waitcnt vmcnt(0)
	v_ashrrev_i32_e32 v2, 31, v0
	v_add_co_u32_e32 v0, vcc, s10, v0
	v_addc_co_u32_e32 v1, vcc, v1, v2, vcc
	s_cbranch_scc1 .LBB14_260
; %bb.251:
	s_and_b32 s27, 0xffff, s26
	s_cmp_gt_i32 s27, 25
	s_cbranch_scc0 .LBB14_269
; %bb.252:
	s_cmp_gt_i32 s27, 28
	s_cbranch_scc0 .LBB14_271
; %bb.253:
	;; [unrolled: 3-line block ×4, first 2 shown]
	s_cmp_eq_u32 s27, 46
	s_mov_b64 s[22:23], 0
	s_cbranch_scc0 .LBB14_281
; %bb.256:
	global_load_dword v2, v[0:1], off
	s_mov_b32 s0, 0x2f800000
	s_mov_b32 s1, 0xcf800000
	s_mov_b64 s[20:21], 0
	s_waitcnt vmcnt(0)
	v_lshlrev_b32_e32 v2, 16, v2
	v_trunc_f32_e32 v2, v2
	v_mul_f32_e64 v3, |v2|, s0
	v_floor_f32_e32 v3, v3
	v_fma_f32 v3, v3, s1, |v2|
	v_cvt_u32_f32_e32 v3, v3
	v_ashrrev_i32_e32 v2, 31, v2
	s_mov_b64 s[0:1], -1
	v_xor_b32_e32 v3, v3, v2
	v_sub_u32_e32 v2, v3, v2
	s_branch .LBB14_282
.LBB14_257:
	s_or_b64 exec, exec, s[18:19]
	s_mov_b64 s[18:19], 0
	s_and_saveexec_b64 s[20:21], s[16:17]
	s_cbranch_execnz .LBB14_843
.LBB14_258:
	s_or_b64 exec, exec, s[20:21]
	s_and_saveexec_b64 s[16:17], s[22:23]
	s_xor_b64 s[16:17], exec, s[16:17]
	s_cbranch_execz .LBB14_844
.LBB14_259:
	global_load_ubyte v2, v[0:1], off
	s_or_b64 s[0:1], s[0:1], exec
	s_waitcnt vmcnt(0)
	v_cmp_ne_u16_e32 vcc, 0, v2
	v_cndmask_b32_e64 v2, 0, 1, vcc
	s_or_b64 exec, exec, s[16:17]
	s_and_saveexec_b64 s[16:17], s[24:25]
	s_cbranch_execz .LBB14_890
	s_branch .LBB14_845
.LBB14_260:
	s_mov_b64 s[0:1], 0
                                        ; implicit-def: $vgpr2
	s_mov_b64 s[20:21], s[16:17]
	s_cbranch_execnz .LBB14_455
.LBB14_261:
	s_andn2_b64 vcc, exec, s[0:1]
	s_cbranch_vccnz .LBB14_503
.LBB14_262:
	v_mul_lo_u32 v0, v7, s2
	s_waitcnt vmcnt(0)
	v_lshlrev_b32_e32 v1, s46, v2
	v_mov_b32_e32 v3, s9
	v_cndmask_b32_e64 v2, v1, 0, s[6:7]
	v_ashrrev_i32_e32 v1, 31, v0
	s_and_b32 s30, s33, 0xff
	v_add_co_u32_e32 v0, vcc, s8, v0
	s_cmp_lt_i32 s30, 11
	v_addc_co_u32_e32 v1, vcc, v3, v1, vcc
	s_cbranch_scc1 .LBB14_270
; %bb.263:
	s_and_b32 s31, 0xffff, s30
	s_cmp_gt_i32 s31, 25
	s_cbranch_scc0 .LBB14_272
; %bb.264:
	s_cmp_gt_i32 s31, 28
	s_cbranch_scc0 .LBB14_274
; %bb.265:
	;; [unrolled: 3-line block ×4, first 2 shown]
	s_mov_b64 s[26:27], 0
	s_mov_b64 s[0:1], -1
	s_cmp_eq_u32 s31, 46
	s_mov_b64 s[22:23], 0
	s_cbranch_scc0 .LBB14_286
; %bb.268:
	v_cvt_f32_ubyte0_e32 v3, v2
	v_bfe_u32 v4, v3, 16, 1
	s_movk_i32 s0, 0x7fff
	v_add3_u32 v3, v3, v4, s0
	v_lshrrev_b32_e32 v3, 16, v3
	global_store_dword v[0:1], v3, off
	s_mov_b64 s[22:23], -1
	s_mov_b64 s[0:1], 0
	s_branch .LBB14_286
.LBB14_269:
	s_mov_b64 s[22:23], -1
	s_mov_b64 s[0:1], 0
	s_mov_b64 s[20:21], s[16:17]
                                        ; implicit-def: $vgpr2
	s_branch .LBB14_421
.LBB14_270:
	s_mov_b64 s[26:27], -1
	s_mov_b64 s[22:23], 0
	s_mov_b64 s[0:1], s[14:15]
	s_branch .LBB14_355
.LBB14_271:
	s_mov_b64 s[22:23], -1
	s_mov_b64 s[0:1], 0
	s_mov_b64 s[20:21], s[16:17]
                                        ; implicit-def: $vgpr2
	s_branch .LBB14_404
.LBB14_272:
	s_mov_b64 s[26:27], -1
	s_mov_b64 s[22:23], 0
	s_mov_b64 s[0:1], s[14:15]
	s_branch .LBB14_313
.LBB14_273:
	s_mov_b64 s[22:23], -1
	s_mov_b64 s[0:1], 0
	s_mov_b64 s[20:21], s[16:17]
                                        ; implicit-def: $vgpr2
	s_branch .LBB14_399
.LBB14_274:
	s_mov_b64 s[26:27], -1
	s_mov_b64 s[22:23], 0
	s_mov_b64 s[0:1], s[14:15]
	s_branch .LBB14_296
.LBB14_275:
	s_andn2_saveexec_b64 s[24:25], s[24:25]
	s_cbranch_execz .LBB14_55
.LBB14_276:
	v_add_f32_e32 v3, 0x46000000, v4
	v_and_b32_e32 v3, 0xff, v3
	v_cmp_ne_u32_e32 vcc, 0, v3
	s_andn2_b64 s[20:21], s[20:21], exec
	s_and_b64 s[28:29], vcc, exec
	s_or_b64 s[20:21], s[20:21], s[28:29]
	s_or_b64 exec, exec, s[24:25]
	v_mov_b32_e32 v5, 0
	s_and_saveexec_b64 s[24:25], s[20:21]
	s_cbranch_execnz .LBB14_56
	s_branch .LBB14_57
.LBB14_277:
	s_mov_b64 s[22:23], -1
	s_mov_b64 s[0:1], 0
	s_mov_b64 s[20:21], s[16:17]
                                        ; implicit-def: $vgpr2
	s_branch .LBB14_282
.LBB14_278:
	s_mov_b64 s[26:27], -1
	s_mov_b64 s[22:23], 0
	s_mov_b64 s[0:1], s[14:15]
	s_branch .LBB14_292
.LBB14_279:
	s_andn2_saveexec_b64 s[24:25], s[24:25]
	s_cbranch_execz .LBB14_68
.LBB14_280:
	v_add_f32_e32 v3, 0x42800000, v4
	v_and_b32_e32 v3, 0xff, v3
	v_cmp_ne_u32_e32 vcc, 0, v3
	s_andn2_b64 s[20:21], s[20:21], exec
	s_and_b64 s[28:29], vcc, exec
	s_or_b64 s[20:21], s[20:21], s[28:29]
	s_or_b64 exec, exec, s[24:25]
	v_mov_b32_e32 v5, 0
	s_and_saveexec_b64 s[24:25], s[20:21]
	s_cbranch_execnz .LBB14_69
	s_branch .LBB14_70
.LBB14_281:
	s_mov_b64 s[20:21], -1
                                        ; implicit-def: $vgpr2
	s_mov_b64 s[0:1], 0
.LBB14_282:
	s_and_b64 vcc, exec, s[22:23]
	s_cbranch_vccz .LBB14_398
; %bb.283:
	s_cmp_eq_u32 s27, 44
	s_cbranch_scc0 .LBB14_397
; %bb.284:
	global_load_ubyte v2, v[0:1], off
	s_mov_b32 s0, 0x2f800000
	s_mov_b32 s1, 0xcf800000
	s_mov_b64 s[20:21], 0
	s_waitcnt vmcnt(0)
	v_lshlrev_b32_e32 v3, 23, v2
	v_trunc_f32_e32 v3, v3
	v_mul_f32_e64 v4, |v3|, s0
	v_floor_f32_e32 v4, v4
	v_fma_f32 v4, v4, s1, |v3|
	v_cvt_u32_f32_e32 v4, v4
	v_ashrrev_i32_e32 v3, 31, v3
	v_cmp_ne_u32_e32 vcc, 0, v2
	s_mov_b64 s[0:1], -1
	v_xor_b32_e32 v4, v4, v3
	v_sub_u32_e32 v3, v4, v3
	v_cndmask_b32_e32 v2, 0, v3, vcc
	s_branch .LBB14_398
.LBB14_285:
	s_mov_b64 s[26:27], -1
	s_mov_b64 s[22:23], 0
	s_mov_b64 s[0:1], s[14:15]
.LBB14_286:
	s_and_b64 vcc, exec, s[26:27]
	s_cbranch_vccz .LBB14_291
; %bb.287:
	s_cmp_eq_u32 s31, 44
	s_mov_b64 s[0:1], -1
	s_cbranch_scc0 .LBB14_291
; %bb.288:
	v_cvt_f32_ubyte0_e32 v4, v2
	v_lshrrev_b32_e32 v3, 23, v4
	s_movk_i32 s0, 0xff
	v_cmp_ne_u32_e32 vcc, s0, v3
	v_mov_b32_e32 v5, 0xff
	s_and_saveexec_b64 s[22:23], vcc
; %bb.289:
	s_mov_b32 s0, 0x3fffff
	v_and_b32_e32 v5, 0x400000, v4
	v_and_or_b32 v4, v4, s0, v3
	v_cmp_ne_u32_e32 vcc, 0, v5
	v_cmp_ne_u32_e64 s[0:1], 0, v4
	s_and_b64 s[0:1], vcc, s[0:1]
	v_cndmask_b32_e64 v4, 0, 1, s[0:1]
	v_add_u32_e32 v5, v3, v4
; %bb.290:
	s_or_b64 exec, exec, s[22:23]
	s_mov_b64 s[22:23], -1
	s_mov_b64 s[0:1], 0
	global_store_byte v[0:1], v5, off
.LBB14_291:
	s_mov_b64 s[26:27], 0
.LBB14_292:
	s_and_b64 vcc, exec, s[26:27]
	s_cbranch_vccz .LBB14_295
; %bb.293:
	s_cmp_eq_u32 s31, 29
	s_mov_b64 s[0:1], -1
	s_cbranch_scc0 .LBB14_295
; %bb.294:
	v_and_b32_e32 v3, 0xff, v2
	v_mov_b32_e32 v4, 0
	global_store_dwordx2 v[0:1], v[3:4], off
	s_mov_b64 s[22:23], -1
	s_mov_b64 s[0:1], 0
.LBB14_295:
	s_mov_b64 s[26:27], 0
.LBB14_296:
	s_and_b64 vcc, exec, s[26:27]
	s_cbranch_vccz .LBB14_312
; %bb.297:
	s_cmp_lt_i32 s31, 27
	s_mov_b64 s[22:23], -1
	s_cbranch_scc1 .LBB14_303
; %bb.298:
	s_cmp_gt_i32 s31, 27
	s_cbranch_scc0 .LBB14_300
; %bb.299:
	v_and_b32_e32 v3, 0xff, v2
	s_mov_b64 s[22:23], 0
	global_store_dword v[0:1], v3, off
.LBB14_300:
	s_andn2_b64 vcc, exec, s[22:23]
	s_cbranch_vccnz .LBB14_302
; %bb.301:
	v_and_b32_e32 v3, 0xff, v2
	global_store_short v[0:1], v3, off
.LBB14_302:
	s_mov_b64 s[22:23], 0
.LBB14_303:
	s_andn2_b64 vcc, exec, s[22:23]
	s_cbranch_vccnz .LBB14_311
; %bb.304:
	v_cvt_f32_ubyte0_e32 v4, v2
	s_mov_b32 s22, 0x43800000
	v_cmp_gt_u32_e32 vcc, s22, v4
	v_mov_b32_e32 v5, 0x80
	s_and_saveexec_b64 s[22:23], vcc
	s_cbranch_execz .LBB14_310
; %bb.305:
	s_mov_b32 s26, 0x3bffffff
	v_cmp_lt_u32_e32 vcc, s26, v4
	s_mov_b64 s[26:27], 0
                                        ; implicit-def: $vgpr3
	s_and_saveexec_b64 s[28:29], vcc
	s_xor_b64 s[28:29], exec, s[28:29]
	s_cbranch_execz .LBB14_518
; %bb.306:
	v_bfe_u32 v3, v4, 20, 1
	s_mov_b32 s34, 0x487ffff
	v_add3_u32 v3, v4, v3, s34
	s_mov_b64 s[26:27], exec
	v_lshrrev_b32_e32 v3, 20, v3
                                        ; implicit-def: $vgpr4
	s_andn2_saveexec_b64 s[28:29], s[28:29]
	s_cbranch_execnz .LBB14_519
.LBB14_307:
	s_or_b64 exec, exec, s[28:29]
	v_mov_b32_e32 v5, 0
	s_and_saveexec_b64 s[28:29], s[26:27]
.LBB14_308:
	v_mov_b32_e32 v5, v3
.LBB14_309:
	s_or_b64 exec, exec, s[28:29]
.LBB14_310:
	s_or_b64 exec, exec, s[22:23]
	global_store_byte v[0:1], v5, off
.LBB14_311:
	s_mov_b64 s[22:23], -1
.LBB14_312:
	s_mov_b64 s[26:27], 0
.LBB14_313:
	s_and_b64 vcc, exec, s[26:27]
	s_cbranch_vccz .LBB14_354
; %bb.314:
	s_cmp_gt_i32 s31, 22
	s_mov_b64 s[26:27], -1
	s_cbranch_scc0 .LBB14_346
; %bb.315:
	s_cmp_lt_i32 s31, 24
	s_mov_b64 s[22:23], -1
	s_cbranch_scc1 .LBB14_335
; %bb.316:
	s_cmp_gt_i32 s31, 24
	s_cbranch_scc0 .LBB14_324
; %bb.317:
	v_cvt_f32_ubyte0_e32 v4, v2
	s_mov_b32 s22, 0x47800000
	v_cmp_gt_u32_e32 vcc, s22, v4
	v_mov_b32_e32 v5, 0x80
	s_and_saveexec_b64 s[22:23], vcc
	s_cbranch_execz .LBB14_323
; %bb.318:
	s_mov_b32 s26, 0x37ffffff
	v_cmp_lt_u32_e32 vcc, s26, v4
	s_mov_b64 s[26:27], 0
                                        ; implicit-def: $vgpr3
	s_and_saveexec_b64 s[28:29], vcc
	s_xor_b64 s[28:29], exec, s[28:29]
	s_cbranch_execz .LBB14_521
; %bb.319:
	v_bfe_u32 v3, v4, 21, 1
	s_mov_b32 s34, 0x88fffff
	v_add3_u32 v3, v4, v3, s34
	s_mov_b64 s[26:27], exec
	v_lshrrev_b32_e32 v3, 21, v3
                                        ; implicit-def: $vgpr4
	s_andn2_saveexec_b64 s[28:29], s[28:29]
	s_cbranch_execnz .LBB14_522
.LBB14_320:
	s_or_b64 exec, exec, s[28:29]
	v_mov_b32_e32 v5, 0
	s_and_saveexec_b64 s[28:29], s[26:27]
.LBB14_321:
	v_mov_b32_e32 v5, v3
.LBB14_322:
	s_or_b64 exec, exec, s[28:29]
.LBB14_323:
	s_or_b64 exec, exec, s[22:23]
	s_mov_b64 s[22:23], 0
	global_store_byte v[0:1], v5, off
.LBB14_324:
	s_and_b64 vcc, exec, s[22:23]
	s_cbranch_vccz .LBB14_334
; %bb.325:
	v_cvt_f32_ubyte0_e32 v3, v2
	s_mov_b32 s22, 0x43f00000
	v_cmp_gt_u32_e32 vcc, s22, v3
                                        ; implicit-def: $vgpr4
	s_and_saveexec_b64 s[22:23], vcc
	s_xor_b64 s[22:23], exec, s[22:23]
	s_cbranch_execz .LBB14_331
; %bb.326:
	s_mov_b32 s26, 0x3c7fffff
	v_cmp_lt_u32_e32 vcc, s26, v3
                                        ; implicit-def: $vgpr4
	s_and_saveexec_b64 s[26:27], vcc
	s_xor_b64 s[26:27], exec, s[26:27]
; %bb.327:
	v_bfe_u32 v4, v3, 20, 1
	s_mov_b32 s28, 0x407ffff
	v_add3_u32 v3, v3, v4, s28
	v_lshrrev_b32_e32 v4, 20, v3
	v_and_b32_e32 v3, 0xff00000, v3
	s_mov_b32 s28, 0x7f00000
	v_mov_b32_e32 v5, 0x7e
	v_cmp_ne_u32_e32 vcc, s28, v3
	v_cndmask_b32_e32 v4, v5, v4, vcc
                                        ; implicit-def: $vgpr3
; %bb.328:
	s_andn2_saveexec_b64 s[26:27], s[26:27]
; %bb.329:
	v_add_f32_e32 v4, 0x46800000, v3
; %bb.330:
	s_or_b64 exec, exec, s[26:27]
                                        ; implicit-def: $vgpr3
.LBB14_331:
	s_andn2_saveexec_b64 s[22:23], s[22:23]
; %bb.332:
	s_mov_b32 s26, 0x7f800000
	v_mov_b32_e32 v4, 0x7e
	v_mov_b32_e32 v5, 0x7f
	v_cmp_lt_u32_e32 vcc, s26, v3
	v_cndmask_b32_e32 v4, v4, v5, vcc
; %bb.333:
	s_or_b64 exec, exec, s[22:23]
	global_store_byte v[0:1], v4, off
.LBB14_334:
	s_mov_b64 s[22:23], 0
.LBB14_335:
	s_andn2_b64 vcc, exec, s[22:23]
	s_cbranch_vccnz .LBB14_345
; %bb.336:
	v_cvt_f32_ubyte0_e32 v3, v2
	s_mov_b32 s22, 0x47800000
	v_cmp_gt_u32_e32 vcc, s22, v3
                                        ; implicit-def: $vgpr4
	s_and_saveexec_b64 s[22:23], vcc
	s_xor_b64 s[22:23], exec, s[22:23]
	s_cbranch_execz .LBB14_342
; %bb.337:
	s_mov_b32 s26, 0x387fffff
	v_cmp_lt_u32_e32 vcc, s26, v3
                                        ; implicit-def: $vgpr4
	s_and_saveexec_b64 s[26:27], vcc
	s_xor_b64 s[26:27], exec, s[26:27]
; %bb.338:
	v_bfe_u32 v4, v3, 21, 1
	s_mov_b32 s28, 0x80fffff
	v_add3_u32 v3, v3, v4, s28
	v_lshrrev_b32_e32 v4, 21, v3
                                        ; implicit-def: $vgpr3
; %bb.339:
	s_andn2_saveexec_b64 s[26:27], s[26:27]
; %bb.340:
	v_add_f32_e32 v4, 0x43000000, v3
; %bb.341:
	s_or_b64 exec, exec, s[26:27]
                                        ; implicit-def: $vgpr3
.LBB14_342:
	s_andn2_saveexec_b64 s[22:23], s[22:23]
; %bb.343:
	s_mov_b32 s26, 0x7f800000
	v_mov_b32_e32 v4, 0x7c
	v_mov_b32_e32 v5, 0x7f
	v_cmp_lt_u32_e32 vcc, s26, v3
	v_cndmask_b32_e32 v4, v4, v5, vcc
; %bb.344:
	s_or_b64 exec, exec, s[22:23]
	global_store_byte v[0:1], v4, off
.LBB14_345:
	s_mov_b64 s[26:27], 0
	s_mov_b64 s[22:23], -1
.LBB14_346:
	s_andn2_b64 vcc, exec, s[26:27]
	s_cbranch_vccnz .LBB14_354
; %bb.347:
	s_cmp_gt_i32 s31, 14
	s_mov_b64 s[26:27], -1
	s_cbranch_scc0 .LBB14_351
; %bb.348:
	s_cmp_eq_u32 s31, 15
	s_mov_b64 s[0:1], -1
	s_cbranch_scc0 .LBB14_350
; %bb.349:
	v_cvt_f32_ubyte0_e32 v3, v2
	v_bfe_u32 v4, v3, 16, 1
	s_movk_i32 s0, 0x7fff
	v_add3_u32 v3, v3, v4, s0
	global_store_short_d16_hi v[0:1], v3, off
	s_mov_b64 s[22:23], -1
	s_mov_b64 s[0:1], 0
.LBB14_350:
	s_mov_b64 s[26:27], 0
.LBB14_351:
	s_and_b64 vcc, exec, s[26:27]
	s_cbranch_vccz .LBB14_354
; %bb.352:
	s_cmp_eq_u32 s31, 11
	s_mov_b64 s[0:1], -1
	s_cbranch_scc0 .LBB14_354
; %bb.353:
	v_mov_b32_e32 v3, 0
	v_cmp_ne_u16_sdwa s[0:1], v2, v3 src0_sel:BYTE_0 src1_sel:DWORD
	v_cndmask_b32_e64 v3, 0, 1, s[0:1]
	s_mov_b64 s[22:23], -1
	s_mov_b64 s[0:1], 0
	global_store_byte v[0:1], v3, off
.LBB14_354:
	s_mov_b64 s[26:27], 0
.LBB14_355:
	s_and_b64 vcc, exec, s[26:27]
	s_cbranch_vccz .LBB14_394
; %bb.356:
	s_and_b32 s26, 0xffff, s30
	s_cmp_lt_i32 s26, 5
	s_mov_b64 s[22:23], -1
	s_cbranch_scc1 .LBB14_377
; %bb.357:
	s_cmp_lt_i32 s26, 8
	s_cbranch_scc1 .LBB14_367
; %bb.358:
	s_cmp_lt_i32 s26, 9
	s_cbranch_scc1 .LBB14_364
; %bb.359:
	s_cmp_gt_i32 s26, 9
	s_cbranch_scc0 .LBB14_361
; %bb.360:
	s_mov_b32 s22, 0xffff
	v_and_b32_sdwa v3, s22, v2 dst_sel:DWORD dst_unused:UNUSED_PAD src0_sel:DWORD src1_sel:BYTE_0
	v_cvt_f64_u32_e32 v[3:4], v3
	v_mov_b32_e32 v5, 0
	v_mov_b32_e32 v6, v5
	s_mov_b64 s[22:23], 0
	global_store_dwordx4 v[0:1], v[3:6], off
.LBB14_361:
	s_andn2_b64 vcc, exec, s[22:23]
	s_cbranch_vccnz .LBB14_363
; %bb.362:
	v_cvt_f32_ubyte0_e32 v3, v2
	v_mov_b32_e32 v4, 0
	global_store_dwordx2 v[0:1], v[3:4], off
.LBB14_363:
	s_mov_b64 s[22:23], 0
.LBB14_364:
	s_andn2_b64 vcc, exec, s[22:23]
	s_cbranch_vccnz .LBB14_366
; %bb.365:
	v_cvt_f16_u16_sdwa v3, v2 dst_sel:DWORD dst_unused:UNUSED_PAD src0_sel:BYTE_0
	global_store_dword v[0:1], v3, off
.LBB14_366:
	s_mov_b64 s[22:23], 0
.LBB14_367:
	s_andn2_b64 vcc, exec, s[22:23]
	s_cbranch_vccnz .LBB14_376
; %bb.368:
	s_cmp_lt_i32 s26, 6
	s_mov_b64 s[22:23], -1
	s_cbranch_scc1 .LBB14_374
; %bb.369:
	s_cmp_gt_i32 s26, 6
	s_cbranch_scc0 .LBB14_371
; %bb.370:
	s_mov_b32 s22, 0xffff
	v_and_b32_sdwa v3, s22, v2 dst_sel:DWORD dst_unused:UNUSED_PAD src0_sel:DWORD src1_sel:BYTE_0
	v_cvt_f64_u32_e32 v[3:4], v3
	s_mov_b64 s[22:23], 0
	global_store_dwordx2 v[0:1], v[3:4], off
.LBB14_371:
	s_andn2_b64 vcc, exec, s[22:23]
	s_cbranch_vccnz .LBB14_373
; %bb.372:
	v_cvt_f32_ubyte0_e32 v3, v2
	global_store_dword v[0:1], v3, off
.LBB14_373:
	s_mov_b64 s[22:23], 0
.LBB14_374:
	s_andn2_b64 vcc, exec, s[22:23]
	s_cbranch_vccnz .LBB14_376
; %bb.375:
	v_cvt_f16_u16_sdwa v3, v2 dst_sel:DWORD dst_unused:UNUSED_PAD src0_sel:BYTE_0
	global_store_short v[0:1], v3, off
.LBB14_376:
	s_mov_b64 s[22:23], 0
.LBB14_377:
	s_andn2_b64 vcc, exec, s[22:23]
	s_cbranch_vccnz .LBB14_393
; %bb.378:
	s_cmp_lt_i32 s26, 2
	s_mov_b64 s[22:23], -1
	s_cbranch_scc1 .LBB14_388
; %bb.379:
	s_cmp_lt_i32 s26, 3
	s_cbranch_scc1 .LBB14_385
; %bb.380:
	s_cmp_gt_i32 s26, 3
	s_cbranch_scc0 .LBB14_382
; %bb.381:
	v_and_b32_e32 v3, 0xff, v2
	v_mov_b32_e32 v4, 0
	s_mov_b64 s[22:23], 0
	global_store_dwordx2 v[0:1], v[3:4], off
.LBB14_382:
	s_andn2_b64 vcc, exec, s[22:23]
	s_cbranch_vccnz .LBB14_384
; %bb.383:
	v_and_b32_e32 v3, 0xff, v2
	global_store_dword v[0:1], v3, off
.LBB14_384:
	s_mov_b64 s[22:23], 0
.LBB14_385:
	s_andn2_b64 vcc, exec, s[22:23]
	s_cbranch_vccnz .LBB14_387
; %bb.386:
	v_and_b32_e32 v3, 0xff, v2
	global_store_short v[0:1], v3, off
.LBB14_387:
	s_mov_b64 s[22:23], 0
.LBB14_388:
	s_andn2_b64 vcc, exec, s[22:23]
	s_cbranch_vccnz .LBB14_393
; %bb.389:
	s_cmp_gt_i32 s26, 0
	s_mov_b64 s[22:23], -1
	s_cbranch_scc0 .LBB14_391
; %bb.390:
	s_mov_b64 s[22:23], 0
	global_store_byte v[0:1], v2, off
.LBB14_391:
	s_andn2_b64 vcc, exec, s[22:23]
	s_cbranch_vccnz .LBB14_393
; %bb.392:
	global_store_byte v[0:1], v2, off
.LBB14_393:
	s_mov_b64 s[22:23], -1
.LBB14_394:
	s_andn2_b64 vcc, exec, s[22:23]
	s_cbranch_vccnz .LBB14_396
; %bb.395:
	v_add_u32_e32 v7, 0x80, v7
	s_mov_b64 s[26:27], -1
	s_branch .LBB14_504
.LBB14_396:
	s_mov_b64 s[26:27], 0
                                        ; implicit-def: $vgpr7
	s_branch .LBB14_504
.LBB14_397:
	s_mov_b64 s[20:21], -1
                                        ; implicit-def: $vgpr2
.LBB14_398:
	s_mov_b64 s[22:23], 0
.LBB14_399:
	s_and_b64 vcc, exec, s[22:23]
	s_cbranch_vccz .LBB14_403
; %bb.400:
	s_cmp_eq_u32 s27, 29
	s_cbranch_scc0 .LBB14_402
; %bb.401:
	global_load_dwordx2 v[2:3], v[0:1], off
	s_mov_b64 s[0:1], -1
	s_mov_b64 s[20:21], 0
	s_branch .LBB14_403
.LBB14_402:
	s_mov_b64 s[20:21], -1
                                        ; implicit-def: $vgpr2
.LBB14_403:
	s_mov_b64 s[22:23], 0
.LBB14_404:
	s_and_b64 vcc, exec, s[22:23]
	s_cbranch_vccz .LBB14_420
; %bb.405:
	s_cmp_lt_i32 s27, 27
	s_cbranch_scc1 .LBB14_408
; %bb.406:
	s_cmp_gt_i32 s27, 27
	s_cbranch_scc0 .LBB14_409
; %bb.407:
	global_load_dword v2, v[0:1], off
	s_mov_b64 s[0:1], 0
	s_branch .LBB14_410
.LBB14_408:
	s_mov_b64 s[0:1], -1
                                        ; implicit-def: $vgpr2
	s_branch .LBB14_413
.LBB14_409:
	s_mov_b64 s[0:1], -1
                                        ; implicit-def: $vgpr2
.LBB14_410:
	s_andn2_b64 vcc, exec, s[0:1]
	s_cbranch_vccnz .LBB14_412
; %bb.411:
	global_load_ushort v2, v[0:1], off
.LBB14_412:
	s_mov_b64 s[0:1], 0
.LBB14_413:
	s_andn2_b64 vcc, exec, s[0:1]
	s_cbranch_vccnz .LBB14_419
; %bb.414:
	global_load_ubyte v3, v[0:1], off
	s_movk_i32 s0, 0x7f
	s_mov_b64 s[22:23], 0
	s_waitcnt vmcnt(0)
	v_cmp_lt_i16_e32 vcc, s0, v3
	s_and_saveexec_b64 s[0:1], vcc
	s_xor_b64 s[0:1], exec, s[0:1]
	s_cbranch_execz .LBB14_431
; %bb.415:
	s_movk_i32 s22, 0x80
	v_cmp_ne_u16_e32 vcc, s22, v3
	s_and_b64 s[22:23], vcc, exec
	s_andn2_saveexec_b64 s[0:1], s[0:1]
	s_cbranch_execnz .LBB14_432
.LBB14_416:
	s_or_b64 exec, exec, s[0:1]
	v_mov_b32_e32 v2, 0
	s_and_saveexec_b64 s[0:1], s[22:23]
	s_cbranch_execz .LBB14_418
.LBB14_417:
	v_lshlrev_b32_e32 v2, 24, v3
	v_and_b32_e32 v3, 0xffff, v3
	v_and_b32_e32 v4, 7, v3
	v_ffbh_u32_e32 v6, v4
	v_min_u32_e32 v6, 32, v6
	v_subrev_u32_e32 v8, 28, v6
	v_bfe_u32 v5, v3, 3, 4
	v_lshlrev_b32_e32 v3, v8, v3
	v_sub_u32_e32 v6, 29, v6
	v_and_b32_e32 v3, 7, v3
	v_cmp_eq_u32_e32 vcc, 0, v5
	v_cndmask_b32_e32 v5, v5, v6, vcc
	v_cndmask_b32_e32 v3, v4, v3, vcc
	v_mov_b32_e32 v4, 0x3b800000
	v_lshlrev_b32_e32 v3, 20, v3
	v_and_b32_e32 v2, 0x80000000, v2
	v_lshl_add_u32 v4, v5, 23, v4
	v_or3_b32 v2, v2, v4, v3
	v_trunc_f32_e32 v2, v2
	s_mov_b32 s22, 0x2f800000
	v_mul_f32_e64 v3, |v2|, s22
	v_floor_f32_e32 v3, v3
	s_mov_b32 s22, 0xcf800000
	v_fma_f32 v3, v3, s22, |v2|
	v_cvt_u32_f32_e32 v3, v3
	v_ashrrev_i32_e32 v2, 31, v2
	v_xor_b32_e32 v3, v3, v2
	v_sub_u32_e32 v2, v3, v2
.LBB14_418:
	s_or_b64 exec, exec, s[0:1]
.LBB14_419:
	s_mov_b64 s[0:1], -1
.LBB14_420:
	s_mov_b64 s[22:23], 0
.LBB14_421:
	s_and_b64 vcc, exec, s[22:23]
	s_cbranch_vccz .LBB14_454
; %bb.422:
	s_cmp_gt_i32 s27, 22
	s_cbranch_scc0 .LBB14_430
; %bb.423:
	s_cmp_lt_i32 s27, 24
	s_cbranch_scc1 .LBB14_433
; %bb.424:
	s_cmp_gt_i32 s27, 24
	s_cbranch_scc0 .LBB14_434
; %bb.425:
	global_load_ubyte v3, v[0:1], off
	s_movk_i32 s0, 0x7f
	s_mov_b64 s[22:23], 0
	s_waitcnt vmcnt(0)
	v_cmp_lt_i16_e32 vcc, s0, v3
	s_and_saveexec_b64 s[0:1], vcc
	s_xor_b64 s[0:1], exec, s[0:1]
	s_cbranch_execz .LBB14_446
; %bb.426:
	s_movk_i32 s22, 0x80
	v_cmp_ne_u16_e32 vcc, s22, v3
	s_and_b64 s[22:23], vcc, exec
	s_andn2_saveexec_b64 s[0:1], s[0:1]
	s_cbranch_execnz .LBB14_447
.LBB14_427:
	s_or_b64 exec, exec, s[0:1]
	v_mov_b32_e32 v2, 0
	s_and_saveexec_b64 s[0:1], s[22:23]
	s_cbranch_execz .LBB14_429
.LBB14_428:
	v_lshlrev_b32_e32 v2, 24, v3
	v_and_b32_e32 v3, 0xffff, v3
	v_and_b32_e32 v4, 3, v3
	v_ffbh_u32_e32 v6, v4
	v_min_u32_e32 v6, 32, v6
	v_subrev_u32_e32 v8, 29, v6
	v_bfe_u32 v5, v3, 2, 5
	v_lshlrev_b32_e32 v3, v8, v3
	v_sub_u32_e32 v6, 30, v6
	v_and_b32_e32 v3, 3, v3
	v_cmp_eq_u32_e32 vcc, 0, v5
	v_cndmask_b32_e32 v5, v5, v6, vcc
	v_cndmask_b32_e32 v3, v4, v3, vcc
	v_mov_b32_e32 v4, 0x37800000
	v_lshlrev_b32_e32 v3, 21, v3
	v_and_b32_e32 v2, 0x80000000, v2
	v_lshl_add_u32 v4, v5, 23, v4
	v_or3_b32 v2, v2, v4, v3
	v_trunc_f32_e32 v2, v2
	s_mov_b32 s22, 0x2f800000
	v_mul_f32_e64 v3, |v2|, s22
	v_floor_f32_e32 v3, v3
	s_mov_b32 s22, 0xcf800000
	v_fma_f32 v3, v3, s22, |v2|
	v_cvt_u32_f32_e32 v3, v3
	v_ashrrev_i32_e32 v2, 31, v2
	v_xor_b32_e32 v3, v3, v2
	v_sub_u32_e32 v2, v3, v2
.LBB14_429:
	s_or_b64 exec, exec, s[0:1]
	s_mov_b64 s[0:1], 0
	s_branch .LBB14_435
.LBB14_430:
	s_mov_b64 s[22:23], -1
                                        ; implicit-def: $vgpr2
	s_branch .LBB14_441
.LBB14_431:
	s_andn2_saveexec_b64 s[0:1], s[0:1]
	s_cbranch_execz .LBB14_416
.LBB14_432:
	v_cmp_ne_u16_e32 vcc, 0, v3
	s_andn2_b64 s[22:23], s[22:23], exec
	s_and_b64 s[28:29], vcc, exec
	s_or_b64 s[22:23], s[22:23], s[28:29]
	s_or_b64 exec, exec, s[0:1]
	v_mov_b32_e32 v2, 0
	s_and_saveexec_b64 s[0:1], s[22:23]
	s_cbranch_execnz .LBB14_417
	s_branch .LBB14_418
.LBB14_433:
	s_mov_b64 s[0:1], -1
                                        ; implicit-def: $vgpr2
	s_branch .LBB14_438
.LBB14_434:
	s_mov_b64 s[0:1], -1
                                        ; implicit-def: $vgpr2
.LBB14_435:
	s_and_b64 vcc, exec, s[0:1]
	s_cbranch_vccz .LBB14_437
; %bb.436:
	global_load_ubyte v2, v[0:1], off
	s_mov_b32 s0, 0x7f800000
	s_brev_b32 s1, 1
	s_mov_b32 s22, 0x2f800000
	s_waitcnt vmcnt(0)
	v_lshlrev_b32_e32 v2, 24, v2
	v_and_b32_e32 v3, 0x7f000000, v2
	v_ffbh_u32_e32 v4, v3
	v_min_u32_e32 v4, 32, v4
	v_sub_u32_e64 v4, v4, 4 clamp
	v_lshlrev_b32_e32 v6, v4, v3
	v_lshlrev_b32_e32 v4, 23, v4
	v_lshrrev_b32_e32 v6, 4, v6
	v_add_u32_e32 v5, 0x1000000, v3
	v_sub_u32_e32 v4, v6, v4
	v_ashrrev_i32_e32 v5, 8, v5
	v_add_u32_e32 v4, 0x3c000000, v4
	v_and_or_b32 v4, v5, s0, v4
	v_cmp_ne_u32_e32 vcc, 0, v3
	v_cndmask_b32_e32 v3, 0, v4, vcc
	v_and_or_b32 v2, v2, s1, v3
	v_trunc_f32_e32 v2, v2
	v_mul_f32_e64 v3, |v2|, s22
	v_floor_f32_e32 v3, v3
	s_mov_b32 s0, 0xcf800000
	v_fma_f32 v3, v3, s0, |v2|
	v_cvt_u32_f32_e32 v3, v3
	v_ashrrev_i32_e32 v2, 31, v2
	v_xor_b32_e32 v3, v3, v2
	v_sub_u32_e32 v2, v3, v2
.LBB14_437:
	s_mov_b64 s[0:1], 0
.LBB14_438:
	s_andn2_b64 vcc, exec, s[0:1]
	s_cbranch_vccnz .LBB14_440
; %bb.439:
	global_load_ubyte v2, v[0:1], off
	s_movk_i32 s0, 0x7f00
	s_brev_b32 s1, 16
	s_brev_b32 s22, 1
	s_mov_b32 s23, 0x2f800000
	s_waitcnt vmcnt(0)
	v_lshlrev_b16_e32 v3, 8, v2
	v_lshlrev_b32_e32 v2, 25, v2
	v_lshrrev_b32_e32 v4, 4, v2
	v_and_or_b32 v5, v3, s0, 0.5
	v_or_b32_e32 v4, 0x70000000, v4
	v_add_f32_e32 v5, -0.5, v5
	v_mul_f32_e32 v4, 0x7800000, v4
	v_cmp_gt_u32_e32 vcc, s1, v2
	v_bfe_i32 v3, v3, 0, 16
	v_cndmask_b32_e32 v2, v4, v5, vcc
	v_and_or_b32 v2, v3, s22, v2
	v_trunc_f32_e32 v2, v2
	v_mul_f32_e64 v3, |v2|, s23
	v_floor_f32_e32 v3, v3
	s_mov_b32 s0, 0xcf800000
	v_fma_f32 v3, v3, s0, |v2|
	v_cvt_u32_f32_e32 v3, v3
	v_ashrrev_i32_e32 v2, 31, v2
	v_xor_b32_e32 v3, v3, v2
	v_sub_u32_e32 v2, v3, v2
.LBB14_440:
	s_mov_b64 s[22:23], 0
	s_mov_b64 s[0:1], -1
.LBB14_441:
	s_andn2_b64 vcc, exec, s[22:23]
	s_cbranch_vccnz .LBB14_454
; %bb.442:
	s_cmp_gt_i32 s27, 14
	s_cbranch_scc0 .LBB14_445
; %bb.443:
	s_cmp_eq_u32 s27, 15
	s_cbranch_scc0 .LBB14_448
; %bb.444:
	global_load_ushort v2, v[0:1], off
	s_mov_b32 s0, 0x2f800000
	s_mov_b32 s1, 0xcf800000
	s_mov_b64 s[20:21], 0
	s_waitcnt vmcnt(0)
	v_lshlrev_b32_e32 v2, 16, v2
	v_trunc_f32_e32 v2, v2
	v_mul_f32_e64 v3, |v2|, s0
	v_floor_f32_e32 v3, v3
	v_fma_f32 v3, v3, s1, |v2|
	v_cvt_u32_f32_e32 v3, v3
	v_ashrrev_i32_e32 v2, 31, v2
	s_mov_b64 s[0:1], -1
	v_xor_b32_e32 v3, v3, v2
	v_sub_u32_e32 v2, v3, v2
	s_branch .LBB14_449
.LBB14_445:
	s_mov_b64 s[22:23], -1
                                        ; implicit-def: $vgpr2
	s_branch .LBB14_450
.LBB14_446:
	s_andn2_saveexec_b64 s[0:1], s[0:1]
	s_cbranch_execz .LBB14_427
.LBB14_447:
	v_cmp_ne_u16_e32 vcc, 0, v3
	s_andn2_b64 s[22:23], s[22:23], exec
	s_and_b64 s[28:29], vcc, exec
	s_or_b64 s[22:23], s[22:23], s[28:29]
	s_or_b64 exec, exec, s[0:1]
	v_mov_b32_e32 v2, 0
	s_and_saveexec_b64 s[0:1], s[22:23]
	s_cbranch_execnz .LBB14_428
	s_branch .LBB14_429
.LBB14_448:
	s_mov_b64 s[20:21], -1
                                        ; implicit-def: $vgpr2
.LBB14_449:
	s_mov_b64 s[22:23], 0
.LBB14_450:
	s_and_b64 vcc, exec, s[22:23]
	s_cbranch_vccz .LBB14_454
; %bb.451:
	s_cmp_eq_u32 s27, 11
	s_cbranch_scc0 .LBB14_453
; %bb.452:
	global_load_ubyte v2, v[0:1], off
	s_mov_b64 s[0:1], -1
	s_mov_b64 s[20:21], 0
	s_waitcnt vmcnt(0)
	v_cmp_ne_u16_e32 vcc, 0, v2
	v_cndmask_b32_e64 v2, 0, 1, vcc
	s_branch .LBB14_454
.LBB14_453:
	s_mov_b64 s[20:21], -1
                                        ; implicit-def: $vgpr2
.LBB14_454:
	s_branch .LBB14_261
.LBB14_455:
	s_and_b32 s22, 0xffff, s26
	s_cmp_lt_i32 s22, 5
	s_cbranch_scc1 .LBB14_460
; %bb.456:
	s_cmp_lt_i32 s22, 8
	s_cbranch_scc1 .LBB14_461
; %bb.457:
	;; [unrolled: 3-line block ×3, first 2 shown]
	s_cmp_gt_i32 s22, 9
	s_cbranch_scc0 .LBB14_463
; %bb.459:
	global_load_dwordx2 v[2:3], v[0:1], off
	s_movk_i32 s0, 0xffe0
	s_waitcnt vmcnt(0)
	v_trunc_f64_e32 v[2:3], v[2:3]
	v_ldexp_f64 v[4:5], v[2:3], s0
	s_mov_b32 s0, 0
	s_mov_b32 s1, 0xc1f00000
	v_floor_f64_e32 v[4:5], v[4:5]
	v_fma_f64 v[2:3], v[4:5], s[0:1], v[2:3]
	s_mov_b64 s[0:1], 0
	v_cvt_u32_f64_e32 v2, v[2:3]
	s_branch .LBB14_464
.LBB14_460:
	s_mov_b64 s[0:1], -1
                                        ; implicit-def: $vgpr2
	s_branch .LBB14_482
.LBB14_461:
	s_mov_b64 s[0:1], -1
                                        ; implicit-def: $vgpr2
	s_branch .LBB14_470
.LBB14_462:
	s_mov_b64 s[0:1], -1
                                        ; implicit-def: $vgpr2
	s_branch .LBB14_467
.LBB14_463:
	s_mov_b64 s[0:1], -1
                                        ; implicit-def: $vgpr2
.LBB14_464:
	s_andn2_b64 vcc, exec, s[0:1]
	s_cbranch_vccnz .LBB14_466
; %bb.465:
	global_load_dword v2, v[0:1], off
	s_mov_b32 s0, 0x2f800000
	s_waitcnt vmcnt(0)
	v_trunc_f32_e32 v2, v2
	v_mul_f32_e64 v3, |v2|, s0
	v_floor_f32_e32 v3, v3
	s_mov_b32 s0, 0xcf800000
	v_fma_f32 v3, v3, s0, |v2|
	v_cvt_u32_f32_e32 v3, v3
	v_ashrrev_i32_e32 v2, 31, v2
	v_xor_b32_e32 v3, v3, v2
	v_sub_u32_e32 v2, v3, v2
.LBB14_466:
	s_mov_b64 s[0:1], 0
.LBB14_467:
	s_andn2_b64 vcc, exec, s[0:1]
	s_cbranch_vccnz .LBB14_469
; %bb.468:
	global_load_dword v2, v[0:1], off
	s_waitcnt vmcnt(0)
	v_cvt_f32_f16_e32 v2, v2
	v_cvt_i32_f32_e32 v2, v2
.LBB14_469:
	s_mov_b64 s[0:1], 0
.LBB14_470:
	s_andn2_b64 vcc, exec, s[0:1]
	s_cbranch_vccnz .LBB14_481
; %bb.471:
	s_cmp_lt_i32 s22, 6
	s_cbranch_scc1 .LBB14_474
; %bb.472:
	s_cmp_gt_i32 s22, 6
	s_cbranch_scc0 .LBB14_475
; %bb.473:
	global_load_dwordx2 v[2:3], v[0:1], off
	s_movk_i32 s0, 0xffe0
	s_waitcnt vmcnt(0)
	v_trunc_f64_e32 v[2:3], v[2:3]
	v_ldexp_f64 v[4:5], v[2:3], s0
	s_mov_b32 s0, 0
	s_mov_b32 s1, 0xc1f00000
	v_floor_f64_e32 v[4:5], v[4:5]
	v_fma_f64 v[2:3], v[4:5], s[0:1], v[2:3]
	s_mov_b64 s[0:1], 0
	v_cvt_u32_f64_e32 v2, v[2:3]
	s_branch .LBB14_476
.LBB14_474:
	s_mov_b64 s[0:1], -1
                                        ; implicit-def: $vgpr2
	s_branch .LBB14_479
.LBB14_475:
	s_mov_b64 s[0:1], -1
                                        ; implicit-def: $vgpr2
.LBB14_476:
	s_andn2_b64 vcc, exec, s[0:1]
	s_cbranch_vccnz .LBB14_478
; %bb.477:
	global_load_dword v2, v[0:1], off
	s_mov_b32 s0, 0x2f800000
	s_waitcnt vmcnt(0)
	v_trunc_f32_e32 v2, v2
	v_mul_f32_e64 v3, |v2|, s0
	v_floor_f32_e32 v3, v3
	s_mov_b32 s0, 0xcf800000
	v_fma_f32 v3, v3, s0, |v2|
	v_cvt_u32_f32_e32 v3, v3
	v_ashrrev_i32_e32 v2, 31, v2
	v_xor_b32_e32 v3, v3, v2
	v_sub_u32_e32 v2, v3, v2
.LBB14_478:
	s_mov_b64 s[0:1], 0
.LBB14_479:
	s_andn2_b64 vcc, exec, s[0:1]
	s_cbranch_vccnz .LBB14_481
; %bb.480:
	global_load_ushort v2, v[0:1], off
	s_waitcnt vmcnt(0)
	v_cvt_f32_f16_e32 v2, v2
	v_cvt_i32_f32_e32 v2, v2
.LBB14_481:
	s_mov_b64 s[0:1], 0
.LBB14_482:
	s_andn2_b64 vcc, exec, s[0:1]
	s_cbranch_vccnz .LBB14_502
; %bb.483:
	s_cmp_lt_i32 s22, 2
	s_cbranch_scc1 .LBB14_487
; %bb.484:
	s_cmp_lt_i32 s22, 3
	s_cbranch_scc1 .LBB14_488
; %bb.485:
	s_cmp_gt_i32 s22, 3
	s_cbranch_scc0 .LBB14_489
; %bb.486:
	global_load_dwordx2 v[2:3], v[0:1], off
	s_mov_b64 s[0:1], 0
	s_branch .LBB14_490
.LBB14_487:
	s_mov_b64 s[0:1], -1
                                        ; implicit-def: $vgpr2
	s_branch .LBB14_496
.LBB14_488:
	s_mov_b64 s[0:1], -1
                                        ; implicit-def: $vgpr2
	s_branch .LBB14_493
.LBB14_489:
	s_mov_b64 s[0:1], -1
                                        ; implicit-def: $vgpr2
.LBB14_490:
	s_andn2_b64 vcc, exec, s[0:1]
	s_cbranch_vccnz .LBB14_492
; %bb.491:
	global_load_dword v2, v[0:1], off
.LBB14_492:
	s_mov_b64 s[0:1], 0
.LBB14_493:
	s_andn2_b64 vcc, exec, s[0:1]
	s_cbranch_vccnz .LBB14_495
; %bb.494:
	global_load_ushort v2, v[0:1], off
.LBB14_495:
	s_mov_b64 s[0:1], 0
.LBB14_496:
	s_andn2_b64 vcc, exec, s[0:1]
	s_cbranch_vccnz .LBB14_502
; %bb.497:
	s_cmp_gt_i32 s22, 0
	s_cbranch_scc0 .LBB14_499
; %bb.498:
	global_load_ubyte v2, v[0:1], off
	s_mov_b64 s[0:1], 0
	s_branch .LBB14_500
.LBB14_499:
	s_mov_b64 s[0:1], -1
                                        ; implicit-def: $vgpr2
.LBB14_500:
	s_andn2_b64 vcc, exec, s[0:1]
	s_cbranch_vccnz .LBB14_502
; %bb.501:
	global_load_ubyte v2, v[0:1], off
.LBB14_502:
	s_branch .LBB14_262
.LBB14_503:
	s_mov_b64 s[26:27], 0
                                        ; implicit-def: $vgpr7
	s_mov_b64 s[0:1], s[14:15]
.LBB14_504:
	s_andn2_b64 s[22:23], s[14:15], exec
	s_and_b64 s[0:1], s[0:1], exec
	s_or_b64 s[22:23], s[22:23], s[0:1]
	s_andn2_b64 s[0:1], s[16:17], exec
	s_and_b64 s[20:21], s[20:21], exec
	s_or_b64 s[20:21], s[0:1], s[20:21]
	s_orn2_b64 s[0:1], s[26:27], exec
.LBB14_505:
	s_or_b64 exec, exec, s[24:25]
	s_mov_b64 s[26:27], 0
	s_mov_b64 s[28:29], 0
	;; [unrolled: 1-line block ×3, first 2 shown]
                                        ; implicit-def: $sgpr47
                                        ; implicit-def: $vgpr0_vgpr1
                                        ; implicit-def: $vgpr2
	s_and_saveexec_b64 s[24:25], s[0:1]
	s_cbranch_execz .LBB14_842
; %bb.506:
	v_cmp_gt_i32_e32 vcc, s40, v7
	s_mov_b64 s[36:37], -1
	s_mov_b64 s[0:1], s[20:21]
	s_mov_b64 s[30:31], s[22:23]
	s_and_saveexec_b64 s[26:27], vcc
	s_cbranch_execz .LBB14_760
; %bb.507:
	v_mul_lo_u32 v0, v7, s3
	v_mov_b32_e32 v1, s11
	s_and_b32 s34, s45, 0xff
	s_cmp_lt_i32 s34, 11
	s_waitcnt vmcnt(0)
	v_ashrrev_i32_e32 v2, 31, v0
	v_add_co_u32_e32 v0, vcc, s10, v0
	v_addc_co_u32_e32 v1, vcc, v1, v2, vcc
	s_cbranch_scc1 .LBB14_514
; %bb.508:
	s_and_b32 s35, 0xffff, s34
	s_cmp_gt_i32 s35, 25
	s_cbranch_scc0 .LBB14_515
; %bb.509:
	s_cmp_gt_i32 s35, 28
	s_cbranch_scc0 .LBB14_516
; %bb.510:
	;; [unrolled: 3-line block ×4, first 2 shown]
	s_cmp_eq_u32 s35, 46
	s_mov_b64 s[30:31], 0
	s_cbranch_scc0 .LBB14_523
; %bb.513:
	global_load_dword v2, v[0:1], off
	s_mov_b32 s0, 0x2f800000
	s_mov_b32 s1, 0xcf800000
	s_waitcnt vmcnt(0)
	v_lshlrev_b32_e32 v2, 16, v2
	v_trunc_f32_e32 v2, v2
	v_mul_f32_e64 v3, |v2|, s0
	v_floor_f32_e32 v3, v3
	v_fma_f32 v3, v3, s1, |v2|
	v_cvt_u32_f32_e32 v3, v3
	v_ashrrev_i32_e32 v2, 31, v2
	s_mov_b64 s[0:1], -1
	v_xor_b32_e32 v3, v3, v2
	v_sub_u32_e32 v2, v3, v2
	s_branch .LBB14_524
.LBB14_514:
	s_mov_b64 s[30:31], -1
	s_mov_b64 s[0:1], 0
                                        ; implicit-def: $vgpr2
	s_mov_b64 s[28:29], s[20:21]
	s_branch .LBB14_585
.LBB14_515:
	s_mov_b64 s[30:31], -1
	s_mov_b64 s[0:1], 0
	s_mov_b64 s[28:29], s[20:21]
                                        ; implicit-def: $vgpr2
	s_branch .LBB14_551
.LBB14_516:
	s_mov_b64 s[30:31], -1
	s_mov_b64 s[0:1], 0
	s_mov_b64 s[28:29], s[20:21]
                                        ; implicit-def: $vgpr2
	s_branch .LBB14_534
.LBB14_517:
	s_mov_b64 s[30:31], -1
	s_mov_b64 s[0:1], 0
	s_mov_b64 s[28:29], s[20:21]
                                        ; implicit-def: $vgpr2
	s_branch .LBB14_529
.LBB14_518:
	s_andn2_saveexec_b64 s[28:29], s[28:29]
	s_cbranch_execz .LBB14_307
.LBB14_519:
	v_add_f32_e32 v3, 0x46000000, v4
	v_and_b32_e32 v3, 0xff, v3
	v_cmp_ne_u32_e32 vcc, 0, v3
	s_andn2_b64 s[26:27], s[26:27], exec
	s_and_b64 s[34:35], vcc, exec
	s_or_b64 s[26:27], s[26:27], s[34:35]
	s_or_b64 exec, exec, s[28:29]
	v_mov_b32_e32 v5, 0
	s_and_saveexec_b64 s[28:29], s[26:27]
	s_cbranch_execnz .LBB14_308
	s_branch .LBB14_309
.LBB14_520:
	s_mov_b64 s[30:31], -1
	s_mov_b64 s[0:1], 0
	s_mov_b64 s[28:29], s[20:21]
                                        ; implicit-def: $vgpr2
	s_branch .LBB14_524
.LBB14_521:
	s_andn2_saveexec_b64 s[28:29], s[28:29]
	s_cbranch_execz .LBB14_320
.LBB14_522:
	v_add_f32_e32 v3, 0x42800000, v4
	v_and_b32_e32 v3, 0xff, v3
	v_cmp_ne_u32_e32 vcc, 0, v3
	s_andn2_b64 s[26:27], s[26:27], exec
	s_and_b64 s[34:35], vcc, exec
	s_or_b64 s[26:27], s[26:27], s[34:35]
	s_or_b64 exec, exec, s[28:29]
	v_mov_b32_e32 v5, 0
	s_and_saveexec_b64 s[28:29], s[26:27]
	s_cbranch_execnz .LBB14_321
	s_branch .LBB14_322
.LBB14_523:
	s_mov_b64 s[28:29], -1
                                        ; implicit-def: $vgpr2
	s_mov_b64 s[0:1], 0
.LBB14_524:
	s_and_b64 vcc, exec, s[30:31]
	s_cbranch_vccz .LBB14_528
; %bb.525:
	s_cmp_eq_u32 s35, 44
	s_cbranch_scc0 .LBB14_527
; %bb.526:
	global_load_ubyte v2, v[0:1], off
	s_mov_b32 s0, 0x2f800000
	s_mov_b32 s1, 0xcf800000
	s_mov_b64 s[28:29], 0
	s_waitcnt vmcnt(0)
	v_lshlrev_b32_e32 v3, 23, v2
	v_trunc_f32_e32 v3, v3
	v_mul_f32_e64 v4, |v3|, s0
	v_floor_f32_e32 v4, v4
	v_fma_f32 v4, v4, s1, |v3|
	v_cvt_u32_f32_e32 v4, v4
	v_ashrrev_i32_e32 v3, 31, v3
	v_cmp_ne_u32_e32 vcc, 0, v2
	s_mov_b64 s[0:1], -1
	v_xor_b32_e32 v4, v4, v3
	v_sub_u32_e32 v3, v4, v3
	v_cndmask_b32_e32 v2, 0, v3, vcc
	s_branch .LBB14_528
.LBB14_527:
	s_mov_b64 s[28:29], -1
                                        ; implicit-def: $vgpr2
.LBB14_528:
	s_mov_b64 s[30:31], 0
.LBB14_529:
	s_and_b64 vcc, exec, s[30:31]
	s_cbranch_vccz .LBB14_533
; %bb.530:
	s_cmp_eq_u32 s35, 29
	s_cbranch_scc0 .LBB14_532
; %bb.531:
	global_load_dwordx2 v[2:3], v[0:1], off
	s_mov_b64 s[0:1], -1
	s_mov_b64 s[28:29], 0
	s_branch .LBB14_533
.LBB14_532:
	s_mov_b64 s[28:29], -1
                                        ; implicit-def: $vgpr2
.LBB14_533:
	s_mov_b64 s[30:31], 0
.LBB14_534:
	s_and_b64 vcc, exec, s[30:31]
	s_cbranch_vccz .LBB14_550
; %bb.535:
	s_cmp_lt_i32 s35, 27
	s_cbranch_scc1 .LBB14_538
; %bb.536:
	s_cmp_gt_i32 s35, 27
	s_cbranch_scc0 .LBB14_539
; %bb.537:
	global_load_dword v2, v[0:1], off
	s_mov_b64 s[0:1], 0
	s_branch .LBB14_540
.LBB14_538:
	s_mov_b64 s[0:1], -1
                                        ; implicit-def: $vgpr2
	s_branch .LBB14_543
.LBB14_539:
	s_mov_b64 s[0:1], -1
                                        ; implicit-def: $vgpr2
.LBB14_540:
	s_andn2_b64 vcc, exec, s[0:1]
	s_cbranch_vccnz .LBB14_542
; %bb.541:
	global_load_ushort v2, v[0:1], off
.LBB14_542:
	s_mov_b64 s[0:1], 0
.LBB14_543:
	s_andn2_b64 vcc, exec, s[0:1]
	s_cbranch_vccnz .LBB14_549
; %bb.544:
	global_load_ubyte v3, v[0:1], off
	s_movk_i32 s0, 0x7f
	s_mov_b64 s[30:31], 0
	s_waitcnt vmcnt(0)
	v_cmp_lt_i16_e32 vcc, s0, v3
	s_and_saveexec_b64 s[0:1], vcc
	s_xor_b64 s[0:1], exec, s[0:1]
	s_cbranch_execz .LBB14_561
; %bb.545:
	s_movk_i32 s30, 0x80
	v_cmp_ne_u16_e32 vcc, s30, v3
	s_and_b64 s[30:31], vcc, exec
	s_andn2_saveexec_b64 s[0:1], s[0:1]
	s_cbranch_execnz .LBB14_562
.LBB14_546:
	s_or_b64 exec, exec, s[0:1]
	v_mov_b32_e32 v2, 0
	s_and_saveexec_b64 s[0:1], s[30:31]
	s_cbranch_execz .LBB14_548
.LBB14_547:
	v_lshlrev_b32_e32 v2, 24, v3
	v_and_b32_e32 v3, 0xffff, v3
	v_and_b32_e32 v4, 7, v3
	v_ffbh_u32_e32 v6, v4
	v_min_u32_e32 v6, 32, v6
	v_subrev_u32_e32 v8, 28, v6
	v_bfe_u32 v5, v3, 3, 4
	v_lshlrev_b32_e32 v3, v8, v3
	v_sub_u32_e32 v6, 29, v6
	v_and_b32_e32 v3, 7, v3
	v_cmp_eq_u32_e32 vcc, 0, v5
	v_cndmask_b32_e32 v5, v5, v6, vcc
	v_cndmask_b32_e32 v3, v4, v3, vcc
	v_mov_b32_e32 v4, 0x3b800000
	v_lshlrev_b32_e32 v3, 20, v3
	v_and_b32_e32 v2, 0x80000000, v2
	v_lshl_add_u32 v4, v5, 23, v4
	v_or3_b32 v2, v2, v4, v3
	v_trunc_f32_e32 v2, v2
	s_mov_b32 s30, 0x2f800000
	v_mul_f32_e64 v3, |v2|, s30
	v_floor_f32_e32 v3, v3
	s_mov_b32 s30, 0xcf800000
	v_fma_f32 v3, v3, s30, |v2|
	v_cvt_u32_f32_e32 v3, v3
	v_ashrrev_i32_e32 v2, 31, v2
	v_xor_b32_e32 v3, v3, v2
	v_sub_u32_e32 v2, v3, v2
.LBB14_548:
	s_or_b64 exec, exec, s[0:1]
.LBB14_549:
	s_mov_b64 s[0:1], -1
.LBB14_550:
	s_mov_b64 s[30:31], 0
.LBB14_551:
	s_and_b64 vcc, exec, s[30:31]
	s_cbranch_vccz .LBB14_584
; %bb.552:
	s_cmp_gt_i32 s35, 22
	s_cbranch_scc0 .LBB14_560
; %bb.553:
	s_cmp_lt_i32 s35, 24
	s_cbranch_scc1 .LBB14_563
; %bb.554:
	s_cmp_gt_i32 s35, 24
	s_cbranch_scc0 .LBB14_564
; %bb.555:
	global_load_ubyte v3, v[0:1], off
	s_movk_i32 s0, 0x7f
	s_mov_b64 s[30:31], 0
	s_waitcnt vmcnt(0)
	v_cmp_lt_i16_e32 vcc, s0, v3
	s_and_saveexec_b64 s[0:1], vcc
	s_xor_b64 s[0:1], exec, s[0:1]
	s_cbranch_execz .LBB14_576
; %bb.556:
	s_movk_i32 s30, 0x80
	v_cmp_ne_u16_e32 vcc, s30, v3
	s_and_b64 s[30:31], vcc, exec
	s_andn2_saveexec_b64 s[0:1], s[0:1]
	s_cbranch_execnz .LBB14_577
.LBB14_557:
	s_or_b64 exec, exec, s[0:1]
	v_mov_b32_e32 v2, 0
	s_and_saveexec_b64 s[0:1], s[30:31]
	s_cbranch_execz .LBB14_559
.LBB14_558:
	v_lshlrev_b32_e32 v2, 24, v3
	v_and_b32_e32 v3, 0xffff, v3
	v_and_b32_e32 v4, 3, v3
	v_ffbh_u32_e32 v6, v4
	v_min_u32_e32 v6, 32, v6
	v_subrev_u32_e32 v8, 29, v6
	v_bfe_u32 v5, v3, 2, 5
	v_lshlrev_b32_e32 v3, v8, v3
	v_sub_u32_e32 v6, 30, v6
	v_and_b32_e32 v3, 3, v3
	v_cmp_eq_u32_e32 vcc, 0, v5
	v_cndmask_b32_e32 v5, v5, v6, vcc
	v_cndmask_b32_e32 v3, v4, v3, vcc
	v_mov_b32_e32 v4, 0x37800000
	v_lshlrev_b32_e32 v3, 21, v3
	v_and_b32_e32 v2, 0x80000000, v2
	v_lshl_add_u32 v4, v5, 23, v4
	v_or3_b32 v2, v2, v4, v3
	v_trunc_f32_e32 v2, v2
	s_mov_b32 s30, 0x2f800000
	v_mul_f32_e64 v3, |v2|, s30
	v_floor_f32_e32 v3, v3
	s_mov_b32 s30, 0xcf800000
	v_fma_f32 v3, v3, s30, |v2|
	v_cvt_u32_f32_e32 v3, v3
	v_ashrrev_i32_e32 v2, 31, v2
	v_xor_b32_e32 v3, v3, v2
	v_sub_u32_e32 v2, v3, v2
.LBB14_559:
	s_or_b64 exec, exec, s[0:1]
	s_mov_b64 s[0:1], 0
	s_branch .LBB14_565
.LBB14_560:
	s_mov_b64 s[30:31], -1
                                        ; implicit-def: $vgpr2
	s_branch .LBB14_571
.LBB14_561:
	s_andn2_saveexec_b64 s[0:1], s[0:1]
	s_cbranch_execz .LBB14_546
.LBB14_562:
	v_cmp_ne_u16_e32 vcc, 0, v3
	s_andn2_b64 s[30:31], s[30:31], exec
	s_and_b64 s[36:37], vcc, exec
	s_or_b64 s[30:31], s[30:31], s[36:37]
	s_or_b64 exec, exec, s[0:1]
	v_mov_b32_e32 v2, 0
	s_and_saveexec_b64 s[0:1], s[30:31]
	s_cbranch_execnz .LBB14_547
	s_branch .LBB14_548
.LBB14_563:
	s_mov_b64 s[0:1], -1
                                        ; implicit-def: $vgpr2
	s_branch .LBB14_568
.LBB14_564:
	s_mov_b64 s[0:1], -1
                                        ; implicit-def: $vgpr2
.LBB14_565:
	s_and_b64 vcc, exec, s[0:1]
	s_cbranch_vccz .LBB14_567
; %bb.566:
	global_load_ubyte v2, v[0:1], off
	s_mov_b32 s0, 0x7f800000
	s_brev_b32 s1, 1
	s_mov_b32 s30, 0x2f800000
	s_waitcnt vmcnt(0)
	v_lshlrev_b32_e32 v2, 24, v2
	v_and_b32_e32 v3, 0x7f000000, v2
	v_ffbh_u32_e32 v4, v3
	v_min_u32_e32 v4, 32, v4
	v_sub_u32_e64 v4, v4, 4 clamp
	v_lshlrev_b32_e32 v6, v4, v3
	v_lshlrev_b32_e32 v4, 23, v4
	v_lshrrev_b32_e32 v6, 4, v6
	v_add_u32_e32 v5, 0x1000000, v3
	v_sub_u32_e32 v4, v6, v4
	v_ashrrev_i32_e32 v5, 8, v5
	v_add_u32_e32 v4, 0x3c000000, v4
	v_and_or_b32 v4, v5, s0, v4
	v_cmp_ne_u32_e32 vcc, 0, v3
	v_cndmask_b32_e32 v3, 0, v4, vcc
	v_and_or_b32 v2, v2, s1, v3
	v_trunc_f32_e32 v2, v2
	v_mul_f32_e64 v3, |v2|, s30
	v_floor_f32_e32 v3, v3
	s_mov_b32 s0, 0xcf800000
	v_fma_f32 v3, v3, s0, |v2|
	v_cvt_u32_f32_e32 v3, v3
	v_ashrrev_i32_e32 v2, 31, v2
	v_xor_b32_e32 v3, v3, v2
	v_sub_u32_e32 v2, v3, v2
.LBB14_567:
	s_mov_b64 s[0:1], 0
.LBB14_568:
	s_andn2_b64 vcc, exec, s[0:1]
	s_cbranch_vccnz .LBB14_570
; %bb.569:
	global_load_ubyte v2, v[0:1], off
	s_movk_i32 s0, 0x7f00
	s_brev_b32 s1, 16
	s_brev_b32 s30, 1
	s_mov_b32 s31, 0x2f800000
	s_waitcnt vmcnt(0)
	v_lshlrev_b16_e32 v3, 8, v2
	v_lshlrev_b32_e32 v2, 25, v2
	v_lshrrev_b32_e32 v4, 4, v2
	v_and_or_b32 v5, v3, s0, 0.5
	v_or_b32_e32 v4, 0x70000000, v4
	v_add_f32_e32 v5, -0.5, v5
	v_mul_f32_e32 v4, 0x7800000, v4
	v_cmp_gt_u32_e32 vcc, s1, v2
	v_bfe_i32 v3, v3, 0, 16
	v_cndmask_b32_e32 v2, v4, v5, vcc
	v_and_or_b32 v2, v3, s30, v2
	v_trunc_f32_e32 v2, v2
	v_mul_f32_e64 v3, |v2|, s31
	v_floor_f32_e32 v3, v3
	s_mov_b32 s0, 0xcf800000
	v_fma_f32 v3, v3, s0, |v2|
	v_cvt_u32_f32_e32 v3, v3
	v_ashrrev_i32_e32 v2, 31, v2
	v_xor_b32_e32 v3, v3, v2
	v_sub_u32_e32 v2, v3, v2
.LBB14_570:
	s_mov_b64 s[30:31], 0
	s_mov_b64 s[0:1], -1
.LBB14_571:
	s_andn2_b64 vcc, exec, s[30:31]
	s_cbranch_vccnz .LBB14_584
; %bb.572:
	s_cmp_gt_i32 s35, 14
	s_cbranch_scc0 .LBB14_575
; %bb.573:
	s_cmp_eq_u32 s35, 15
	s_cbranch_scc0 .LBB14_578
; %bb.574:
	global_load_ushort v2, v[0:1], off
	s_mov_b32 s0, 0x2f800000
	s_mov_b32 s1, 0xcf800000
	s_mov_b64 s[28:29], 0
	s_waitcnt vmcnt(0)
	v_lshlrev_b32_e32 v2, 16, v2
	v_trunc_f32_e32 v2, v2
	v_mul_f32_e64 v3, |v2|, s0
	v_floor_f32_e32 v3, v3
	v_fma_f32 v3, v3, s1, |v2|
	v_cvt_u32_f32_e32 v3, v3
	v_ashrrev_i32_e32 v2, 31, v2
	s_mov_b64 s[0:1], -1
	v_xor_b32_e32 v3, v3, v2
	v_sub_u32_e32 v2, v3, v2
	s_branch .LBB14_579
.LBB14_575:
	s_mov_b64 s[30:31], -1
                                        ; implicit-def: $vgpr2
	s_branch .LBB14_580
.LBB14_576:
	s_andn2_saveexec_b64 s[0:1], s[0:1]
	s_cbranch_execz .LBB14_557
.LBB14_577:
	v_cmp_ne_u16_e32 vcc, 0, v3
	s_andn2_b64 s[30:31], s[30:31], exec
	s_and_b64 s[36:37], vcc, exec
	s_or_b64 s[30:31], s[30:31], s[36:37]
	s_or_b64 exec, exec, s[0:1]
	v_mov_b32_e32 v2, 0
	s_and_saveexec_b64 s[0:1], s[30:31]
	s_cbranch_execnz .LBB14_558
	s_branch .LBB14_559
.LBB14_578:
	s_mov_b64 s[28:29], -1
                                        ; implicit-def: $vgpr2
.LBB14_579:
	s_mov_b64 s[30:31], 0
.LBB14_580:
	s_and_b64 vcc, exec, s[30:31]
	s_cbranch_vccz .LBB14_584
; %bb.581:
	s_cmp_eq_u32 s35, 11
	s_cbranch_scc0 .LBB14_583
; %bb.582:
	global_load_ubyte v2, v[0:1], off
	s_mov_b64 s[0:1], -1
	s_mov_b64 s[28:29], 0
	s_waitcnt vmcnt(0)
	v_cmp_ne_u16_e32 vcc, 0, v2
	v_cndmask_b32_e64 v2, 0, 1, vcc
	s_branch .LBB14_584
.LBB14_583:
	s_mov_b64 s[28:29], -1
                                        ; implicit-def: $vgpr2
.LBB14_584:
	s_mov_b64 s[30:31], 0
.LBB14_585:
	s_and_b64 vcc, exec, s[30:31]
	s_cbranch_vccz .LBB14_634
; %bb.586:
	s_and_b32 s30, 0xffff, s34
	s_cmp_lt_i32 s30, 5
	s_cbranch_scc1 .LBB14_591
; %bb.587:
	s_cmp_lt_i32 s30, 8
	s_cbranch_scc1 .LBB14_592
; %bb.588:
	;; [unrolled: 3-line block ×3, first 2 shown]
	s_cmp_gt_i32 s30, 9
	s_cbranch_scc0 .LBB14_594
; %bb.590:
	global_load_dwordx2 v[2:3], v[0:1], off
	s_movk_i32 s0, 0xffe0
	s_waitcnt vmcnt(0)
	v_trunc_f64_e32 v[2:3], v[2:3]
	v_ldexp_f64 v[4:5], v[2:3], s0
	s_mov_b32 s0, 0
	s_mov_b32 s1, 0xc1f00000
	v_floor_f64_e32 v[4:5], v[4:5]
	v_fma_f64 v[2:3], v[4:5], s[0:1], v[2:3]
	s_mov_b64 s[0:1], 0
	v_cvt_u32_f64_e32 v2, v[2:3]
	s_branch .LBB14_595
.LBB14_591:
	s_mov_b64 s[0:1], -1
                                        ; implicit-def: $vgpr2
	s_branch .LBB14_613
.LBB14_592:
	s_mov_b64 s[0:1], -1
                                        ; implicit-def: $vgpr2
	s_branch .LBB14_601
.LBB14_593:
	s_mov_b64 s[0:1], -1
                                        ; implicit-def: $vgpr2
	s_branch .LBB14_598
.LBB14_594:
	s_mov_b64 s[0:1], -1
                                        ; implicit-def: $vgpr2
.LBB14_595:
	s_andn2_b64 vcc, exec, s[0:1]
	s_cbranch_vccnz .LBB14_597
; %bb.596:
	global_load_dword v2, v[0:1], off
	s_mov_b32 s0, 0x2f800000
	s_waitcnt vmcnt(0)
	v_trunc_f32_e32 v2, v2
	v_mul_f32_e64 v3, |v2|, s0
	v_floor_f32_e32 v3, v3
	s_mov_b32 s0, 0xcf800000
	v_fma_f32 v3, v3, s0, |v2|
	v_cvt_u32_f32_e32 v3, v3
	v_ashrrev_i32_e32 v2, 31, v2
	v_xor_b32_e32 v3, v3, v2
	v_sub_u32_e32 v2, v3, v2
.LBB14_597:
	s_mov_b64 s[0:1], 0
.LBB14_598:
	s_andn2_b64 vcc, exec, s[0:1]
	s_cbranch_vccnz .LBB14_600
; %bb.599:
	global_load_dword v2, v[0:1], off
	s_waitcnt vmcnt(0)
	v_cvt_f32_f16_e32 v2, v2
	v_cvt_i32_f32_e32 v2, v2
.LBB14_600:
	s_mov_b64 s[0:1], 0
.LBB14_601:
	s_andn2_b64 vcc, exec, s[0:1]
	s_cbranch_vccnz .LBB14_612
; %bb.602:
	s_cmp_lt_i32 s30, 6
	s_cbranch_scc1 .LBB14_605
; %bb.603:
	s_cmp_gt_i32 s30, 6
	s_cbranch_scc0 .LBB14_606
; %bb.604:
	global_load_dwordx2 v[2:3], v[0:1], off
	s_movk_i32 s0, 0xffe0
	s_waitcnt vmcnt(0)
	v_trunc_f64_e32 v[2:3], v[2:3]
	v_ldexp_f64 v[4:5], v[2:3], s0
	s_mov_b32 s0, 0
	s_mov_b32 s1, 0xc1f00000
	v_floor_f64_e32 v[4:5], v[4:5]
	v_fma_f64 v[2:3], v[4:5], s[0:1], v[2:3]
	s_mov_b64 s[0:1], 0
	v_cvt_u32_f64_e32 v2, v[2:3]
	s_branch .LBB14_607
.LBB14_605:
	s_mov_b64 s[0:1], -1
                                        ; implicit-def: $vgpr2
	s_branch .LBB14_610
.LBB14_606:
	s_mov_b64 s[0:1], -1
                                        ; implicit-def: $vgpr2
.LBB14_607:
	s_andn2_b64 vcc, exec, s[0:1]
	s_cbranch_vccnz .LBB14_609
; %bb.608:
	global_load_dword v2, v[0:1], off
	s_mov_b32 s0, 0x2f800000
	s_waitcnt vmcnt(0)
	v_trunc_f32_e32 v2, v2
	v_mul_f32_e64 v3, |v2|, s0
	v_floor_f32_e32 v3, v3
	s_mov_b32 s0, 0xcf800000
	v_fma_f32 v3, v3, s0, |v2|
	v_cvt_u32_f32_e32 v3, v3
	v_ashrrev_i32_e32 v2, 31, v2
	v_xor_b32_e32 v3, v3, v2
	v_sub_u32_e32 v2, v3, v2
.LBB14_609:
	s_mov_b64 s[0:1], 0
.LBB14_610:
	s_andn2_b64 vcc, exec, s[0:1]
	s_cbranch_vccnz .LBB14_612
; %bb.611:
	global_load_ushort v2, v[0:1], off
	s_waitcnt vmcnt(0)
	v_cvt_f32_f16_e32 v2, v2
	v_cvt_i32_f32_e32 v2, v2
.LBB14_612:
	s_mov_b64 s[0:1], 0
.LBB14_613:
	s_andn2_b64 vcc, exec, s[0:1]
	s_cbranch_vccnz .LBB14_633
; %bb.614:
	s_cmp_lt_i32 s30, 2
	s_cbranch_scc1 .LBB14_618
; %bb.615:
	s_cmp_lt_i32 s30, 3
	s_cbranch_scc1 .LBB14_619
; %bb.616:
	s_cmp_gt_i32 s30, 3
	s_cbranch_scc0 .LBB14_620
; %bb.617:
	global_load_dwordx2 v[2:3], v[0:1], off
	s_mov_b64 s[0:1], 0
	s_branch .LBB14_621
.LBB14_618:
	s_mov_b64 s[0:1], -1
                                        ; implicit-def: $vgpr2
	s_branch .LBB14_627
.LBB14_619:
	s_mov_b64 s[0:1], -1
                                        ; implicit-def: $vgpr2
	s_branch .LBB14_624
.LBB14_620:
	s_mov_b64 s[0:1], -1
                                        ; implicit-def: $vgpr2
.LBB14_621:
	s_andn2_b64 vcc, exec, s[0:1]
	s_cbranch_vccnz .LBB14_623
; %bb.622:
	global_load_dword v2, v[0:1], off
.LBB14_623:
	s_mov_b64 s[0:1], 0
.LBB14_624:
	s_andn2_b64 vcc, exec, s[0:1]
	s_cbranch_vccnz .LBB14_626
; %bb.625:
	global_load_ushort v2, v[0:1], off
.LBB14_626:
	s_mov_b64 s[0:1], 0
.LBB14_627:
	s_andn2_b64 vcc, exec, s[0:1]
	s_cbranch_vccnz .LBB14_633
; %bb.628:
	s_cmp_gt_i32 s30, 0
	s_cbranch_scc0 .LBB14_630
; %bb.629:
	global_load_ubyte v2, v[0:1], off
	s_mov_b64 s[0:1], 0
	s_branch .LBB14_631
.LBB14_630:
	s_mov_b64 s[0:1], -1
                                        ; implicit-def: $vgpr2
.LBB14_631:
	s_andn2_b64 vcc, exec, s[0:1]
	s_cbranch_vccnz .LBB14_633
; %bb.632:
	global_load_ubyte v2, v[0:1], off
.LBB14_633:
	s_mov_b64 s[0:1], -1
.LBB14_634:
	s_andn2_b64 vcc, exec, s[0:1]
	s_cbranch_vccnz .LBB14_642
; %bb.635:
	v_mul_lo_u32 v0, v7, s2
	s_waitcnt vmcnt(0)
	v_lshlrev_b32_e32 v1, s46, v2
	v_mov_b32_e32 v3, s9
	v_cndmask_b32_e64 v2, v1, 0, s[6:7]
	v_ashrrev_i32_e32 v1, 31, v0
	s_and_b32 s38, s33, 0xff
	v_add_co_u32_e32 v0, vcc, s8, v0
	s_cmp_lt_i32 s38, 11
	v_addc_co_u32_e32 v1, vcc, v3, v1, vcc
	s_cbranch_scc1 .LBB14_643
; %bb.636:
	s_and_b32 s39, 0xffff, s38
	s_cmp_gt_i32 s39, 25
	s_cbranch_scc0 .LBB14_644
; %bb.637:
	s_cmp_gt_i32 s39, 28
	s_cbranch_scc0 .LBB14_645
; %bb.638:
	;; [unrolled: 3-line block ×4, first 2 shown]
	s_mov_b64 s[34:35], 0
	s_mov_b64 s[0:1], -1
	s_cmp_eq_u32 s39, 46
	s_mov_b64 s[30:31], 0
	s_cbranch_scc0 .LBB14_648
; %bb.641:
	v_cvt_f32_ubyte0_e32 v3, v2
	v_bfe_u32 v4, v3, 16, 1
	s_movk_i32 s0, 0x7fff
	v_add3_u32 v3, v3, v4, s0
	v_lshrrev_b32_e32 v3, 16, v3
	global_store_dword v[0:1], v3, off
	s_mov_b64 s[30:31], -1
	s_mov_b64 s[0:1], 0
	s_branch .LBB14_648
.LBB14_642:
	s_mov_b64 s[34:35], 0
                                        ; implicit-def: $vgpr7
	s_mov_b64 s[0:1], s[22:23]
	s_branch .LBB14_759
.LBB14_643:
	s_mov_b64 s[34:35], -1
	s_mov_b64 s[30:31], 0
	s_mov_b64 s[0:1], s[22:23]
	s_branch .LBB14_717
.LBB14_644:
	s_mov_b64 s[34:35], -1
	s_mov_b64 s[30:31], 0
	s_mov_b64 s[0:1], s[22:23]
	s_branch .LBB14_675
.LBB14_645:
	s_mov_b64 s[34:35], -1
	s_mov_b64 s[30:31], 0
	s_mov_b64 s[0:1], s[22:23]
	s_branch .LBB14_658
.LBB14_646:
	s_mov_b64 s[34:35], -1
	s_mov_b64 s[30:31], 0
	s_mov_b64 s[0:1], s[22:23]
	s_branch .LBB14_654
.LBB14_647:
	s_mov_b64 s[34:35], -1
	s_mov_b64 s[30:31], 0
	s_mov_b64 s[0:1], s[22:23]
.LBB14_648:
	s_and_b64 vcc, exec, s[34:35]
	s_cbranch_vccz .LBB14_653
; %bb.649:
	s_cmp_eq_u32 s39, 44
	s_mov_b64 s[0:1], -1
	s_cbranch_scc0 .LBB14_653
; %bb.650:
	v_cvt_f32_ubyte0_e32 v4, v2
	v_lshrrev_b32_e32 v3, 23, v4
	s_movk_i32 s0, 0xff
	v_cmp_ne_u32_e32 vcc, s0, v3
	v_mov_b32_e32 v5, 0xff
	s_and_saveexec_b64 s[30:31], vcc
; %bb.651:
	s_mov_b32 s0, 0x3fffff
	v_and_b32_e32 v5, 0x400000, v4
	v_and_or_b32 v4, v4, s0, v3
	v_cmp_ne_u32_e32 vcc, 0, v5
	v_cmp_ne_u32_e64 s[0:1], 0, v4
	s_and_b64 s[0:1], vcc, s[0:1]
	v_cndmask_b32_e64 v4, 0, 1, s[0:1]
	v_add_u32_e32 v5, v3, v4
; %bb.652:
	s_or_b64 exec, exec, s[30:31]
	s_mov_b64 s[30:31], -1
	s_mov_b64 s[0:1], 0
	global_store_byte v[0:1], v5, off
.LBB14_653:
	s_mov_b64 s[34:35], 0
.LBB14_654:
	s_and_b64 vcc, exec, s[34:35]
	s_cbranch_vccz .LBB14_657
; %bb.655:
	s_cmp_eq_u32 s39, 29
	s_mov_b64 s[0:1], -1
	s_cbranch_scc0 .LBB14_657
; %bb.656:
	v_and_b32_e32 v3, 0xff, v2
	v_mov_b32_e32 v4, 0
	global_store_dwordx2 v[0:1], v[3:4], off
	s_mov_b64 s[30:31], -1
	s_mov_b64 s[0:1], 0
.LBB14_657:
	s_mov_b64 s[34:35], 0
.LBB14_658:
	s_and_b64 vcc, exec, s[34:35]
	s_cbranch_vccz .LBB14_674
; %bb.659:
	s_cmp_lt_i32 s39, 27
	s_mov_b64 s[30:31], -1
	s_cbranch_scc1 .LBB14_665
; %bb.660:
	s_cmp_gt_i32 s39, 27
	s_cbranch_scc0 .LBB14_662
; %bb.661:
	v_and_b32_e32 v3, 0xff, v2
	s_mov_b64 s[30:31], 0
	global_store_dword v[0:1], v3, off
.LBB14_662:
	s_andn2_b64 vcc, exec, s[30:31]
	s_cbranch_vccnz .LBB14_664
; %bb.663:
	v_and_b32_e32 v3, 0xff, v2
	global_store_short v[0:1], v3, off
.LBB14_664:
	s_mov_b64 s[30:31], 0
.LBB14_665:
	s_andn2_b64 vcc, exec, s[30:31]
	s_cbranch_vccnz .LBB14_673
; %bb.666:
	v_cvt_f32_ubyte0_e32 v4, v2
	s_mov_b32 s30, 0x43800000
	v_cmp_gt_u32_e32 vcc, s30, v4
	v_mov_b32_e32 v5, 0x80
	s_and_saveexec_b64 s[30:31], vcc
	s_cbranch_execz .LBB14_672
; %bb.667:
	s_mov_b32 s34, 0x3bffffff
	v_cmp_lt_u32_e32 vcc, s34, v4
	s_mov_b64 s[34:35], 0
                                        ; implicit-def: $vgpr3
	s_and_saveexec_b64 s[36:37], vcc
	s_xor_b64 s[36:37], exec, s[36:37]
	s_cbranch_execz .LBB14_773
; %bb.668:
	v_bfe_u32 v3, v4, 20, 1
	s_mov_b32 s41, 0x487ffff
	v_add3_u32 v3, v4, v3, s41
	s_mov_b64 s[34:35], exec
	v_lshrrev_b32_e32 v3, 20, v3
                                        ; implicit-def: $vgpr4
	s_andn2_saveexec_b64 s[36:37], s[36:37]
	s_cbranch_execnz .LBB14_774
.LBB14_669:
	s_or_b64 exec, exec, s[36:37]
	v_mov_b32_e32 v5, 0
	s_and_saveexec_b64 s[36:37], s[34:35]
.LBB14_670:
	v_mov_b32_e32 v5, v3
.LBB14_671:
	s_or_b64 exec, exec, s[36:37]
.LBB14_672:
	s_or_b64 exec, exec, s[30:31]
	global_store_byte v[0:1], v5, off
.LBB14_673:
	s_mov_b64 s[30:31], -1
.LBB14_674:
	s_mov_b64 s[34:35], 0
.LBB14_675:
	s_and_b64 vcc, exec, s[34:35]
	s_cbranch_vccz .LBB14_716
; %bb.676:
	s_cmp_gt_i32 s39, 22
	s_mov_b64 s[34:35], -1
	s_cbranch_scc0 .LBB14_708
; %bb.677:
	s_cmp_lt_i32 s39, 24
	s_mov_b64 s[30:31], -1
	s_cbranch_scc1 .LBB14_697
; %bb.678:
	s_cmp_gt_i32 s39, 24
	s_cbranch_scc0 .LBB14_686
; %bb.679:
	v_cvt_f32_ubyte0_e32 v4, v2
	s_mov_b32 s30, 0x47800000
	v_cmp_gt_u32_e32 vcc, s30, v4
	v_mov_b32_e32 v5, 0x80
	s_and_saveexec_b64 s[30:31], vcc
	s_cbranch_execz .LBB14_685
; %bb.680:
	s_mov_b32 s34, 0x37ffffff
	v_cmp_lt_u32_e32 vcc, s34, v4
	s_mov_b64 s[34:35], 0
                                        ; implicit-def: $vgpr3
	s_and_saveexec_b64 s[36:37], vcc
	s_xor_b64 s[36:37], exec, s[36:37]
	s_cbranch_execz .LBB14_776
; %bb.681:
	v_bfe_u32 v3, v4, 21, 1
	s_mov_b32 s41, 0x88fffff
	v_add3_u32 v3, v4, v3, s41
	s_mov_b64 s[34:35], exec
	v_lshrrev_b32_e32 v3, 21, v3
                                        ; implicit-def: $vgpr4
	s_andn2_saveexec_b64 s[36:37], s[36:37]
	s_cbranch_execnz .LBB14_777
.LBB14_682:
	s_or_b64 exec, exec, s[36:37]
	v_mov_b32_e32 v5, 0
	s_and_saveexec_b64 s[36:37], s[34:35]
.LBB14_683:
	v_mov_b32_e32 v5, v3
.LBB14_684:
	s_or_b64 exec, exec, s[36:37]
.LBB14_685:
	s_or_b64 exec, exec, s[30:31]
	s_mov_b64 s[30:31], 0
	global_store_byte v[0:1], v5, off
.LBB14_686:
	s_and_b64 vcc, exec, s[30:31]
	s_cbranch_vccz .LBB14_696
; %bb.687:
	v_cvt_f32_ubyte0_e32 v3, v2
	s_mov_b32 s30, 0x43f00000
	v_cmp_gt_u32_e32 vcc, s30, v3
                                        ; implicit-def: $vgpr4
	s_and_saveexec_b64 s[30:31], vcc
	s_xor_b64 s[30:31], exec, s[30:31]
	s_cbranch_execz .LBB14_693
; %bb.688:
	s_mov_b32 s34, 0x3c7fffff
	v_cmp_lt_u32_e32 vcc, s34, v3
                                        ; implicit-def: $vgpr4
	s_and_saveexec_b64 s[34:35], vcc
	s_xor_b64 s[34:35], exec, s[34:35]
; %bb.689:
	v_bfe_u32 v4, v3, 20, 1
	s_mov_b32 s36, 0x407ffff
	v_add3_u32 v3, v3, v4, s36
	v_lshrrev_b32_e32 v4, 20, v3
	v_and_b32_e32 v3, 0xff00000, v3
	s_mov_b32 s36, 0x7f00000
	v_mov_b32_e32 v5, 0x7e
	v_cmp_ne_u32_e32 vcc, s36, v3
	v_cndmask_b32_e32 v4, v5, v4, vcc
                                        ; implicit-def: $vgpr3
; %bb.690:
	s_andn2_saveexec_b64 s[34:35], s[34:35]
; %bb.691:
	v_add_f32_e32 v4, 0x46800000, v3
; %bb.692:
	s_or_b64 exec, exec, s[34:35]
                                        ; implicit-def: $vgpr3
.LBB14_693:
	s_andn2_saveexec_b64 s[30:31], s[30:31]
; %bb.694:
	s_mov_b32 s34, 0x7f800000
	v_mov_b32_e32 v4, 0x7e
	v_mov_b32_e32 v5, 0x7f
	v_cmp_lt_u32_e32 vcc, s34, v3
	v_cndmask_b32_e32 v4, v4, v5, vcc
; %bb.695:
	s_or_b64 exec, exec, s[30:31]
	global_store_byte v[0:1], v4, off
.LBB14_696:
	s_mov_b64 s[30:31], 0
.LBB14_697:
	s_andn2_b64 vcc, exec, s[30:31]
	s_cbranch_vccnz .LBB14_707
; %bb.698:
	v_cvt_f32_ubyte0_e32 v3, v2
	s_mov_b32 s30, 0x47800000
	v_cmp_gt_u32_e32 vcc, s30, v3
                                        ; implicit-def: $vgpr4
	s_and_saveexec_b64 s[30:31], vcc
	s_xor_b64 s[30:31], exec, s[30:31]
	s_cbranch_execz .LBB14_704
; %bb.699:
	s_mov_b32 s34, 0x387fffff
	v_cmp_lt_u32_e32 vcc, s34, v3
                                        ; implicit-def: $vgpr4
	s_and_saveexec_b64 s[34:35], vcc
	s_xor_b64 s[34:35], exec, s[34:35]
; %bb.700:
	v_bfe_u32 v4, v3, 21, 1
	s_mov_b32 s36, 0x80fffff
	v_add3_u32 v3, v3, v4, s36
	v_lshrrev_b32_e32 v4, 21, v3
                                        ; implicit-def: $vgpr3
; %bb.701:
	s_andn2_saveexec_b64 s[34:35], s[34:35]
; %bb.702:
	v_add_f32_e32 v4, 0x43000000, v3
; %bb.703:
	s_or_b64 exec, exec, s[34:35]
                                        ; implicit-def: $vgpr3
.LBB14_704:
	s_andn2_saveexec_b64 s[30:31], s[30:31]
; %bb.705:
	s_mov_b32 s34, 0x7f800000
	v_mov_b32_e32 v4, 0x7c
	v_mov_b32_e32 v5, 0x7f
	v_cmp_lt_u32_e32 vcc, s34, v3
	v_cndmask_b32_e32 v4, v4, v5, vcc
; %bb.706:
	s_or_b64 exec, exec, s[30:31]
	global_store_byte v[0:1], v4, off
.LBB14_707:
	s_mov_b64 s[34:35], 0
	s_mov_b64 s[30:31], -1
.LBB14_708:
	s_andn2_b64 vcc, exec, s[34:35]
	s_cbranch_vccnz .LBB14_716
; %bb.709:
	s_cmp_gt_i32 s39, 14
	s_mov_b64 s[34:35], -1
	s_cbranch_scc0 .LBB14_713
; %bb.710:
	s_cmp_eq_u32 s39, 15
	s_mov_b64 s[0:1], -1
	s_cbranch_scc0 .LBB14_712
; %bb.711:
	v_cvt_f32_ubyte0_e32 v3, v2
	v_bfe_u32 v4, v3, 16, 1
	s_movk_i32 s0, 0x7fff
	v_add3_u32 v3, v3, v4, s0
	global_store_short_d16_hi v[0:1], v3, off
	s_mov_b64 s[30:31], -1
	s_mov_b64 s[0:1], 0
.LBB14_712:
	s_mov_b64 s[34:35], 0
.LBB14_713:
	s_and_b64 vcc, exec, s[34:35]
	s_cbranch_vccz .LBB14_716
; %bb.714:
	s_cmp_eq_u32 s39, 11
	s_mov_b64 s[0:1], -1
	s_cbranch_scc0 .LBB14_716
; %bb.715:
	v_mov_b32_e32 v3, 0
	v_cmp_ne_u16_sdwa s[0:1], v2, v3 src0_sel:BYTE_0 src1_sel:DWORD
	v_cndmask_b32_e64 v3, 0, 1, s[0:1]
	s_mov_b64 s[30:31], -1
	s_mov_b64 s[0:1], 0
	global_store_byte v[0:1], v3, off
.LBB14_716:
	s_mov_b64 s[34:35], 0
.LBB14_717:
	s_and_b64 vcc, exec, s[34:35]
	s_cbranch_vccz .LBB14_756
; %bb.718:
	s_and_b32 s34, 0xffff, s38
	s_cmp_lt_i32 s34, 5
	s_mov_b64 s[30:31], -1
	s_cbranch_scc1 .LBB14_739
; %bb.719:
	s_cmp_lt_i32 s34, 8
	s_cbranch_scc1 .LBB14_729
; %bb.720:
	s_cmp_lt_i32 s34, 9
	s_cbranch_scc1 .LBB14_726
; %bb.721:
	s_cmp_gt_i32 s34, 9
	s_cbranch_scc0 .LBB14_723
; %bb.722:
	s_mov_b32 s30, 0xffff
	v_and_b32_sdwa v3, s30, v2 dst_sel:DWORD dst_unused:UNUSED_PAD src0_sel:DWORD src1_sel:BYTE_0
	v_cvt_f64_u32_e32 v[3:4], v3
	v_mov_b32_e32 v5, 0
	v_mov_b32_e32 v6, v5
	s_mov_b64 s[30:31], 0
	global_store_dwordx4 v[0:1], v[3:6], off
.LBB14_723:
	s_andn2_b64 vcc, exec, s[30:31]
	s_cbranch_vccnz .LBB14_725
; %bb.724:
	v_cvt_f32_ubyte0_e32 v3, v2
	v_mov_b32_e32 v4, 0
	global_store_dwordx2 v[0:1], v[3:4], off
.LBB14_725:
	s_mov_b64 s[30:31], 0
.LBB14_726:
	s_andn2_b64 vcc, exec, s[30:31]
	s_cbranch_vccnz .LBB14_728
; %bb.727:
	v_cvt_f16_u16_sdwa v3, v2 dst_sel:DWORD dst_unused:UNUSED_PAD src0_sel:BYTE_0
	global_store_dword v[0:1], v3, off
.LBB14_728:
	s_mov_b64 s[30:31], 0
.LBB14_729:
	s_andn2_b64 vcc, exec, s[30:31]
	s_cbranch_vccnz .LBB14_738
; %bb.730:
	s_cmp_lt_i32 s34, 6
	s_mov_b64 s[30:31], -1
	s_cbranch_scc1 .LBB14_736
; %bb.731:
	s_cmp_gt_i32 s34, 6
	s_cbranch_scc0 .LBB14_733
; %bb.732:
	s_mov_b32 s30, 0xffff
	v_and_b32_sdwa v3, s30, v2 dst_sel:DWORD dst_unused:UNUSED_PAD src0_sel:DWORD src1_sel:BYTE_0
	v_cvt_f64_u32_e32 v[3:4], v3
	s_mov_b64 s[30:31], 0
	global_store_dwordx2 v[0:1], v[3:4], off
.LBB14_733:
	s_andn2_b64 vcc, exec, s[30:31]
	s_cbranch_vccnz .LBB14_735
; %bb.734:
	v_cvt_f32_ubyte0_e32 v3, v2
	global_store_dword v[0:1], v3, off
.LBB14_735:
	s_mov_b64 s[30:31], 0
.LBB14_736:
	s_andn2_b64 vcc, exec, s[30:31]
	s_cbranch_vccnz .LBB14_738
; %bb.737:
	v_cvt_f16_u16_sdwa v3, v2 dst_sel:DWORD dst_unused:UNUSED_PAD src0_sel:BYTE_0
	global_store_short v[0:1], v3, off
.LBB14_738:
	s_mov_b64 s[30:31], 0
.LBB14_739:
	s_andn2_b64 vcc, exec, s[30:31]
	s_cbranch_vccnz .LBB14_755
; %bb.740:
	s_cmp_lt_i32 s34, 2
	s_mov_b64 s[30:31], -1
	s_cbranch_scc1 .LBB14_750
; %bb.741:
	s_cmp_lt_i32 s34, 3
	s_cbranch_scc1 .LBB14_747
; %bb.742:
	s_cmp_gt_i32 s34, 3
	s_cbranch_scc0 .LBB14_744
; %bb.743:
	v_and_b32_e32 v3, 0xff, v2
	v_mov_b32_e32 v4, 0
	s_mov_b64 s[30:31], 0
	global_store_dwordx2 v[0:1], v[3:4], off
.LBB14_744:
	s_andn2_b64 vcc, exec, s[30:31]
	s_cbranch_vccnz .LBB14_746
; %bb.745:
	v_and_b32_e32 v3, 0xff, v2
	global_store_dword v[0:1], v3, off
.LBB14_746:
	s_mov_b64 s[30:31], 0
.LBB14_747:
	s_andn2_b64 vcc, exec, s[30:31]
	s_cbranch_vccnz .LBB14_749
; %bb.748:
	v_and_b32_e32 v3, 0xff, v2
	global_store_short v[0:1], v3, off
.LBB14_749:
	s_mov_b64 s[30:31], 0
.LBB14_750:
	s_andn2_b64 vcc, exec, s[30:31]
	s_cbranch_vccnz .LBB14_755
; %bb.751:
	s_cmp_gt_i32 s34, 0
	s_mov_b64 s[30:31], -1
	s_cbranch_scc0 .LBB14_753
; %bb.752:
	s_mov_b64 s[30:31], 0
	global_store_byte v[0:1], v2, off
.LBB14_753:
	s_andn2_b64 vcc, exec, s[30:31]
	s_cbranch_vccnz .LBB14_755
; %bb.754:
	global_store_byte v[0:1], v2, off
.LBB14_755:
	s_mov_b64 s[30:31], -1
.LBB14_756:
	s_andn2_b64 vcc, exec, s[30:31]
	s_cbranch_vccnz .LBB14_758
; %bb.757:
	v_add_u32_e32 v7, 0x80, v7
	s_mov_b64 s[34:35], -1
	s_branch .LBB14_759
.LBB14_758:
	s_mov_b64 s[34:35], 0
                                        ; implicit-def: $vgpr7
.LBB14_759:
	s_andn2_b64 s[30:31], s[22:23], exec
	s_and_b64 s[0:1], s[0:1], exec
	s_or_b64 s[30:31], s[30:31], s[0:1]
	s_andn2_b64 s[0:1], s[20:21], exec
	s_and_b64 s[28:29], s[28:29], exec
	s_or_b64 s[0:1], s[0:1], s[28:29]
	s_orn2_b64 s[36:37], s[34:35], exec
.LBB14_760:
	s_or_b64 exec, exec, s[26:27]
	s_mov_b64 s[34:35], 0
	s_mov_b64 s[28:29], 0
	;; [unrolled: 1-line block ×3, first 2 shown]
                                        ; implicit-def: $sgpr47
                                        ; implicit-def: $vgpr0_vgpr1
                                        ; implicit-def: $vgpr2
	s_and_saveexec_b64 s[26:27], s[36:37]
	s_cbranch_execz .LBB14_841
; %bb.761:
	v_cmp_gt_i32_e32 vcc, s40, v7
	s_mov_b64 s[36:37], 0
	s_mov_b64 s[40:41], s[0:1]
	;; [unrolled: 1-line block ×3, first 2 shown]
                                        ; implicit-def: $sgpr47
                                        ; implicit-def: $vgpr0_vgpr1
                                        ; implicit-def: $vgpr2
	s_and_saveexec_b64 s[28:29], vcc
	s_cbranch_execz .LBB14_840
; %bb.762:
	v_mul_lo_u32 v0, v7, s3
	v_mov_b32_e32 v1, s11
	s_and_b32 s47, s45, 0xff
	s_cmp_lt_i32 s47, 11
	s_waitcnt vmcnt(0)
	v_ashrrev_i32_e32 v2, 31, v0
	v_add_co_u32_e32 v0, vcc, s10, v0
	v_addc_co_u32_e32 v1, vcc, v1, v2, vcc
	s_cbranch_scc1 .LBB14_769
; %bb.763:
	s_and_b32 s42, 0xffff, s47
	s_cmp_gt_i32 s42, 25
	s_cbranch_scc0 .LBB14_770
; %bb.764:
	s_cmp_gt_i32 s42, 28
	s_cbranch_scc0 .LBB14_771
; %bb.765:
	;; [unrolled: 3-line block ×4, first 2 shown]
	s_cmp_eq_u32 s42, 46
	s_mov_b64 s[40:41], 0
	s_cbranch_scc0 .LBB14_778
; %bb.768:
	global_load_dword v2, v[0:1], off
	s_mov_b32 s34, 0x2f800000
	s_mov_b32 s35, 0xcf800000
	s_mov_b64 s[38:39], -1
	s_waitcnt vmcnt(0)
	v_lshlrev_b32_e32 v2, 16, v2
	v_trunc_f32_e32 v2, v2
	v_mul_f32_e64 v3, |v2|, s34
	v_floor_f32_e32 v3, v3
	v_fma_f32 v3, v3, s35, |v2|
	v_cvt_u32_f32_e32 v3, v3
	v_ashrrev_i32_e32 v2, 31, v2
	s_mov_b64 s[34:35], 0
	v_xor_b32_e32 v3, v3, v2
	v_sub_u32_e32 v2, v3, v2
	s_branch .LBB14_780
.LBB14_769:
	s_mov_b64 s[40:41], -1
                                        ; implicit-def: $vgpr2
	s_mov_b64 s[34:35], s[0:1]
	s_branch .LBB14_839
.LBB14_770:
	s_mov_b64 s[40:41], -1
	s_mov_b64 s[34:35], s[0:1]
                                        ; implicit-def: $vgpr2
	s_branch .LBB14_807
.LBB14_771:
	s_mov_b64 s[40:41], -1
	s_mov_b64 s[34:35], s[0:1]
                                        ; implicit-def: $vgpr2
	s_branch .LBB14_790
.LBB14_772:
	s_mov_b64 s[40:41], -1
	s_mov_b64 s[34:35], s[0:1]
                                        ; implicit-def: $vgpr2
	s_branch .LBB14_785
.LBB14_773:
	s_andn2_saveexec_b64 s[36:37], s[36:37]
	s_cbranch_execz .LBB14_669
.LBB14_774:
	v_add_f32_e32 v3, 0x46000000, v4
	v_and_b32_e32 v3, 0xff, v3
	v_cmp_ne_u32_e32 vcc, 0, v3
	s_andn2_b64 s[34:35], s[34:35], exec
	s_and_b64 s[42:43], vcc, exec
	s_or_b64 s[34:35], s[34:35], s[42:43]
	s_or_b64 exec, exec, s[36:37]
	v_mov_b32_e32 v5, 0
	s_and_saveexec_b64 s[36:37], s[34:35]
	s_cbranch_execnz .LBB14_670
	s_branch .LBB14_671
.LBB14_775:
	s_mov_b64 s[40:41], -1
	s_mov_b64 s[34:35], s[0:1]
	s_branch .LBB14_779
.LBB14_776:
	s_andn2_saveexec_b64 s[36:37], s[36:37]
	s_cbranch_execz .LBB14_682
.LBB14_777:
	v_add_f32_e32 v3, 0x42800000, v4
	v_and_b32_e32 v3, 0xff, v3
	v_cmp_ne_u32_e32 vcc, 0, v3
	s_andn2_b64 s[34:35], s[34:35], exec
	s_and_b64 s[42:43], vcc, exec
	s_or_b64 s[34:35], s[34:35], s[42:43]
	s_or_b64 exec, exec, s[36:37]
	v_mov_b32_e32 v5, 0
	s_and_saveexec_b64 s[36:37], s[34:35]
	s_cbranch_execnz .LBB14_683
	s_branch .LBB14_684
.LBB14_778:
	s_mov_b64 s[34:35], -1
.LBB14_779:
                                        ; implicit-def: $vgpr2
.LBB14_780:
	s_and_b64 vcc, exec, s[40:41]
	s_cbranch_vccz .LBB14_784
; %bb.781:
	s_cmp_eq_u32 s42, 44
	s_cbranch_scc0 .LBB14_783
; %bb.782:
	global_load_ubyte v2, v[0:1], off
	s_mov_b32 s34, 0x2f800000
	s_mov_b32 s35, 0xcf800000
	s_mov_b64 s[38:39], -1
	s_waitcnt vmcnt(0)
	v_lshlrev_b32_e32 v3, 23, v2
	v_trunc_f32_e32 v3, v3
	v_mul_f32_e64 v4, |v3|, s34
	v_floor_f32_e32 v4, v4
	v_fma_f32 v4, v4, s35, |v3|
	v_cvt_u32_f32_e32 v4, v4
	v_ashrrev_i32_e32 v3, 31, v3
	v_cmp_ne_u32_e32 vcc, 0, v2
	s_mov_b64 s[34:35], 0
	v_xor_b32_e32 v4, v4, v3
	v_sub_u32_e32 v3, v4, v3
	v_cndmask_b32_e32 v2, 0, v3, vcc
	s_branch .LBB14_784
.LBB14_783:
	s_mov_b64 s[34:35], -1
                                        ; implicit-def: $vgpr2
.LBB14_784:
	s_mov_b64 s[40:41], 0
.LBB14_785:
	s_and_b64 vcc, exec, s[40:41]
	s_cbranch_vccz .LBB14_789
; %bb.786:
	s_cmp_eq_u32 s42, 29
	s_cbranch_scc0 .LBB14_788
; %bb.787:
	global_load_dwordx2 v[2:3], v[0:1], off
	s_mov_b64 s[34:35], 0
	s_mov_b64 s[38:39], -1
	s_branch .LBB14_789
.LBB14_788:
	s_mov_b64 s[34:35], -1
                                        ; implicit-def: $vgpr2
.LBB14_789:
	s_mov_b64 s[40:41], 0
.LBB14_790:
	s_and_b64 vcc, exec, s[40:41]
	s_cbranch_vccz .LBB14_806
; %bb.791:
	s_cmp_lt_i32 s42, 27
	s_cbranch_scc1 .LBB14_794
; %bb.792:
	s_cmp_gt_i32 s42, 27
	s_cbranch_scc0 .LBB14_795
; %bb.793:
	global_load_dword v2, v[0:1], off
	s_mov_b64 s[38:39], 0
	s_branch .LBB14_796
.LBB14_794:
	s_mov_b64 s[38:39], -1
                                        ; implicit-def: $vgpr2
	s_branch .LBB14_799
.LBB14_795:
	s_mov_b64 s[38:39], -1
                                        ; implicit-def: $vgpr2
.LBB14_796:
	s_andn2_b64 vcc, exec, s[38:39]
	s_cbranch_vccnz .LBB14_798
; %bb.797:
	global_load_ushort v2, v[0:1], off
.LBB14_798:
	s_mov_b64 s[38:39], 0
.LBB14_799:
	s_andn2_b64 vcc, exec, s[38:39]
	s_cbranch_vccnz .LBB14_805
; %bb.800:
	global_load_ubyte v3, v[0:1], off
	s_movk_i32 s38, 0x7f
	s_mov_b64 s[40:41], 0
	s_waitcnt vmcnt(0)
	v_cmp_lt_i16_e32 vcc, s38, v3
	s_and_saveexec_b64 s[38:39], vcc
	s_xor_b64 s[38:39], exec, s[38:39]
	s_cbranch_execz .LBB14_817
; %bb.801:
	s_movk_i32 s40, 0x80
	v_cmp_ne_u16_e32 vcc, s40, v3
	s_and_b64 s[40:41], vcc, exec
	s_andn2_saveexec_b64 s[38:39], s[38:39]
	s_cbranch_execnz .LBB14_818
.LBB14_802:
	s_or_b64 exec, exec, s[38:39]
	v_mov_b32_e32 v2, 0
	s_and_saveexec_b64 s[38:39], s[40:41]
	s_cbranch_execz .LBB14_804
.LBB14_803:
	v_lshlrev_b32_e32 v2, 24, v3
	v_and_b32_e32 v3, 0xffff, v3
	v_and_b32_e32 v4, 7, v3
	v_ffbh_u32_e32 v6, v4
	v_min_u32_e32 v6, 32, v6
	v_subrev_u32_e32 v8, 28, v6
	v_bfe_u32 v5, v3, 3, 4
	v_lshlrev_b32_e32 v3, v8, v3
	v_sub_u32_e32 v6, 29, v6
	v_and_b32_e32 v3, 7, v3
	v_cmp_eq_u32_e32 vcc, 0, v5
	v_cndmask_b32_e32 v5, v5, v6, vcc
	v_cndmask_b32_e32 v3, v4, v3, vcc
	v_mov_b32_e32 v4, 0x3b800000
	v_lshlrev_b32_e32 v3, 20, v3
	v_and_b32_e32 v2, 0x80000000, v2
	v_lshl_add_u32 v4, v5, 23, v4
	v_or3_b32 v2, v2, v4, v3
	v_trunc_f32_e32 v2, v2
	s_mov_b32 s40, 0x2f800000
	v_mul_f32_e64 v3, |v2|, s40
	v_floor_f32_e32 v3, v3
	s_mov_b32 s40, 0xcf800000
	v_fma_f32 v3, v3, s40, |v2|
	v_cvt_u32_f32_e32 v3, v3
	v_ashrrev_i32_e32 v2, 31, v2
	v_xor_b32_e32 v3, v3, v2
	v_sub_u32_e32 v2, v3, v2
.LBB14_804:
	s_or_b64 exec, exec, s[38:39]
.LBB14_805:
	s_mov_b64 s[38:39], -1
.LBB14_806:
	s_mov_b64 s[40:41], 0
.LBB14_807:
	s_and_b64 vcc, exec, s[40:41]
	s_cbranch_vccz .LBB14_838
; %bb.808:
	s_cmp_gt_i32 s42, 22
	s_cbranch_scc0 .LBB14_816
; %bb.809:
	s_cmp_lt_i32 s42, 24
	s_cbranch_scc1 .LBB14_819
; %bb.810:
	s_cmp_gt_i32 s42, 24
	s_cbranch_scc0 .LBB14_820
; %bb.811:
	global_load_ubyte v3, v[0:1], off
	s_movk_i32 s36, 0x7f
	s_mov_b64 s[38:39], 0
	s_waitcnt vmcnt(0)
	v_cmp_lt_i16_e32 vcc, s36, v3
	s_and_saveexec_b64 s[36:37], vcc
	s_xor_b64 s[36:37], exec, s[36:37]
	s_cbranch_execz .LBB14_832
; %bb.812:
	s_movk_i32 s38, 0x80
	v_cmp_ne_u16_e32 vcc, s38, v3
	s_and_b64 s[38:39], vcc, exec
	s_andn2_saveexec_b64 s[36:37], s[36:37]
	s_cbranch_execnz .LBB14_833
.LBB14_813:
	s_or_b64 exec, exec, s[36:37]
	v_mov_b32_e32 v2, 0
	s_and_saveexec_b64 s[36:37], s[38:39]
	s_cbranch_execz .LBB14_815
.LBB14_814:
	v_lshlrev_b32_e32 v2, 24, v3
	v_and_b32_e32 v3, 0xffff, v3
	v_and_b32_e32 v4, 3, v3
	v_ffbh_u32_e32 v6, v4
	v_min_u32_e32 v6, 32, v6
	v_subrev_u32_e32 v8, 29, v6
	v_bfe_u32 v5, v3, 2, 5
	v_lshlrev_b32_e32 v3, v8, v3
	v_sub_u32_e32 v6, 30, v6
	v_and_b32_e32 v3, 3, v3
	v_cmp_eq_u32_e32 vcc, 0, v5
	v_cndmask_b32_e32 v5, v5, v6, vcc
	v_cndmask_b32_e32 v3, v4, v3, vcc
	v_mov_b32_e32 v4, 0x37800000
	v_lshlrev_b32_e32 v3, 21, v3
	v_and_b32_e32 v2, 0x80000000, v2
	v_lshl_add_u32 v4, v5, 23, v4
	v_or3_b32 v2, v2, v4, v3
	v_trunc_f32_e32 v2, v2
	s_mov_b32 s38, 0x2f800000
	v_mul_f32_e64 v3, |v2|, s38
	v_floor_f32_e32 v3, v3
	s_mov_b32 s38, 0xcf800000
	v_fma_f32 v3, v3, s38, |v2|
	v_cvt_u32_f32_e32 v3, v3
	v_ashrrev_i32_e32 v2, 31, v2
	v_xor_b32_e32 v3, v3, v2
	v_sub_u32_e32 v2, v3, v2
.LBB14_815:
	s_or_b64 exec, exec, s[36:37]
	s_mov_b64 s[36:37], 0
	s_branch .LBB14_821
.LBB14_816:
	s_mov_b64 s[36:37], -1
                                        ; implicit-def: $vgpr2
	s_branch .LBB14_827
.LBB14_817:
	s_andn2_saveexec_b64 s[38:39], s[38:39]
	s_cbranch_execz .LBB14_802
.LBB14_818:
	v_cmp_ne_u16_e32 vcc, 0, v3
	s_andn2_b64 s[40:41], s[40:41], exec
	s_and_b64 s[48:49], vcc, exec
	s_or_b64 s[40:41], s[40:41], s[48:49]
	s_or_b64 exec, exec, s[38:39]
	v_mov_b32_e32 v2, 0
	s_and_saveexec_b64 s[38:39], s[40:41]
	s_cbranch_execnz .LBB14_803
	s_branch .LBB14_804
.LBB14_819:
	s_mov_b64 s[36:37], -1
                                        ; implicit-def: $vgpr2
	s_branch .LBB14_824
.LBB14_820:
	s_mov_b64 s[36:37], -1
                                        ; implicit-def: $vgpr2
.LBB14_821:
	s_and_b64 vcc, exec, s[36:37]
	s_cbranch_vccz .LBB14_823
; %bb.822:
	global_load_ubyte v2, v[0:1], off
	s_mov_b32 s36, 0x7f800000
	s_brev_b32 s37, 1
	s_mov_b32 s38, 0x2f800000
	s_waitcnt vmcnt(0)
	v_lshlrev_b32_e32 v2, 24, v2
	v_and_b32_e32 v3, 0x7f000000, v2
	v_ffbh_u32_e32 v4, v3
	v_min_u32_e32 v4, 32, v4
	v_sub_u32_e64 v4, v4, 4 clamp
	v_lshlrev_b32_e32 v6, v4, v3
	v_lshlrev_b32_e32 v4, 23, v4
	v_lshrrev_b32_e32 v6, 4, v6
	v_add_u32_e32 v5, 0x1000000, v3
	v_sub_u32_e32 v4, v6, v4
	v_ashrrev_i32_e32 v5, 8, v5
	v_add_u32_e32 v4, 0x3c000000, v4
	v_and_or_b32 v4, v5, s36, v4
	v_cmp_ne_u32_e32 vcc, 0, v3
	v_cndmask_b32_e32 v3, 0, v4, vcc
	v_and_or_b32 v2, v2, s37, v3
	v_trunc_f32_e32 v2, v2
	v_mul_f32_e64 v3, |v2|, s38
	v_floor_f32_e32 v3, v3
	s_mov_b32 s36, 0xcf800000
	v_fma_f32 v3, v3, s36, |v2|
	v_cvt_u32_f32_e32 v3, v3
	v_ashrrev_i32_e32 v2, 31, v2
	v_xor_b32_e32 v3, v3, v2
	v_sub_u32_e32 v2, v3, v2
.LBB14_823:
	s_mov_b64 s[36:37], 0
.LBB14_824:
	s_andn2_b64 vcc, exec, s[36:37]
	s_cbranch_vccnz .LBB14_826
; %bb.825:
	global_load_ubyte v2, v[0:1], off
	s_movk_i32 s36, 0x7f00
	s_brev_b32 s37, 16
	s_brev_b32 s38, 1
	s_mov_b32 s39, 0x2f800000
	s_waitcnt vmcnt(0)
	v_lshlrev_b16_e32 v3, 8, v2
	v_lshlrev_b32_e32 v2, 25, v2
	v_lshrrev_b32_e32 v4, 4, v2
	v_and_or_b32 v5, v3, s36, 0.5
	v_or_b32_e32 v4, 0x70000000, v4
	v_add_f32_e32 v5, -0.5, v5
	v_mul_f32_e32 v4, 0x7800000, v4
	v_cmp_gt_u32_e32 vcc, s37, v2
	v_bfe_i32 v3, v3, 0, 16
	v_cndmask_b32_e32 v2, v4, v5, vcc
	v_and_or_b32 v2, v3, s38, v2
	v_trunc_f32_e32 v2, v2
	v_mul_f32_e64 v3, |v2|, s39
	v_floor_f32_e32 v3, v3
	s_mov_b32 s36, 0xcf800000
	v_fma_f32 v3, v3, s36, |v2|
	v_cvt_u32_f32_e32 v3, v3
	v_ashrrev_i32_e32 v2, 31, v2
	v_xor_b32_e32 v3, v3, v2
	v_sub_u32_e32 v2, v3, v2
.LBB14_826:
	s_mov_b64 s[36:37], 0
	s_mov_b64 s[38:39], -1
.LBB14_827:
	s_andn2_b64 vcc, exec, s[36:37]
	s_mov_b64 s[36:37], 0
	s_cbranch_vccnz .LBB14_838
; %bb.828:
	s_cmp_gt_i32 s42, 14
	s_cbranch_scc0 .LBB14_831
; %bb.829:
	s_cmp_eq_u32 s42, 15
	s_cbranch_scc0 .LBB14_834
; %bb.830:
	global_load_ushort v2, v[0:1], off
	s_mov_b32 s34, 0x2f800000
	s_mov_b32 s35, 0xcf800000
	s_mov_b64 s[38:39], -1
	s_waitcnt vmcnt(0)
	v_lshlrev_b32_e32 v2, 16, v2
	v_trunc_f32_e32 v2, v2
	v_mul_f32_e64 v3, |v2|, s34
	v_floor_f32_e32 v3, v3
	v_fma_f32 v3, v3, s35, |v2|
	v_cvt_u32_f32_e32 v3, v3
	v_ashrrev_i32_e32 v2, 31, v2
	s_mov_b64 s[34:35], 0
	v_xor_b32_e32 v3, v3, v2
	v_sub_u32_e32 v2, v3, v2
	s_branch .LBB14_835
.LBB14_831:
	s_mov_b64 s[40:41], -1
                                        ; implicit-def: $vgpr2
	s_branch .LBB14_836
.LBB14_832:
	s_andn2_saveexec_b64 s[36:37], s[36:37]
	s_cbranch_execz .LBB14_813
.LBB14_833:
	v_cmp_ne_u16_e32 vcc, 0, v3
	s_andn2_b64 s[38:39], s[38:39], exec
	s_and_b64 s[40:41], vcc, exec
	s_or_b64 s[38:39], s[38:39], s[40:41]
	s_or_b64 exec, exec, s[36:37]
	v_mov_b32_e32 v2, 0
	s_and_saveexec_b64 s[36:37], s[38:39]
	s_cbranch_execnz .LBB14_814
	s_branch .LBB14_815
.LBB14_834:
	s_mov_b64 s[34:35], -1
                                        ; implicit-def: $vgpr2
.LBB14_835:
	s_mov_b64 s[40:41], 0
.LBB14_836:
	s_and_b64 vcc, exec, s[40:41]
	s_cbranch_vccz .LBB14_838
; %bb.837:
	s_cmp_lg_u32 s42, 11
	s_cselect_b64 s[40:41], -1, 0
	s_andn2_b64 s[34:35], s[34:35], exec
	s_and_b64 s[40:41], s[40:41], exec
	s_mov_b64 s[36:37], -1
	s_or_b64 s[34:35], s[34:35], s[40:41]
.LBB14_838:
	s_mov_b64 s[40:41], 0
.LBB14_839:
	s_and_b64 s[42:43], s[40:41], exec
	s_andn2_b64 s[40:41], s[0:1], exec
	s_and_b64 s[34:35], s[34:35], exec
	s_and_b64 s[38:39], s[38:39], exec
	;; [unrolled: 1-line block ×3, first 2 shown]
	s_or_b64 s[40:41], s[40:41], s[34:35]
.LBB14_840:
	s_or_b64 exec, exec, s[28:29]
	s_and_b64 s[34:35], s[36:37], exec
	s_andn2_b64 s[0:1], s[0:1], exec
	s_and_b64 s[36:37], s[40:41], exec
	s_and_b64 s[38:39], s[38:39], exec
	;; [unrolled: 1-line block ×3, first 2 shown]
	s_or_b64 s[0:1], s[0:1], s[36:37]
.LBB14_841:
	s_or_b64 exec, exec, s[26:27]
	s_andn2_b64 s[22:23], s[22:23], exec
	s_and_b64 s[26:27], s[30:31], exec
	s_andn2_b64 s[20:21], s[20:21], exec
	s_and_b64 s[0:1], s[0:1], exec
	s_or_b64 s[22:23], s[22:23], s[26:27]
	s_and_b64 s[30:31], s[38:39], exec
	s_and_b64 s[28:29], s[28:29], exec
	;; [unrolled: 1-line block ×3, first 2 shown]
	s_or_b64 s[20:21], s[20:21], s[0:1]
.LBB14_842:
	s_or_b64 exec, exec, s[24:25]
	s_andn2_b64 s[0:1], s[14:15], exec
	s_and_b64 s[14:15], s[22:23], exec
	s_andn2_b64 s[16:17], s[16:17], exec
	s_and_b64 s[20:21], s[20:21], exec
	s_or_b64 s[14:15], s[0:1], s[14:15]
	s_and_b64 s[0:1], s[30:31], exec
	s_and_b64 s[24:25], s[28:29], exec
	;; [unrolled: 1-line block ×3, first 2 shown]
	s_or_b64 s[16:17], s[16:17], s[20:21]
	s_or_b64 exec, exec, s[18:19]
	s_mov_b64 s[18:19], 0
	s_and_saveexec_b64 s[20:21], s[16:17]
	s_cbranch_execz .LBB14_258
.LBB14_843:
	s_mov_b64 s[18:19], exec
	s_andn2_b64 s[22:23], s[22:23], exec
	s_trap 2
	s_or_b64 exec, exec, s[20:21]
	s_and_saveexec_b64 s[16:17], s[22:23]
	s_xor_b64 s[16:17], exec, s[16:17]
	s_cbranch_execnz .LBB14_259
.LBB14_844:
	s_or_b64 exec, exec, s[16:17]
	s_and_saveexec_b64 s[16:17], s[24:25]
	s_cbranch_execz .LBB14_890
.LBB14_845:
	s_sext_i32_i16 s20, s47
	s_cmp_lt_i32 s20, 5
	s_cbranch_scc1 .LBB14_850
; %bb.846:
	s_cmp_lt_i32 s20, 8
	s_cbranch_scc1 .LBB14_851
; %bb.847:
	;; [unrolled: 3-line block ×3, first 2 shown]
	s_cmp_gt_i32 s20, 9
	s_cbranch_scc0 .LBB14_853
; %bb.849:
	global_load_dwordx2 v[2:3], v[0:1], off
	s_movk_i32 s20, 0xffe0
	s_waitcnt vmcnt(0)
	v_trunc_f64_e32 v[2:3], v[2:3]
	v_ldexp_f64 v[4:5], v[2:3], s20
	s_mov_b32 s20, 0
	s_mov_b32 s21, 0xc1f00000
	v_floor_f64_e32 v[4:5], v[4:5]
	v_fma_f64 v[2:3], v[4:5], s[20:21], v[2:3]
	s_mov_b64 s[20:21], 0
	v_cvt_u32_f64_e32 v2, v[2:3]
	s_branch .LBB14_854
.LBB14_850:
                                        ; implicit-def: $vgpr2
	s_branch .LBB14_871
.LBB14_851:
                                        ; implicit-def: $vgpr2
	s_branch .LBB14_860
.LBB14_852:
	s_mov_b64 s[20:21], -1
                                        ; implicit-def: $vgpr2
	s_branch .LBB14_857
.LBB14_853:
	s_mov_b64 s[20:21], -1
                                        ; implicit-def: $vgpr2
.LBB14_854:
	s_andn2_b64 vcc, exec, s[20:21]
	s_cbranch_vccnz .LBB14_856
; %bb.855:
	global_load_dword v2, v[0:1], off
	s_mov_b32 s20, 0x2f800000
	s_waitcnt vmcnt(0)
	v_trunc_f32_e32 v2, v2
	v_mul_f32_e64 v3, |v2|, s20
	v_floor_f32_e32 v3, v3
	s_mov_b32 s20, 0xcf800000
	v_fma_f32 v3, v3, s20, |v2|
	v_cvt_u32_f32_e32 v3, v3
	v_ashrrev_i32_e32 v2, 31, v2
	v_xor_b32_e32 v3, v3, v2
	v_sub_u32_e32 v2, v3, v2
.LBB14_856:
	s_mov_b64 s[20:21], 0
.LBB14_857:
	s_andn2_b64 vcc, exec, s[20:21]
	s_cbranch_vccnz .LBB14_859
; %bb.858:
	global_load_dword v2, v[0:1], off
	s_waitcnt vmcnt(0)
	v_cvt_f32_f16_e32 v2, v2
	v_cvt_i32_f32_e32 v2, v2
.LBB14_859:
	s_cbranch_execnz .LBB14_870
.LBB14_860:
	s_sext_i32_i16 s20, s47
	s_cmp_lt_i32 s20, 6
	s_cbranch_scc1 .LBB14_863
; %bb.861:
	s_cmp_gt_i32 s20, 6
	s_cbranch_scc0 .LBB14_864
; %bb.862:
	global_load_dwordx2 v[2:3], v[0:1], off
	s_movk_i32 s20, 0xffe0
	s_waitcnt vmcnt(0)
	v_trunc_f64_e32 v[2:3], v[2:3]
	v_ldexp_f64 v[4:5], v[2:3], s20
	s_mov_b32 s20, 0
	s_mov_b32 s21, 0xc1f00000
	v_floor_f64_e32 v[4:5], v[4:5]
	v_fma_f64 v[2:3], v[4:5], s[20:21], v[2:3]
	s_mov_b64 s[20:21], 0
	v_cvt_u32_f64_e32 v2, v[2:3]
	s_branch .LBB14_865
.LBB14_863:
	s_mov_b64 s[20:21], -1
                                        ; implicit-def: $vgpr2
	s_branch .LBB14_868
.LBB14_864:
	s_mov_b64 s[20:21], -1
                                        ; implicit-def: $vgpr2
.LBB14_865:
	s_andn2_b64 vcc, exec, s[20:21]
	s_cbranch_vccnz .LBB14_867
; %bb.866:
	global_load_dword v2, v[0:1], off
	s_mov_b32 s20, 0x2f800000
	s_waitcnt vmcnt(0)
	v_trunc_f32_e32 v2, v2
	v_mul_f32_e64 v3, |v2|, s20
	v_floor_f32_e32 v3, v3
	s_mov_b32 s20, 0xcf800000
	v_fma_f32 v3, v3, s20, |v2|
	v_cvt_u32_f32_e32 v3, v3
	v_ashrrev_i32_e32 v2, 31, v2
	v_xor_b32_e32 v3, v3, v2
	v_sub_u32_e32 v2, v3, v2
.LBB14_867:
	s_mov_b64 s[20:21], 0
.LBB14_868:
	s_andn2_b64 vcc, exec, s[20:21]
	s_cbranch_vccnz .LBB14_870
; %bb.869:
	global_load_ushort v2, v[0:1], off
	s_waitcnt vmcnt(0)
	v_cvt_f32_f16_e32 v2, v2
	v_cvt_i32_f32_e32 v2, v2
.LBB14_870:
	s_cbranch_execnz .LBB14_889
.LBB14_871:
	s_sext_i32_i16 s20, s47
	s_cmp_lt_i32 s20, 2
	s_cbranch_scc1 .LBB14_875
; %bb.872:
	s_cmp_lt_i32 s20, 3
	s_cbranch_scc1 .LBB14_876
; %bb.873:
	s_cmp_gt_i32 s20, 3
	s_cbranch_scc0 .LBB14_877
; %bb.874:
	global_load_dwordx2 v[2:3], v[0:1], off
	s_mov_b64 s[20:21], 0
	s_branch .LBB14_878
.LBB14_875:
                                        ; implicit-def: $vgpr2
	s_branch .LBB14_884
.LBB14_876:
	s_mov_b64 s[20:21], -1
                                        ; implicit-def: $vgpr2
	s_branch .LBB14_881
.LBB14_877:
	s_mov_b64 s[20:21], -1
                                        ; implicit-def: $vgpr2
.LBB14_878:
	s_andn2_b64 vcc, exec, s[20:21]
	s_cbranch_vccnz .LBB14_880
; %bb.879:
	global_load_dword v2, v[0:1], off
.LBB14_880:
	s_mov_b64 s[20:21], 0
.LBB14_881:
	s_andn2_b64 vcc, exec, s[20:21]
	s_cbranch_vccnz .LBB14_883
; %bb.882:
	global_load_ushort v2, v[0:1], off
.LBB14_883:
	s_cbranch_execnz .LBB14_889
.LBB14_884:
	s_sext_i32_i16 s20, s47
	s_cmp_gt_i32 s20, 0
	s_cbranch_scc0 .LBB14_886
; %bb.885:
	global_load_ubyte v2, v[0:1], off
	s_mov_b64 s[20:21], 0
	s_branch .LBB14_887
.LBB14_886:
	s_mov_b64 s[20:21], -1
                                        ; implicit-def: $vgpr2
.LBB14_887:
	s_andn2_b64 vcc, exec, s[20:21]
	s_cbranch_vccnz .LBB14_889
; %bb.888:
	global_load_ubyte v2, v[0:1], off
.LBB14_889:
	s_or_b64 s[0:1], s[0:1], exec
.LBB14_890:
	s_or_b64 exec, exec, s[16:17]
	s_mov_b64 s[22:23], 0
	s_mov_b64 s[20:21], 0
                                        ; implicit-def: $sgpr26
                                        ; implicit-def: $vgpr0_vgpr1
                                        ; implicit-def: $vgpr3
	s_and_saveexec_b64 s[16:17], s[0:1]
	s_cbranch_execz .LBB14_965
; %bb.891:
	v_mul_lo_u32 v0, v7, s2
	s_waitcnt vmcnt(0)
	v_lshlrev_b32_e32 v1, s46, v2
	v_mov_b32_e32 v2, s9
	v_cndmask_b32_e64 v3, v1, 0, s[6:7]
	v_ashrrev_i32_e32 v1, 31, v0
	s_and_b32 s26, s33, 0xff
	v_add_co_u32_e32 v0, vcc, s8, v0
	s_cmp_lt_i32 s26, 11
	v_addc_co_u32_e32 v1, vcc, v2, v1, vcc
	s_cbranch_scc1 .LBB14_968
; %bb.892:
	s_and_b32 s27, 0xffff, s26
	s_mov_b64 s[20:21], -1
	s_cmp_gt_i32 s27, 25
	s_mov_b64 s[0:1], s[14:15]
	s_cbranch_scc0 .LBB14_925
; %bb.893:
	s_mov_b64 s[6:7], -1
	s_cmp_gt_i32 s27, 28
	s_mov_b64 s[0:1], s[14:15]
	s_cbranch_scc0 .LBB14_909
; %bb.894:
	s_cmp_gt_i32 s27, 43
	s_mov_b64 s[0:1], s[14:15]
	s_cbranch_scc0 .LBB14_905
; %bb.895:
	;; [unrolled: 4-line block ×3, first 2 shown]
	s_cmp_eq_u32 s27, 46
	s_mov_b64 s[0:1], -1
	s_cbranch_scc0 .LBB14_898
; %bb.897:
	v_cvt_f32_ubyte0_e32 v2, v3
	v_bfe_u32 v4, v2, 16, 1
	s_movk_i32 s0, 0x7fff
	v_add3_u32 v2, v2, v4, s0
	v_lshrrev_b32_e32 v2, 16, v2
	global_store_dword v[0:1], v2, off
	s_mov_b64 s[0:1], 0
.LBB14_898:
	s_mov_b64 s[6:7], 0
.LBB14_899:
	s_and_b64 vcc, exec, s[6:7]
	s_cbranch_vccz .LBB14_904
; %bb.900:
	s_cmp_eq_u32 s27, 44
	s_mov_b64 s[0:1], -1
	s_cbranch_scc0 .LBB14_904
; %bb.901:
	v_cvt_f32_ubyte0_e32 v4, v3
	v_lshrrev_b32_e32 v2, 23, v4
	s_movk_i32 s0, 0xff
	v_cmp_ne_u32_e32 vcc, s0, v2
	v_mov_b32_e32 v5, 0xff
	s_and_saveexec_b64 s[6:7], vcc
; %bb.902:
	s_mov_b32 s0, 0x3fffff
	v_and_b32_e32 v5, 0x400000, v4
	v_and_or_b32 v4, v4, s0, v2
	v_cmp_ne_u32_e32 vcc, 0, v5
	v_cmp_ne_u32_e64 s[0:1], 0, v4
	s_and_b64 s[0:1], vcc, s[0:1]
	v_cndmask_b32_e64 v4, 0, 1, s[0:1]
	v_add_u32_e32 v5, v2, v4
; %bb.903:
	s_or_b64 exec, exec, s[6:7]
	s_mov_b64 s[0:1], 0
	global_store_byte v[0:1], v5, off
.LBB14_904:
	s_mov_b64 s[6:7], 0
.LBB14_905:
	s_and_b64 vcc, exec, s[6:7]
	s_cbranch_vccz .LBB14_908
; %bb.906:
	s_cmp_eq_u32 s27, 29
	s_mov_b64 s[0:1], -1
	s_cbranch_scc0 .LBB14_908
; %bb.907:
	v_and_b32_e32 v4, 0xff, v3
	v_mov_b32_e32 v5, 0
	global_store_dwordx2 v[0:1], v[4:5], off
	s_mov_b64 s[0:1], 0
.LBB14_908:
	s_mov_b64 s[6:7], 0
.LBB14_909:
	s_and_b64 vcc, exec, s[6:7]
	s_cbranch_vccz .LBB14_924
; %bb.910:
	s_cmp_lt_i32 s27, 27
	s_mov_b64 s[6:7], -1
	s_cbranch_scc1 .LBB14_916
; %bb.911:
	s_cmp_gt_i32 s27, 27
	s_cbranch_scc0 .LBB14_913
; %bb.912:
	v_and_b32_e32 v2, 0xff, v3
	s_mov_b64 s[6:7], 0
	global_store_dword v[0:1], v2, off
.LBB14_913:
	s_andn2_b64 vcc, exec, s[6:7]
	s_cbranch_vccnz .LBB14_915
; %bb.914:
	v_and_b32_e32 v2, 0xff, v3
	global_store_short v[0:1], v2, off
.LBB14_915:
	s_mov_b64 s[6:7], 0
.LBB14_916:
	s_andn2_b64 vcc, exec, s[6:7]
	s_cbranch_vccnz .LBB14_924
; %bb.917:
	v_cvt_f32_ubyte0_e32 v4, v3
	s_mov_b32 s6, 0x43800000
	v_cmp_gt_u32_e32 vcc, s6, v4
	v_mov_b32_e32 v5, 0x80
	s_and_saveexec_b64 s[6:7], vcc
	s_cbranch_execz .LBB14_923
; %bb.918:
	s_mov_b32 s20, 0x3bffffff
	v_cmp_lt_u32_e32 vcc, s20, v4
	s_mov_b64 s[20:21], 0
                                        ; implicit-def: $vgpr2
	s_and_saveexec_b64 s[22:23], vcc
	s_xor_b64 s[22:23], exec, s[22:23]
	s_cbranch_execz .LBB14_1025
; %bb.919:
	v_bfe_u32 v2, v4, 20, 1
	s_mov_b32 s24, 0x487ffff
	v_add3_u32 v2, v4, v2, s24
	s_mov_b64 s[20:21], exec
	v_lshrrev_b32_e32 v2, 20, v2
                                        ; implicit-def: $vgpr4
	s_andn2_saveexec_b64 s[22:23], s[22:23]
	s_cbranch_execnz .LBB14_1026
.LBB14_920:
	s_or_b64 exec, exec, s[22:23]
	v_mov_b32_e32 v5, 0
	s_and_saveexec_b64 s[22:23], s[20:21]
.LBB14_921:
	v_mov_b32_e32 v5, v2
.LBB14_922:
	s_or_b64 exec, exec, s[22:23]
.LBB14_923:
	s_or_b64 exec, exec, s[6:7]
	global_store_byte v[0:1], v5, off
.LBB14_924:
	s_mov_b64 s[20:21], 0
.LBB14_925:
	s_mov_b64 s[6:7], 0
	s_and_b64 vcc, exec, s[20:21]
	s_cbranch_vccz .LBB14_969
; %bb.926:
	s_cmp_gt_i32 s27, 22
	s_mov_b64 s[20:21], -1
	s_cbranch_scc0 .LBB14_958
; %bb.927:
	s_cmp_lt_i32 s27, 24
	s_cbranch_scc1 .LBB14_947
; %bb.928:
	s_cmp_gt_i32 s27, 24
	s_cbranch_scc0 .LBB14_936
; %bb.929:
	v_cvt_f32_ubyte0_e32 v4, v3
	s_mov_b32 s20, 0x47800000
	v_cmp_gt_u32_e32 vcc, s20, v4
	v_mov_b32_e32 v5, 0x80
	s_and_saveexec_b64 s[20:21], vcc
	s_cbranch_execz .LBB14_935
; %bb.930:
	s_mov_b32 s22, 0x37ffffff
	v_cmp_lt_u32_e32 vcc, s22, v4
	s_mov_b64 s[22:23], 0
                                        ; implicit-def: $vgpr2
	s_and_saveexec_b64 s[24:25], vcc
	s_xor_b64 s[24:25], exec, s[24:25]
	s_cbranch_execz .LBB14_1145
; %bb.931:
	v_bfe_u32 v2, v4, 21, 1
	s_mov_b32 s28, 0x88fffff
	v_add3_u32 v2, v4, v2, s28
	s_mov_b64 s[22:23], exec
	v_lshrrev_b32_e32 v2, 21, v2
                                        ; implicit-def: $vgpr4
	s_andn2_saveexec_b64 s[24:25], s[24:25]
	s_cbranch_execnz .LBB14_1146
.LBB14_932:
	s_or_b64 exec, exec, s[24:25]
	v_mov_b32_e32 v5, 0
	s_and_saveexec_b64 s[24:25], s[22:23]
.LBB14_933:
	v_mov_b32_e32 v5, v2
.LBB14_934:
	s_or_b64 exec, exec, s[24:25]
.LBB14_935:
	s_or_b64 exec, exec, s[20:21]
	s_mov_b64 s[20:21], 0
	global_store_byte v[0:1], v5, off
.LBB14_936:
	s_and_b64 vcc, exec, s[20:21]
	s_cbranch_vccz .LBB14_946
; %bb.937:
	v_cvt_f32_ubyte0_e32 v2, v3
	s_mov_b32 s20, 0x43f00000
	v_cmp_gt_u32_e32 vcc, s20, v2
                                        ; implicit-def: $vgpr4
	s_and_saveexec_b64 s[20:21], vcc
	s_xor_b64 s[20:21], exec, s[20:21]
	s_cbranch_execz .LBB14_943
; %bb.938:
	s_mov_b32 s22, 0x3c7fffff
	v_cmp_lt_u32_e32 vcc, s22, v2
                                        ; implicit-def: $vgpr4
	s_and_saveexec_b64 s[22:23], vcc
	s_xor_b64 s[22:23], exec, s[22:23]
; %bb.939:
	v_bfe_u32 v4, v2, 20, 1
	s_mov_b32 s24, 0x407ffff
	v_add3_u32 v2, v2, v4, s24
	v_lshrrev_b32_e32 v4, 20, v2
	v_and_b32_e32 v2, 0xff00000, v2
	s_mov_b32 s24, 0x7f00000
	v_mov_b32_e32 v5, 0x7e
	v_cmp_ne_u32_e32 vcc, s24, v2
	v_cndmask_b32_e32 v4, v5, v4, vcc
                                        ; implicit-def: $vgpr2
; %bb.940:
	s_andn2_saveexec_b64 s[22:23], s[22:23]
; %bb.941:
	v_add_f32_e32 v4, 0x46800000, v2
; %bb.942:
	s_or_b64 exec, exec, s[22:23]
                                        ; implicit-def: $vgpr2
.LBB14_943:
	s_andn2_saveexec_b64 s[20:21], s[20:21]
; %bb.944:
	s_mov_b32 s22, 0x7f800000
	v_mov_b32_e32 v4, 0x7e
	v_mov_b32_e32 v5, 0x7f
	v_cmp_lt_u32_e32 vcc, s22, v2
	v_cndmask_b32_e32 v4, v4, v5, vcc
; %bb.945:
	s_or_b64 exec, exec, s[20:21]
	global_store_byte v[0:1], v4, off
.LBB14_946:
	s_mov_b64 s[20:21], 0
.LBB14_947:
	s_andn2_b64 vcc, exec, s[20:21]
	s_cbranch_vccnz .LBB14_957
; %bb.948:
	v_cvt_f32_ubyte0_e32 v2, v3
	s_mov_b32 s20, 0x47800000
	v_cmp_gt_u32_e32 vcc, s20, v2
                                        ; implicit-def: $vgpr4
	s_and_saveexec_b64 s[20:21], vcc
	s_xor_b64 s[20:21], exec, s[20:21]
	s_cbranch_execz .LBB14_954
; %bb.949:
	s_mov_b32 s22, 0x387fffff
	v_cmp_lt_u32_e32 vcc, s22, v2
                                        ; implicit-def: $vgpr4
	s_and_saveexec_b64 s[22:23], vcc
	s_xor_b64 s[22:23], exec, s[22:23]
; %bb.950:
	v_bfe_u32 v4, v2, 21, 1
	s_mov_b32 s24, 0x80fffff
	v_add3_u32 v2, v2, v4, s24
	v_lshrrev_b32_e32 v4, 21, v2
                                        ; implicit-def: $vgpr2
; %bb.951:
	s_andn2_saveexec_b64 s[22:23], s[22:23]
; %bb.952:
	v_add_f32_e32 v4, 0x43000000, v2
; %bb.953:
	s_or_b64 exec, exec, s[22:23]
                                        ; implicit-def: $vgpr2
.LBB14_954:
	s_andn2_saveexec_b64 s[20:21], s[20:21]
; %bb.955:
	s_mov_b32 s22, 0x7f800000
	v_mov_b32_e32 v4, 0x7c
	v_mov_b32_e32 v5, 0x7f
	v_cmp_lt_u32_e32 vcc, s22, v2
	v_cndmask_b32_e32 v4, v4, v5, vcc
; %bb.956:
	s_or_b64 exec, exec, s[20:21]
	global_store_byte v[0:1], v4, off
.LBB14_957:
	s_mov_b64 s[20:21], 0
.LBB14_958:
	s_andn2_b64 vcc, exec, s[20:21]
	s_mov_b64 s[22:23], 0
	s_cbranch_vccnz .LBB14_970
; %bb.959:
	s_cmp_gt_i32 s27, 14
	s_mov_b64 s[20:21], -1
	s_cbranch_scc0 .LBB14_963
; %bb.960:
	s_cmp_eq_u32 s27, 15
	s_mov_b64 s[0:1], -1
	s_cbranch_scc0 .LBB14_962
; %bb.961:
	v_cvt_f32_ubyte0_e32 v2, v3
	v_bfe_u32 v4, v2, 16, 1
	s_movk_i32 s0, 0x7fff
	v_add3_u32 v2, v2, v4, s0
	global_store_short_d16_hi v[0:1], v2, off
	s_mov_b64 s[0:1], 0
.LBB14_962:
	s_mov_b64 s[20:21], 0
.LBB14_963:
	s_and_b64 vcc, exec, s[20:21]
	s_cbranch_vccz .LBB14_970
; %bb.964:
	s_cmp_lg_u32 s27, 11
	s_cselect_b64 s[20:21], -1, 0
	s_andn2_b64 s[0:1], s[0:1], exec
	s_and_b64 s[20:21], s[20:21], exec
	s_mov_b64 s[22:23], -1
	s_or_b64 s[0:1], s[0:1], s[20:21]
	s_branch .LBB14_970
.LBB14_965:
	s_or_b64 exec, exec, s[16:17]
	s_and_saveexec_b64 s[0:1], s[14:15]
	s_cbranch_execnz .LBB14_971
.LBB14_966:
	s_or_b64 exec, exec, s[0:1]
	s_and_saveexec_b64 s[0:1], s[22:23]
	s_xor_b64 s[0:1], exec, s[0:1]
	s_cbranch_execz .LBB14_972
.LBB14_967:
	s_waitcnt vmcnt(0)
	v_mov_b32_e32 v2, 0
	v_cmp_ne_u16_sdwa s[6:7], v3, v2 src0_sel:BYTE_0 src1_sel:DWORD
	v_cndmask_b32_e64 v2, 0, 1, s[6:7]
	global_store_byte v[0:1], v2, off
	s_or_b64 exec, exec, s[0:1]
	s_and_saveexec_b64 s[0:1], s[20:21]
	s_xor_b64 s[0:1], exec, s[0:1]
	s_cbranch_execz .LBB14_1010
	s_branch .LBB14_973
.LBB14_968:
	s_mov_b64 s[6:7], -1
	s_mov_b64 s[0:1], s[14:15]
	s_branch .LBB14_970
.LBB14_969:
	s_mov_b64 s[22:23], 0
.LBB14_970:
	s_and_b64 s[20:21], s[6:7], exec
	s_andn2_b64 s[6:7], s[14:15], exec
	s_and_b64 s[0:1], s[0:1], exec
	s_and_b64 s[22:23], s[22:23], exec
	s_or_b64 s[14:15], s[6:7], s[0:1]
	s_or_b64 exec, exec, s[16:17]
	s_and_saveexec_b64 s[0:1], s[14:15]
	s_cbranch_execz .LBB14_966
.LBB14_971:
	s_or_b64 s[18:19], s[18:19], exec
	s_andn2_b64 s[22:23], s[22:23], exec
	s_trap 2
	s_or_b64 exec, exec, s[0:1]
	s_and_saveexec_b64 s[0:1], s[22:23]
	s_xor_b64 s[0:1], exec, s[0:1]
	s_cbranch_execnz .LBB14_967
.LBB14_972:
	s_or_b64 exec, exec, s[0:1]
	s_and_saveexec_b64 s[0:1], s[20:21]
	s_xor_b64 s[0:1], exec, s[0:1]
	s_cbranch_execz .LBB14_1010
.LBB14_973:
	s_sext_i32_i16 s14, s26
	s_cmp_lt_i32 s14, 5
	s_mov_b64 s[6:7], -1
	s_cbranch_scc1 .LBB14_994
; %bb.974:
	s_cmp_lt_i32 s14, 8
	s_cbranch_scc1 .LBB14_984
; %bb.975:
	s_cmp_lt_i32 s14, 9
	s_cbranch_scc1 .LBB14_981
; %bb.976:
	s_cmp_gt_i32 s14, 9
	s_cbranch_scc0 .LBB14_978
; %bb.977:
	s_mov_b32 s6, 0xffff
	s_waitcnt vmcnt(0)
	v_and_b32_sdwa v2, s6, v3 dst_sel:DWORD dst_unused:UNUSED_PAD src0_sel:DWORD src1_sel:BYTE_0
	v_cvt_f64_u32_e32 v[4:5], v2
	v_mov_b32_e32 v6, 0
	v_mov_b32_e32 v7, v6
	s_mov_b64 s[6:7], 0
	global_store_dwordx4 v[0:1], v[4:7], off
.LBB14_978:
	s_andn2_b64 vcc, exec, s[6:7]
	s_cbranch_vccnz .LBB14_980
; %bb.979:
	s_waitcnt vmcnt(0)
	v_cvt_f32_ubyte0_e32 v4, v3
	v_mov_b32_e32 v5, 0
	global_store_dwordx2 v[0:1], v[4:5], off
.LBB14_980:
	s_mov_b64 s[6:7], 0
.LBB14_981:
	s_andn2_b64 vcc, exec, s[6:7]
	s_cbranch_vccnz .LBB14_983
; %bb.982:
	s_waitcnt vmcnt(0)
	v_cvt_f16_u16_sdwa v2, v3 dst_sel:DWORD dst_unused:UNUSED_PAD src0_sel:BYTE_0
	global_store_dword v[0:1], v2, off
.LBB14_983:
	s_mov_b64 s[6:7], 0
.LBB14_984:
	s_andn2_b64 vcc, exec, s[6:7]
	s_cbranch_vccnz .LBB14_993
; %bb.985:
	s_sext_i32_i16 s14, s26
	s_cmp_lt_i32 s14, 6
	s_mov_b64 s[6:7], -1
	s_cbranch_scc1 .LBB14_991
; %bb.986:
	s_cmp_gt_i32 s14, 6
	s_cbranch_scc0 .LBB14_988
; %bb.987:
	s_mov_b32 s6, 0xffff
	s_waitcnt vmcnt(0)
	v_and_b32_sdwa v2, s6, v3 dst_sel:DWORD dst_unused:UNUSED_PAD src0_sel:DWORD src1_sel:BYTE_0
	v_cvt_f64_u32_e32 v[4:5], v2
	s_mov_b64 s[6:7], 0
	global_store_dwordx2 v[0:1], v[4:5], off
.LBB14_988:
	s_andn2_b64 vcc, exec, s[6:7]
	s_cbranch_vccnz .LBB14_990
; %bb.989:
	s_waitcnt vmcnt(0)
	v_cvt_f32_ubyte0_e32 v2, v3
	global_store_dword v[0:1], v2, off
.LBB14_990:
	s_mov_b64 s[6:7], 0
.LBB14_991:
	s_andn2_b64 vcc, exec, s[6:7]
	s_cbranch_vccnz .LBB14_993
; %bb.992:
	s_waitcnt vmcnt(0)
	v_cvt_f16_u16_sdwa v2, v3 dst_sel:DWORD dst_unused:UNUSED_PAD src0_sel:BYTE_0
	global_store_short v[0:1], v2, off
.LBB14_993:
	s_mov_b64 s[6:7], 0
.LBB14_994:
	s_andn2_b64 vcc, exec, s[6:7]
	s_cbranch_vccnz .LBB14_1010
; %bb.995:
	s_sext_i32_i16 s14, s26
	s_cmp_lt_i32 s14, 2
	s_mov_b64 s[6:7], -1
	s_cbranch_scc1 .LBB14_1005
; %bb.996:
	s_cmp_lt_i32 s14, 3
	s_cbranch_scc1 .LBB14_1002
; %bb.997:
	s_cmp_gt_i32 s14, 3
	s_cbranch_scc0 .LBB14_999
; %bb.998:
	s_waitcnt vmcnt(0)
	v_and_b32_e32 v4, 0xff, v3
	v_mov_b32_e32 v5, 0
	s_mov_b64 s[6:7], 0
	global_store_dwordx2 v[0:1], v[4:5], off
.LBB14_999:
	s_andn2_b64 vcc, exec, s[6:7]
	s_cbranch_vccnz .LBB14_1001
; %bb.1000:
	s_waitcnt vmcnt(0)
	v_and_b32_e32 v2, 0xff, v3
	global_store_dword v[0:1], v2, off
.LBB14_1001:
	s_mov_b64 s[6:7], 0
.LBB14_1002:
	s_andn2_b64 vcc, exec, s[6:7]
	s_cbranch_vccnz .LBB14_1004
; %bb.1003:
	s_waitcnt vmcnt(0)
	v_and_b32_e32 v2, 0xff, v3
	global_store_short v[0:1], v2, off
.LBB14_1004:
	s_mov_b64 s[6:7], 0
.LBB14_1005:
	s_andn2_b64 vcc, exec, s[6:7]
	s_cbranch_vccnz .LBB14_1010
; %bb.1006:
	s_sext_i32_i16 s6, s26
	s_cmp_gt_i32 s6, 0
	s_mov_b64 s[6:7], -1
	s_cbranch_scc0 .LBB14_1008
; %bb.1007:
	s_mov_b64 s[6:7], 0
	s_waitcnt vmcnt(0)
	global_store_byte v[0:1], v3, off
.LBB14_1008:
	s_andn2_b64 vcc, exec, s[6:7]
	s_cbranch_vccnz .LBB14_1010
; %bb.1009:
	s_waitcnt vmcnt(0)
	global_store_byte v[0:1], v3, off
.LBB14_1010:
	s_or_b64 exec, exec, s[0:1]
	s_and_b64 s[6:7], s[18:19], exec
                                        ; implicit-def: $vgpr7
.LBB14_1011:
	s_or_saveexec_b64 s[4:5], s[4:5]
	s_mov_b64 s[0:1], 0
                                        ; implicit-def: $sgpr22
                                        ; implicit-def: $vgpr0_vgpr1
                                        ; implicit-def: $vgpr2
	s_xor_b64 exec, exec, s[4:5]
	s_cbranch_execz .LBB14_1942
; %bb.1012:
	v_mul_lo_u32 v4, s3, v7
	v_mov_b32_e32 v0, s11
	s_and_b32 s20, s45, 0xff
	s_cmp_lt_i32 s20, 11
	v_ashrrev_i32_e32 v1, 31, v4
	s_waitcnt vmcnt(0)
	v_add_co_u32_e32 v2, vcc, s10, v4
	v_addc_co_u32_e32 v3, vcc, v0, v1, vcc
	s_cbranch_scc1 .LBB14_1019
; %bb.1013:
	s_and_b32 s18, 0xffff, s20
	s_cmp_gt_i32 s18, 25
	s_cbranch_scc0 .LBB14_1021
; %bb.1014:
	s_cmp_gt_i32 s18, 28
	s_cbranch_scc0 .LBB14_1022
; %bb.1015:
	;; [unrolled: 3-line block ×4, first 2 shown]
	s_cmp_eq_u32 s18, 46
	s_mov_b64 s[14:15], 0
	s_cbranch_scc0 .LBB14_1027
; %bb.1018:
	global_load_dword v0, v[2:3], off
	s_mov_b32 s0, 0x2f800000
	s_mov_b32 s1, 0xcf800000
	s_mov_b64 s[16:17], -1
	s_waitcnt vmcnt(0)
	v_lshlrev_b32_e32 v0, 16, v0
	v_trunc_f32_e32 v0, v0
	v_mul_f32_e64 v1, |v0|, s0
	v_floor_f32_e32 v1, v1
	v_fma_f32 v1, v1, s1, |v0|
	v_cvt_u32_f32_e32 v1, v1
	v_ashrrev_i32_e32 v0, 31, v0
	s_mov_b64 s[0:1], 0
	v_xor_b32_e32 v1, v1, v0
	v_sub_u32_e32 v0, v1, v0
	s_branch .LBB14_1028
.LBB14_1019:
	s_mov_b64 s[16:17], 0
                                        ; implicit-def: $vgpr0
	s_mov_b64 s[14:15], s[6:7]
	s_cbranch_execnz .LBB14_1086
.LBB14_1020:
	s_andn2_b64 vcc, exec, s[16:17]
	s_cbranch_vccz .LBB14_1131
	s_branch .LBB14_1940
.LBB14_1021:
	s_mov_b64 s[16:17], 0
                                        ; implicit-def: $vgpr0
	s_cbranch_execnz .LBB14_1053
	s_branch .LBB14_1082
.LBB14_1022:
	s_mov_b64 s[16:17], 0
                                        ; implicit-def: $vgpr0
	s_cbranch_execz .LBB14_1052
	s_branch .LBB14_1037
.LBB14_1023:
	s_mov_b64 s[16:17], 0
                                        ; implicit-def: $vgpr0
	s_cbranch_execnz .LBB14_1033
	s_branch .LBB14_1036
.LBB14_1024:
	s_mov_b64 s[14:15], -1
	s_mov_b64 s[16:17], 0
                                        ; implicit-def: $vgpr0
	s_branch .LBB14_1028
.LBB14_1025:
	s_andn2_saveexec_b64 s[22:23], s[22:23]
	s_cbranch_execz .LBB14_920
.LBB14_1026:
	v_add_f32_e32 v2, 0x46000000, v4
	v_and_b32_e32 v2, 0xff, v2
	v_cmp_ne_u32_e32 vcc, 0, v2
	s_andn2_b64 s[20:21], s[20:21], exec
	s_and_b64 s[24:25], vcc, exec
	s_or_b64 s[20:21], s[20:21], s[24:25]
	s_or_b64 exec, exec, s[22:23]
	v_mov_b32_e32 v5, 0
	s_and_saveexec_b64 s[22:23], s[20:21]
	s_cbranch_execnz .LBB14_921
	s_branch .LBB14_922
.LBB14_1027:
	s_mov_b64 s[0:1], -1
                                        ; implicit-def: $vgpr0
	s_mov_b64 s[16:17], 0
.LBB14_1028:
	s_and_b64 vcc, exec, s[14:15]
	s_cbranch_vccz .LBB14_1031
; %bb.1029:
	s_cmp_eq_u32 s18, 44
	s_cbranch_scc0 .LBB14_1032
; %bb.1030:
	global_load_ubyte v0, v[2:3], off
	s_mov_b32 s0, 0x2f800000
	s_mov_b32 s1, 0xcf800000
	s_mov_b64 s[16:17], -1
	s_waitcnt vmcnt(0)
	v_lshlrev_b32_e32 v1, 23, v0
	v_trunc_f32_e32 v1, v1
	v_mul_f32_e64 v5, |v1|, s0
	v_floor_f32_e32 v5, v5
	v_fma_f32 v5, v5, s1, |v1|
	v_cvt_u32_f32_e32 v5, v5
	v_ashrrev_i32_e32 v1, 31, v1
	v_cmp_ne_u32_e32 vcc, 0, v0
	s_mov_b64 s[0:1], 0
	v_xor_b32_e32 v5, v5, v1
	v_sub_u32_e32 v1, v5, v1
	v_cndmask_b32_e32 v0, 0, v1, vcc
.LBB14_1031:
	s_branch .LBB14_1036
.LBB14_1032:
	s_mov_b64 s[0:1], -1
                                        ; implicit-def: $vgpr0
	s_branch .LBB14_1036
.LBB14_1033:
	s_cmp_eq_u32 s18, 29
	s_cbranch_scc0 .LBB14_1035
; %bb.1034:
	global_load_dwordx2 v[0:1], v[2:3], off
	s_mov_b64 s[0:1], 0
	s_mov_b64 s[16:17], -1
	s_branch .LBB14_1036
.LBB14_1035:
	s_mov_b64 s[0:1], -1
                                        ; implicit-def: $vgpr0
.LBB14_1036:
	s_branch .LBB14_1052
.LBB14_1037:
	s_cmp_lt_i32 s18, 27
	s_cbranch_scc1 .LBB14_1040
; %bb.1038:
	s_cmp_gt_i32 s18, 27
	s_cbranch_scc0 .LBB14_1041
; %bb.1039:
	global_load_dword v0, v[2:3], off
	s_mov_b64 s[14:15], 0
	s_branch .LBB14_1042
.LBB14_1040:
	s_mov_b64 s[14:15], -1
                                        ; implicit-def: $vgpr0
	s_branch .LBB14_1045
.LBB14_1041:
	s_mov_b64 s[14:15], -1
                                        ; implicit-def: $vgpr0
.LBB14_1042:
	s_andn2_b64 vcc, exec, s[14:15]
	s_cbranch_vccnz .LBB14_1044
; %bb.1043:
	global_load_ushort v0, v[2:3], off
.LBB14_1044:
	s_mov_b64 s[14:15], 0
.LBB14_1045:
	s_andn2_b64 vcc, exec, s[14:15]
	s_cbranch_vccnz .LBB14_1051
; %bb.1046:
	global_load_ubyte v1, v[2:3], off
	s_movk_i32 s14, 0x7f
	s_mov_b64 s[16:17], 0
	s_waitcnt vmcnt(0)
	v_cmp_lt_i16_e32 vcc, s14, v1
	s_and_saveexec_b64 s[14:15], vcc
	s_xor_b64 s[14:15], exec, s[14:15]
	s_cbranch_execz .LBB14_1062
; %bb.1047:
	s_movk_i32 s16, 0x80
	v_cmp_ne_u16_e32 vcc, s16, v1
	s_and_b64 s[16:17], vcc, exec
	s_andn2_saveexec_b64 s[14:15], s[14:15]
	s_cbranch_execnz .LBB14_1063
.LBB14_1048:
	s_or_b64 exec, exec, s[14:15]
	v_mov_b32_e32 v0, 0
	s_and_saveexec_b64 s[14:15], s[16:17]
	s_cbranch_execz .LBB14_1050
.LBB14_1049:
	v_lshlrev_b32_e32 v0, 24, v1
	v_and_b32_e32 v1, 0xffff, v1
	v_and_b32_e32 v5, 7, v1
	v_ffbh_u32_e32 v8, v5
	v_min_u32_e32 v8, 32, v8
	v_subrev_u32_e32 v9, 28, v8
	v_bfe_u32 v6, v1, 3, 4
	v_lshlrev_b32_e32 v1, v9, v1
	v_sub_u32_e32 v8, 29, v8
	v_and_b32_e32 v1, 7, v1
	v_cmp_eq_u32_e32 vcc, 0, v6
	v_cndmask_b32_e32 v6, v6, v8, vcc
	v_cndmask_b32_e32 v1, v5, v1, vcc
	v_mov_b32_e32 v5, 0x3b800000
	v_lshlrev_b32_e32 v1, 20, v1
	v_and_b32_e32 v0, 0x80000000, v0
	v_lshl_add_u32 v5, v6, 23, v5
	v_or3_b32 v0, v0, v5, v1
	v_trunc_f32_e32 v0, v0
	s_mov_b32 s16, 0x2f800000
	v_mul_f32_e64 v1, |v0|, s16
	v_floor_f32_e32 v1, v1
	s_mov_b32 s16, 0xcf800000
	v_fma_f32 v1, v1, s16, |v0|
	v_cvt_u32_f32_e32 v1, v1
	v_ashrrev_i32_e32 v0, 31, v0
	v_xor_b32_e32 v1, v1, v0
	v_sub_u32_e32 v0, v1, v0
.LBB14_1050:
	s_or_b64 exec, exec, s[14:15]
.LBB14_1051:
	s_mov_b64 s[16:17], -1
.LBB14_1052:
	s_branch .LBB14_1082
.LBB14_1053:
	s_cmp_gt_i32 s18, 22
	s_cbranch_scc0 .LBB14_1061
; %bb.1054:
	s_cmp_lt_i32 s18, 24
	s_cbranch_scc1 .LBB14_1064
; %bb.1055:
	s_cmp_gt_i32 s18, 24
	s_cbranch_scc0 .LBB14_1065
; %bb.1056:
	global_load_ubyte v1, v[2:3], off
	s_movk_i32 s12, 0x7f
	s_mov_b64 s[14:15], 0
	s_waitcnt vmcnt(0)
	v_cmp_lt_i16_e32 vcc, s12, v1
	s_and_saveexec_b64 s[12:13], vcc
	s_xor_b64 s[12:13], exec, s[12:13]
	s_cbranch_execz .LBB14_1076
; %bb.1057:
	s_movk_i32 s14, 0x80
	v_cmp_ne_u16_e32 vcc, s14, v1
	s_and_b64 s[14:15], vcc, exec
	s_andn2_saveexec_b64 s[12:13], s[12:13]
	s_cbranch_execnz .LBB14_1077
.LBB14_1058:
	s_or_b64 exec, exec, s[12:13]
	v_mov_b32_e32 v0, 0
	s_and_saveexec_b64 s[12:13], s[14:15]
	s_cbranch_execz .LBB14_1060
.LBB14_1059:
	v_lshlrev_b32_e32 v0, 24, v1
	v_and_b32_e32 v1, 0xffff, v1
	v_and_b32_e32 v5, 3, v1
	v_ffbh_u32_e32 v8, v5
	v_min_u32_e32 v8, 32, v8
	v_subrev_u32_e32 v9, 29, v8
	v_bfe_u32 v6, v1, 2, 5
	v_lshlrev_b32_e32 v1, v9, v1
	v_sub_u32_e32 v8, 30, v8
	v_and_b32_e32 v1, 3, v1
	v_cmp_eq_u32_e32 vcc, 0, v6
	v_cndmask_b32_e32 v6, v6, v8, vcc
	v_cndmask_b32_e32 v1, v5, v1, vcc
	v_mov_b32_e32 v5, 0x37800000
	v_lshlrev_b32_e32 v1, 21, v1
	v_and_b32_e32 v0, 0x80000000, v0
	v_lshl_add_u32 v5, v6, 23, v5
	v_or3_b32 v0, v0, v5, v1
	v_trunc_f32_e32 v0, v0
	s_mov_b32 s14, 0x2f800000
	v_mul_f32_e64 v1, |v0|, s14
	v_floor_f32_e32 v1, v1
	s_mov_b32 s14, 0xcf800000
	v_fma_f32 v1, v1, s14, |v0|
	v_cvt_u32_f32_e32 v1, v1
	v_ashrrev_i32_e32 v0, 31, v0
	v_xor_b32_e32 v1, v1, v0
	v_sub_u32_e32 v0, v1, v0
.LBB14_1060:
	s_or_b64 exec, exec, s[12:13]
	s_mov_b64 s[12:13], 0
	s_branch .LBB14_1066
.LBB14_1061:
                                        ; implicit-def: $vgpr0
	s_mov_b64 s[12:13], 0
	s_branch .LBB14_1072
.LBB14_1062:
	s_andn2_saveexec_b64 s[14:15], s[14:15]
	s_cbranch_execz .LBB14_1048
.LBB14_1063:
	v_cmp_ne_u16_e32 vcc, 0, v1
	s_andn2_b64 s[16:17], s[16:17], exec
	s_and_b64 s[22:23], vcc, exec
	s_or_b64 s[16:17], s[16:17], s[22:23]
	s_or_b64 exec, exec, s[14:15]
	v_mov_b32_e32 v0, 0
	s_and_saveexec_b64 s[14:15], s[16:17]
	s_cbranch_execnz .LBB14_1049
	s_branch .LBB14_1050
.LBB14_1064:
	s_mov_b64 s[12:13], -1
                                        ; implicit-def: $vgpr0
	s_branch .LBB14_1069
.LBB14_1065:
	s_mov_b64 s[12:13], -1
                                        ; implicit-def: $vgpr0
.LBB14_1066:
	s_and_b64 vcc, exec, s[12:13]
	s_cbranch_vccz .LBB14_1068
; %bb.1067:
	global_load_ubyte v0, v[2:3], off
	s_mov_b32 s12, 0x7f800000
	s_brev_b32 s13, 1
	s_mov_b32 s14, 0x2f800000
	s_waitcnt vmcnt(0)
	v_lshlrev_b32_e32 v0, 24, v0
	v_and_b32_e32 v1, 0x7f000000, v0
	v_ffbh_u32_e32 v5, v1
	v_min_u32_e32 v5, 32, v5
	v_sub_u32_e64 v5, v5, 4 clamp
	v_lshlrev_b32_e32 v8, v5, v1
	v_lshlrev_b32_e32 v5, 23, v5
	v_lshrrev_b32_e32 v8, 4, v8
	v_add_u32_e32 v6, 0x1000000, v1
	v_sub_u32_e32 v5, v8, v5
	v_ashrrev_i32_e32 v6, 8, v6
	v_add_u32_e32 v5, 0x3c000000, v5
	v_and_or_b32 v5, v6, s12, v5
	v_cmp_ne_u32_e32 vcc, 0, v1
	v_cndmask_b32_e32 v1, 0, v5, vcc
	v_and_or_b32 v0, v0, s13, v1
	v_trunc_f32_e32 v0, v0
	v_mul_f32_e64 v1, |v0|, s14
	v_floor_f32_e32 v1, v1
	s_mov_b32 s12, 0xcf800000
	v_fma_f32 v1, v1, s12, |v0|
	v_cvt_u32_f32_e32 v1, v1
	v_ashrrev_i32_e32 v0, 31, v0
	v_xor_b32_e32 v1, v1, v0
	v_sub_u32_e32 v0, v1, v0
.LBB14_1068:
	s_mov_b64 s[12:13], 0
.LBB14_1069:
	s_andn2_b64 vcc, exec, s[12:13]
	s_cbranch_vccnz .LBB14_1071
; %bb.1070:
	global_load_ubyte v0, v[2:3], off
	s_movk_i32 s12, 0x7f00
	s_brev_b32 s13, 16
	s_brev_b32 s14, 1
	s_mov_b32 s15, 0x2f800000
	s_waitcnt vmcnt(0)
	v_lshlrev_b16_e32 v1, 8, v0
	v_lshlrev_b32_e32 v0, 25, v0
	v_lshrrev_b32_e32 v5, 4, v0
	v_and_or_b32 v6, v1, s12, 0.5
	v_or_b32_e32 v5, 0x70000000, v5
	v_add_f32_e32 v6, -0.5, v6
	v_mul_f32_e32 v5, 0x7800000, v5
	v_cmp_gt_u32_e32 vcc, s13, v0
	v_bfe_i32 v1, v1, 0, 16
	v_cndmask_b32_e32 v0, v5, v6, vcc
	v_and_or_b32 v0, v1, s14, v0
	v_trunc_f32_e32 v0, v0
	v_mul_f32_e64 v1, |v0|, s15
	v_floor_f32_e32 v1, v1
	s_mov_b32 s12, 0xcf800000
	v_fma_f32 v1, v1, s12, |v0|
	v_cvt_u32_f32_e32 v1, v1
	v_ashrrev_i32_e32 v0, 31, v0
	v_xor_b32_e32 v1, v1, v0
	v_sub_u32_e32 v0, v1, v0
.LBB14_1071:
	s_mov_b64 s[16:17], -1
	s_mov_b64 s[12:13], 0
	s_cbranch_execnz .LBB14_1082
.LBB14_1072:
	s_cmp_gt_i32 s18, 14
	s_cbranch_scc0 .LBB14_1075
; %bb.1073:
	s_cmp_eq_u32 s18, 15
	s_cbranch_scc0 .LBB14_1078
; %bb.1074:
	global_load_ushort v0, v[2:3], off
	s_mov_b32 s0, 0x2f800000
	s_mov_b32 s1, 0xcf800000
	s_mov_b64 s[16:17], -1
	s_waitcnt vmcnt(0)
	v_lshlrev_b32_e32 v0, 16, v0
	v_trunc_f32_e32 v0, v0
	v_mul_f32_e64 v1, |v0|, s0
	v_floor_f32_e32 v1, v1
	v_fma_f32 v1, v1, s1, |v0|
	v_cvt_u32_f32_e32 v1, v1
	v_ashrrev_i32_e32 v0, 31, v0
	s_mov_b64 s[0:1], 0
	v_xor_b32_e32 v1, v1, v0
	v_sub_u32_e32 v0, v1, v0
	s_branch .LBB14_1079
.LBB14_1075:
	s_mov_b64 s[14:15], -1
                                        ; implicit-def: $vgpr0
	s_branch .LBB14_1080
.LBB14_1076:
	s_andn2_saveexec_b64 s[12:13], s[12:13]
	s_cbranch_execz .LBB14_1058
.LBB14_1077:
	v_cmp_ne_u16_e32 vcc, 0, v1
	s_andn2_b64 s[14:15], s[14:15], exec
	s_and_b64 s[16:17], vcc, exec
	s_or_b64 s[14:15], s[14:15], s[16:17]
	s_or_b64 exec, exec, s[12:13]
	v_mov_b32_e32 v0, 0
	s_and_saveexec_b64 s[12:13], s[14:15]
	s_cbranch_execnz .LBB14_1059
	s_branch .LBB14_1060
.LBB14_1078:
	s_mov_b64 s[0:1], -1
                                        ; implicit-def: $vgpr0
.LBB14_1079:
	s_mov_b64 s[14:15], 0
.LBB14_1080:
	s_and_b64 vcc, exec, s[14:15]
	s_cbranch_vccz .LBB14_1082
; %bb.1081:
	s_cmp_lg_u32 s18, 11
	s_mov_b64 s[12:13], -1
	s_cselect_b64 s[0:1], -1, 0
.LBB14_1082:
	s_and_b64 vcc, exec, s[0:1]
	s_mov_b64 s[14:15], s[6:7]
	s_cbranch_vccnz .LBB14_1143
; %bb.1083:
	s_andn2_b64 vcc, exec, s[12:13]
	s_cbranch_vccnz .LBB14_1085
.LBB14_1084:
	global_load_ubyte v0, v[2:3], off
	s_mov_b64 s[16:17], -1
	s_waitcnt vmcnt(0)
	v_cmp_ne_u16_e32 vcc, 0, v0
	v_cndmask_b32_e64 v0, 0, 1, vcc
.LBB14_1085:
	s_branch .LBB14_1020
.LBB14_1086:
	s_and_b32 s12, 0xffff, s20
	s_cmp_lt_i32 s12, 5
	s_cbranch_scc1 .LBB14_1091
; %bb.1087:
	s_cmp_lt_i32 s12, 8
	s_cbranch_scc1 .LBB14_1092
; %bb.1088:
	;; [unrolled: 3-line block ×3, first 2 shown]
	s_cmp_gt_i32 s12, 9
	s_cbranch_scc0 .LBB14_1094
; %bb.1090:
	global_load_dwordx2 v[0:1], v[2:3], off
	s_movk_i32 s0, 0xffe0
	s_waitcnt vmcnt(0)
	v_trunc_f64_e32 v[0:1], v[0:1]
	v_ldexp_f64 v[5:6], v[0:1], s0
	s_mov_b32 s0, 0
	s_mov_b32 s1, 0xc1f00000
	v_floor_f64_e32 v[5:6], v[5:6]
	v_fma_f64 v[0:1], v[5:6], s[0:1], v[0:1]
	s_mov_b64 s[0:1], 0
	v_cvt_u32_f64_e32 v0, v[0:1]
	s_branch .LBB14_1095
.LBB14_1091:
                                        ; implicit-def: $vgpr0
	s_branch .LBB14_1112
.LBB14_1092:
                                        ; implicit-def: $vgpr0
	s_branch .LBB14_1101
.LBB14_1093:
	s_mov_b64 s[0:1], -1
                                        ; implicit-def: $vgpr0
	s_branch .LBB14_1098
.LBB14_1094:
	s_mov_b64 s[0:1], -1
                                        ; implicit-def: $vgpr0
.LBB14_1095:
	s_andn2_b64 vcc, exec, s[0:1]
	s_cbranch_vccnz .LBB14_1097
; %bb.1096:
	global_load_dword v0, v[2:3], off
	s_mov_b32 s0, 0x2f800000
	s_waitcnt vmcnt(0)
	v_trunc_f32_e32 v0, v0
	v_mul_f32_e64 v1, |v0|, s0
	v_floor_f32_e32 v1, v1
	s_mov_b32 s0, 0xcf800000
	v_fma_f32 v1, v1, s0, |v0|
	v_cvt_u32_f32_e32 v1, v1
	v_ashrrev_i32_e32 v0, 31, v0
	v_xor_b32_e32 v1, v1, v0
	v_sub_u32_e32 v0, v1, v0
.LBB14_1097:
	s_mov_b64 s[0:1], 0
.LBB14_1098:
	s_andn2_b64 vcc, exec, s[0:1]
	s_cbranch_vccnz .LBB14_1100
; %bb.1099:
	global_load_dword v0, v[2:3], off
	s_waitcnt vmcnt(0)
	v_cvt_f32_f16_e32 v0, v0
	v_cvt_i32_f32_e32 v0, v0
.LBB14_1100:
	s_cbranch_execnz .LBB14_1111
.LBB14_1101:
	s_cmp_lt_i32 s12, 6
	s_cbranch_scc1 .LBB14_1104
; %bb.1102:
	s_cmp_gt_i32 s12, 6
	s_cbranch_scc0 .LBB14_1105
; %bb.1103:
	global_load_dwordx2 v[0:1], v[2:3], off
	s_movk_i32 s0, 0xffe0
	s_waitcnt vmcnt(0)
	v_trunc_f64_e32 v[0:1], v[0:1]
	v_ldexp_f64 v[5:6], v[0:1], s0
	s_mov_b32 s0, 0
	s_mov_b32 s1, 0xc1f00000
	v_floor_f64_e32 v[5:6], v[5:6]
	v_fma_f64 v[0:1], v[5:6], s[0:1], v[0:1]
	s_mov_b64 s[0:1], 0
	v_cvt_u32_f64_e32 v0, v[0:1]
	s_branch .LBB14_1106
.LBB14_1104:
	s_mov_b64 s[0:1], -1
                                        ; implicit-def: $vgpr0
	s_branch .LBB14_1109
.LBB14_1105:
	s_mov_b64 s[0:1], -1
                                        ; implicit-def: $vgpr0
.LBB14_1106:
	s_andn2_b64 vcc, exec, s[0:1]
	s_cbranch_vccnz .LBB14_1108
; %bb.1107:
	global_load_dword v0, v[2:3], off
	s_mov_b32 s0, 0x2f800000
	s_waitcnt vmcnt(0)
	v_trunc_f32_e32 v0, v0
	v_mul_f32_e64 v1, |v0|, s0
	v_floor_f32_e32 v1, v1
	s_mov_b32 s0, 0xcf800000
	v_fma_f32 v1, v1, s0, |v0|
	v_cvt_u32_f32_e32 v1, v1
	v_ashrrev_i32_e32 v0, 31, v0
	v_xor_b32_e32 v1, v1, v0
	v_sub_u32_e32 v0, v1, v0
.LBB14_1108:
	s_mov_b64 s[0:1], 0
.LBB14_1109:
	s_andn2_b64 vcc, exec, s[0:1]
	s_cbranch_vccnz .LBB14_1111
; %bb.1110:
	global_load_ushort v0, v[2:3], off
	s_waitcnt vmcnt(0)
	v_cvt_f32_f16_e32 v0, v0
	v_cvt_i32_f32_e32 v0, v0
.LBB14_1111:
	s_cbranch_execnz .LBB14_1130
.LBB14_1112:
	s_cmp_lt_i32 s12, 2
	s_cbranch_scc1 .LBB14_1116
; %bb.1113:
	s_cmp_lt_i32 s12, 3
	s_cbranch_scc1 .LBB14_1117
; %bb.1114:
	s_cmp_gt_i32 s12, 3
	s_cbranch_scc0 .LBB14_1118
; %bb.1115:
	global_load_dwordx2 v[0:1], v[2:3], off
	s_mov_b64 s[0:1], 0
	s_branch .LBB14_1119
.LBB14_1116:
                                        ; implicit-def: $vgpr0
	s_branch .LBB14_1125
.LBB14_1117:
	s_mov_b64 s[0:1], -1
                                        ; implicit-def: $vgpr0
	s_branch .LBB14_1122
.LBB14_1118:
	s_mov_b64 s[0:1], -1
                                        ; implicit-def: $vgpr0
.LBB14_1119:
	s_andn2_b64 vcc, exec, s[0:1]
	s_cbranch_vccnz .LBB14_1121
; %bb.1120:
	global_load_dword v0, v[2:3], off
.LBB14_1121:
	s_mov_b64 s[0:1], 0
.LBB14_1122:
	s_andn2_b64 vcc, exec, s[0:1]
	s_cbranch_vccnz .LBB14_1124
; %bb.1123:
	global_load_ushort v0, v[2:3], off
.LBB14_1124:
	s_cbranch_execnz .LBB14_1130
.LBB14_1125:
	s_cmp_gt_i32 s12, 0
	s_cbranch_scc0 .LBB14_1127
; %bb.1126:
	global_load_ubyte v0, v[2:3], off
	s_mov_b64 s[0:1], 0
	s_branch .LBB14_1128
.LBB14_1127:
	s_mov_b64 s[0:1], -1
                                        ; implicit-def: $vgpr0
.LBB14_1128:
	s_andn2_b64 vcc, exec, s[0:1]
	s_cbranch_vccnz .LBB14_1130
; %bb.1129:
	global_load_ubyte v0, v[2:3], off
.LBB14_1130:
.LBB14_1131:
	s_lshl_b32 s3, s3, 7
	v_add_u32_e32 v5, s3, v4
	s_waitcnt vmcnt(0)
	v_ashrrev_i32_e32 v1, 31, v5
	v_mov_b32_e32 v2, s11
	v_add_co_u32_e32 v3, vcc, s10, v5
	s_cmp_lt_i32 s20, 11
	v_addc_co_u32_e32 v4, vcc, v2, v1, vcc
	s_cbranch_scc1 .LBB14_1138
; %bb.1132:
	s_and_b32 s21, 0xffff, s20
	s_cmp_gt_i32 s21, 25
	s_mov_b64 s[12:13], 0
	s_cbranch_scc0 .LBB14_1140
; %bb.1133:
	s_cmp_gt_i32 s21, 28
	s_cbranch_scc0 .LBB14_1141
; %bb.1134:
	s_cmp_gt_i32 s21, 43
	;; [unrolled: 3-line block ×3, first 2 shown]
	s_cbranch_scc0 .LBB14_1144
; %bb.1136:
	s_cmp_eq_u32 s21, 46
	s_mov_b64 s[18:19], 0
	s_cbranch_scc0 .LBB14_1147
; %bb.1137:
	global_load_dword v1, v[3:4], off
	s_mov_b32 s0, 0x2f800000
	s_mov_b32 s1, 0xcf800000
	s_mov_b64 s[16:17], -1
	s_waitcnt vmcnt(0)
	v_lshlrev_b32_e32 v1, 16, v1
	v_trunc_f32_e32 v1, v1
	v_mul_f32_e64 v2, |v1|, s0
	v_floor_f32_e32 v2, v2
	v_fma_f32 v2, v2, s1, |v1|
	v_cvt_u32_f32_e32 v2, v2
	v_ashrrev_i32_e32 v1, 31, v1
	s_mov_b64 s[0:1], 0
	v_xor_b32_e32 v2, v2, v1
	v_sub_u32_e32 v1, v2, v1
	s_branch .LBB14_1148
.LBB14_1138:
	s_mov_b64 s[16:17], 0
                                        ; implicit-def: $vgpr1
	s_cbranch_execnz .LBB14_1209
.LBB14_1139:
	s_andn2_b64 vcc, exec, s[16:17]
	s_cbranch_vccnz .LBB14_1940
	s_branch .LBB14_1256
.LBB14_1140:
	s_mov_b64 s[16:17], 0
	s_mov_b64 s[0:1], 0
                                        ; implicit-def: $vgpr1
	s_cbranch_execnz .LBB14_1175
	s_branch .LBB14_1205
.LBB14_1141:
	s_mov_b64 s[18:19], -1
	s_mov_b64 s[16:17], 0
	s_mov_b64 s[0:1], 0
                                        ; implicit-def: $vgpr1
	s_branch .LBB14_1158
.LBB14_1142:
	s_mov_b64 s[18:19], -1
	s_mov_b64 s[16:17], 0
	s_mov_b64 s[0:1], 0
                                        ; implicit-def: $vgpr1
	s_branch .LBB14_1153
.LBB14_1143:
	s_or_b64 s[14:15], s[6:7], exec
	s_trap 2
	s_cbranch_execz .LBB14_1084
	s_branch .LBB14_1085
.LBB14_1144:
	s_mov_b64 s[18:19], -1
	s_mov_b64 s[16:17], 0
	s_mov_b64 s[0:1], 0
                                        ; implicit-def: $vgpr1
	s_branch .LBB14_1148
.LBB14_1145:
	s_andn2_saveexec_b64 s[24:25], s[24:25]
	s_cbranch_execz .LBB14_932
.LBB14_1146:
	v_add_f32_e32 v2, 0x42800000, v4
	v_and_b32_e32 v2, 0xff, v2
	v_cmp_ne_u32_e32 vcc, 0, v2
	s_andn2_b64 s[22:23], s[22:23], exec
	s_and_b64 s[28:29], vcc, exec
	s_or_b64 s[22:23], s[22:23], s[28:29]
	s_or_b64 exec, exec, s[24:25]
	v_mov_b32_e32 v5, 0
	s_and_saveexec_b64 s[24:25], s[22:23]
	s_cbranch_execnz .LBB14_933
	s_branch .LBB14_934
.LBB14_1147:
	s_mov_b64 s[0:1], -1
                                        ; implicit-def: $vgpr1
	s_mov_b64 s[16:17], 0
.LBB14_1148:
	s_and_b64 vcc, exec, s[18:19]
	s_cbranch_vccz .LBB14_1152
; %bb.1149:
	s_cmp_eq_u32 s21, 44
	s_cbranch_scc0 .LBB14_1151
; %bb.1150:
	global_load_ubyte v1, v[3:4], off
	s_mov_b32 s0, 0x2f800000
	s_mov_b32 s1, 0xcf800000
	s_mov_b64 s[16:17], -1
	s_waitcnt vmcnt(0)
	v_lshlrev_b32_e32 v2, 23, v1
	v_trunc_f32_e32 v2, v2
	v_mul_f32_e64 v6, |v2|, s0
	v_floor_f32_e32 v6, v6
	v_fma_f32 v6, v6, s1, |v2|
	v_cvt_u32_f32_e32 v6, v6
	v_ashrrev_i32_e32 v2, 31, v2
	v_cmp_ne_u32_e32 vcc, 0, v1
	s_mov_b64 s[0:1], 0
	v_xor_b32_e32 v6, v6, v2
	v_sub_u32_e32 v2, v6, v2
	v_cndmask_b32_e32 v1, 0, v2, vcc
	s_branch .LBB14_1152
.LBB14_1151:
	s_mov_b64 s[0:1], -1
                                        ; implicit-def: $vgpr1
.LBB14_1152:
	s_mov_b64 s[18:19], 0
.LBB14_1153:
	s_and_b64 vcc, exec, s[18:19]
	s_cbranch_vccz .LBB14_1157
; %bb.1154:
	s_cmp_eq_u32 s21, 29
	s_cbranch_scc0 .LBB14_1156
; %bb.1155:
	global_load_dwordx2 v[1:2], v[3:4], off
	s_mov_b64 s[0:1], 0
	s_mov_b64 s[16:17], -1
	s_branch .LBB14_1157
.LBB14_1156:
	s_mov_b64 s[0:1], -1
                                        ; implicit-def: $vgpr1
.LBB14_1157:
	s_mov_b64 s[18:19], 0
.LBB14_1158:
	s_and_b64 vcc, exec, s[18:19]
	s_cbranch_vccz .LBB14_1174
; %bb.1159:
	s_cmp_lt_i32 s21, 27
	s_cbranch_scc1 .LBB14_1162
; %bb.1160:
	s_cmp_gt_i32 s21, 27
	s_cbranch_scc0 .LBB14_1163
; %bb.1161:
	global_load_dword v1, v[3:4], off
	s_mov_b64 s[16:17], 0
	s_branch .LBB14_1164
.LBB14_1162:
	s_mov_b64 s[16:17], -1
                                        ; implicit-def: $vgpr1
	s_branch .LBB14_1167
.LBB14_1163:
	s_mov_b64 s[16:17], -1
                                        ; implicit-def: $vgpr1
.LBB14_1164:
	s_andn2_b64 vcc, exec, s[16:17]
	s_cbranch_vccnz .LBB14_1166
; %bb.1165:
	global_load_ushort v1, v[3:4], off
.LBB14_1166:
	s_mov_b64 s[16:17], 0
.LBB14_1167:
	s_andn2_b64 vcc, exec, s[16:17]
	s_cbranch_vccnz .LBB14_1173
; %bb.1168:
	global_load_ubyte v2, v[3:4], off
	s_movk_i32 s16, 0x7f
	s_mov_b64 s[18:19], 0
	s_waitcnt vmcnt(0)
	v_cmp_lt_i16_e32 vcc, s16, v2
	s_and_saveexec_b64 s[16:17], vcc
	s_xor_b64 s[16:17], exec, s[16:17]
	s_cbranch_execz .LBB14_1184
; %bb.1169:
	s_movk_i32 s18, 0x80
	v_cmp_ne_u16_e32 vcc, s18, v2
	s_and_b64 s[18:19], vcc, exec
	s_andn2_saveexec_b64 s[16:17], s[16:17]
	s_cbranch_execnz .LBB14_1185
.LBB14_1170:
	s_or_b64 exec, exec, s[16:17]
	v_mov_b32_e32 v1, 0
	s_and_saveexec_b64 s[16:17], s[18:19]
	s_cbranch_execz .LBB14_1172
.LBB14_1171:
	v_lshlrev_b32_e32 v1, 24, v2
	v_and_b32_e32 v2, 0xffff, v2
	v_and_b32_e32 v6, 7, v2
	v_ffbh_u32_e32 v9, v6
	v_min_u32_e32 v9, 32, v9
	v_subrev_u32_e32 v10, 28, v9
	v_bfe_u32 v8, v2, 3, 4
	v_lshlrev_b32_e32 v2, v10, v2
	v_sub_u32_e32 v9, 29, v9
	v_and_b32_e32 v2, 7, v2
	v_cmp_eq_u32_e32 vcc, 0, v8
	v_cndmask_b32_e32 v8, v8, v9, vcc
	v_cndmask_b32_e32 v2, v6, v2, vcc
	v_mov_b32_e32 v6, 0x3b800000
	v_lshlrev_b32_e32 v2, 20, v2
	v_and_b32_e32 v1, 0x80000000, v1
	v_lshl_add_u32 v6, v8, 23, v6
	v_or3_b32 v1, v1, v6, v2
	v_trunc_f32_e32 v1, v1
	s_mov_b32 s18, 0x2f800000
	v_mul_f32_e64 v2, |v1|, s18
	v_floor_f32_e32 v2, v2
	s_mov_b32 s18, 0xcf800000
	v_fma_f32 v2, v2, s18, |v1|
	v_cvt_u32_f32_e32 v2, v2
	v_ashrrev_i32_e32 v1, 31, v1
	v_xor_b32_e32 v2, v2, v1
	v_sub_u32_e32 v1, v2, v1
.LBB14_1172:
	s_or_b64 exec, exec, s[16:17]
.LBB14_1173:
	s_mov_b64 s[16:17], -1
.LBB14_1174:
	s_branch .LBB14_1205
.LBB14_1175:
	s_cmp_gt_i32 s21, 22
	s_cbranch_scc0 .LBB14_1183
; %bb.1176:
	s_cmp_lt_i32 s21, 24
	s_cbranch_scc1 .LBB14_1186
; %bb.1177:
	s_cmp_gt_i32 s21, 24
	s_cbranch_scc0 .LBB14_1187
; %bb.1178:
	global_load_ubyte v2, v[3:4], off
	s_movk_i32 s12, 0x7f
	s_mov_b64 s[16:17], 0
	s_waitcnt vmcnt(0)
	v_cmp_lt_i16_e32 vcc, s12, v2
	s_and_saveexec_b64 s[12:13], vcc
	s_xor_b64 s[12:13], exec, s[12:13]
	s_cbranch_execz .LBB14_1199
; %bb.1179:
	s_movk_i32 s16, 0x80
	v_cmp_ne_u16_e32 vcc, s16, v2
	s_and_b64 s[16:17], vcc, exec
	s_andn2_saveexec_b64 s[12:13], s[12:13]
	s_cbranch_execnz .LBB14_1200
.LBB14_1180:
	s_or_b64 exec, exec, s[12:13]
	v_mov_b32_e32 v1, 0
	s_and_saveexec_b64 s[12:13], s[16:17]
	s_cbranch_execz .LBB14_1182
.LBB14_1181:
	v_lshlrev_b32_e32 v1, 24, v2
	v_and_b32_e32 v2, 0xffff, v2
	v_and_b32_e32 v6, 3, v2
	v_ffbh_u32_e32 v9, v6
	v_min_u32_e32 v9, 32, v9
	v_subrev_u32_e32 v10, 29, v9
	v_bfe_u32 v8, v2, 2, 5
	v_lshlrev_b32_e32 v2, v10, v2
	v_sub_u32_e32 v9, 30, v9
	v_and_b32_e32 v2, 3, v2
	v_cmp_eq_u32_e32 vcc, 0, v8
	v_cndmask_b32_e32 v8, v8, v9, vcc
	v_cndmask_b32_e32 v2, v6, v2, vcc
	v_mov_b32_e32 v6, 0x37800000
	v_lshlrev_b32_e32 v2, 21, v2
	v_and_b32_e32 v1, 0x80000000, v1
	v_lshl_add_u32 v6, v8, 23, v6
	v_or3_b32 v1, v1, v6, v2
	v_trunc_f32_e32 v1, v1
	s_mov_b32 s16, 0x2f800000
	v_mul_f32_e64 v2, |v1|, s16
	v_floor_f32_e32 v2, v2
	s_mov_b32 s16, 0xcf800000
	v_fma_f32 v2, v2, s16, |v1|
	v_cvt_u32_f32_e32 v2, v2
	v_ashrrev_i32_e32 v1, 31, v1
	v_xor_b32_e32 v2, v2, v1
	v_sub_u32_e32 v1, v2, v1
.LBB14_1182:
	s_or_b64 exec, exec, s[12:13]
	s_mov_b64 s[12:13], 0
	s_branch .LBB14_1188
.LBB14_1183:
	s_mov_b64 s[12:13], -1
                                        ; implicit-def: $vgpr1
	s_branch .LBB14_1194
.LBB14_1184:
	s_andn2_saveexec_b64 s[16:17], s[16:17]
	s_cbranch_execz .LBB14_1170
.LBB14_1185:
	v_cmp_ne_u16_e32 vcc, 0, v2
	s_andn2_b64 s[18:19], s[18:19], exec
	s_and_b64 s[22:23], vcc, exec
	s_or_b64 s[18:19], s[18:19], s[22:23]
	s_or_b64 exec, exec, s[16:17]
	v_mov_b32_e32 v1, 0
	s_and_saveexec_b64 s[16:17], s[18:19]
	s_cbranch_execnz .LBB14_1171
	s_branch .LBB14_1172
.LBB14_1186:
	s_mov_b64 s[12:13], -1
                                        ; implicit-def: $vgpr1
	s_branch .LBB14_1191
.LBB14_1187:
	s_mov_b64 s[12:13], -1
                                        ; implicit-def: $vgpr1
.LBB14_1188:
	s_and_b64 vcc, exec, s[12:13]
	s_cbranch_vccz .LBB14_1190
; %bb.1189:
	global_load_ubyte v1, v[3:4], off
	s_mov_b32 s12, 0x7f800000
	s_brev_b32 s13, 1
	s_mov_b32 s16, 0x2f800000
	s_waitcnt vmcnt(0)
	v_lshlrev_b32_e32 v1, 24, v1
	v_and_b32_e32 v2, 0x7f000000, v1
	v_ffbh_u32_e32 v6, v2
	v_min_u32_e32 v6, 32, v6
	v_sub_u32_e64 v6, v6, 4 clamp
	v_lshlrev_b32_e32 v9, v6, v2
	v_lshlrev_b32_e32 v6, 23, v6
	v_lshrrev_b32_e32 v9, 4, v9
	v_add_u32_e32 v8, 0x1000000, v2
	v_sub_u32_e32 v6, v9, v6
	v_ashrrev_i32_e32 v8, 8, v8
	v_add_u32_e32 v6, 0x3c000000, v6
	v_and_or_b32 v6, v8, s12, v6
	v_cmp_ne_u32_e32 vcc, 0, v2
	v_cndmask_b32_e32 v2, 0, v6, vcc
	v_and_or_b32 v1, v1, s13, v2
	v_trunc_f32_e32 v1, v1
	v_mul_f32_e64 v2, |v1|, s16
	v_floor_f32_e32 v2, v2
	s_mov_b32 s12, 0xcf800000
	v_fma_f32 v2, v2, s12, |v1|
	v_cvt_u32_f32_e32 v2, v2
	v_ashrrev_i32_e32 v1, 31, v1
	v_xor_b32_e32 v2, v2, v1
	v_sub_u32_e32 v1, v2, v1
.LBB14_1190:
	s_mov_b64 s[12:13], 0
.LBB14_1191:
	s_andn2_b64 vcc, exec, s[12:13]
	s_cbranch_vccnz .LBB14_1193
; %bb.1192:
	global_load_ubyte v1, v[3:4], off
	s_movk_i32 s12, 0x7f00
	s_brev_b32 s13, 16
	s_brev_b32 s16, 1
	s_mov_b32 s17, 0x2f800000
	s_waitcnt vmcnt(0)
	v_lshlrev_b16_e32 v2, 8, v1
	v_lshlrev_b32_e32 v1, 25, v1
	v_lshrrev_b32_e32 v6, 4, v1
	v_and_or_b32 v8, v2, s12, 0.5
	v_or_b32_e32 v6, 0x70000000, v6
	v_add_f32_e32 v8, -0.5, v8
	v_mul_f32_e32 v6, 0x7800000, v6
	v_cmp_gt_u32_e32 vcc, s13, v1
	v_bfe_i32 v2, v2, 0, 16
	v_cndmask_b32_e32 v1, v6, v8, vcc
	v_and_or_b32 v1, v2, s16, v1
	v_trunc_f32_e32 v1, v1
	v_mul_f32_e64 v2, |v1|, s17
	v_floor_f32_e32 v2, v2
	s_mov_b32 s12, 0xcf800000
	v_fma_f32 v2, v2, s12, |v1|
	v_cvt_u32_f32_e32 v2, v2
	v_ashrrev_i32_e32 v1, 31, v1
	v_xor_b32_e32 v2, v2, v1
	v_sub_u32_e32 v1, v2, v1
.LBB14_1193:
	s_mov_b64 s[12:13], 0
	s_mov_b64 s[16:17], -1
.LBB14_1194:
	s_andn2_b64 vcc, exec, s[12:13]
	s_mov_b64 s[12:13], 0
	s_cbranch_vccnz .LBB14_1205
; %bb.1195:
	s_cmp_gt_i32 s21, 14
	s_cbranch_scc0 .LBB14_1198
; %bb.1196:
	s_cmp_eq_u32 s21, 15
	s_cbranch_scc0 .LBB14_1201
; %bb.1197:
	global_load_ushort v1, v[3:4], off
	s_mov_b32 s0, 0x2f800000
	s_mov_b32 s1, 0xcf800000
	s_mov_b64 s[16:17], -1
	s_waitcnt vmcnt(0)
	v_lshlrev_b32_e32 v1, 16, v1
	v_trunc_f32_e32 v1, v1
	v_mul_f32_e64 v2, |v1|, s0
	v_floor_f32_e32 v2, v2
	v_fma_f32 v2, v2, s1, |v1|
	v_cvt_u32_f32_e32 v2, v2
	v_ashrrev_i32_e32 v1, 31, v1
	s_mov_b64 s[0:1], 0
	v_xor_b32_e32 v2, v2, v1
	v_sub_u32_e32 v1, v2, v1
	s_branch .LBB14_1202
.LBB14_1198:
	s_mov_b64 s[18:19], -1
                                        ; implicit-def: $vgpr1
	s_branch .LBB14_1203
.LBB14_1199:
	s_andn2_saveexec_b64 s[12:13], s[12:13]
	s_cbranch_execz .LBB14_1180
.LBB14_1200:
	v_cmp_ne_u16_e32 vcc, 0, v2
	s_andn2_b64 s[16:17], s[16:17], exec
	s_and_b64 s[18:19], vcc, exec
	s_or_b64 s[16:17], s[16:17], s[18:19]
	s_or_b64 exec, exec, s[12:13]
	v_mov_b32_e32 v1, 0
	s_and_saveexec_b64 s[12:13], s[16:17]
	s_cbranch_execnz .LBB14_1181
	s_branch .LBB14_1182
.LBB14_1201:
	s_mov_b64 s[0:1], -1
                                        ; implicit-def: $vgpr1
.LBB14_1202:
	s_mov_b64 s[18:19], 0
.LBB14_1203:
	s_and_b64 vcc, exec, s[18:19]
	s_cbranch_vccz .LBB14_1205
; %bb.1204:
	s_cmp_lg_u32 s21, 11
	s_mov_b64 s[12:13], -1
	s_cselect_b64 s[0:1], -1, 0
.LBB14_1205:
	s_and_b64 vcc, exec, s[0:1]
	s_cbranch_vccnz .LBB14_1268
; %bb.1206:
	s_andn2_b64 vcc, exec, s[12:13]
	s_cbranch_vccnz .LBB14_1208
.LBB14_1207:
	global_load_ubyte v1, v[3:4], off
	s_mov_b64 s[16:17], -1
	s_waitcnt vmcnt(0)
	v_cmp_ne_u16_e32 vcc, 0, v1
	v_cndmask_b32_e64 v1, 0, 1, vcc
.LBB14_1208:
	s_branch .LBB14_1139
.LBB14_1209:
	s_and_b32 s12, 0xffff, s20
	s_cmp_lt_i32 s12, 5
	s_cbranch_scc1 .LBB14_1214
; %bb.1210:
	s_cmp_lt_i32 s12, 8
	s_cbranch_scc1 .LBB14_1215
; %bb.1211:
	;; [unrolled: 3-line block ×3, first 2 shown]
	s_cmp_gt_i32 s12, 9
	s_cbranch_scc0 .LBB14_1217
; %bb.1213:
	global_load_dwordx2 v[1:2], v[3:4], off
	s_movk_i32 s0, 0xffe0
	s_waitcnt vmcnt(0)
	v_trunc_f64_e32 v[1:2], v[1:2]
	v_ldexp_f64 v[8:9], v[1:2], s0
	s_mov_b32 s0, 0
	s_mov_b32 s1, 0xc1f00000
	v_floor_f64_e32 v[8:9], v[8:9]
	v_fma_f64 v[1:2], v[8:9], s[0:1], v[1:2]
	s_mov_b64 s[0:1], 0
	v_cvt_u32_f64_e32 v1, v[1:2]
	s_branch .LBB14_1218
.LBB14_1214:
                                        ; implicit-def: $vgpr1
	s_branch .LBB14_1236
.LBB14_1215:
	s_mov_b64 s[0:1], -1
                                        ; implicit-def: $vgpr1
	s_branch .LBB14_1224
.LBB14_1216:
	s_mov_b64 s[0:1], -1
                                        ; implicit-def: $vgpr1
	s_branch .LBB14_1221
.LBB14_1217:
	s_mov_b64 s[0:1], -1
                                        ; implicit-def: $vgpr1
.LBB14_1218:
	s_andn2_b64 vcc, exec, s[0:1]
	s_cbranch_vccnz .LBB14_1220
; %bb.1219:
	global_load_dword v1, v[3:4], off
	s_mov_b32 s0, 0x2f800000
	s_waitcnt vmcnt(0)
	v_trunc_f32_e32 v1, v1
	v_mul_f32_e64 v2, |v1|, s0
	v_floor_f32_e32 v2, v2
	s_mov_b32 s0, 0xcf800000
	v_fma_f32 v2, v2, s0, |v1|
	v_cvt_u32_f32_e32 v2, v2
	v_ashrrev_i32_e32 v1, 31, v1
	v_xor_b32_e32 v2, v2, v1
	v_sub_u32_e32 v1, v2, v1
.LBB14_1220:
	s_mov_b64 s[0:1], 0
.LBB14_1221:
	s_andn2_b64 vcc, exec, s[0:1]
	s_cbranch_vccnz .LBB14_1223
; %bb.1222:
	global_load_dword v1, v[3:4], off
	s_waitcnt vmcnt(0)
	v_cvt_f32_f16_e32 v1, v1
	v_cvt_i32_f32_e32 v1, v1
.LBB14_1223:
	s_mov_b64 s[0:1], 0
.LBB14_1224:
	s_andn2_b64 vcc, exec, s[0:1]
	s_cbranch_vccnz .LBB14_1235
; %bb.1225:
	s_cmp_lt_i32 s12, 6
	s_cbranch_scc1 .LBB14_1228
; %bb.1226:
	s_cmp_gt_i32 s12, 6
	s_cbranch_scc0 .LBB14_1229
; %bb.1227:
	global_load_dwordx2 v[1:2], v[3:4], off
	s_movk_i32 s0, 0xffe0
	s_waitcnt vmcnt(0)
	v_trunc_f64_e32 v[1:2], v[1:2]
	v_ldexp_f64 v[8:9], v[1:2], s0
	s_mov_b32 s0, 0
	s_mov_b32 s1, 0xc1f00000
	v_floor_f64_e32 v[8:9], v[8:9]
	v_fma_f64 v[1:2], v[8:9], s[0:1], v[1:2]
	s_mov_b64 s[0:1], 0
	v_cvt_u32_f64_e32 v1, v[1:2]
	s_branch .LBB14_1230
.LBB14_1228:
	s_mov_b64 s[0:1], -1
                                        ; implicit-def: $vgpr1
	s_branch .LBB14_1233
.LBB14_1229:
	s_mov_b64 s[0:1], -1
                                        ; implicit-def: $vgpr1
.LBB14_1230:
	s_andn2_b64 vcc, exec, s[0:1]
	s_cbranch_vccnz .LBB14_1232
; %bb.1231:
	global_load_dword v1, v[3:4], off
	s_mov_b32 s0, 0x2f800000
	s_waitcnt vmcnt(0)
	v_trunc_f32_e32 v1, v1
	v_mul_f32_e64 v2, |v1|, s0
	v_floor_f32_e32 v2, v2
	s_mov_b32 s0, 0xcf800000
	v_fma_f32 v2, v2, s0, |v1|
	v_cvt_u32_f32_e32 v2, v2
	v_ashrrev_i32_e32 v1, 31, v1
	v_xor_b32_e32 v2, v2, v1
	v_sub_u32_e32 v1, v2, v1
.LBB14_1232:
	s_mov_b64 s[0:1], 0
.LBB14_1233:
	s_andn2_b64 vcc, exec, s[0:1]
	s_cbranch_vccnz .LBB14_1235
; %bb.1234:
	global_load_ushort v1, v[3:4], off
	s_waitcnt vmcnt(0)
	v_cvt_f32_f16_e32 v1, v1
	v_cvt_i32_f32_e32 v1, v1
.LBB14_1235:
	s_cbranch_execnz .LBB14_1255
.LBB14_1236:
	s_cmp_lt_i32 s12, 2
	s_cbranch_scc1 .LBB14_1240
; %bb.1237:
	s_cmp_lt_i32 s12, 3
	s_cbranch_scc1 .LBB14_1241
; %bb.1238:
	s_cmp_gt_i32 s12, 3
	s_cbranch_scc0 .LBB14_1242
; %bb.1239:
	global_load_dwordx2 v[1:2], v[3:4], off
	s_mov_b64 s[0:1], 0
	s_branch .LBB14_1243
.LBB14_1240:
	s_mov_b64 s[0:1], -1
                                        ; implicit-def: $vgpr1
	s_branch .LBB14_1249
.LBB14_1241:
	s_mov_b64 s[0:1], -1
                                        ; implicit-def: $vgpr1
	s_branch .LBB14_1246
.LBB14_1242:
	s_mov_b64 s[0:1], -1
                                        ; implicit-def: $vgpr1
.LBB14_1243:
	s_andn2_b64 vcc, exec, s[0:1]
	s_cbranch_vccnz .LBB14_1245
; %bb.1244:
	global_load_dword v1, v[3:4], off
.LBB14_1245:
	s_mov_b64 s[0:1], 0
.LBB14_1246:
	s_andn2_b64 vcc, exec, s[0:1]
	s_cbranch_vccnz .LBB14_1248
; %bb.1247:
	global_load_ushort v1, v[3:4], off
.LBB14_1248:
	s_mov_b64 s[0:1], 0
.LBB14_1249:
	s_andn2_b64 vcc, exec, s[0:1]
	s_cbranch_vccnz .LBB14_1255
; %bb.1250:
	s_cmp_gt_i32 s12, 0
	s_cbranch_scc0 .LBB14_1252
; %bb.1251:
	global_load_ubyte v1, v[3:4], off
	s_mov_b64 s[0:1], 0
	s_branch .LBB14_1253
.LBB14_1252:
	s_mov_b64 s[0:1], -1
                                        ; implicit-def: $vgpr1
.LBB14_1253:
	s_andn2_b64 vcc, exec, s[0:1]
	s_cbranch_vccnz .LBB14_1255
; %bb.1254:
	global_load_ubyte v1, v[3:4], off
.LBB14_1255:
.LBB14_1256:
	v_add_u32_e32 v6, s3, v5
	s_waitcnt vmcnt(0)
	v_ashrrev_i32_e32 v2, 31, v6
	v_mov_b32_e32 v3, s11
	v_add_co_u32_e32 v4, vcc, s10, v6
	s_cmp_lt_i32 s20, 11
	v_addc_co_u32_e32 v5, vcc, v3, v2, vcc
	s_cbranch_scc1 .LBB14_1263
; %bb.1257:
	s_and_b32 s21, 0xffff, s20
	s_cmp_gt_i32 s21, 25
	s_mov_b64 s[12:13], 0
	s_cbranch_scc0 .LBB14_1265
; %bb.1258:
	s_cmp_gt_i32 s21, 28
	s_cbranch_scc0 .LBB14_1266
; %bb.1259:
	s_cmp_gt_i32 s21, 43
	;; [unrolled: 3-line block ×3, first 2 shown]
	s_cbranch_scc0 .LBB14_1269
; %bb.1261:
	s_cmp_eq_u32 s21, 46
	s_mov_b64 s[18:19], 0
	s_cbranch_scc0 .LBB14_1270
; %bb.1262:
	global_load_dword v2, v[4:5], off
	s_mov_b32 s0, 0x2f800000
	s_mov_b32 s1, 0xcf800000
	s_mov_b64 s[16:17], -1
	s_waitcnt vmcnt(0)
	v_lshlrev_b32_e32 v2, 16, v2
	v_trunc_f32_e32 v2, v2
	v_mul_f32_e64 v3, |v2|, s0
	v_floor_f32_e32 v3, v3
	v_fma_f32 v3, v3, s1, |v2|
	v_cvt_u32_f32_e32 v3, v3
	v_ashrrev_i32_e32 v2, 31, v2
	s_mov_b64 s[0:1], 0
	v_xor_b32_e32 v3, v3, v2
	v_sub_u32_e32 v2, v3, v2
	s_branch .LBB14_1271
.LBB14_1263:
	s_mov_b64 s[16:17], 0
                                        ; implicit-def: $vgpr2
	s_cbranch_execnz .LBB14_1333
.LBB14_1264:
	s_andn2_b64 vcc, exec, s[16:17]
	s_cbranch_vccnz .LBB14_1940
	s_branch .LBB14_1381
.LBB14_1265:
	s_mov_b64 s[18:19], -1
	s_mov_b64 s[16:17], 0
	s_mov_b64 s[0:1], 0
                                        ; implicit-def: $vgpr2
	s_branch .LBB14_1298
.LBB14_1266:
	s_mov_b64 s[18:19], -1
	s_mov_b64 s[16:17], 0
	s_mov_b64 s[0:1], 0
                                        ; implicit-def: $vgpr2
	s_branch .LBB14_1281
.LBB14_1267:
	s_mov_b64 s[18:19], -1
	s_mov_b64 s[16:17], 0
	s_mov_b64 s[0:1], 0
                                        ; implicit-def: $vgpr2
	s_branch .LBB14_1276
.LBB14_1268:
	s_trap 2
	s_or_b64 s[14:15], s[14:15], exec
	s_cbranch_execz .LBB14_1207
	s_branch .LBB14_1208
.LBB14_1269:
	s_mov_b64 s[18:19], -1
	s_mov_b64 s[16:17], 0
	s_mov_b64 s[0:1], 0
                                        ; implicit-def: $vgpr2
	s_branch .LBB14_1271
.LBB14_1270:
	s_mov_b64 s[0:1], -1
                                        ; implicit-def: $vgpr2
	s_mov_b64 s[16:17], 0
.LBB14_1271:
	s_and_b64 vcc, exec, s[18:19]
	s_cbranch_vccz .LBB14_1275
; %bb.1272:
	s_cmp_eq_u32 s21, 44
	s_cbranch_scc0 .LBB14_1274
; %bb.1273:
	global_load_ubyte v2, v[4:5], off
	s_mov_b32 s0, 0x2f800000
	s_mov_b32 s1, 0xcf800000
	s_mov_b64 s[16:17], -1
	s_waitcnt vmcnt(0)
	v_lshlrev_b32_e32 v3, 23, v2
	v_trunc_f32_e32 v3, v3
	v_mul_f32_e64 v8, |v3|, s0
	v_floor_f32_e32 v8, v8
	v_fma_f32 v8, v8, s1, |v3|
	v_cvt_u32_f32_e32 v8, v8
	v_ashrrev_i32_e32 v3, 31, v3
	v_cmp_ne_u32_e32 vcc, 0, v2
	s_mov_b64 s[0:1], 0
	v_xor_b32_e32 v8, v8, v3
	v_sub_u32_e32 v3, v8, v3
	v_cndmask_b32_e32 v2, 0, v3, vcc
	s_branch .LBB14_1275
.LBB14_1274:
	s_mov_b64 s[0:1], -1
                                        ; implicit-def: $vgpr2
.LBB14_1275:
	s_mov_b64 s[18:19], 0
.LBB14_1276:
	s_and_b64 vcc, exec, s[18:19]
	s_cbranch_vccz .LBB14_1280
; %bb.1277:
	s_cmp_eq_u32 s21, 29
	s_cbranch_scc0 .LBB14_1279
; %bb.1278:
	global_load_dwordx2 v[2:3], v[4:5], off
	s_mov_b64 s[0:1], 0
	s_mov_b64 s[16:17], -1
	s_branch .LBB14_1280
.LBB14_1279:
	s_mov_b64 s[0:1], -1
                                        ; implicit-def: $vgpr2
.LBB14_1280:
	s_mov_b64 s[18:19], 0
.LBB14_1281:
	s_and_b64 vcc, exec, s[18:19]
	s_cbranch_vccz .LBB14_1297
; %bb.1282:
	s_cmp_lt_i32 s21, 27
	s_cbranch_scc1 .LBB14_1285
; %bb.1283:
	s_cmp_gt_i32 s21, 27
	s_cbranch_scc0 .LBB14_1286
; %bb.1284:
	global_load_dword v2, v[4:5], off
	s_mov_b64 s[16:17], 0
	s_branch .LBB14_1287
.LBB14_1285:
	s_mov_b64 s[16:17], -1
                                        ; implicit-def: $vgpr2
	s_branch .LBB14_1290
.LBB14_1286:
	s_mov_b64 s[16:17], -1
                                        ; implicit-def: $vgpr2
.LBB14_1287:
	s_andn2_b64 vcc, exec, s[16:17]
	s_cbranch_vccnz .LBB14_1289
; %bb.1288:
	global_load_ushort v2, v[4:5], off
.LBB14_1289:
	s_mov_b64 s[16:17], 0
.LBB14_1290:
	s_andn2_b64 vcc, exec, s[16:17]
	s_cbranch_vccnz .LBB14_1296
; %bb.1291:
	global_load_ubyte v3, v[4:5], off
	s_movk_i32 s16, 0x7f
	s_mov_b64 s[18:19], 0
	s_waitcnt vmcnt(0)
	v_cmp_lt_i16_e32 vcc, s16, v3
	s_and_saveexec_b64 s[16:17], vcc
	s_xor_b64 s[16:17], exec, s[16:17]
	s_cbranch_execz .LBB14_1308
; %bb.1292:
	s_movk_i32 s18, 0x80
	v_cmp_ne_u16_e32 vcc, s18, v3
	s_and_b64 s[18:19], vcc, exec
	s_andn2_saveexec_b64 s[16:17], s[16:17]
	s_cbranch_execnz .LBB14_1309
.LBB14_1293:
	s_or_b64 exec, exec, s[16:17]
	v_mov_b32_e32 v2, 0
	s_and_saveexec_b64 s[16:17], s[18:19]
	s_cbranch_execz .LBB14_1295
.LBB14_1294:
	v_lshlrev_b32_e32 v2, 24, v3
	v_and_b32_e32 v3, 0xffff, v3
	v_and_b32_e32 v8, 7, v3
	v_ffbh_u32_e32 v10, v8
	v_min_u32_e32 v10, 32, v10
	v_subrev_u32_e32 v11, 28, v10
	v_bfe_u32 v9, v3, 3, 4
	v_lshlrev_b32_e32 v3, v11, v3
	v_sub_u32_e32 v10, 29, v10
	v_and_b32_e32 v3, 7, v3
	v_cmp_eq_u32_e32 vcc, 0, v9
	v_cndmask_b32_e32 v9, v9, v10, vcc
	v_cndmask_b32_e32 v3, v8, v3, vcc
	v_mov_b32_e32 v8, 0x3b800000
	v_lshlrev_b32_e32 v3, 20, v3
	v_and_b32_e32 v2, 0x80000000, v2
	v_lshl_add_u32 v8, v9, 23, v8
	v_or3_b32 v2, v2, v8, v3
	v_trunc_f32_e32 v2, v2
	s_mov_b32 s18, 0x2f800000
	v_mul_f32_e64 v3, |v2|, s18
	v_floor_f32_e32 v3, v3
	s_mov_b32 s18, 0xcf800000
	v_fma_f32 v3, v3, s18, |v2|
	v_cvt_u32_f32_e32 v3, v3
	v_ashrrev_i32_e32 v2, 31, v2
	v_xor_b32_e32 v3, v3, v2
	v_sub_u32_e32 v2, v3, v2
.LBB14_1295:
	s_or_b64 exec, exec, s[16:17]
.LBB14_1296:
	s_mov_b64 s[16:17], -1
.LBB14_1297:
	s_mov_b64 s[18:19], 0
.LBB14_1298:
	s_and_b64 vcc, exec, s[18:19]
	s_cbranch_vccz .LBB14_1329
; %bb.1299:
	s_cmp_gt_i32 s21, 22
	s_cbranch_scc0 .LBB14_1307
; %bb.1300:
	s_cmp_lt_i32 s21, 24
	s_cbranch_scc1 .LBB14_1310
; %bb.1301:
	s_cmp_gt_i32 s21, 24
	s_cbranch_scc0 .LBB14_1311
; %bb.1302:
	global_load_ubyte v3, v[4:5], off
	s_movk_i32 s12, 0x7f
	s_mov_b64 s[16:17], 0
	s_waitcnt vmcnt(0)
	v_cmp_lt_i16_e32 vcc, s12, v3
	s_and_saveexec_b64 s[12:13], vcc
	s_xor_b64 s[12:13], exec, s[12:13]
	s_cbranch_execz .LBB14_1323
; %bb.1303:
	s_movk_i32 s16, 0x80
	v_cmp_ne_u16_e32 vcc, s16, v3
	s_and_b64 s[16:17], vcc, exec
	s_andn2_saveexec_b64 s[12:13], s[12:13]
	s_cbranch_execnz .LBB14_1324
.LBB14_1304:
	s_or_b64 exec, exec, s[12:13]
	v_mov_b32_e32 v2, 0
	s_and_saveexec_b64 s[12:13], s[16:17]
	s_cbranch_execz .LBB14_1306
.LBB14_1305:
	v_lshlrev_b32_e32 v2, 24, v3
	v_and_b32_e32 v3, 0xffff, v3
	v_and_b32_e32 v8, 3, v3
	v_ffbh_u32_e32 v10, v8
	v_min_u32_e32 v10, 32, v10
	v_subrev_u32_e32 v11, 29, v10
	v_bfe_u32 v9, v3, 2, 5
	v_lshlrev_b32_e32 v3, v11, v3
	v_sub_u32_e32 v10, 30, v10
	v_and_b32_e32 v3, 3, v3
	v_cmp_eq_u32_e32 vcc, 0, v9
	v_cndmask_b32_e32 v9, v9, v10, vcc
	v_cndmask_b32_e32 v3, v8, v3, vcc
	v_mov_b32_e32 v8, 0x37800000
	v_lshlrev_b32_e32 v3, 21, v3
	v_and_b32_e32 v2, 0x80000000, v2
	v_lshl_add_u32 v8, v9, 23, v8
	v_or3_b32 v2, v2, v8, v3
	v_trunc_f32_e32 v2, v2
	s_mov_b32 s16, 0x2f800000
	v_mul_f32_e64 v3, |v2|, s16
	v_floor_f32_e32 v3, v3
	s_mov_b32 s16, 0xcf800000
	v_fma_f32 v3, v3, s16, |v2|
	v_cvt_u32_f32_e32 v3, v3
	v_ashrrev_i32_e32 v2, 31, v2
	v_xor_b32_e32 v3, v3, v2
	v_sub_u32_e32 v2, v3, v2
.LBB14_1306:
	s_or_b64 exec, exec, s[12:13]
	s_mov_b64 s[12:13], 0
	s_branch .LBB14_1312
.LBB14_1307:
	s_mov_b64 s[12:13], -1
                                        ; implicit-def: $vgpr2
	s_branch .LBB14_1318
.LBB14_1308:
	s_andn2_saveexec_b64 s[16:17], s[16:17]
	s_cbranch_execz .LBB14_1293
.LBB14_1309:
	v_cmp_ne_u16_e32 vcc, 0, v3
	s_andn2_b64 s[18:19], s[18:19], exec
	s_and_b64 s[22:23], vcc, exec
	s_or_b64 s[18:19], s[18:19], s[22:23]
	s_or_b64 exec, exec, s[16:17]
	v_mov_b32_e32 v2, 0
	s_and_saveexec_b64 s[16:17], s[18:19]
	s_cbranch_execnz .LBB14_1294
	s_branch .LBB14_1295
.LBB14_1310:
	s_mov_b64 s[12:13], -1
                                        ; implicit-def: $vgpr2
	s_branch .LBB14_1315
.LBB14_1311:
	s_mov_b64 s[12:13], -1
                                        ; implicit-def: $vgpr2
.LBB14_1312:
	s_and_b64 vcc, exec, s[12:13]
	s_cbranch_vccz .LBB14_1314
; %bb.1313:
	global_load_ubyte v2, v[4:5], off
	s_mov_b32 s12, 0x7f800000
	s_brev_b32 s13, 1
	s_mov_b32 s16, 0x2f800000
	s_waitcnt vmcnt(0)
	v_lshlrev_b32_e32 v2, 24, v2
	v_and_b32_e32 v3, 0x7f000000, v2
	v_ffbh_u32_e32 v8, v3
	v_min_u32_e32 v8, 32, v8
	v_sub_u32_e64 v8, v8, 4 clamp
	v_lshlrev_b32_e32 v10, v8, v3
	v_lshlrev_b32_e32 v8, 23, v8
	v_lshrrev_b32_e32 v10, 4, v10
	v_add_u32_e32 v9, 0x1000000, v3
	v_sub_u32_e32 v8, v10, v8
	v_ashrrev_i32_e32 v9, 8, v9
	v_add_u32_e32 v8, 0x3c000000, v8
	v_and_or_b32 v8, v9, s12, v8
	v_cmp_ne_u32_e32 vcc, 0, v3
	v_cndmask_b32_e32 v3, 0, v8, vcc
	v_and_or_b32 v2, v2, s13, v3
	v_trunc_f32_e32 v2, v2
	v_mul_f32_e64 v3, |v2|, s16
	v_floor_f32_e32 v3, v3
	s_mov_b32 s12, 0xcf800000
	v_fma_f32 v3, v3, s12, |v2|
	v_cvt_u32_f32_e32 v3, v3
	v_ashrrev_i32_e32 v2, 31, v2
	v_xor_b32_e32 v3, v3, v2
	v_sub_u32_e32 v2, v3, v2
.LBB14_1314:
	s_mov_b64 s[12:13], 0
.LBB14_1315:
	s_andn2_b64 vcc, exec, s[12:13]
	s_cbranch_vccnz .LBB14_1317
; %bb.1316:
	global_load_ubyte v2, v[4:5], off
	s_movk_i32 s12, 0x7f00
	s_brev_b32 s13, 16
	s_brev_b32 s16, 1
	s_mov_b32 s17, 0x2f800000
	s_waitcnt vmcnt(0)
	v_lshlrev_b16_e32 v3, 8, v2
	v_lshlrev_b32_e32 v2, 25, v2
	v_lshrrev_b32_e32 v8, 4, v2
	v_and_or_b32 v9, v3, s12, 0.5
	v_or_b32_e32 v8, 0x70000000, v8
	v_add_f32_e32 v9, -0.5, v9
	v_mul_f32_e32 v8, 0x7800000, v8
	v_cmp_gt_u32_e32 vcc, s13, v2
	v_bfe_i32 v3, v3, 0, 16
	v_cndmask_b32_e32 v2, v8, v9, vcc
	v_and_or_b32 v2, v3, s16, v2
	v_trunc_f32_e32 v2, v2
	v_mul_f32_e64 v3, |v2|, s17
	v_floor_f32_e32 v3, v3
	s_mov_b32 s12, 0xcf800000
	v_fma_f32 v3, v3, s12, |v2|
	v_cvt_u32_f32_e32 v3, v3
	v_ashrrev_i32_e32 v2, 31, v2
	v_xor_b32_e32 v3, v3, v2
	v_sub_u32_e32 v2, v3, v2
.LBB14_1317:
	s_mov_b64 s[12:13], 0
	s_mov_b64 s[16:17], -1
.LBB14_1318:
	s_andn2_b64 vcc, exec, s[12:13]
	s_mov_b64 s[12:13], 0
	s_cbranch_vccnz .LBB14_1329
; %bb.1319:
	s_cmp_gt_i32 s21, 14
	s_cbranch_scc0 .LBB14_1322
; %bb.1320:
	s_cmp_eq_u32 s21, 15
	s_cbranch_scc0 .LBB14_1325
; %bb.1321:
	global_load_ushort v2, v[4:5], off
	s_mov_b32 s0, 0x2f800000
	s_mov_b32 s1, 0xcf800000
	s_mov_b64 s[16:17], -1
	s_waitcnt vmcnt(0)
	v_lshlrev_b32_e32 v2, 16, v2
	v_trunc_f32_e32 v2, v2
	v_mul_f32_e64 v3, |v2|, s0
	v_floor_f32_e32 v3, v3
	v_fma_f32 v3, v3, s1, |v2|
	v_cvt_u32_f32_e32 v3, v3
	v_ashrrev_i32_e32 v2, 31, v2
	s_mov_b64 s[0:1], 0
	v_xor_b32_e32 v3, v3, v2
	v_sub_u32_e32 v2, v3, v2
	s_branch .LBB14_1326
.LBB14_1322:
	s_mov_b64 s[18:19], -1
                                        ; implicit-def: $vgpr2
	s_branch .LBB14_1327
.LBB14_1323:
	s_andn2_saveexec_b64 s[12:13], s[12:13]
	s_cbranch_execz .LBB14_1304
.LBB14_1324:
	v_cmp_ne_u16_e32 vcc, 0, v3
	s_andn2_b64 s[16:17], s[16:17], exec
	s_and_b64 s[18:19], vcc, exec
	s_or_b64 s[16:17], s[16:17], s[18:19]
	s_or_b64 exec, exec, s[12:13]
	v_mov_b32_e32 v2, 0
	s_and_saveexec_b64 s[12:13], s[16:17]
	s_cbranch_execnz .LBB14_1305
	s_branch .LBB14_1306
.LBB14_1325:
	s_mov_b64 s[0:1], -1
                                        ; implicit-def: $vgpr2
.LBB14_1326:
	s_mov_b64 s[18:19], 0
.LBB14_1327:
	s_and_b64 vcc, exec, s[18:19]
	s_cbranch_vccz .LBB14_1329
; %bb.1328:
	s_cmp_lg_u32 s21, 11
	s_mov_b64 s[12:13], -1
	s_cselect_b64 s[0:1], -1, 0
.LBB14_1329:
	s_and_b64 vcc, exec, s[0:1]
	s_cbranch_vccnz .LBB14_1392
; %bb.1330:
	s_andn2_b64 vcc, exec, s[12:13]
	s_cbranch_vccnz .LBB14_1332
.LBB14_1331:
	global_load_ubyte v2, v[4:5], off
	s_mov_b64 s[16:17], -1
	s_waitcnt vmcnt(0)
	v_cmp_ne_u16_e32 vcc, 0, v2
	v_cndmask_b32_e64 v2, 0, 1, vcc
.LBB14_1332:
	s_branch .LBB14_1264
.LBB14_1333:
	s_and_b32 s12, 0xffff, s20
	s_cmp_lt_i32 s12, 5
	s_cbranch_scc1 .LBB14_1338
; %bb.1334:
	s_cmp_lt_i32 s12, 8
	s_cbranch_scc1 .LBB14_1339
; %bb.1335:
	;; [unrolled: 3-line block ×3, first 2 shown]
	s_cmp_gt_i32 s12, 9
	s_cbranch_scc0 .LBB14_1341
; %bb.1337:
	global_load_dwordx2 v[2:3], v[4:5], off
	s_movk_i32 s0, 0xffe0
	s_waitcnt vmcnt(0)
	v_trunc_f64_e32 v[2:3], v[2:3]
	v_ldexp_f64 v[8:9], v[2:3], s0
	s_mov_b32 s0, 0
	s_mov_b32 s1, 0xc1f00000
	v_floor_f64_e32 v[8:9], v[8:9]
	v_fma_f64 v[2:3], v[8:9], s[0:1], v[2:3]
	s_mov_b64 s[0:1], 0
	v_cvt_u32_f64_e32 v2, v[2:3]
	s_branch .LBB14_1342
.LBB14_1338:
	s_mov_b64 s[0:1], -1
                                        ; implicit-def: $vgpr2
	s_branch .LBB14_1360
.LBB14_1339:
	s_mov_b64 s[0:1], -1
                                        ; implicit-def: $vgpr2
	s_branch .LBB14_1348
.LBB14_1340:
	s_mov_b64 s[0:1], -1
                                        ; implicit-def: $vgpr2
	s_branch .LBB14_1345
.LBB14_1341:
	s_mov_b64 s[0:1], -1
                                        ; implicit-def: $vgpr2
.LBB14_1342:
	s_andn2_b64 vcc, exec, s[0:1]
	s_cbranch_vccnz .LBB14_1344
; %bb.1343:
	global_load_dword v2, v[4:5], off
	s_mov_b32 s0, 0x2f800000
	s_waitcnt vmcnt(0)
	v_trunc_f32_e32 v2, v2
	v_mul_f32_e64 v3, |v2|, s0
	v_floor_f32_e32 v3, v3
	s_mov_b32 s0, 0xcf800000
	v_fma_f32 v3, v3, s0, |v2|
	v_cvt_u32_f32_e32 v3, v3
	v_ashrrev_i32_e32 v2, 31, v2
	v_xor_b32_e32 v3, v3, v2
	v_sub_u32_e32 v2, v3, v2
.LBB14_1344:
	s_mov_b64 s[0:1], 0
.LBB14_1345:
	s_andn2_b64 vcc, exec, s[0:1]
	s_cbranch_vccnz .LBB14_1347
; %bb.1346:
	global_load_dword v2, v[4:5], off
	s_waitcnt vmcnt(0)
	v_cvt_f32_f16_e32 v2, v2
	v_cvt_i32_f32_e32 v2, v2
.LBB14_1347:
	s_mov_b64 s[0:1], 0
.LBB14_1348:
	s_andn2_b64 vcc, exec, s[0:1]
	s_cbranch_vccnz .LBB14_1359
; %bb.1349:
	s_cmp_lt_i32 s12, 6
	s_cbranch_scc1 .LBB14_1352
; %bb.1350:
	s_cmp_gt_i32 s12, 6
	s_cbranch_scc0 .LBB14_1353
; %bb.1351:
	global_load_dwordx2 v[2:3], v[4:5], off
	s_movk_i32 s0, 0xffe0
	s_waitcnt vmcnt(0)
	v_trunc_f64_e32 v[2:3], v[2:3]
	v_ldexp_f64 v[8:9], v[2:3], s0
	s_mov_b32 s0, 0
	s_mov_b32 s1, 0xc1f00000
	v_floor_f64_e32 v[8:9], v[8:9]
	v_fma_f64 v[2:3], v[8:9], s[0:1], v[2:3]
	s_mov_b64 s[0:1], 0
	v_cvt_u32_f64_e32 v2, v[2:3]
	s_branch .LBB14_1354
.LBB14_1352:
	s_mov_b64 s[0:1], -1
                                        ; implicit-def: $vgpr2
	s_branch .LBB14_1357
.LBB14_1353:
	s_mov_b64 s[0:1], -1
                                        ; implicit-def: $vgpr2
.LBB14_1354:
	s_andn2_b64 vcc, exec, s[0:1]
	s_cbranch_vccnz .LBB14_1356
; %bb.1355:
	global_load_dword v2, v[4:5], off
	s_mov_b32 s0, 0x2f800000
	s_waitcnt vmcnt(0)
	v_trunc_f32_e32 v2, v2
	v_mul_f32_e64 v3, |v2|, s0
	v_floor_f32_e32 v3, v3
	s_mov_b32 s0, 0xcf800000
	v_fma_f32 v3, v3, s0, |v2|
	v_cvt_u32_f32_e32 v3, v3
	v_ashrrev_i32_e32 v2, 31, v2
	v_xor_b32_e32 v3, v3, v2
	v_sub_u32_e32 v2, v3, v2
.LBB14_1356:
	s_mov_b64 s[0:1], 0
.LBB14_1357:
	s_andn2_b64 vcc, exec, s[0:1]
	s_cbranch_vccnz .LBB14_1359
; %bb.1358:
	global_load_ushort v2, v[4:5], off
	s_waitcnt vmcnt(0)
	v_cvt_f32_f16_e32 v2, v2
	v_cvt_i32_f32_e32 v2, v2
.LBB14_1359:
	s_mov_b64 s[0:1], 0
.LBB14_1360:
	s_andn2_b64 vcc, exec, s[0:1]
	s_cbranch_vccnz .LBB14_1380
; %bb.1361:
	s_cmp_lt_i32 s12, 2
	s_cbranch_scc1 .LBB14_1365
; %bb.1362:
	s_cmp_lt_i32 s12, 3
	s_cbranch_scc1 .LBB14_1366
; %bb.1363:
	s_cmp_gt_i32 s12, 3
	s_cbranch_scc0 .LBB14_1367
; %bb.1364:
	global_load_dwordx2 v[2:3], v[4:5], off
	s_mov_b64 s[0:1], 0
	s_branch .LBB14_1368
.LBB14_1365:
	s_mov_b64 s[0:1], -1
                                        ; implicit-def: $vgpr2
	s_branch .LBB14_1374
.LBB14_1366:
	s_mov_b64 s[0:1], -1
                                        ; implicit-def: $vgpr2
	s_branch .LBB14_1371
.LBB14_1367:
	s_mov_b64 s[0:1], -1
                                        ; implicit-def: $vgpr2
.LBB14_1368:
	s_andn2_b64 vcc, exec, s[0:1]
	s_cbranch_vccnz .LBB14_1370
; %bb.1369:
	global_load_dword v2, v[4:5], off
.LBB14_1370:
	s_mov_b64 s[0:1], 0
.LBB14_1371:
	s_andn2_b64 vcc, exec, s[0:1]
	s_cbranch_vccnz .LBB14_1373
; %bb.1372:
	global_load_ushort v2, v[4:5], off
.LBB14_1373:
	s_mov_b64 s[0:1], 0
.LBB14_1374:
	s_andn2_b64 vcc, exec, s[0:1]
	s_cbranch_vccnz .LBB14_1380
; %bb.1375:
	s_cmp_gt_i32 s12, 0
	s_cbranch_scc0 .LBB14_1377
; %bb.1376:
	global_load_ubyte v2, v[4:5], off
	s_mov_b64 s[0:1], 0
	s_branch .LBB14_1378
.LBB14_1377:
	s_mov_b64 s[0:1], -1
                                        ; implicit-def: $vgpr2
.LBB14_1378:
	s_andn2_b64 vcc, exec, s[0:1]
	s_cbranch_vccnz .LBB14_1380
; %bb.1379:
	global_load_ubyte v2, v[4:5], off
.LBB14_1380:
.LBB14_1381:
	s_waitcnt vmcnt(0)
	v_add_u32_e32 v3, s3, v6
	v_ashrrev_i32_e32 v4, 31, v3
	v_mov_b32_e32 v6, s11
	v_add_co_u32_e32 v5, vcc, s10, v3
	s_cmp_lt_i32 s20, 11
	v_addc_co_u32_e32 v6, vcc, v6, v4, vcc
	s_cbranch_scc1 .LBB14_1388
; %bb.1382:
	s_and_b32 s3, 0xffff, s20
	s_cmp_gt_i32 s3, 25
	s_mov_b64 s[10:11], 0
	s_cbranch_scc0 .LBB14_1389
; %bb.1383:
	s_cmp_gt_i32 s3, 28
	s_cbranch_scc0 .LBB14_1390
; %bb.1384:
	s_cmp_gt_i32 s3, 43
	;; [unrolled: 3-line block ×3, first 2 shown]
	s_cbranch_scc0 .LBB14_1393
; %bb.1386:
	s_cmp_eq_u32 s3, 46
	s_mov_b64 s[16:17], 0
	s_cbranch_scc0 .LBB14_1394
; %bb.1387:
	global_load_dword v3, v[5:6], off
	s_mov_b32 s0, 0x2f800000
	s_mov_b32 s1, 0xcf800000
	s_mov_b64 s[12:13], -1
	s_waitcnt vmcnt(0)
	v_lshlrev_b32_e32 v3, 16, v3
	v_trunc_f32_e32 v3, v3
	v_mul_f32_e64 v4, |v3|, s0
	v_floor_f32_e32 v4, v4
	v_fma_f32 v4, v4, s1, |v3|
	v_cvt_u32_f32_e32 v4, v4
	v_ashrrev_i32_e32 v3, 31, v3
	s_mov_b64 s[0:1], 0
	v_xor_b32_e32 v4, v4, v3
	v_sub_u32_e32 v3, v4, v3
	s_branch .LBB14_1395
.LBB14_1388:
	s_mov_b64 s[0:1], -1
	s_mov_b64 s[12:13], 0
                                        ; implicit-def: $vgpr3
	s_branch .LBB14_1457
.LBB14_1389:
	s_mov_b64 s[16:17], -1
	s_mov_b64 s[12:13], 0
	s_mov_b64 s[0:1], 0
                                        ; implicit-def: $vgpr3
	s_branch .LBB14_1422
.LBB14_1390:
	s_mov_b64 s[16:17], -1
	s_mov_b64 s[12:13], 0
	s_mov_b64 s[0:1], 0
                                        ; implicit-def: $vgpr3
	s_branch .LBB14_1405
.LBB14_1391:
	s_mov_b64 s[16:17], -1
	s_mov_b64 s[12:13], 0
	s_mov_b64 s[0:1], 0
                                        ; implicit-def: $vgpr3
	s_branch .LBB14_1400
.LBB14_1392:
	s_trap 2
	s_or_b64 s[14:15], s[14:15], exec
	s_cbranch_execz .LBB14_1331
	s_branch .LBB14_1332
.LBB14_1393:
	s_mov_b64 s[16:17], -1
	s_mov_b64 s[12:13], 0
	s_mov_b64 s[0:1], 0
                                        ; implicit-def: $vgpr3
	s_branch .LBB14_1395
.LBB14_1394:
	s_mov_b64 s[0:1], -1
                                        ; implicit-def: $vgpr3
	s_mov_b64 s[12:13], 0
.LBB14_1395:
	s_and_b64 vcc, exec, s[16:17]
	s_cbranch_vccz .LBB14_1399
; %bb.1396:
	s_cmp_eq_u32 s3, 44
	s_cbranch_scc0 .LBB14_1398
; %bb.1397:
	global_load_ubyte v3, v[5:6], off
	s_mov_b32 s0, 0x2f800000
	s_mov_b32 s1, 0xcf800000
	s_mov_b64 s[12:13], -1
	s_waitcnt vmcnt(0)
	v_lshlrev_b32_e32 v4, 23, v3
	v_trunc_f32_e32 v4, v4
	v_mul_f32_e64 v8, |v4|, s0
	v_floor_f32_e32 v8, v8
	v_fma_f32 v8, v8, s1, |v4|
	v_cvt_u32_f32_e32 v8, v8
	v_ashrrev_i32_e32 v4, 31, v4
	v_cmp_ne_u32_e32 vcc, 0, v3
	s_mov_b64 s[0:1], 0
	v_xor_b32_e32 v8, v8, v4
	v_sub_u32_e32 v4, v8, v4
	v_cndmask_b32_e32 v3, 0, v4, vcc
	s_branch .LBB14_1399
.LBB14_1398:
	s_mov_b64 s[0:1], -1
                                        ; implicit-def: $vgpr3
.LBB14_1399:
	s_mov_b64 s[16:17], 0
.LBB14_1400:
	s_and_b64 vcc, exec, s[16:17]
	s_cbranch_vccz .LBB14_1404
; %bb.1401:
	s_cmp_eq_u32 s3, 29
	s_cbranch_scc0 .LBB14_1403
; %bb.1402:
	global_load_dwordx2 v[3:4], v[5:6], off
	s_mov_b64 s[0:1], 0
	s_mov_b64 s[12:13], -1
	s_branch .LBB14_1404
.LBB14_1403:
	s_mov_b64 s[0:1], -1
                                        ; implicit-def: $vgpr3
.LBB14_1404:
	s_mov_b64 s[16:17], 0
.LBB14_1405:
	s_and_b64 vcc, exec, s[16:17]
	s_cbranch_vccz .LBB14_1421
; %bb.1406:
	s_cmp_lt_i32 s3, 27
	s_cbranch_scc1 .LBB14_1409
; %bb.1407:
	s_cmp_gt_i32 s3, 27
	s_cbranch_scc0 .LBB14_1410
; %bb.1408:
	global_load_dword v3, v[5:6], off
	s_mov_b64 s[12:13], 0
	s_branch .LBB14_1411
.LBB14_1409:
	s_mov_b64 s[12:13], -1
                                        ; implicit-def: $vgpr3
	s_branch .LBB14_1414
.LBB14_1410:
	s_mov_b64 s[12:13], -1
                                        ; implicit-def: $vgpr3
.LBB14_1411:
	s_andn2_b64 vcc, exec, s[12:13]
	s_cbranch_vccnz .LBB14_1413
; %bb.1412:
	global_load_ushort v3, v[5:6], off
.LBB14_1413:
	s_mov_b64 s[12:13], 0
.LBB14_1414:
	s_andn2_b64 vcc, exec, s[12:13]
	s_cbranch_vccnz .LBB14_1420
; %bb.1415:
	global_load_ubyte v4, v[5:6], off
	s_movk_i32 s12, 0x7f
	s_mov_b64 s[16:17], 0
	s_waitcnt vmcnt(0)
	v_cmp_lt_i16_e32 vcc, s12, v4
	s_and_saveexec_b64 s[12:13], vcc
	s_xor_b64 s[12:13], exec, s[12:13]
	s_cbranch_execz .LBB14_1432
; %bb.1416:
	s_movk_i32 s16, 0x80
	v_cmp_ne_u16_e32 vcc, s16, v4
	s_and_b64 s[16:17], vcc, exec
	s_andn2_saveexec_b64 s[12:13], s[12:13]
	s_cbranch_execnz .LBB14_1433
.LBB14_1417:
	s_or_b64 exec, exec, s[12:13]
	v_mov_b32_e32 v3, 0
	s_and_saveexec_b64 s[12:13], s[16:17]
	s_cbranch_execz .LBB14_1419
.LBB14_1418:
	v_lshlrev_b32_e32 v3, 24, v4
	v_and_b32_e32 v4, 0xffff, v4
	v_and_b32_e32 v8, 7, v4
	v_ffbh_u32_e32 v10, v8
	v_min_u32_e32 v10, 32, v10
	v_subrev_u32_e32 v11, 28, v10
	v_bfe_u32 v9, v4, 3, 4
	v_lshlrev_b32_e32 v4, v11, v4
	v_sub_u32_e32 v10, 29, v10
	v_and_b32_e32 v4, 7, v4
	v_cmp_eq_u32_e32 vcc, 0, v9
	v_cndmask_b32_e32 v9, v9, v10, vcc
	v_cndmask_b32_e32 v4, v8, v4, vcc
	v_mov_b32_e32 v8, 0x3b800000
	v_lshlrev_b32_e32 v4, 20, v4
	v_and_b32_e32 v3, 0x80000000, v3
	v_lshl_add_u32 v8, v9, 23, v8
	v_or3_b32 v3, v3, v8, v4
	v_trunc_f32_e32 v3, v3
	s_mov_b32 s16, 0x2f800000
	v_mul_f32_e64 v4, |v3|, s16
	v_floor_f32_e32 v4, v4
	s_mov_b32 s16, 0xcf800000
	v_fma_f32 v4, v4, s16, |v3|
	v_cvt_u32_f32_e32 v4, v4
	v_ashrrev_i32_e32 v3, 31, v3
	v_xor_b32_e32 v4, v4, v3
	v_sub_u32_e32 v3, v4, v3
.LBB14_1419:
	s_or_b64 exec, exec, s[12:13]
.LBB14_1420:
	s_mov_b64 s[12:13], -1
.LBB14_1421:
	s_mov_b64 s[16:17], 0
.LBB14_1422:
	s_and_b64 vcc, exec, s[16:17]
	s_cbranch_vccz .LBB14_1453
; %bb.1423:
	s_cmp_gt_i32 s3, 22
	s_cbranch_scc0 .LBB14_1431
; %bb.1424:
	s_cmp_lt_i32 s3, 24
	s_cbranch_scc1 .LBB14_1434
; %bb.1425:
	s_cmp_gt_i32 s3, 24
	s_cbranch_scc0 .LBB14_1435
; %bb.1426:
	global_load_ubyte v4, v[5:6], off
	s_movk_i32 s10, 0x7f
	s_mov_b64 s[12:13], 0
	s_waitcnt vmcnt(0)
	v_cmp_lt_i16_e32 vcc, s10, v4
	s_and_saveexec_b64 s[10:11], vcc
	s_xor_b64 s[10:11], exec, s[10:11]
	s_cbranch_execz .LBB14_1447
; %bb.1427:
	s_movk_i32 s12, 0x80
	v_cmp_ne_u16_e32 vcc, s12, v4
	s_and_b64 s[12:13], vcc, exec
	s_andn2_saveexec_b64 s[10:11], s[10:11]
	s_cbranch_execnz .LBB14_1448
.LBB14_1428:
	s_or_b64 exec, exec, s[10:11]
	v_mov_b32_e32 v3, 0
	s_and_saveexec_b64 s[10:11], s[12:13]
	s_cbranch_execz .LBB14_1430
.LBB14_1429:
	v_lshlrev_b32_e32 v3, 24, v4
	v_and_b32_e32 v4, 0xffff, v4
	v_and_b32_e32 v8, 3, v4
	v_ffbh_u32_e32 v10, v8
	v_min_u32_e32 v10, 32, v10
	v_subrev_u32_e32 v11, 29, v10
	v_bfe_u32 v9, v4, 2, 5
	v_lshlrev_b32_e32 v4, v11, v4
	v_sub_u32_e32 v10, 30, v10
	v_and_b32_e32 v4, 3, v4
	v_cmp_eq_u32_e32 vcc, 0, v9
	v_cndmask_b32_e32 v9, v9, v10, vcc
	v_cndmask_b32_e32 v4, v8, v4, vcc
	v_mov_b32_e32 v8, 0x37800000
	v_lshlrev_b32_e32 v4, 21, v4
	v_and_b32_e32 v3, 0x80000000, v3
	v_lshl_add_u32 v8, v9, 23, v8
	v_or3_b32 v3, v3, v8, v4
	v_trunc_f32_e32 v3, v3
	s_mov_b32 s12, 0x2f800000
	v_mul_f32_e64 v4, |v3|, s12
	v_floor_f32_e32 v4, v4
	s_mov_b32 s12, 0xcf800000
	v_fma_f32 v4, v4, s12, |v3|
	v_cvt_u32_f32_e32 v4, v4
	v_ashrrev_i32_e32 v3, 31, v3
	v_xor_b32_e32 v4, v4, v3
	v_sub_u32_e32 v3, v4, v3
.LBB14_1430:
	s_or_b64 exec, exec, s[10:11]
	s_mov_b64 s[10:11], 0
	s_branch .LBB14_1436
.LBB14_1431:
	s_mov_b64 s[10:11], -1
                                        ; implicit-def: $vgpr3
	s_branch .LBB14_1442
.LBB14_1432:
	s_andn2_saveexec_b64 s[12:13], s[12:13]
	s_cbranch_execz .LBB14_1417
.LBB14_1433:
	v_cmp_ne_u16_e32 vcc, 0, v4
	s_andn2_b64 s[16:17], s[16:17], exec
	s_and_b64 s[18:19], vcc, exec
	s_or_b64 s[16:17], s[16:17], s[18:19]
	s_or_b64 exec, exec, s[12:13]
	v_mov_b32_e32 v3, 0
	s_and_saveexec_b64 s[12:13], s[16:17]
	s_cbranch_execnz .LBB14_1418
	s_branch .LBB14_1419
.LBB14_1434:
	s_mov_b64 s[10:11], -1
                                        ; implicit-def: $vgpr3
	s_branch .LBB14_1439
.LBB14_1435:
	s_mov_b64 s[10:11], -1
                                        ; implicit-def: $vgpr3
.LBB14_1436:
	s_and_b64 vcc, exec, s[10:11]
	s_cbranch_vccz .LBB14_1438
; %bb.1437:
	global_load_ubyte v3, v[5:6], off
	s_mov_b32 s10, 0x7f800000
	s_brev_b32 s11, 1
	s_mov_b32 s12, 0x2f800000
	s_waitcnt vmcnt(0)
	v_lshlrev_b32_e32 v3, 24, v3
	v_and_b32_e32 v4, 0x7f000000, v3
	v_ffbh_u32_e32 v8, v4
	v_min_u32_e32 v8, 32, v8
	v_sub_u32_e64 v8, v8, 4 clamp
	v_lshlrev_b32_e32 v10, v8, v4
	v_lshlrev_b32_e32 v8, 23, v8
	v_lshrrev_b32_e32 v10, 4, v10
	v_add_u32_e32 v9, 0x1000000, v4
	v_sub_u32_e32 v8, v10, v8
	v_ashrrev_i32_e32 v9, 8, v9
	v_add_u32_e32 v8, 0x3c000000, v8
	v_and_or_b32 v8, v9, s10, v8
	v_cmp_ne_u32_e32 vcc, 0, v4
	v_cndmask_b32_e32 v4, 0, v8, vcc
	v_and_or_b32 v3, v3, s11, v4
	v_trunc_f32_e32 v3, v3
	v_mul_f32_e64 v4, |v3|, s12
	v_floor_f32_e32 v4, v4
	s_mov_b32 s10, 0xcf800000
	v_fma_f32 v4, v4, s10, |v3|
	v_cvt_u32_f32_e32 v4, v4
	v_ashrrev_i32_e32 v3, 31, v3
	v_xor_b32_e32 v4, v4, v3
	v_sub_u32_e32 v3, v4, v3
.LBB14_1438:
	s_mov_b64 s[10:11], 0
.LBB14_1439:
	s_andn2_b64 vcc, exec, s[10:11]
	s_cbranch_vccnz .LBB14_1441
; %bb.1440:
	global_load_ubyte v3, v[5:6], off
	s_movk_i32 s10, 0x7f00
	s_brev_b32 s11, 16
	s_brev_b32 s12, 1
	s_mov_b32 s13, 0x2f800000
	s_waitcnt vmcnt(0)
	v_lshlrev_b16_e32 v4, 8, v3
	v_lshlrev_b32_e32 v3, 25, v3
	v_lshrrev_b32_e32 v8, 4, v3
	v_and_or_b32 v9, v4, s10, 0.5
	v_or_b32_e32 v8, 0x70000000, v8
	v_add_f32_e32 v9, -0.5, v9
	v_mul_f32_e32 v8, 0x7800000, v8
	v_cmp_gt_u32_e32 vcc, s11, v3
	v_bfe_i32 v4, v4, 0, 16
	v_cndmask_b32_e32 v3, v8, v9, vcc
	v_and_or_b32 v3, v4, s12, v3
	v_trunc_f32_e32 v3, v3
	v_mul_f32_e64 v4, |v3|, s13
	v_floor_f32_e32 v4, v4
	s_mov_b32 s10, 0xcf800000
	v_fma_f32 v4, v4, s10, |v3|
	v_cvt_u32_f32_e32 v4, v4
	v_ashrrev_i32_e32 v3, 31, v3
	v_xor_b32_e32 v4, v4, v3
	v_sub_u32_e32 v3, v4, v3
.LBB14_1441:
	s_mov_b64 s[10:11], 0
	s_mov_b64 s[12:13], -1
.LBB14_1442:
	s_andn2_b64 vcc, exec, s[10:11]
	s_mov_b64 s[10:11], 0
	s_cbranch_vccnz .LBB14_1453
; %bb.1443:
	s_cmp_gt_i32 s3, 14
	s_cbranch_scc0 .LBB14_1446
; %bb.1444:
	s_cmp_eq_u32 s3, 15
	s_cbranch_scc0 .LBB14_1449
; %bb.1445:
	global_load_ushort v3, v[5:6], off
	s_mov_b32 s0, 0x2f800000
	s_mov_b32 s1, 0xcf800000
	s_mov_b64 s[12:13], -1
	s_waitcnt vmcnt(0)
	v_lshlrev_b32_e32 v3, 16, v3
	v_trunc_f32_e32 v3, v3
	v_mul_f32_e64 v4, |v3|, s0
	v_floor_f32_e32 v4, v4
	v_fma_f32 v4, v4, s1, |v3|
	v_cvt_u32_f32_e32 v4, v4
	v_ashrrev_i32_e32 v3, 31, v3
	s_mov_b64 s[0:1], 0
	v_xor_b32_e32 v4, v4, v3
	v_sub_u32_e32 v3, v4, v3
	s_branch .LBB14_1450
.LBB14_1446:
	s_mov_b64 s[16:17], -1
                                        ; implicit-def: $vgpr3
	s_branch .LBB14_1451
.LBB14_1447:
	s_andn2_saveexec_b64 s[10:11], s[10:11]
	s_cbranch_execz .LBB14_1428
.LBB14_1448:
	v_cmp_ne_u16_e32 vcc, 0, v4
	s_andn2_b64 s[12:13], s[12:13], exec
	s_and_b64 s[16:17], vcc, exec
	s_or_b64 s[12:13], s[12:13], s[16:17]
	s_or_b64 exec, exec, s[10:11]
	v_mov_b32_e32 v3, 0
	s_and_saveexec_b64 s[10:11], s[12:13]
	s_cbranch_execnz .LBB14_1429
	s_branch .LBB14_1430
.LBB14_1449:
	s_mov_b64 s[0:1], -1
                                        ; implicit-def: $vgpr3
.LBB14_1450:
	s_mov_b64 s[16:17], 0
.LBB14_1451:
	s_and_b64 vcc, exec, s[16:17]
	s_cbranch_vccz .LBB14_1453
; %bb.1452:
	s_cmp_lg_u32 s3, 11
	s_mov_b64 s[10:11], -1
	s_cselect_b64 s[0:1], -1, 0
.LBB14_1453:
	s_and_b64 vcc, exec, s[0:1]
	s_cbranch_vccnz .LBB14_1986
; %bb.1454:
	s_andn2_b64 vcc, exec, s[10:11]
	s_cbranch_vccnz .LBB14_1456
.LBB14_1455:
	global_load_ubyte v3, v[5:6], off
	s_mov_b64 s[12:13], -1
	s_waitcnt vmcnt(0)
	v_cmp_ne_u16_e32 vcc, 0, v3
	v_cndmask_b32_e64 v3, 0, 1, vcc
.LBB14_1456:
	s_mov_b64 s[0:1], 0
.LBB14_1457:
	s_and_b64 vcc, exec, s[0:1]
	s_cbranch_vccz .LBB14_1506
; %bb.1458:
	s_and_b32 s3, 0xffff, s20
	s_cmp_lt_i32 s3, 5
	s_cbranch_scc1 .LBB14_1463
; %bb.1459:
	s_cmp_lt_i32 s3, 8
	s_cbranch_scc1 .LBB14_1464
; %bb.1460:
	;; [unrolled: 3-line block ×3, first 2 shown]
	s_cmp_gt_i32 s3, 9
	s_cbranch_scc0 .LBB14_1466
; %bb.1462:
	global_load_dwordx2 v[3:4], v[5:6], off
	s_movk_i32 s0, 0xffe0
	s_waitcnt vmcnt(0)
	v_trunc_f64_e32 v[3:4], v[3:4]
	v_ldexp_f64 v[8:9], v[3:4], s0
	s_mov_b32 s0, 0
	s_mov_b32 s1, 0xc1f00000
	v_floor_f64_e32 v[8:9], v[8:9]
	v_fma_f64 v[3:4], v[8:9], s[0:1], v[3:4]
	s_mov_b64 s[0:1], 0
	v_cvt_u32_f64_e32 v3, v[3:4]
	s_branch .LBB14_1467
.LBB14_1463:
	s_mov_b64 s[0:1], -1
                                        ; implicit-def: $vgpr3
	s_branch .LBB14_1485
.LBB14_1464:
	s_mov_b64 s[0:1], -1
                                        ; implicit-def: $vgpr3
	s_branch .LBB14_1473
.LBB14_1465:
	s_mov_b64 s[0:1], -1
                                        ; implicit-def: $vgpr3
	s_branch .LBB14_1470
.LBB14_1466:
	s_mov_b64 s[0:1], -1
                                        ; implicit-def: $vgpr3
.LBB14_1467:
	s_andn2_b64 vcc, exec, s[0:1]
	s_cbranch_vccnz .LBB14_1469
; %bb.1468:
	global_load_dword v3, v[5:6], off
	s_mov_b32 s0, 0x2f800000
	s_waitcnt vmcnt(0)
	v_trunc_f32_e32 v3, v3
	v_mul_f32_e64 v4, |v3|, s0
	v_floor_f32_e32 v4, v4
	s_mov_b32 s0, 0xcf800000
	v_fma_f32 v4, v4, s0, |v3|
	v_cvt_u32_f32_e32 v4, v4
	v_ashrrev_i32_e32 v3, 31, v3
	v_xor_b32_e32 v4, v4, v3
	v_sub_u32_e32 v3, v4, v3
.LBB14_1469:
	s_mov_b64 s[0:1], 0
.LBB14_1470:
	s_andn2_b64 vcc, exec, s[0:1]
	s_cbranch_vccnz .LBB14_1472
; %bb.1471:
	global_load_dword v3, v[5:6], off
	s_waitcnt vmcnt(0)
	v_cvt_f32_f16_e32 v3, v3
	v_cvt_i32_f32_e32 v3, v3
.LBB14_1472:
	s_mov_b64 s[0:1], 0
.LBB14_1473:
	s_andn2_b64 vcc, exec, s[0:1]
	s_cbranch_vccnz .LBB14_1484
; %bb.1474:
	s_cmp_lt_i32 s3, 6
	s_cbranch_scc1 .LBB14_1477
; %bb.1475:
	s_cmp_gt_i32 s3, 6
	s_cbranch_scc0 .LBB14_1478
; %bb.1476:
	global_load_dwordx2 v[3:4], v[5:6], off
	s_movk_i32 s0, 0xffe0
	s_waitcnt vmcnt(0)
	v_trunc_f64_e32 v[3:4], v[3:4]
	v_ldexp_f64 v[8:9], v[3:4], s0
	s_mov_b32 s0, 0
	s_mov_b32 s1, 0xc1f00000
	v_floor_f64_e32 v[8:9], v[8:9]
	v_fma_f64 v[3:4], v[8:9], s[0:1], v[3:4]
	s_mov_b64 s[0:1], 0
	v_cvt_u32_f64_e32 v3, v[3:4]
	s_branch .LBB14_1479
.LBB14_1477:
	s_mov_b64 s[0:1], -1
                                        ; implicit-def: $vgpr3
	s_branch .LBB14_1482
.LBB14_1478:
	s_mov_b64 s[0:1], -1
                                        ; implicit-def: $vgpr3
.LBB14_1479:
	s_andn2_b64 vcc, exec, s[0:1]
	s_cbranch_vccnz .LBB14_1481
; %bb.1480:
	global_load_dword v3, v[5:6], off
	s_mov_b32 s0, 0x2f800000
	s_waitcnt vmcnt(0)
	v_trunc_f32_e32 v3, v3
	v_mul_f32_e64 v4, |v3|, s0
	v_floor_f32_e32 v4, v4
	s_mov_b32 s0, 0xcf800000
	v_fma_f32 v4, v4, s0, |v3|
	v_cvt_u32_f32_e32 v4, v4
	v_ashrrev_i32_e32 v3, 31, v3
	v_xor_b32_e32 v4, v4, v3
	v_sub_u32_e32 v3, v4, v3
.LBB14_1481:
	s_mov_b64 s[0:1], 0
.LBB14_1482:
	s_andn2_b64 vcc, exec, s[0:1]
	s_cbranch_vccnz .LBB14_1484
; %bb.1483:
	global_load_ushort v3, v[5:6], off
	s_waitcnt vmcnt(0)
	v_cvt_f32_f16_e32 v3, v3
	v_cvt_i32_f32_e32 v3, v3
.LBB14_1484:
	s_mov_b64 s[0:1], 0
.LBB14_1485:
	s_andn2_b64 vcc, exec, s[0:1]
	s_cbranch_vccnz .LBB14_1505
; %bb.1486:
	s_cmp_lt_i32 s3, 2
	s_cbranch_scc1 .LBB14_1490
; %bb.1487:
	s_cmp_lt_i32 s3, 3
	s_cbranch_scc1 .LBB14_1491
; %bb.1488:
	s_cmp_gt_i32 s3, 3
	s_cbranch_scc0 .LBB14_1492
; %bb.1489:
	global_load_dwordx2 v[3:4], v[5:6], off
	s_mov_b64 s[0:1], 0
	s_branch .LBB14_1493
.LBB14_1490:
	s_mov_b64 s[0:1], -1
                                        ; implicit-def: $vgpr3
	s_branch .LBB14_1499
.LBB14_1491:
	s_mov_b64 s[0:1], -1
                                        ; implicit-def: $vgpr3
	s_branch .LBB14_1496
.LBB14_1492:
	s_mov_b64 s[0:1], -1
                                        ; implicit-def: $vgpr3
.LBB14_1493:
	s_andn2_b64 vcc, exec, s[0:1]
	s_cbranch_vccnz .LBB14_1495
; %bb.1494:
	global_load_dword v3, v[5:6], off
.LBB14_1495:
	s_mov_b64 s[0:1], 0
.LBB14_1496:
	s_andn2_b64 vcc, exec, s[0:1]
	s_cbranch_vccnz .LBB14_1498
; %bb.1497:
	global_load_ushort v3, v[5:6], off
.LBB14_1498:
	s_mov_b64 s[0:1], 0
.LBB14_1499:
	s_andn2_b64 vcc, exec, s[0:1]
	s_cbranch_vccnz .LBB14_1505
; %bb.1500:
	s_cmp_gt_i32 s3, 0
	s_cbranch_scc0 .LBB14_1502
; %bb.1501:
	global_load_ubyte v3, v[5:6], off
	s_mov_b64 s[0:1], 0
	s_branch .LBB14_1503
.LBB14_1502:
	s_mov_b64 s[0:1], -1
                                        ; implicit-def: $vgpr3
.LBB14_1503:
	s_andn2_b64 vcc, exec, s[0:1]
	s_cbranch_vccnz .LBB14_1505
; %bb.1504:
	global_load_ubyte v3, v[5:6], off
.LBB14_1505:
	s_mov_b64 s[12:13], -1
.LBB14_1506:
	s_andn2_b64 vcc, exec, s[12:13]
	s_cbranch_vccnz .LBB14_1940
; %bb.1507:
	v_mul_lo_u32 v6, s2, v7
	s_and_b32 s23, s44, 0xff
	s_cmp_gt_u32 s23, 7
	v_lshlrev_b32_e32 v0, s44, v0
	s_cselect_b64 s[10:11], -1, 0
	v_ashrrev_i32_e32 v5, 31, v6
	v_mov_b32_e32 v7, s9
	s_and_b32 s22, s33, 0xff
	s_waitcnt vmcnt(0)
	v_add_co_u32_e32 v4, vcc, s8, v6
	v_cndmask_b32_e64 v0, v0, 0, s[10:11]
	s_cmp_lt_i32 s22, 11
	v_addc_co_u32_e32 v5, vcc, v7, v5, vcc
	s_cbranch_scc1 .LBB14_1585
; %bb.1508:
	s_and_b32 s3, 0xffff, s22
	s_mov_b64 s[18:19], -1
	s_mov_b64 s[12:13], 0
	s_cmp_gt_i32 s3, 25
	s_mov_b64 s[16:17], 0
	s_mov_b64 s[0:1], 0
	s_cbranch_scc0 .LBB14_1541
; %bb.1509:
	s_cmp_gt_i32 s3, 28
	s_cbranch_scc0 .LBB14_1524
; %bb.1510:
	s_cmp_gt_i32 s3, 43
	;; [unrolled: 3-line block ×3, first 2 shown]
	s_cbranch_scc0 .LBB14_1514
; %bb.1512:
	s_mov_b64 s[0:1], -1
	s_mov_b64 s[18:19], 0
	s_cmp_eq_u32 s3, 46
	s_cbranch_scc0 .LBB14_1514
; %bb.1513:
	v_cvt_f32_ubyte0_e32 v7, v0
	v_bfe_u32 v8, v7, 16, 1
	s_movk_i32 s0, 0x7fff
	v_add3_u32 v7, v7, v8, s0
	v_lshrrev_b32_e32 v7, 16, v7
	global_store_dword v[4:5], v7, off
	s_mov_b64 s[0:1], 0
	s_mov_b64 s[16:17], -1
.LBB14_1514:
	s_and_b64 vcc, exec, s[18:19]
	s_cbranch_vccz .LBB14_1519
; %bb.1515:
	s_cmp_eq_u32 s3, 44
	s_mov_b64 s[0:1], -1
	s_cbranch_scc0 .LBB14_1519
; %bb.1516:
	v_cvt_f32_ubyte0_e32 v8, v0
	v_lshrrev_b32_e32 v7, 23, v8
	s_movk_i32 s0, 0xff
	v_cmp_ne_u32_e32 vcc, s0, v7
	v_mov_b32_e32 v9, 0xff
	s_and_saveexec_b64 s[16:17], vcc
; %bb.1517:
	s_mov_b32 s0, 0x3fffff
	v_and_b32_e32 v9, 0x400000, v8
	v_and_or_b32 v8, v8, s0, v7
	v_cmp_ne_u32_e32 vcc, 0, v9
	v_cmp_ne_u32_e64 s[0:1], 0, v8
	s_and_b64 s[0:1], vcc, s[0:1]
	v_cndmask_b32_e64 v8, 0, 1, s[0:1]
	v_add_u32_e32 v9, v7, v8
; %bb.1518:
	s_or_b64 exec, exec, s[16:17]
	s_mov_b64 s[0:1], 0
	s_mov_b64 s[16:17], -1
	global_store_byte v[4:5], v9, off
.LBB14_1519:
	s_mov_b64 s[18:19], 0
.LBB14_1520:
	s_and_b64 vcc, exec, s[18:19]
	s_cbranch_vccz .LBB14_1523
; %bb.1521:
	s_cmp_eq_u32 s3, 29
	s_mov_b64 s[0:1], -1
	s_cbranch_scc0 .LBB14_1523
; %bb.1522:
	v_and_b32_e32 v7, 0xff, v0
	v_mov_b32_e32 v8, 0
	global_store_dwordx2 v[4:5], v[7:8], off
	s_mov_b64 s[0:1], 0
	s_mov_b64 s[16:17], -1
.LBB14_1523:
	s_mov_b64 s[18:19], 0
.LBB14_1524:
	s_and_b64 vcc, exec, s[18:19]
	s_cbranch_vccz .LBB14_1540
; %bb.1525:
	s_cmp_lt_i32 s3, 27
	s_mov_b64 s[16:17], -1
	s_cbranch_scc1 .LBB14_1531
; %bb.1526:
	s_cmp_gt_i32 s3, 27
	s_cbranch_scc0 .LBB14_1528
; %bb.1527:
	v_and_b32_e32 v7, 0xff, v0
	s_mov_b64 s[16:17], 0
	global_store_dword v[4:5], v7, off
.LBB14_1528:
	s_andn2_b64 vcc, exec, s[16:17]
	s_cbranch_vccnz .LBB14_1530
; %bb.1529:
	v_and_b32_e32 v7, 0xff, v0
	global_store_short v[4:5], v7, off
.LBB14_1530:
	s_mov_b64 s[16:17], 0
.LBB14_1531:
	s_andn2_b64 vcc, exec, s[16:17]
	s_cbranch_vccnz .LBB14_1539
; %bb.1532:
	v_cvt_f32_ubyte0_e32 v8, v0
	s_mov_b32 s16, 0x43800000
	v_cmp_gt_u32_e32 vcc, s16, v8
	v_mov_b32_e32 v9, 0x80
	s_and_saveexec_b64 s[16:17], vcc
	s_cbranch_execz .LBB14_1538
; %bb.1533:
	s_mov_b32 s18, 0x3bffffff
	v_cmp_lt_u32_e32 vcc, s18, v8
	s_mov_b64 s[18:19], 0
                                        ; implicit-def: $vgpr7
	s_and_saveexec_b64 s[20:21], vcc
	s_xor_b64 s[20:21], exec, s[20:21]
	s_cbranch_execz .LBB14_1987
; %bb.1534:
	v_bfe_u32 v7, v8, 20, 1
	s_mov_b32 s24, 0x487ffff
	v_add3_u32 v7, v8, v7, s24
	s_mov_b64 s[18:19], exec
	v_lshrrev_b32_e32 v7, 20, v7
                                        ; implicit-def: $vgpr8
	s_andn2_saveexec_b64 s[20:21], s[20:21]
	s_cbranch_execnz .LBB14_1988
.LBB14_1535:
	s_or_b64 exec, exec, s[20:21]
	v_mov_b32_e32 v9, 0
	s_and_saveexec_b64 s[20:21], s[18:19]
.LBB14_1536:
	v_mov_b32_e32 v9, v7
.LBB14_1537:
	s_or_b64 exec, exec, s[20:21]
.LBB14_1538:
	s_or_b64 exec, exec, s[16:17]
	global_store_byte v[4:5], v9, off
.LBB14_1539:
	s_mov_b64 s[16:17], -1
.LBB14_1540:
	s_mov_b64 s[18:19], 0
.LBB14_1541:
	s_and_b64 vcc, exec, s[18:19]
	s_cbranch_vccz .LBB14_1581
; %bb.1542:
	s_cmp_gt_i32 s3, 22
	s_mov_b64 s[12:13], -1
	s_cbranch_scc0 .LBB14_1574
; %bb.1543:
	s_cmp_lt_i32 s3, 24
	s_cbranch_scc1 .LBB14_1563
; %bb.1544:
	s_cmp_gt_i32 s3, 24
	s_cbranch_scc0 .LBB14_1552
; %bb.1545:
	v_cvt_f32_ubyte0_e32 v8, v0
	s_mov_b32 s12, 0x47800000
	v_cmp_gt_u32_e32 vcc, s12, v8
	v_mov_b32_e32 v9, 0x80
	s_and_saveexec_b64 s[12:13], vcc
	s_cbranch_execz .LBB14_1551
; %bb.1546:
	s_mov_b32 s16, 0x37ffffff
	v_cmp_lt_u32_e32 vcc, s16, v8
	s_mov_b64 s[16:17], 0
                                        ; implicit-def: $vgpr7
	s_and_saveexec_b64 s[18:19], vcc
	s_xor_b64 s[18:19], exec, s[18:19]
	s_cbranch_execz .LBB14_1990
; %bb.1547:
	v_bfe_u32 v7, v8, 21, 1
	s_mov_b32 s20, 0x88fffff
	v_add3_u32 v7, v8, v7, s20
	s_mov_b64 s[16:17], exec
	v_lshrrev_b32_e32 v7, 21, v7
                                        ; implicit-def: $vgpr8
	s_andn2_saveexec_b64 s[18:19], s[18:19]
	s_cbranch_execnz .LBB14_1991
.LBB14_1548:
	s_or_b64 exec, exec, s[18:19]
	v_mov_b32_e32 v9, 0
	s_and_saveexec_b64 s[18:19], s[16:17]
.LBB14_1549:
	v_mov_b32_e32 v9, v7
.LBB14_1550:
	s_or_b64 exec, exec, s[18:19]
.LBB14_1551:
	s_or_b64 exec, exec, s[12:13]
	s_mov_b64 s[12:13], 0
	global_store_byte v[4:5], v9, off
.LBB14_1552:
	s_and_b64 vcc, exec, s[12:13]
	s_cbranch_vccz .LBB14_1562
; %bb.1553:
	v_cvt_f32_ubyte0_e32 v7, v0
	s_mov_b32 s12, 0x43f00000
	v_cmp_gt_u32_e32 vcc, s12, v7
                                        ; implicit-def: $vgpr8
	s_and_saveexec_b64 s[12:13], vcc
	s_xor_b64 s[12:13], exec, s[12:13]
	s_cbranch_execz .LBB14_1559
; %bb.1554:
	s_mov_b32 s16, 0x3c7fffff
	v_cmp_lt_u32_e32 vcc, s16, v7
                                        ; implicit-def: $vgpr8
	s_and_saveexec_b64 s[16:17], vcc
	s_xor_b64 s[16:17], exec, s[16:17]
; %bb.1555:
	v_bfe_u32 v8, v7, 20, 1
	s_mov_b32 s18, 0x407ffff
	v_add3_u32 v7, v7, v8, s18
	v_lshrrev_b32_e32 v8, 20, v7
	v_and_b32_e32 v7, 0xff00000, v7
	s_mov_b32 s18, 0x7f00000
	v_mov_b32_e32 v9, 0x7e
	v_cmp_ne_u32_e32 vcc, s18, v7
	v_cndmask_b32_e32 v8, v9, v8, vcc
                                        ; implicit-def: $vgpr7
; %bb.1556:
	s_andn2_saveexec_b64 s[16:17], s[16:17]
; %bb.1557:
	v_add_f32_e32 v8, 0x46800000, v7
; %bb.1558:
	s_or_b64 exec, exec, s[16:17]
                                        ; implicit-def: $vgpr7
.LBB14_1559:
	s_andn2_saveexec_b64 s[12:13], s[12:13]
; %bb.1560:
	s_mov_b32 s16, 0x7f800000
	v_mov_b32_e32 v8, 0x7e
	v_mov_b32_e32 v9, 0x7f
	v_cmp_lt_u32_e32 vcc, s16, v7
	v_cndmask_b32_e32 v8, v8, v9, vcc
; %bb.1561:
	s_or_b64 exec, exec, s[12:13]
	global_store_byte v[4:5], v8, off
.LBB14_1562:
	s_mov_b64 s[12:13], 0
.LBB14_1563:
	s_andn2_b64 vcc, exec, s[12:13]
	s_cbranch_vccnz .LBB14_1573
; %bb.1564:
	v_cvt_f32_ubyte0_e32 v7, v0
	s_mov_b32 s12, 0x47800000
	v_cmp_gt_u32_e32 vcc, s12, v7
                                        ; implicit-def: $vgpr8
	s_and_saveexec_b64 s[12:13], vcc
	s_xor_b64 s[12:13], exec, s[12:13]
	s_cbranch_execz .LBB14_1570
; %bb.1565:
	s_mov_b32 s16, 0x387fffff
	v_cmp_lt_u32_e32 vcc, s16, v7
                                        ; implicit-def: $vgpr8
	s_and_saveexec_b64 s[16:17], vcc
	s_xor_b64 s[16:17], exec, s[16:17]
; %bb.1566:
	v_bfe_u32 v8, v7, 21, 1
	s_mov_b32 s18, 0x80fffff
	v_add3_u32 v7, v7, v8, s18
	v_lshrrev_b32_e32 v8, 21, v7
                                        ; implicit-def: $vgpr7
; %bb.1567:
	s_andn2_saveexec_b64 s[16:17], s[16:17]
; %bb.1568:
	v_add_f32_e32 v8, 0x43000000, v7
; %bb.1569:
	s_or_b64 exec, exec, s[16:17]
                                        ; implicit-def: $vgpr7
.LBB14_1570:
	s_andn2_saveexec_b64 s[12:13], s[12:13]
; %bb.1571:
	s_mov_b32 s16, 0x7f800000
	v_mov_b32_e32 v8, 0x7c
	v_mov_b32_e32 v9, 0x7f
	v_cmp_lt_u32_e32 vcc, s16, v7
	v_cndmask_b32_e32 v8, v8, v9, vcc
; %bb.1572:
	s_or_b64 exec, exec, s[12:13]
	global_store_byte v[4:5], v8, off
.LBB14_1573:
	s_mov_b64 s[12:13], 0
	s_mov_b64 s[16:17], -1
.LBB14_1574:
	s_andn2_b64 vcc, exec, s[12:13]
	s_mov_b64 s[12:13], 0
	s_cbranch_vccnz .LBB14_1581
; %bb.1575:
	s_cmp_gt_i32 s3, 14
	s_mov_b64 s[18:19], -1
	s_cbranch_scc0 .LBB14_1579
; %bb.1576:
	s_cmp_eq_u32 s3, 15
	s_mov_b64 s[0:1], -1
	s_cbranch_scc0 .LBB14_1578
; %bb.1577:
	v_cvt_f32_ubyte0_e32 v7, v0
	v_bfe_u32 v8, v7, 16, 1
	s_movk_i32 s0, 0x7fff
	v_add3_u32 v7, v7, v8, s0
	global_store_short_d16_hi v[4:5], v7, off
	s_mov_b64 s[0:1], 0
	s_mov_b64 s[16:17], -1
.LBB14_1578:
	s_mov_b64 s[18:19], 0
.LBB14_1579:
	s_and_b64 vcc, exec, s[18:19]
	s_cbranch_vccz .LBB14_1581
; %bb.1580:
	s_cmp_lg_u32 s3, 11
	s_mov_b64 s[12:13], -1
	s_cselect_b64 s[0:1], -1, 0
.LBB14_1581:
	s_and_b64 vcc, exec, s[0:1]
	s_cbranch_vccnz .LBB14_1989
; %bb.1582:
	s_andn2_b64 vcc, exec, s[12:13]
	s_cbranch_vccnz .LBB14_1584
.LBB14_1583:
	v_mov_b32_e32 v7, 0
	v_cmp_ne_u16_sdwa s[0:1], v0, v7 src0_sel:BYTE_0 src1_sel:DWORD
	v_cndmask_b32_e64 v7, 0, 1, s[0:1]
	s_mov_b64 s[16:17], -1
	global_store_byte v[4:5], v7, off
.LBB14_1584:
	s_mov_b64 s[0:1], 0
	s_branch .LBB14_1586
.LBB14_1585:
	s_mov_b64 s[0:1], -1
	s_mov_b64 s[16:17], 0
.LBB14_1586:
	s_and_b64 vcc, exec, s[0:1]
	s_cbranch_vccz .LBB14_1625
; %bb.1587:
	s_and_b32 s3, 0xffff, s22
	s_cmp_lt_i32 s3, 5
	s_mov_b64 s[0:1], -1
	s_cbranch_scc1 .LBB14_1608
; %bb.1588:
	s_cmp_lt_i32 s3, 8
	s_cbranch_scc1 .LBB14_1598
; %bb.1589:
	s_cmp_lt_i32 s3, 9
	s_cbranch_scc1 .LBB14_1595
; %bb.1590:
	s_cmp_gt_i32 s3, 9
	s_cbranch_scc0 .LBB14_1592
; %bb.1591:
	s_mov_b32 s0, 0xffff
	v_and_b32_sdwa v7, s0, v0 dst_sel:DWORD dst_unused:UNUSED_PAD src0_sel:DWORD src1_sel:BYTE_0
	v_cvt_f64_u32_e32 v[7:8], v7
	v_mov_b32_e32 v9, 0
	v_mov_b32_e32 v10, v9
	s_mov_b64 s[0:1], 0
	global_store_dwordx4 v[4:5], v[7:10], off
.LBB14_1592:
	s_andn2_b64 vcc, exec, s[0:1]
	s_cbranch_vccnz .LBB14_1594
; %bb.1593:
	v_cvt_f32_ubyte0_e32 v7, v0
	v_mov_b32_e32 v8, 0
	global_store_dwordx2 v[4:5], v[7:8], off
.LBB14_1594:
	s_mov_b64 s[0:1], 0
.LBB14_1595:
	s_andn2_b64 vcc, exec, s[0:1]
	s_cbranch_vccnz .LBB14_1597
; %bb.1596:
	v_cvt_f16_u16_sdwa v7, v0 dst_sel:DWORD dst_unused:UNUSED_PAD src0_sel:BYTE_0
	global_store_dword v[4:5], v7, off
.LBB14_1597:
	s_mov_b64 s[0:1], 0
.LBB14_1598:
	s_andn2_b64 vcc, exec, s[0:1]
	s_cbranch_vccnz .LBB14_1607
; %bb.1599:
	s_cmp_lt_i32 s3, 6
	s_mov_b64 s[0:1], -1
	s_cbranch_scc1 .LBB14_1605
; %bb.1600:
	s_cmp_gt_i32 s3, 6
	s_cbranch_scc0 .LBB14_1602
; %bb.1601:
	s_mov_b32 s0, 0xffff
	v_and_b32_sdwa v7, s0, v0 dst_sel:DWORD dst_unused:UNUSED_PAD src0_sel:DWORD src1_sel:BYTE_0
	v_cvt_f64_u32_e32 v[7:8], v7
	s_mov_b64 s[0:1], 0
	global_store_dwordx2 v[4:5], v[7:8], off
.LBB14_1602:
	s_andn2_b64 vcc, exec, s[0:1]
	s_cbranch_vccnz .LBB14_1604
; %bb.1603:
	v_cvt_f32_ubyte0_e32 v7, v0
	global_store_dword v[4:5], v7, off
.LBB14_1604:
	s_mov_b64 s[0:1], 0
.LBB14_1605:
	s_andn2_b64 vcc, exec, s[0:1]
	s_cbranch_vccnz .LBB14_1607
; %bb.1606:
	v_cvt_f16_u16_sdwa v7, v0 dst_sel:DWORD dst_unused:UNUSED_PAD src0_sel:BYTE_0
	global_store_short v[4:5], v7, off
.LBB14_1607:
	s_mov_b64 s[0:1], 0
.LBB14_1608:
	s_andn2_b64 vcc, exec, s[0:1]
	s_cbranch_vccnz .LBB14_1624
; %bb.1609:
	s_cmp_lt_i32 s3, 2
	s_mov_b64 s[0:1], -1
	s_cbranch_scc1 .LBB14_1619
; %bb.1610:
	s_cmp_lt_i32 s3, 3
	s_cbranch_scc1 .LBB14_1616
; %bb.1611:
	s_cmp_gt_i32 s3, 3
	s_cbranch_scc0 .LBB14_1613
; %bb.1612:
	v_and_b32_e32 v7, 0xff, v0
	v_mov_b32_e32 v8, 0
	global_store_dwordx2 v[4:5], v[7:8], off
	s_mov_b64 s[0:1], 0
.LBB14_1613:
	s_andn2_b64 vcc, exec, s[0:1]
	s_cbranch_vccnz .LBB14_1615
; %bb.1614:
	v_and_b32_e32 v7, 0xff, v0
	global_store_dword v[4:5], v7, off
.LBB14_1615:
	s_mov_b64 s[0:1], 0
.LBB14_1616:
	s_andn2_b64 vcc, exec, s[0:1]
	s_cbranch_vccnz .LBB14_1618
; %bb.1617:
	v_and_b32_e32 v7, 0xff, v0
	global_store_short v[4:5], v7, off
.LBB14_1618:
	s_mov_b64 s[0:1], 0
.LBB14_1619:
	s_andn2_b64 vcc, exec, s[0:1]
	s_cbranch_vccnz .LBB14_1624
; %bb.1620:
	s_cmp_gt_i32 s3, 0
	s_mov_b64 s[0:1], -1
	s_cbranch_scc0 .LBB14_1622
; %bb.1621:
	global_store_byte v[4:5], v0, off
	s_mov_b64 s[0:1], 0
.LBB14_1622:
	s_andn2_b64 vcc, exec, s[0:1]
	s_cbranch_vccnz .LBB14_1624
; %bb.1623:
	global_store_byte v[4:5], v0, off
.LBB14_1624:
	s_mov_b64 s[16:17], -1
.LBB14_1625:
	s_andn2_b64 vcc, exec, s[16:17]
	s_cbranch_vccnz .LBB14_1940
; %bb.1626:
	s_lshl_b32 s20, s2, 7
	v_lshlrev_b32_e32 v0, s23, v1
	v_add_u32_e32 v4, s20, v6
	v_cndmask_b32_e64 v5, v0, 0, s[10:11]
	v_ashrrev_i32_e32 v1, 31, v4
	v_mov_b32_e32 v6, s9
	v_add_co_u32_e32 v0, vcc, s8, v4
	s_cmp_lt_i32 s22, 11
	v_addc_co_u32_e32 v1, vcc, v6, v1, vcc
	s_cbranch_scc1 .LBB14_1704
; %bb.1627:
	s_and_b32 s21, 0xffff, s22
	s_mov_b64 s[16:17], -1
	s_mov_b64 s[2:3], 0
	s_cmp_gt_i32 s21, 25
	s_mov_b64 s[12:13], 0
	s_mov_b64 s[0:1], 0
	s_cbranch_scc0 .LBB14_1660
; %bb.1628:
	s_cmp_gt_i32 s21, 28
	s_cbranch_scc0 .LBB14_1643
; %bb.1629:
	s_cmp_gt_i32 s21, 43
	;; [unrolled: 3-line block ×3, first 2 shown]
	s_cbranch_scc0 .LBB14_1633
; %bb.1631:
	s_mov_b64 s[0:1], -1
	s_mov_b64 s[16:17], 0
	s_cmp_eq_u32 s21, 46
	s_cbranch_scc0 .LBB14_1633
; %bb.1632:
	v_cvt_f32_ubyte0_e32 v6, v5
	v_bfe_u32 v7, v6, 16, 1
	s_movk_i32 s0, 0x7fff
	v_add3_u32 v6, v6, v7, s0
	v_lshrrev_b32_e32 v6, 16, v6
	global_store_dword v[0:1], v6, off
	s_mov_b64 s[0:1], 0
	s_mov_b64 s[12:13], -1
.LBB14_1633:
	s_and_b64 vcc, exec, s[16:17]
	s_cbranch_vccz .LBB14_1638
; %bb.1634:
	s_cmp_eq_u32 s21, 44
	s_mov_b64 s[0:1], -1
	s_cbranch_scc0 .LBB14_1638
; %bb.1635:
	v_cvt_f32_ubyte0_e32 v7, v5
	v_lshrrev_b32_e32 v6, 23, v7
	s_movk_i32 s0, 0xff
	v_cmp_ne_u32_e32 vcc, s0, v6
	v_mov_b32_e32 v8, 0xff
	s_and_saveexec_b64 s[12:13], vcc
; %bb.1636:
	s_mov_b32 s0, 0x3fffff
	v_and_b32_e32 v8, 0x400000, v7
	v_and_or_b32 v7, v7, s0, v6
	v_cmp_ne_u32_e32 vcc, 0, v8
	v_cmp_ne_u32_e64 s[0:1], 0, v7
	s_and_b64 s[0:1], vcc, s[0:1]
	v_cndmask_b32_e64 v7, 0, 1, s[0:1]
	v_add_u32_e32 v8, v6, v7
; %bb.1637:
	s_or_b64 exec, exec, s[12:13]
	s_mov_b64 s[0:1], 0
	s_mov_b64 s[12:13], -1
	global_store_byte v[0:1], v8, off
.LBB14_1638:
	s_mov_b64 s[16:17], 0
.LBB14_1639:
	s_and_b64 vcc, exec, s[16:17]
	s_cbranch_vccz .LBB14_1642
; %bb.1640:
	s_cmp_eq_u32 s21, 29
	s_mov_b64 s[0:1], -1
	s_cbranch_scc0 .LBB14_1642
; %bb.1641:
	v_and_b32_e32 v6, 0xff, v5
	v_mov_b32_e32 v7, 0
	global_store_dwordx2 v[0:1], v[6:7], off
	s_mov_b64 s[0:1], 0
	s_mov_b64 s[12:13], -1
.LBB14_1642:
	s_mov_b64 s[16:17], 0
.LBB14_1643:
	s_and_b64 vcc, exec, s[16:17]
	s_cbranch_vccz .LBB14_1659
; %bb.1644:
	s_cmp_lt_i32 s21, 27
	s_mov_b64 s[12:13], -1
	s_cbranch_scc1 .LBB14_1650
; %bb.1645:
	s_cmp_gt_i32 s21, 27
	s_cbranch_scc0 .LBB14_1647
; %bb.1646:
	v_and_b32_e32 v6, 0xff, v5
	s_mov_b64 s[12:13], 0
	global_store_dword v[0:1], v6, off
.LBB14_1647:
	s_andn2_b64 vcc, exec, s[12:13]
	s_cbranch_vccnz .LBB14_1649
; %bb.1648:
	v_and_b32_e32 v6, 0xff, v5
	global_store_short v[0:1], v6, off
.LBB14_1649:
	s_mov_b64 s[12:13], 0
.LBB14_1650:
	s_andn2_b64 vcc, exec, s[12:13]
	s_cbranch_vccnz .LBB14_1658
; %bb.1651:
	v_cvt_f32_ubyte0_e32 v7, v5
	s_mov_b32 s12, 0x43800000
	v_cmp_gt_u32_e32 vcc, s12, v7
	v_mov_b32_e32 v8, 0x80
	s_and_saveexec_b64 s[12:13], vcc
	s_cbranch_execz .LBB14_1657
; %bb.1652:
	s_mov_b32 s16, 0x3bffffff
	v_cmp_lt_u32_e32 vcc, s16, v7
	s_mov_b64 s[16:17], 0
                                        ; implicit-def: $vgpr6
	s_and_saveexec_b64 s[18:19], vcc
	s_xor_b64 s[18:19], exec, s[18:19]
	s_cbranch_execz .LBB14_1992
; %bb.1653:
	v_bfe_u32 v6, v7, 20, 1
	s_mov_b32 s24, 0x487ffff
	v_add3_u32 v6, v7, v6, s24
	s_mov_b64 s[16:17], exec
	v_lshrrev_b32_e32 v6, 20, v6
                                        ; implicit-def: $vgpr7
	s_andn2_saveexec_b64 s[18:19], s[18:19]
	s_cbranch_execnz .LBB14_1993
.LBB14_1654:
	s_or_b64 exec, exec, s[18:19]
	v_mov_b32_e32 v8, 0
	s_and_saveexec_b64 s[18:19], s[16:17]
.LBB14_1655:
	v_mov_b32_e32 v8, v6
.LBB14_1656:
	s_or_b64 exec, exec, s[18:19]
.LBB14_1657:
	s_or_b64 exec, exec, s[12:13]
	global_store_byte v[0:1], v8, off
.LBB14_1658:
	s_mov_b64 s[12:13], -1
.LBB14_1659:
	s_mov_b64 s[16:17], 0
.LBB14_1660:
	s_and_b64 vcc, exec, s[16:17]
	s_cbranch_vccz .LBB14_1700
; %bb.1661:
	s_cmp_gt_i32 s21, 22
	s_mov_b64 s[2:3], -1
	s_cbranch_scc0 .LBB14_1693
; %bb.1662:
	s_cmp_lt_i32 s21, 24
	s_cbranch_scc1 .LBB14_1682
; %bb.1663:
	s_cmp_gt_i32 s21, 24
	s_cbranch_scc0 .LBB14_1671
; %bb.1664:
	v_cvt_f32_ubyte0_e32 v7, v5
	s_mov_b32 s2, 0x47800000
	v_cmp_gt_u32_e32 vcc, s2, v7
	v_mov_b32_e32 v8, 0x80
	s_and_saveexec_b64 s[2:3], vcc
	s_cbranch_execz .LBB14_1670
; %bb.1665:
	s_mov_b32 s12, 0x37ffffff
	v_cmp_lt_u32_e32 vcc, s12, v7
	s_mov_b64 s[12:13], 0
                                        ; implicit-def: $vgpr6
	s_and_saveexec_b64 s[16:17], vcc
	s_xor_b64 s[16:17], exec, s[16:17]
	s_cbranch_execz .LBB14_1995
; %bb.1666:
	v_bfe_u32 v6, v7, 21, 1
	s_mov_b32 s18, 0x88fffff
	v_add3_u32 v6, v7, v6, s18
	s_mov_b64 s[12:13], exec
	v_lshrrev_b32_e32 v6, 21, v6
                                        ; implicit-def: $vgpr7
	s_andn2_saveexec_b64 s[16:17], s[16:17]
	s_cbranch_execnz .LBB14_1996
.LBB14_1667:
	s_or_b64 exec, exec, s[16:17]
	v_mov_b32_e32 v8, 0
	s_and_saveexec_b64 s[16:17], s[12:13]
.LBB14_1668:
	v_mov_b32_e32 v8, v6
.LBB14_1669:
	s_or_b64 exec, exec, s[16:17]
.LBB14_1670:
	s_or_b64 exec, exec, s[2:3]
	s_mov_b64 s[2:3], 0
	global_store_byte v[0:1], v8, off
.LBB14_1671:
	s_and_b64 vcc, exec, s[2:3]
	s_cbranch_vccz .LBB14_1681
; %bb.1672:
	v_cvt_f32_ubyte0_e32 v6, v5
	s_mov_b32 s2, 0x43f00000
	v_cmp_gt_u32_e32 vcc, s2, v6
                                        ; implicit-def: $vgpr7
	s_and_saveexec_b64 s[2:3], vcc
	s_xor_b64 s[2:3], exec, s[2:3]
	s_cbranch_execz .LBB14_1678
; %bb.1673:
	s_mov_b32 s12, 0x3c7fffff
	v_cmp_lt_u32_e32 vcc, s12, v6
                                        ; implicit-def: $vgpr7
	s_and_saveexec_b64 s[12:13], vcc
	s_xor_b64 s[12:13], exec, s[12:13]
; %bb.1674:
	v_bfe_u32 v7, v6, 20, 1
	s_mov_b32 s16, 0x407ffff
	v_add3_u32 v6, v6, v7, s16
	v_lshrrev_b32_e32 v7, 20, v6
	v_and_b32_e32 v6, 0xff00000, v6
	s_mov_b32 s16, 0x7f00000
	v_mov_b32_e32 v8, 0x7e
	v_cmp_ne_u32_e32 vcc, s16, v6
	v_cndmask_b32_e32 v7, v8, v7, vcc
                                        ; implicit-def: $vgpr6
; %bb.1675:
	s_andn2_saveexec_b64 s[12:13], s[12:13]
; %bb.1676:
	v_add_f32_e32 v7, 0x46800000, v6
; %bb.1677:
	s_or_b64 exec, exec, s[12:13]
                                        ; implicit-def: $vgpr6
.LBB14_1678:
	s_andn2_saveexec_b64 s[2:3], s[2:3]
; %bb.1679:
	s_mov_b32 s12, 0x7f800000
	v_mov_b32_e32 v7, 0x7e
	v_mov_b32_e32 v8, 0x7f
	v_cmp_lt_u32_e32 vcc, s12, v6
	v_cndmask_b32_e32 v7, v7, v8, vcc
; %bb.1680:
	s_or_b64 exec, exec, s[2:3]
	global_store_byte v[0:1], v7, off
.LBB14_1681:
	s_mov_b64 s[2:3], 0
.LBB14_1682:
	s_andn2_b64 vcc, exec, s[2:3]
	s_cbranch_vccnz .LBB14_1692
; %bb.1683:
	v_cvt_f32_ubyte0_e32 v6, v5
	s_mov_b32 s2, 0x47800000
	v_cmp_gt_u32_e32 vcc, s2, v6
                                        ; implicit-def: $vgpr7
	s_and_saveexec_b64 s[2:3], vcc
	s_xor_b64 s[2:3], exec, s[2:3]
	s_cbranch_execz .LBB14_1689
; %bb.1684:
	s_mov_b32 s12, 0x387fffff
	v_cmp_lt_u32_e32 vcc, s12, v6
                                        ; implicit-def: $vgpr7
	s_and_saveexec_b64 s[12:13], vcc
	s_xor_b64 s[12:13], exec, s[12:13]
; %bb.1685:
	v_bfe_u32 v7, v6, 21, 1
	s_mov_b32 s16, 0x80fffff
	v_add3_u32 v6, v6, v7, s16
	v_lshrrev_b32_e32 v7, 21, v6
                                        ; implicit-def: $vgpr6
; %bb.1686:
	s_andn2_saveexec_b64 s[12:13], s[12:13]
; %bb.1687:
	v_add_f32_e32 v7, 0x43000000, v6
; %bb.1688:
	s_or_b64 exec, exec, s[12:13]
                                        ; implicit-def: $vgpr6
.LBB14_1689:
	s_andn2_saveexec_b64 s[2:3], s[2:3]
; %bb.1690:
	s_mov_b32 s12, 0x7f800000
	v_mov_b32_e32 v7, 0x7c
	v_mov_b32_e32 v8, 0x7f
	v_cmp_lt_u32_e32 vcc, s12, v6
	v_cndmask_b32_e32 v7, v7, v8, vcc
; %bb.1691:
	s_or_b64 exec, exec, s[2:3]
	global_store_byte v[0:1], v7, off
.LBB14_1692:
	s_mov_b64 s[2:3], 0
	s_mov_b64 s[12:13], -1
.LBB14_1693:
	s_andn2_b64 vcc, exec, s[2:3]
	s_mov_b64 s[2:3], 0
	s_cbranch_vccnz .LBB14_1700
; %bb.1694:
	s_cmp_gt_i32 s21, 14
	s_mov_b64 s[16:17], -1
	s_cbranch_scc0 .LBB14_1698
; %bb.1695:
	s_cmp_eq_u32 s21, 15
	s_mov_b64 s[0:1], -1
	s_cbranch_scc0 .LBB14_1697
; %bb.1696:
	v_cvt_f32_ubyte0_e32 v6, v5
	v_bfe_u32 v7, v6, 16, 1
	s_movk_i32 s0, 0x7fff
	v_add3_u32 v6, v6, v7, s0
	global_store_short_d16_hi v[0:1], v6, off
	s_mov_b64 s[0:1], 0
	s_mov_b64 s[12:13], -1
.LBB14_1697:
	s_mov_b64 s[16:17], 0
.LBB14_1698:
	s_and_b64 vcc, exec, s[16:17]
	s_cbranch_vccz .LBB14_1700
; %bb.1699:
	s_cmp_lg_u32 s21, 11
	s_mov_b64 s[2:3], -1
	s_cselect_b64 s[0:1], -1, 0
.LBB14_1700:
	s_and_b64 vcc, exec, s[0:1]
	s_cbranch_vccnz .LBB14_1994
; %bb.1701:
	s_andn2_b64 vcc, exec, s[2:3]
	s_cbranch_vccnz .LBB14_1703
.LBB14_1702:
	v_mov_b32_e32 v6, 0
	v_cmp_ne_u16_sdwa s[0:1], v5, v6 src0_sel:BYTE_0 src1_sel:DWORD
	v_cndmask_b32_e64 v6, 0, 1, s[0:1]
	s_mov_b64 s[12:13], -1
	global_store_byte v[0:1], v6, off
.LBB14_1703:
	s_mov_b64 s[0:1], 0
	s_branch .LBB14_1705
.LBB14_1704:
	s_mov_b64 s[0:1], -1
	s_mov_b64 s[12:13], 0
.LBB14_1705:
	s_and_b64 vcc, exec, s[0:1]
	s_cbranch_vccz .LBB14_1744
; %bb.1706:
	s_and_b32 s2, 0xffff, s22
	s_cmp_lt_i32 s2, 5
	s_mov_b64 s[0:1], -1
	s_cbranch_scc1 .LBB14_1727
; %bb.1707:
	s_cmp_lt_i32 s2, 8
	s_cbranch_scc1 .LBB14_1717
; %bb.1708:
	s_cmp_lt_i32 s2, 9
	s_cbranch_scc1 .LBB14_1714
; %bb.1709:
	s_cmp_gt_i32 s2, 9
	s_cbranch_scc0 .LBB14_1711
; %bb.1710:
	s_mov_b32 s0, 0xffff
	v_and_b32_sdwa v6, s0, v5 dst_sel:DWORD dst_unused:UNUSED_PAD src0_sel:DWORD src1_sel:BYTE_0
	v_cvt_f64_u32_e32 v[6:7], v6
	v_mov_b32_e32 v8, 0
	v_mov_b32_e32 v9, v8
	s_mov_b64 s[0:1], 0
	global_store_dwordx4 v[0:1], v[6:9], off
.LBB14_1711:
	s_andn2_b64 vcc, exec, s[0:1]
	s_cbranch_vccnz .LBB14_1713
; %bb.1712:
	v_cvt_f32_ubyte0_e32 v6, v5
	v_mov_b32_e32 v7, 0
	global_store_dwordx2 v[0:1], v[6:7], off
.LBB14_1713:
	s_mov_b64 s[0:1], 0
.LBB14_1714:
	s_andn2_b64 vcc, exec, s[0:1]
	s_cbranch_vccnz .LBB14_1716
; %bb.1715:
	v_cvt_f16_u16_sdwa v6, v5 dst_sel:DWORD dst_unused:UNUSED_PAD src0_sel:BYTE_0
	global_store_dword v[0:1], v6, off
.LBB14_1716:
	s_mov_b64 s[0:1], 0
.LBB14_1717:
	s_andn2_b64 vcc, exec, s[0:1]
	s_cbranch_vccnz .LBB14_1726
; %bb.1718:
	s_cmp_lt_i32 s2, 6
	s_mov_b64 s[0:1], -1
	s_cbranch_scc1 .LBB14_1724
; %bb.1719:
	s_cmp_gt_i32 s2, 6
	s_cbranch_scc0 .LBB14_1721
; %bb.1720:
	s_mov_b32 s0, 0xffff
	v_and_b32_sdwa v6, s0, v5 dst_sel:DWORD dst_unused:UNUSED_PAD src0_sel:DWORD src1_sel:BYTE_0
	v_cvt_f64_u32_e32 v[6:7], v6
	s_mov_b64 s[0:1], 0
	global_store_dwordx2 v[0:1], v[6:7], off
.LBB14_1721:
	s_andn2_b64 vcc, exec, s[0:1]
	s_cbranch_vccnz .LBB14_1723
; %bb.1722:
	v_cvt_f32_ubyte0_e32 v6, v5
	global_store_dword v[0:1], v6, off
.LBB14_1723:
	s_mov_b64 s[0:1], 0
.LBB14_1724:
	s_andn2_b64 vcc, exec, s[0:1]
	s_cbranch_vccnz .LBB14_1726
; %bb.1725:
	v_cvt_f16_u16_sdwa v6, v5 dst_sel:DWORD dst_unused:UNUSED_PAD src0_sel:BYTE_0
	global_store_short v[0:1], v6, off
.LBB14_1726:
	s_mov_b64 s[0:1], 0
.LBB14_1727:
	s_andn2_b64 vcc, exec, s[0:1]
	s_cbranch_vccnz .LBB14_1743
; %bb.1728:
	s_cmp_lt_i32 s2, 2
	s_mov_b64 s[0:1], -1
	s_cbranch_scc1 .LBB14_1738
; %bb.1729:
	s_cmp_lt_i32 s2, 3
	s_cbranch_scc1 .LBB14_1735
; %bb.1730:
	s_cmp_gt_i32 s2, 3
	s_cbranch_scc0 .LBB14_1732
; %bb.1731:
	v_and_b32_e32 v6, 0xff, v5
	v_mov_b32_e32 v7, 0
	global_store_dwordx2 v[0:1], v[6:7], off
	s_mov_b64 s[0:1], 0
.LBB14_1732:
	s_andn2_b64 vcc, exec, s[0:1]
	s_cbranch_vccnz .LBB14_1734
; %bb.1733:
	v_and_b32_e32 v6, 0xff, v5
	global_store_dword v[0:1], v6, off
.LBB14_1734:
	s_mov_b64 s[0:1], 0
.LBB14_1735:
	s_andn2_b64 vcc, exec, s[0:1]
	s_cbranch_vccnz .LBB14_1737
; %bb.1736:
	v_and_b32_e32 v6, 0xff, v5
	global_store_short v[0:1], v6, off
.LBB14_1737:
	s_mov_b64 s[0:1], 0
.LBB14_1738:
	s_andn2_b64 vcc, exec, s[0:1]
	s_cbranch_vccnz .LBB14_1743
; %bb.1739:
	s_cmp_gt_i32 s2, 0
	s_mov_b64 s[0:1], -1
	s_cbranch_scc0 .LBB14_1741
; %bb.1740:
	global_store_byte v[0:1], v5, off
	s_mov_b64 s[0:1], 0
.LBB14_1741:
	s_andn2_b64 vcc, exec, s[0:1]
	s_cbranch_vccnz .LBB14_1743
; %bb.1742:
	global_store_byte v[0:1], v5, off
.LBB14_1743:
	s_mov_b64 s[12:13], -1
.LBB14_1744:
	s_andn2_b64 vcc, exec, s[12:13]
	s_cbranch_vccnz .LBB14_1940
; %bb.1745:
	v_lshlrev_b32_e32 v0, s23, v2
	v_add_u32_e32 v4, s20, v4
	v_cndmask_b32_e64 v2, v0, 0, s[10:11]
	v_ashrrev_i32_e32 v1, 31, v4
	v_mov_b32_e32 v5, s9
	v_add_co_u32_e32 v0, vcc, s8, v4
	s_cmp_lt_i32 s22, 11
	v_addc_co_u32_e32 v1, vcc, v5, v1, vcc
	s_cbranch_scc1 .LBB14_1823
; %bb.1746:
	s_and_b32 s21, 0xffff, s22
	s_mov_b64 s[16:17], -1
	s_mov_b64 s[2:3], 0
	s_cmp_gt_i32 s21, 25
	s_mov_b64 s[12:13], 0
	s_mov_b64 s[0:1], 0
	s_cbranch_scc0 .LBB14_1779
; %bb.1747:
	s_cmp_gt_i32 s21, 28
	s_cbranch_scc0 .LBB14_1762
; %bb.1748:
	s_cmp_gt_i32 s21, 43
	;; [unrolled: 3-line block ×3, first 2 shown]
	s_cbranch_scc0 .LBB14_1752
; %bb.1750:
	s_mov_b64 s[0:1], -1
	s_mov_b64 s[16:17], 0
	s_cmp_eq_u32 s21, 46
	s_cbranch_scc0 .LBB14_1752
; %bb.1751:
	v_cvt_f32_ubyte0_e32 v5, v2
	v_bfe_u32 v6, v5, 16, 1
	s_movk_i32 s0, 0x7fff
	v_add3_u32 v5, v5, v6, s0
	v_lshrrev_b32_e32 v5, 16, v5
	global_store_dword v[0:1], v5, off
	s_mov_b64 s[0:1], 0
	s_mov_b64 s[12:13], -1
.LBB14_1752:
	s_and_b64 vcc, exec, s[16:17]
	s_cbranch_vccz .LBB14_1757
; %bb.1753:
	s_cmp_eq_u32 s21, 44
	s_mov_b64 s[0:1], -1
	s_cbranch_scc0 .LBB14_1757
; %bb.1754:
	v_cvt_f32_ubyte0_e32 v6, v2
	v_lshrrev_b32_e32 v5, 23, v6
	s_movk_i32 s0, 0xff
	v_cmp_ne_u32_e32 vcc, s0, v5
	v_mov_b32_e32 v7, 0xff
	s_and_saveexec_b64 s[12:13], vcc
; %bb.1755:
	s_mov_b32 s0, 0x3fffff
	v_and_b32_e32 v7, 0x400000, v6
	v_and_or_b32 v6, v6, s0, v5
	v_cmp_ne_u32_e32 vcc, 0, v7
	v_cmp_ne_u32_e64 s[0:1], 0, v6
	s_and_b64 s[0:1], vcc, s[0:1]
	v_cndmask_b32_e64 v6, 0, 1, s[0:1]
	v_add_u32_e32 v7, v5, v6
; %bb.1756:
	s_or_b64 exec, exec, s[12:13]
	s_mov_b64 s[0:1], 0
	s_mov_b64 s[12:13], -1
	global_store_byte v[0:1], v7, off
.LBB14_1757:
	s_mov_b64 s[16:17], 0
.LBB14_1758:
	s_and_b64 vcc, exec, s[16:17]
	s_cbranch_vccz .LBB14_1761
; %bb.1759:
	s_cmp_eq_u32 s21, 29
	s_mov_b64 s[0:1], -1
	s_cbranch_scc0 .LBB14_1761
; %bb.1760:
	v_and_b32_e32 v5, 0xff, v2
	v_mov_b32_e32 v6, 0
	global_store_dwordx2 v[0:1], v[5:6], off
	s_mov_b64 s[0:1], 0
	s_mov_b64 s[12:13], -1
.LBB14_1761:
	s_mov_b64 s[16:17], 0
.LBB14_1762:
	s_and_b64 vcc, exec, s[16:17]
	s_cbranch_vccz .LBB14_1778
; %bb.1763:
	s_cmp_lt_i32 s21, 27
	s_mov_b64 s[12:13], -1
	s_cbranch_scc1 .LBB14_1769
; %bb.1764:
	s_cmp_gt_i32 s21, 27
	s_cbranch_scc0 .LBB14_1766
; %bb.1765:
	v_and_b32_e32 v5, 0xff, v2
	s_mov_b64 s[12:13], 0
	global_store_dword v[0:1], v5, off
.LBB14_1766:
	s_andn2_b64 vcc, exec, s[12:13]
	s_cbranch_vccnz .LBB14_1768
; %bb.1767:
	v_and_b32_e32 v5, 0xff, v2
	global_store_short v[0:1], v5, off
.LBB14_1768:
	s_mov_b64 s[12:13], 0
.LBB14_1769:
	s_andn2_b64 vcc, exec, s[12:13]
	s_cbranch_vccnz .LBB14_1777
; %bb.1770:
	v_cvt_f32_ubyte0_e32 v6, v2
	s_mov_b32 s12, 0x43800000
	v_cmp_gt_u32_e32 vcc, s12, v6
	v_mov_b32_e32 v7, 0x80
	s_and_saveexec_b64 s[12:13], vcc
	s_cbranch_execz .LBB14_1776
; %bb.1771:
	s_mov_b32 s16, 0x3bffffff
	v_cmp_lt_u32_e32 vcc, s16, v6
	s_mov_b64 s[16:17], 0
                                        ; implicit-def: $vgpr5
	s_and_saveexec_b64 s[18:19], vcc
	s_xor_b64 s[18:19], exec, s[18:19]
	s_cbranch_execz .LBB14_1997
; %bb.1772:
	v_bfe_u32 v5, v6, 20, 1
	s_mov_b32 s24, 0x487ffff
	v_add3_u32 v5, v6, v5, s24
	s_mov_b64 s[16:17], exec
	v_lshrrev_b32_e32 v5, 20, v5
                                        ; implicit-def: $vgpr6
	s_andn2_saveexec_b64 s[18:19], s[18:19]
	s_cbranch_execnz .LBB14_1998
.LBB14_1773:
	s_or_b64 exec, exec, s[18:19]
	v_mov_b32_e32 v7, 0
	s_and_saveexec_b64 s[18:19], s[16:17]
.LBB14_1774:
	v_mov_b32_e32 v7, v5
.LBB14_1775:
	s_or_b64 exec, exec, s[18:19]
.LBB14_1776:
	s_or_b64 exec, exec, s[12:13]
	global_store_byte v[0:1], v7, off
.LBB14_1777:
	s_mov_b64 s[12:13], -1
.LBB14_1778:
	s_mov_b64 s[16:17], 0
.LBB14_1779:
	s_and_b64 vcc, exec, s[16:17]
	s_cbranch_vccz .LBB14_1819
; %bb.1780:
	s_cmp_gt_i32 s21, 22
	s_mov_b64 s[2:3], -1
	s_cbranch_scc0 .LBB14_1812
; %bb.1781:
	s_cmp_lt_i32 s21, 24
	s_cbranch_scc1 .LBB14_1801
; %bb.1782:
	s_cmp_gt_i32 s21, 24
	s_cbranch_scc0 .LBB14_1790
; %bb.1783:
	v_cvt_f32_ubyte0_e32 v6, v2
	s_mov_b32 s2, 0x47800000
	v_cmp_gt_u32_e32 vcc, s2, v6
	v_mov_b32_e32 v7, 0x80
	s_and_saveexec_b64 s[2:3], vcc
	s_cbranch_execz .LBB14_1789
; %bb.1784:
	s_mov_b32 s12, 0x37ffffff
	v_cmp_lt_u32_e32 vcc, s12, v6
	s_mov_b64 s[12:13], 0
                                        ; implicit-def: $vgpr5
	s_and_saveexec_b64 s[16:17], vcc
	s_xor_b64 s[16:17], exec, s[16:17]
	s_cbranch_execz .LBB14_2000
; %bb.1785:
	v_bfe_u32 v5, v6, 21, 1
	s_mov_b32 s18, 0x88fffff
	v_add3_u32 v5, v6, v5, s18
	s_mov_b64 s[12:13], exec
	v_lshrrev_b32_e32 v5, 21, v5
                                        ; implicit-def: $vgpr6
	s_andn2_saveexec_b64 s[16:17], s[16:17]
	s_cbranch_execnz .LBB14_2001
.LBB14_1786:
	s_or_b64 exec, exec, s[16:17]
	v_mov_b32_e32 v7, 0
	s_and_saveexec_b64 s[16:17], s[12:13]
.LBB14_1787:
	v_mov_b32_e32 v7, v5
.LBB14_1788:
	s_or_b64 exec, exec, s[16:17]
.LBB14_1789:
	s_or_b64 exec, exec, s[2:3]
	s_mov_b64 s[2:3], 0
	global_store_byte v[0:1], v7, off
.LBB14_1790:
	s_and_b64 vcc, exec, s[2:3]
	s_cbranch_vccz .LBB14_1800
; %bb.1791:
	v_cvt_f32_ubyte0_e32 v5, v2
	s_mov_b32 s2, 0x43f00000
	v_cmp_gt_u32_e32 vcc, s2, v5
                                        ; implicit-def: $vgpr6
	s_and_saveexec_b64 s[2:3], vcc
	s_xor_b64 s[2:3], exec, s[2:3]
	s_cbranch_execz .LBB14_1797
; %bb.1792:
	s_mov_b32 s12, 0x3c7fffff
	v_cmp_lt_u32_e32 vcc, s12, v5
                                        ; implicit-def: $vgpr6
	s_and_saveexec_b64 s[12:13], vcc
	s_xor_b64 s[12:13], exec, s[12:13]
; %bb.1793:
	v_bfe_u32 v6, v5, 20, 1
	s_mov_b32 s16, 0x407ffff
	v_add3_u32 v5, v5, v6, s16
	v_lshrrev_b32_e32 v6, 20, v5
	v_and_b32_e32 v5, 0xff00000, v5
	s_mov_b32 s16, 0x7f00000
	v_mov_b32_e32 v7, 0x7e
	v_cmp_ne_u32_e32 vcc, s16, v5
	v_cndmask_b32_e32 v6, v7, v6, vcc
                                        ; implicit-def: $vgpr5
; %bb.1794:
	s_andn2_saveexec_b64 s[12:13], s[12:13]
; %bb.1795:
	v_add_f32_e32 v6, 0x46800000, v5
; %bb.1796:
	s_or_b64 exec, exec, s[12:13]
                                        ; implicit-def: $vgpr5
.LBB14_1797:
	s_andn2_saveexec_b64 s[2:3], s[2:3]
; %bb.1798:
	s_mov_b32 s12, 0x7f800000
	v_mov_b32_e32 v6, 0x7e
	v_mov_b32_e32 v7, 0x7f
	v_cmp_lt_u32_e32 vcc, s12, v5
	v_cndmask_b32_e32 v6, v6, v7, vcc
; %bb.1799:
	s_or_b64 exec, exec, s[2:3]
	global_store_byte v[0:1], v6, off
.LBB14_1800:
	s_mov_b64 s[2:3], 0
.LBB14_1801:
	s_andn2_b64 vcc, exec, s[2:3]
	s_cbranch_vccnz .LBB14_1811
; %bb.1802:
	v_cvt_f32_ubyte0_e32 v5, v2
	s_mov_b32 s2, 0x47800000
	v_cmp_gt_u32_e32 vcc, s2, v5
                                        ; implicit-def: $vgpr6
	s_and_saveexec_b64 s[2:3], vcc
	s_xor_b64 s[2:3], exec, s[2:3]
	s_cbranch_execz .LBB14_1808
; %bb.1803:
	s_mov_b32 s12, 0x387fffff
	v_cmp_lt_u32_e32 vcc, s12, v5
                                        ; implicit-def: $vgpr6
	s_and_saveexec_b64 s[12:13], vcc
	s_xor_b64 s[12:13], exec, s[12:13]
; %bb.1804:
	v_bfe_u32 v6, v5, 21, 1
	s_mov_b32 s16, 0x80fffff
	v_add3_u32 v5, v5, v6, s16
	v_lshrrev_b32_e32 v6, 21, v5
                                        ; implicit-def: $vgpr5
; %bb.1805:
	s_andn2_saveexec_b64 s[12:13], s[12:13]
; %bb.1806:
	v_add_f32_e32 v6, 0x43000000, v5
; %bb.1807:
	s_or_b64 exec, exec, s[12:13]
                                        ; implicit-def: $vgpr5
.LBB14_1808:
	s_andn2_saveexec_b64 s[2:3], s[2:3]
; %bb.1809:
	s_mov_b32 s12, 0x7f800000
	v_mov_b32_e32 v6, 0x7c
	v_mov_b32_e32 v7, 0x7f
	v_cmp_lt_u32_e32 vcc, s12, v5
	v_cndmask_b32_e32 v6, v6, v7, vcc
; %bb.1810:
	s_or_b64 exec, exec, s[2:3]
	global_store_byte v[0:1], v6, off
.LBB14_1811:
	s_mov_b64 s[2:3], 0
	s_mov_b64 s[12:13], -1
.LBB14_1812:
	s_andn2_b64 vcc, exec, s[2:3]
	s_mov_b64 s[2:3], 0
	s_cbranch_vccnz .LBB14_1819
; %bb.1813:
	s_cmp_gt_i32 s21, 14
	s_mov_b64 s[16:17], -1
	s_cbranch_scc0 .LBB14_1817
; %bb.1814:
	s_cmp_eq_u32 s21, 15
	s_mov_b64 s[0:1], -1
	s_cbranch_scc0 .LBB14_1816
; %bb.1815:
	v_cvt_f32_ubyte0_e32 v5, v2
	v_bfe_u32 v6, v5, 16, 1
	s_movk_i32 s0, 0x7fff
	v_add3_u32 v5, v5, v6, s0
	global_store_short_d16_hi v[0:1], v5, off
	s_mov_b64 s[0:1], 0
	s_mov_b64 s[12:13], -1
.LBB14_1816:
	s_mov_b64 s[16:17], 0
.LBB14_1817:
	s_and_b64 vcc, exec, s[16:17]
	s_cbranch_vccz .LBB14_1819
; %bb.1818:
	s_cmp_lg_u32 s21, 11
	s_mov_b64 s[2:3], -1
	s_cselect_b64 s[0:1], -1, 0
.LBB14_1819:
	s_and_b64 vcc, exec, s[0:1]
	s_cbranch_vccnz .LBB14_1999
; %bb.1820:
	s_andn2_b64 vcc, exec, s[2:3]
	s_cbranch_vccnz .LBB14_1822
.LBB14_1821:
	v_mov_b32_e32 v5, 0
	v_cmp_ne_u16_sdwa s[0:1], v2, v5 src0_sel:BYTE_0 src1_sel:DWORD
	v_cndmask_b32_e64 v5, 0, 1, s[0:1]
	s_mov_b64 s[12:13], -1
	global_store_byte v[0:1], v5, off
.LBB14_1822:
	s_mov_b64 s[0:1], 0
	s_branch .LBB14_1824
.LBB14_1823:
	s_mov_b64 s[0:1], -1
	s_mov_b64 s[12:13], 0
.LBB14_1824:
	s_and_b64 vcc, exec, s[0:1]
	s_cbranch_vccz .LBB14_1863
; %bb.1825:
	s_and_b32 s2, 0xffff, s22
	s_cmp_lt_i32 s2, 5
	s_mov_b64 s[0:1], -1
	s_cbranch_scc1 .LBB14_1846
; %bb.1826:
	s_cmp_lt_i32 s2, 8
	s_cbranch_scc1 .LBB14_1836
; %bb.1827:
	s_cmp_lt_i32 s2, 9
	s_cbranch_scc1 .LBB14_1833
; %bb.1828:
	s_cmp_gt_i32 s2, 9
	s_cbranch_scc0 .LBB14_1830
; %bb.1829:
	s_mov_b32 s0, 0xffff
	v_and_b32_sdwa v5, s0, v2 dst_sel:DWORD dst_unused:UNUSED_PAD src0_sel:DWORD src1_sel:BYTE_0
	v_cvt_f64_u32_e32 v[5:6], v5
	v_mov_b32_e32 v7, 0
	v_mov_b32_e32 v8, v7
	s_mov_b64 s[0:1], 0
	global_store_dwordx4 v[0:1], v[5:8], off
.LBB14_1830:
	s_andn2_b64 vcc, exec, s[0:1]
	s_cbranch_vccnz .LBB14_1832
; %bb.1831:
	v_cvt_f32_ubyte0_e32 v5, v2
	v_mov_b32_e32 v6, 0
	global_store_dwordx2 v[0:1], v[5:6], off
.LBB14_1832:
	s_mov_b64 s[0:1], 0
.LBB14_1833:
	s_andn2_b64 vcc, exec, s[0:1]
	s_cbranch_vccnz .LBB14_1835
; %bb.1834:
	v_cvt_f16_u16_sdwa v5, v2 dst_sel:DWORD dst_unused:UNUSED_PAD src0_sel:BYTE_0
	global_store_dword v[0:1], v5, off
.LBB14_1835:
	s_mov_b64 s[0:1], 0
.LBB14_1836:
	s_andn2_b64 vcc, exec, s[0:1]
	s_cbranch_vccnz .LBB14_1845
; %bb.1837:
	s_cmp_lt_i32 s2, 6
	s_mov_b64 s[0:1], -1
	s_cbranch_scc1 .LBB14_1843
; %bb.1838:
	s_cmp_gt_i32 s2, 6
	s_cbranch_scc0 .LBB14_1840
; %bb.1839:
	s_mov_b32 s0, 0xffff
	v_and_b32_sdwa v5, s0, v2 dst_sel:DWORD dst_unused:UNUSED_PAD src0_sel:DWORD src1_sel:BYTE_0
	v_cvt_f64_u32_e32 v[5:6], v5
	s_mov_b64 s[0:1], 0
	global_store_dwordx2 v[0:1], v[5:6], off
.LBB14_1840:
	s_andn2_b64 vcc, exec, s[0:1]
	s_cbranch_vccnz .LBB14_1842
; %bb.1841:
	v_cvt_f32_ubyte0_e32 v5, v2
	global_store_dword v[0:1], v5, off
.LBB14_1842:
	s_mov_b64 s[0:1], 0
.LBB14_1843:
	s_andn2_b64 vcc, exec, s[0:1]
	s_cbranch_vccnz .LBB14_1845
; %bb.1844:
	v_cvt_f16_u16_sdwa v5, v2 dst_sel:DWORD dst_unused:UNUSED_PAD src0_sel:BYTE_0
	global_store_short v[0:1], v5, off
.LBB14_1845:
	s_mov_b64 s[0:1], 0
.LBB14_1846:
	s_andn2_b64 vcc, exec, s[0:1]
	s_cbranch_vccnz .LBB14_1862
; %bb.1847:
	s_cmp_lt_i32 s2, 2
	s_mov_b64 s[0:1], -1
	s_cbranch_scc1 .LBB14_1857
; %bb.1848:
	s_cmp_lt_i32 s2, 3
	s_cbranch_scc1 .LBB14_1854
; %bb.1849:
	s_cmp_gt_i32 s2, 3
	s_cbranch_scc0 .LBB14_1851
; %bb.1850:
	v_and_b32_e32 v5, 0xff, v2
	v_mov_b32_e32 v6, 0
	global_store_dwordx2 v[0:1], v[5:6], off
	s_mov_b64 s[0:1], 0
.LBB14_1851:
	s_andn2_b64 vcc, exec, s[0:1]
	s_cbranch_vccnz .LBB14_1853
; %bb.1852:
	v_and_b32_e32 v5, 0xff, v2
	global_store_dword v[0:1], v5, off
.LBB14_1853:
	s_mov_b64 s[0:1], 0
.LBB14_1854:
	s_andn2_b64 vcc, exec, s[0:1]
	s_cbranch_vccnz .LBB14_1856
; %bb.1855:
	v_and_b32_e32 v5, 0xff, v2
	global_store_short v[0:1], v5, off
.LBB14_1856:
	s_mov_b64 s[0:1], 0
.LBB14_1857:
	s_andn2_b64 vcc, exec, s[0:1]
	s_cbranch_vccnz .LBB14_1862
; %bb.1858:
	s_cmp_gt_i32 s2, 0
	s_mov_b64 s[0:1], -1
	s_cbranch_scc0 .LBB14_1860
; %bb.1859:
	global_store_byte v[0:1], v2, off
	s_mov_b64 s[0:1], 0
.LBB14_1860:
	s_andn2_b64 vcc, exec, s[0:1]
	s_cbranch_vccnz .LBB14_1862
; %bb.1861:
	global_store_byte v[0:1], v2, off
.LBB14_1862:
	s_mov_b64 s[12:13], -1
.LBB14_1863:
	s_andn2_b64 vcc, exec, s[12:13]
	s_cbranch_vccnz .LBB14_1940
; %bb.1864:
	v_lshlrev_b32_e32 v0, s23, v3
	v_cndmask_b32_e64 v2, v0, 0, s[10:11]
	v_add_u32_e32 v0, s20, v4
	v_ashrrev_i32_e32 v1, 31, v0
	v_mov_b32_e32 v3, s9
	v_add_co_u32_e32 v0, vcc, s8, v0
	s_cmp_lt_i32 s22, 11
	v_addc_co_u32_e32 v1, vcc, v3, v1, vcc
	s_cbranch_scc1 .LBB14_1985
; %bb.1865:
	s_and_b32 s16, 0xffff, s22
	s_mov_b64 s[8:9], -1
	s_mov_b64 s[2:3], 0
	s_cmp_gt_i32 s16, 25
	s_mov_b64 s[0:1], 0
	s_cbranch_scc0 .LBB14_1898
; %bb.1866:
	s_cmp_gt_i32 s16, 28
	s_cbranch_scc0 .LBB14_1882
; %bb.1867:
	s_cmp_gt_i32 s16, 43
	;; [unrolled: 3-line block ×3, first 2 shown]
	s_cbranch_scc0 .LBB14_1872
; %bb.1869:
	s_cmp_eq_u32 s16, 46
	s_mov_b64 s[0:1], -1
	s_cbranch_scc0 .LBB14_1871
; %bb.1870:
	v_cvt_f32_ubyte0_e32 v3, v2
	v_bfe_u32 v4, v3, 16, 1
	s_movk_i32 s0, 0x7fff
	v_add3_u32 v3, v3, v4, s0
	v_lshrrev_b32_e32 v3, 16, v3
	global_store_dword v[0:1], v3, off
	s_mov_b64 s[0:1], 0
.LBB14_1871:
	s_mov_b64 s[8:9], 0
.LBB14_1872:
	s_and_b64 vcc, exec, s[8:9]
	s_cbranch_vccz .LBB14_1877
; %bb.1873:
	s_cmp_eq_u32 s16, 44
	s_mov_b64 s[0:1], -1
	s_cbranch_scc0 .LBB14_1877
; %bb.1874:
	v_cvt_f32_ubyte0_e32 v4, v2
	v_lshrrev_b32_e32 v3, 23, v4
	s_movk_i32 s0, 0xff
	v_cmp_ne_u32_e32 vcc, s0, v3
	v_mov_b32_e32 v5, 0xff
	s_and_saveexec_b64 s[8:9], vcc
; %bb.1875:
	s_mov_b32 s0, 0x3fffff
	v_and_b32_e32 v5, 0x400000, v4
	v_and_or_b32 v4, v4, s0, v3
	v_cmp_ne_u32_e32 vcc, 0, v5
	v_cmp_ne_u32_e64 s[0:1], 0, v4
	s_and_b64 s[0:1], vcc, s[0:1]
	v_cndmask_b32_e64 v4, 0, 1, s[0:1]
	v_add_u32_e32 v5, v3, v4
; %bb.1876:
	s_or_b64 exec, exec, s[8:9]
	s_mov_b64 s[0:1], 0
	global_store_byte v[0:1], v5, off
.LBB14_1877:
	s_mov_b64 s[8:9], 0
.LBB14_1878:
	s_and_b64 vcc, exec, s[8:9]
	s_cbranch_vccz .LBB14_1881
; %bb.1879:
	s_cmp_eq_u32 s16, 29
	s_mov_b64 s[0:1], -1
	s_cbranch_scc0 .LBB14_1881
; %bb.1880:
	v_and_b32_e32 v3, 0xff, v2
	v_mov_b32_e32 v4, 0
	global_store_dwordx2 v[0:1], v[3:4], off
	s_mov_b64 s[0:1], 0
.LBB14_1881:
	s_mov_b64 s[8:9], 0
.LBB14_1882:
	s_and_b64 vcc, exec, s[8:9]
	s_cbranch_vccz .LBB14_1897
; %bb.1883:
	s_cmp_lt_i32 s16, 27
	s_mov_b64 s[8:9], -1
	s_cbranch_scc1 .LBB14_1889
; %bb.1884:
	s_cmp_gt_i32 s16, 27
	s_cbranch_scc0 .LBB14_1886
; %bb.1885:
	v_and_b32_e32 v3, 0xff, v2
	global_store_dword v[0:1], v3, off
	s_mov_b64 s[8:9], 0
.LBB14_1886:
	s_andn2_b64 vcc, exec, s[8:9]
	s_cbranch_vccnz .LBB14_1888
; %bb.1887:
	v_and_b32_e32 v3, 0xff, v2
	global_store_short v[0:1], v3, off
.LBB14_1888:
	s_mov_b64 s[8:9], 0
.LBB14_1889:
	s_andn2_b64 vcc, exec, s[8:9]
	s_cbranch_vccnz .LBB14_1897
; %bb.1890:
	v_cvt_f32_ubyte0_e32 v4, v2
	s_mov_b32 s8, 0x43800000
	v_cmp_gt_u32_e32 vcc, s8, v4
	v_mov_b32_e32 v5, 0x80
	s_and_saveexec_b64 s[8:9], vcc
	s_cbranch_execz .LBB14_1896
; %bb.1891:
	s_mov_b32 s10, 0x3bffffff
	v_cmp_lt_u32_e32 vcc, s10, v4
	s_mov_b64 s[10:11], 0
                                        ; implicit-def: $vgpr3
	s_and_saveexec_b64 s[12:13], vcc
	s_xor_b64 s[12:13], exec, s[12:13]
	s_cbranch_execz .LBB14_2002
; %bb.1892:
	v_bfe_u32 v3, v4, 20, 1
	s_mov_b32 s17, 0x487ffff
	v_add3_u32 v3, v4, v3, s17
	s_mov_b64 s[10:11], exec
	v_lshrrev_b32_e32 v3, 20, v3
                                        ; implicit-def: $vgpr4
	s_andn2_saveexec_b64 s[12:13], s[12:13]
	s_cbranch_execnz .LBB14_2003
.LBB14_1893:
	s_or_b64 exec, exec, s[12:13]
	v_mov_b32_e32 v5, 0
	s_and_saveexec_b64 s[12:13], s[10:11]
.LBB14_1894:
	v_mov_b32_e32 v5, v3
.LBB14_1895:
	s_or_b64 exec, exec, s[12:13]
.LBB14_1896:
	s_or_b64 exec, exec, s[8:9]
	global_store_byte v[0:1], v5, off
.LBB14_1897:
	s_mov_b64 s[8:9], 0
.LBB14_1898:
	s_and_b64 vcc, exec, s[8:9]
	s_cbranch_vccz .LBB14_1938
; %bb.1899:
	s_cmp_gt_i32 s16, 22
	s_mov_b64 s[2:3], -1
	s_cbranch_scc0 .LBB14_1931
; %bb.1900:
	s_cmp_lt_i32 s16, 24
	s_cbranch_scc1 .LBB14_1920
; %bb.1901:
	s_cmp_gt_i32 s16, 24
	s_cbranch_scc0 .LBB14_1909
; %bb.1902:
	v_cvt_f32_ubyte0_e32 v4, v2
	s_mov_b32 s2, 0x47800000
	v_cmp_gt_u32_e32 vcc, s2, v4
	v_mov_b32_e32 v5, 0x80
	s_and_saveexec_b64 s[2:3], vcc
	s_cbranch_execz .LBB14_1908
; %bb.1903:
	s_mov_b32 s8, 0x37ffffff
	v_cmp_lt_u32_e32 vcc, s8, v4
	s_mov_b64 s[8:9], 0
                                        ; implicit-def: $vgpr3
	s_and_saveexec_b64 s[10:11], vcc
	s_xor_b64 s[10:11], exec, s[10:11]
	s_cbranch_execz .LBB14_2005
; %bb.1904:
	v_bfe_u32 v3, v4, 21, 1
	s_mov_b32 s12, 0x88fffff
	v_add3_u32 v3, v4, v3, s12
	s_mov_b64 s[8:9], exec
	v_lshrrev_b32_e32 v3, 21, v3
                                        ; implicit-def: $vgpr4
	s_andn2_saveexec_b64 s[10:11], s[10:11]
	s_cbranch_execnz .LBB14_2006
.LBB14_1905:
	s_or_b64 exec, exec, s[10:11]
	v_mov_b32_e32 v5, 0
	s_and_saveexec_b64 s[10:11], s[8:9]
.LBB14_1906:
	v_mov_b32_e32 v5, v3
.LBB14_1907:
	s_or_b64 exec, exec, s[10:11]
.LBB14_1908:
	s_or_b64 exec, exec, s[2:3]
	s_mov_b64 s[2:3], 0
	global_store_byte v[0:1], v5, off
.LBB14_1909:
	s_and_b64 vcc, exec, s[2:3]
	s_cbranch_vccz .LBB14_1919
; %bb.1910:
	v_cvt_f32_ubyte0_e32 v3, v2
	s_mov_b32 s2, 0x43f00000
	v_cmp_gt_u32_e32 vcc, s2, v3
                                        ; implicit-def: $vgpr4
	s_and_saveexec_b64 s[2:3], vcc
	s_xor_b64 s[2:3], exec, s[2:3]
	s_cbranch_execz .LBB14_1916
; %bb.1911:
	s_mov_b32 s8, 0x3c7fffff
	v_cmp_lt_u32_e32 vcc, s8, v3
                                        ; implicit-def: $vgpr4
	s_and_saveexec_b64 s[8:9], vcc
	s_xor_b64 s[8:9], exec, s[8:9]
; %bb.1912:
	v_bfe_u32 v4, v3, 20, 1
	s_mov_b32 s10, 0x407ffff
	v_add3_u32 v3, v3, v4, s10
	v_lshrrev_b32_e32 v4, 20, v3
	v_and_b32_e32 v3, 0xff00000, v3
	s_mov_b32 s10, 0x7f00000
	v_mov_b32_e32 v5, 0x7e
	v_cmp_ne_u32_e32 vcc, s10, v3
	v_cndmask_b32_e32 v4, v5, v4, vcc
                                        ; implicit-def: $vgpr3
; %bb.1913:
	s_andn2_saveexec_b64 s[8:9], s[8:9]
; %bb.1914:
	v_add_f32_e32 v4, 0x46800000, v3
; %bb.1915:
	s_or_b64 exec, exec, s[8:9]
                                        ; implicit-def: $vgpr3
.LBB14_1916:
	s_andn2_saveexec_b64 s[2:3], s[2:3]
; %bb.1917:
	s_mov_b32 s8, 0x7f800000
	v_mov_b32_e32 v4, 0x7e
	v_mov_b32_e32 v5, 0x7f
	v_cmp_lt_u32_e32 vcc, s8, v3
	v_cndmask_b32_e32 v4, v4, v5, vcc
; %bb.1918:
	s_or_b64 exec, exec, s[2:3]
	global_store_byte v[0:1], v4, off
.LBB14_1919:
	s_mov_b64 s[2:3], 0
.LBB14_1920:
	s_andn2_b64 vcc, exec, s[2:3]
	s_cbranch_vccnz .LBB14_1930
; %bb.1921:
	v_cvt_f32_ubyte0_e32 v3, v2
	s_mov_b32 s2, 0x47800000
	v_cmp_gt_u32_e32 vcc, s2, v3
                                        ; implicit-def: $vgpr4
	s_and_saveexec_b64 s[2:3], vcc
	s_xor_b64 s[2:3], exec, s[2:3]
	s_cbranch_execz .LBB14_1927
; %bb.1922:
	s_mov_b32 s8, 0x387fffff
	v_cmp_lt_u32_e32 vcc, s8, v3
                                        ; implicit-def: $vgpr4
	s_and_saveexec_b64 s[8:9], vcc
	s_xor_b64 s[8:9], exec, s[8:9]
; %bb.1923:
	v_bfe_u32 v4, v3, 21, 1
	s_mov_b32 s10, 0x80fffff
	v_add3_u32 v3, v3, v4, s10
	v_lshrrev_b32_e32 v4, 21, v3
                                        ; implicit-def: $vgpr3
; %bb.1924:
	s_andn2_saveexec_b64 s[8:9], s[8:9]
; %bb.1925:
	v_add_f32_e32 v4, 0x43000000, v3
; %bb.1926:
	s_or_b64 exec, exec, s[8:9]
                                        ; implicit-def: $vgpr3
.LBB14_1927:
	s_andn2_saveexec_b64 s[2:3], s[2:3]
; %bb.1928:
	s_mov_b32 s8, 0x7f800000
	v_mov_b32_e32 v4, 0x7c
	v_mov_b32_e32 v5, 0x7f
	v_cmp_lt_u32_e32 vcc, s8, v3
	v_cndmask_b32_e32 v4, v4, v5, vcc
; %bb.1929:
	s_or_b64 exec, exec, s[2:3]
	global_store_byte v[0:1], v4, off
.LBB14_1930:
	s_mov_b64 s[2:3], 0
.LBB14_1931:
	s_andn2_b64 vcc, exec, s[2:3]
	s_mov_b64 s[2:3], 0
	s_cbranch_vccnz .LBB14_1938
; %bb.1932:
	s_cmp_gt_i32 s16, 14
	s_mov_b64 s[8:9], -1
	s_cbranch_scc0 .LBB14_1936
; %bb.1933:
	s_cmp_eq_u32 s16, 15
	s_mov_b64 s[0:1], -1
	s_cbranch_scc0 .LBB14_1935
; %bb.1934:
	v_cvt_f32_ubyte0_e32 v3, v2
	v_bfe_u32 v4, v3, 16, 1
	s_movk_i32 s0, 0x7fff
	v_add3_u32 v3, v3, v4, s0
	global_store_short_d16_hi v[0:1], v3, off
	s_mov_b64 s[0:1], 0
.LBB14_1935:
	s_mov_b64 s[8:9], 0
.LBB14_1936:
	s_and_b64 vcc, exec, s[8:9]
	s_cbranch_vccz .LBB14_1938
; %bb.1937:
	s_cmp_lg_u32 s16, 11
	s_mov_b64 s[2:3], -1
	s_cselect_b64 s[0:1], -1, 0
.LBB14_1938:
	s_and_b64 vcc, exec, s[0:1]
	s_cbranch_vccnz .LBB14_2004
.LBB14_1939:
	s_mov_b64 s[0:1], 0
	s_branch .LBB14_1941
.LBB14_1940:
	s_mov_b64 s[0:1], 0
	s_mov_b64 s[2:3], 0
                                        ; implicit-def: $sgpr22
                                        ; implicit-def: $vgpr0_vgpr1
                                        ; implicit-def: $vgpr2
.LBB14_1941:
	s_and_b64 s[12:13], s[2:3], exec
	s_andn2_b64 s[2:3], s[6:7], exec
	s_and_b64 s[6:7], s[14:15], exec
	s_and_b64 s[0:1], s[0:1], exec
	s_or_b64 s[6:7], s[2:3], s[6:7]
.LBB14_1942:
	s_or_b64 exec, exec, s[4:5]
	s_and_saveexec_b64 s[2:3], s[6:7]
	s_cbranch_execz .LBB14_1945
; %bb.1943:
	; divergent unreachable
	s_or_b64 exec, exec, s[2:3]
	s_and_saveexec_b64 s[2:3], s[12:13]
	s_xor_b64 s[2:3], exec, s[2:3]
	s_cbranch_execnz .LBB14_1946
.LBB14_1944:
	s_or_b64 exec, exec, s[2:3]
	s_and_saveexec_b64 s[2:3], s[0:1]
	s_cbranch_execnz .LBB14_1947
	s_branch .LBB14_1984
.LBB14_1945:
	s_or_b64 exec, exec, s[2:3]
	s_and_saveexec_b64 s[2:3], s[12:13]
	s_xor_b64 s[2:3], exec, s[2:3]
	s_cbranch_execz .LBB14_1944
.LBB14_1946:
	s_waitcnt vmcnt(0)
	v_mov_b32_e32 v3, 0
	v_cmp_ne_u16_sdwa s[4:5], v2, v3 src0_sel:BYTE_0 src1_sel:DWORD
	v_cndmask_b32_e64 v3, 0, 1, s[4:5]
	global_store_byte v[0:1], v3, off
	s_or_b64 exec, exec, s[2:3]
	s_and_saveexec_b64 s[2:3], s[0:1]
	s_cbranch_execz .LBB14_1984
.LBB14_1947:
	s_sext_i32_i16 s2, s22
	s_cmp_lt_i32 s2, 5
	s_mov_b64 s[0:1], -1
	s_cbranch_scc1 .LBB14_1968
; %bb.1948:
	s_cmp_lt_i32 s2, 8
	s_cbranch_scc1 .LBB14_1958
; %bb.1949:
	s_cmp_lt_i32 s2, 9
	s_cbranch_scc1 .LBB14_1955
; %bb.1950:
	s_cmp_gt_i32 s2, 9
	s_cbranch_scc0 .LBB14_1952
; %bb.1951:
	s_mov_b32 s0, 0xffff
	s_waitcnt vmcnt(0)
	v_and_b32_sdwa v3, s0, v2 dst_sel:DWORD dst_unused:UNUSED_PAD src0_sel:DWORD src1_sel:BYTE_0
	v_cvt_f64_u32_e32 v[3:4], v3
	v_mov_b32_e32 v5, 0
	v_mov_b32_e32 v6, v5
	s_mov_b64 s[0:1], 0
	global_store_dwordx4 v[0:1], v[3:6], off
.LBB14_1952:
	s_andn2_b64 vcc, exec, s[0:1]
	s_cbranch_vccnz .LBB14_1954
; %bb.1953:
	s_waitcnt vmcnt(0)
	v_cvt_f32_ubyte0_e32 v3, v2
	v_mov_b32_e32 v4, 0
	global_store_dwordx2 v[0:1], v[3:4], off
.LBB14_1954:
	s_mov_b64 s[0:1], 0
.LBB14_1955:
	s_andn2_b64 vcc, exec, s[0:1]
	s_cbranch_vccnz .LBB14_1957
; %bb.1956:
	s_waitcnt vmcnt(0)
	v_cvt_f16_u16_sdwa v3, v2 dst_sel:DWORD dst_unused:UNUSED_PAD src0_sel:BYTE_0
	global_store_dword v[0:1], v3, off
.LBB14_1957:
	s_mov_b64 s[0:1], 0
.LBB14_1958:
	s_andn2_b64 vcc, exec, s[0:1]
	s_cbranch_vccnz .LBB14_1967
; %bb.1959:
	s_sext_i32_i16 s2, s22
	s_cmp_lt_i32 s2, 6
	s_mov_b64 s[0:1], -1
	s_cbranch_scc1 .LBB14_1965
; %bb.1960:
	s_cmp_gt_i32 s2, 6
	s_cbranch_scc0 .LBB14_1962
; %bb.1961:
	s_mov_b32 s0, 0xffff
	s_waitcnt vmcnt(0)
	v_and_b32_sdwa v3, s0, v2 dst_sel:DWORD dst_unused:UNUSED_PAD src0_sel:DWORD src1_sel:BYTE_0
	v_cvt_f64_u32_e32 v[3:4], v3
	s_mov_b64 s[0:1], 0
	global_store_dwordx2 v[0:1], v[3:4], off
.LBB14_1962:
	s_andn2_b64 vcc, exec, s[0:1]
	s_cbranch_vccnz .LBB14_1964
; %bb.1963:
	s_waitcnt vmcnt(0)
	v_cvt_f32_ubyte0_e32 v3, v2
	global_store_dword v[0:1], v3, off
.LBB14_1964:
	s_mov_b64 s[0:1], 0
.LBB14_1965:
	s_andn2_b64 vcc, exec, s[0:1]
	s_cbranch_vccnz .LBB14_1967
; %bb.1966:
	s_waitcnt vmcnt(0)
	v_cvt_f16_u16_sdwa v3, v2 dst_sel:DWORD dst_unused:UNUSED_PAD src0_sel:BYTE_0
	global_store_short v[0:1], v3, off
.LBB14_1967:
	s_mov_b64 s[0:1], 0
.LBB14_1968:
	s_andn2_b64 vcc, exec, s[0:1]
	s_cbranch_vccnz .LBB14_1984
; %bb.1969:
	s_sext_i32_i16 s2, s22
	s_cmp_lt_i32 s2, 2
	s_mov_b64 s[0:1], -1
	s_cbranch_scc1 .LBB14_1979
; %bb.1970:
	s_cmp_lt_i32 s2, 3
	s_cbranch_scc1 .LBB14_1976
; %bb.1971:
	s_cmp_gt_i32 s2, 3
	s_cbranch_scc0 .LBB14_1973
; %bb.1972:
	s_waitcnt vmcnt(0)
	v_and_b32_e32 v3, 0xff, v2
	v_mov_b32_e32 v4, 0
	global_store_dwordx2 v[0:1], v[3:4], off
	s_mov_b64 s[0:1], 0
.LBB14_1973:
	s_andn2_b64 vcc, exec, s[0:1]
	s_cbranch_vccnz .LBB14_1975
; %bb.1974:
	s_waitcnt vmcnt(0)
	v_and_b32_e32 v3, 0xff, v2
	global_store_dword v[0:1], v3, off
.LBB14_1975:
	s_mov_b64 s[0:1], 0
.LBB14_1976:
	s_andn2_b64 vcc, exec, s[0:1]
	s_cbranch_vccnz .LBB14_1978
; %bb.1977:
	s_waitcnt vmcnt(0)
	v_and_b32_e32 v3, 0xff, v2
	global_store_short v[0:1], v3, off
.LBB14_1978:
	s_mov_b64 s[0:1], 0
.LBB14_1979:
	s_andn2_b64 vcc, exec, s[0:1]
	s_cbranch_vccnz .LBB14_1984
; %bb.1980:
	s_sext_i32_i16 s0, s22
	s_cmp_gt_i32 s0, 0
	s_mov_b64 s[0:1], -1
	s_cbranch_scc0 .LBB14_1982
; %bb.1981:
	s_waitcnt vmcnt(0)
	global_store_byte v[0:1], v2, off
	s_mov_b64 s[0:1], 0
.LBB14_1982:
	s_andn2_b64 vcc, exec, s[0:1]
	s_cbranch_vccnz .LBB14_1984
; %bb.1983:
	s_waitcnt vmcnt(0)
	global_store_byte v[0:1], v2, off
	s_endpgm
.LBB14_1984:
	s_endpgm
.LBB14_1985:
	s_mov_b64 s[2:3], 0
	s_mov_b64 s[0:1], -1
	s_branch .LBB14_1941
.LBB14_1986:
	s_trap 2
	s_or_b64 s[14:15], s[14:15], exec
	s_cbranch_execz .LBB14_1455
	s_branch .LBB14_1456
.LBB14_1987:
	s_andn2_saveexec_b64 s[20:21], s[20:21]
	s_cbranch_execz .LBB14_1535
.LBB14_1988:
	v_add_f32_e32 v7, 0x46000000, v8
	v_and_b32_e32 v7, 0xff, v7
	v_cmp_ne_u32_e32 vcc, 0, v7
	s_andn2_b64 s[18:19], s[18:19], exec
	s_and_b64 s[24:25], vcc, exec
	s_or_b64 s[18:19], s[18:19], s[24:25]
	s_or_b64 exec, exec, s[20:21]
	v_mov_b32_e32 v9, 0
	s_and_saveexec_b64 s[20:21], s[18:19]
	s_cbranch_execnz .LBB14_1536
	s_branch .LBB14_1537
.LBB14_1989:
	s_trap 2
	s_or_b64 s[14:15], s[14:15], exec
	s_cbranch_execz .LBB14_1583
	s_branch .LBB14_1584
.LBB14_1990:
	s_andn2_saveexec_b64 s[18:19], s[18:19]
	s_cbranch_execz .LBB14_1548
.LBB14_1991:
	v_add_f32_e32 v7, 0x42800000, v8
	v_and_b32_e32 v7, 0xff, v7
	v_cmp_ne_u32_e32 vcc, 0, v7
	s_andn2_b64 s[16:17], s[16:17], exec
	s_and_b64 s[20:21], vcc, exec
	s_or_b64 s[16:17], s[16:17], s[20:21]
	s_or_b64 exec, exec, s[18:19]
	v_mov_b32_e32 v9, 0
	s_and_saveexec_b64 s[18:19], s[16:17]
	s_cbranch_execnz .LBB14_1549
	s_branch .LBB14_1550
.LBB14_1992:
	s_andn2_saveexec_b64 s[18:19], s[18:19]
	s_cbranch_execz .LBB14_1654
.LBB14_1993:
	v_add_f32_e32 v6, 0x46000000, v7
	v_and_b32_e32 v6, 0xff, v6
	v_cmp_ne_u32_e32 vcc, 0, v6
	s_andn2_b64 s[16:17], s[16:17], exec
	s_and_b64 s[24:25], vcc, exec
	s_or_b64 s[16:17], s[16:17], s[24:25]
	s_or_b64 exec, exec, s[18:19]
	v_mov_b32_e32 v8, 0
	s_and_saveexec_b64 s[18:19], s[16:17]
	s_cbranch_execnz .LBB14_1655
	s_branch .LBB14_1656
.LBB14_1994:
	s_trap 2
	s_or_b64 s[14:15], s[14:15], exec
	s_cbranch_execz .LBB14_1702
	s_branch .LBB14_1703
.LBB14_1995:
	s_andn2_saveexec_b64 s[16:17], s[16:17]
	s_cbranch_execz .LBB14_1667
.LBB14_1996:
	v_add_f32_e32 v6, 0x42800000, v7
	v_and_b32_e32 v6, 0xff, v6
	v_cmp_ne_u32_e32 vcc, 0, v6
	s_andn2_b64 s[12:13], s[12:13], exec
	s_and_b64 s[18:19], vcc, exec
	s_or_b64 s[12:13], s[12:13], s[18:19]
	s_or_b64 exec, exec, s[16:17]
	v_mov_b32_e32 v8, 0
	s_and_saveexec_b64 s[16:17], s[12:13]
	s_cbranch_execnz .LBB14_1668
	s_branch .LBB14_1669
.LBB14_1997:
	s_andn2_saveexec_b64 s[18:19], s[18:19]
	s_cbranch_execz .LBB14_1773
.LBB14_1998:
	v_add_f32_e32 v5, 0x46000000, v6
	v_and_b32_e32 v5, 0xff, v5
	v_cmp_ne_u32_e32 vcc, 0, v5
	s_andn2_b64 s[16:17], s[16:17], exec
	s_and_b64 s[24:25], vcc, exec
	s_or_b64 s[16:17], s[16:17], s[24:25]
	s_or_b64 exec, exec, s[18:19]
	v_mov_b32_e32 v7, 0
	s_and_saveexec_b64 s[18:19], s[16:17]
	s_cbranch_execnz .LBB14_1774
	s_branch .LBB14_1775
.LBB14_1999:
	s_trap 2
	s_or_b64 s[14:15], s[14:15], exec
	s_cbranch_execz .LBB14_1821
	s_branch .LBB14_1822
.LBB14_2000:
	s_andn2_saveexec_b64 s[16:17], s[16:17]
	s_cbranch_execz .LBB14_1786
.LBB14_2001:
	v_add_f32_e32 v5, 0x42800000, v6
	v_and_b32_e32 v5, 0xff, v5
	v_cmp_ne_u32_e32 vcc, 0, v5
	s_andn2_b64 s[12:13], s[12:13], exec
	s_and_b64 s[18:19], vcc, exec
	s_or_b64 s[12:13], s[12:13], s[18:19]
	s_or_b64 exec, exec, s[16:17]
	v_mov_b32_e32 v7, 0
	s_and_saveexec_b64 s[16:17], s[12:13]
	s_cbranch_execnz .LBB14_1787
	s_branch .LBB14_1788
.LBB14_2002:
	s_andn2_saveexec_b64 s[12:13], s[12:13]
	s_cbranch_execz .LBB14_1893
.LBB14_2003:
	v_add_f32_e32 v3, 0x46000000, v4
	v_and_b32_e32 v3, 0xff, v3
	v_cmp_ne_u32_e32 vcc, 0, v3
	s_andn2_b64 s[10:11], s[10:11], exec
	s_and_b64 s[18:19], vcc, exec
	s_or_b64 s[10:11], s[10:11], s[18:19]
	s_or_b64 exec, exec, s[12:13]
	v_mov_b32_e32 v5, 0
	s_and_saveexec_b64 s[12:13], s[10:11]
	s_cbranch_execnz .LBB14_1894
	s_branch .LBB14_1895
.LBB14_2004:
	s_mov_b64 s[2:3], 0
	s_or_b64 s[14:15], s[14:15], exec
	s_trap 2
	s_branch .LBB14_1939
.LBB14_2005:
	s_andn2_saveexec_b64 s[10:11], s[10:11]
	s_cbranch_execz .LBB14_1905
.LBB14_2006:
	v_add_f32_e32 v3, 0x42800000, v4
	v_and_b32_e32 v3, 0xff, v3
	v_cmp_ne_u32_e32 vcc, 0, v3
	s_andn2_b64 s[8:9], s[8:9], exec
	s_and_b64 s[12:13], vcc, exec
	s_or_b64 s[8:9], s[8:9], s[12:13]
	s_or_b64 exec, exec, s[10:11]
	v_mov_b32_e32 v5, 0
	s_and_saveexec_b64 s[10:11], s[8:9]
	s_cbranch_execnz .LBB14_1906
	s_branch .LBB14_1907
	.section	.rodata,"a",@progbits
	.p2align	6, 0x0
	.amdhsa_kernel _ZN2at6native32elementwise_kernel_manual_unrollILi128ELi4EZNS0_15gpu_kernel_implINS0_13BUnaryFunctorIhhhZZZNS0_18lshift_kernel_cudaERNS_18TensorIteratorBaseEENKUlvE_clEvENKUlvE_clEvEUlhhE_EEEEvS5_RKT_EUlibE_EEviT1_
		.amdhsa_group_segment_fixed_size 0
		.amdhsa_private_segment_fixed_size 0
		.amdhsa_kernarg_size 40
		.amdhsa_user_sgpr_count 6
		.amdhsa_user_sgpr_private_segment_buffer 1
		.amdhsa_user_sgpr_dispatch_ptr 0
		.amdhsa_user_sgpr_queue_ptr 0
		.amdhsa_user_sgpr_kernarg_segment_ptr 1
		.amdhsa_user_sgpr_dispatch_id 0
		.amdhsa_user_sgpr_flat_scratch_init 0
		.amdhsa_user_sgpr_private_segment_size 0
		.amdhsa_uses_dynamic_stack 0
		.amdhsa_system_sgpr_private_segment_wavefront_offset 0
		.amdhsa_system_sgpr_workgroup_id_x 1
		.amdhsa_system_sgpr_workgroup_id_y 0
		.amdhsa_system_sgpr_workgroup_id_z 0
		.amdhsa_system_sgpr_workgroup_info 0
		.amdhsa_system_vgpr_workitem_id 0
		.amdhsa_next_free_vgpr 12
		.amdhsa_next_free_sgpr 50
		.amdhsa_reserve_vcc 1
		.amdhsa_reserve_flat_scratch 0
		.amdhsa_float_round_mode_32 0
		.amdhsa_float_round_mode_16_64 0
		.amdhsa_float_denorm_mode_32 3
		.amdhsa_float_denorm_mode_16_64 3
		.amdhsa_dx10_clamp 1
		.amdhsa_ieee_mode 1
		.amdhsa_fp16_overflow 0
		.amdhsa_exception_fp_ieee_invalid_op 0
		.amdhsa_exception_fp_denorm_src 0
		.amdhsa_exception_fp_ieee_div_zero 0
		.amdhsa_exception_fp_ieee_overflow 0
		.amdhsa_exception_fp_ieee_underflow 0
		.amdhsa_exception_fp_ieee_inexact 0
		.amdhsa_exception_int_div_zero 0
	.end_amdhsa_kernel
	.section	.text._ZN2at6native32elementwise_kernel_manual_unrollILi128ELi4EZNS0_15gpu_kernel_implINS0_13BUnaryFunctorIhhhZZZNS0_18lshift_kernel_cudaERNS_18TensorIteratorBaseEENKUlvE_clEvENKUlvE_clEvEUlhhE_EEEEvS5_RKT_EUlibE_EEviT1_,"axG",@progbits,_ZN2at6native32elementwise_kernel_manual_unrollILi128ELi4EZNS0_15gpu_kernel_implINS0_13BUnaryFunctorIhhhZZZNS0_18lshift_kernel_cudaERNS_18TensorIteratorBaseEENKUlvE_clEvENKUlvE_clEvEUlhhE_EEEEvS5_RKT_EUlibE_EEviT1_,comdat
.Lfunc_end14:
	.size	_ZN2at6native32elementwise_kernel_manual_unrollILi128ELi4EZNS0_15gpu_kernel_implINS0_13BUnaryFunctorIhhhZZZNS0_18lshift_kernel_cudaERNS_18TensorIteratorBaseEENKUlvE_clEvENKUlvE_clEvEUlhhE_EEEEvS5_RKT_EUlibE_EEviT1_, .Lfunc_end14-_ZN2at6native32elementwise_kernel_manual_unrollILi128ELi4EZNS0_15gpu_kernel_implINS0_13BUnaryFunctorIhhhZZZNS0_18lshift_kernel_cudaERNS_18TensorIteratorBaseEENKUlvE_clEvENKUlvE_clEvEUlhhE_EEEEvS5_RKT_EUlibE_EEviT1_
                                        ; -- End function
	.set _ZN2at6native32elementwise_kernel_manual_unrollILi128ELi4EZNS0_15gpu_kernel_implINS0_13BUnaryFunctorIhhhZZZNS0_18lshift_kernel_cudaERNS_18TensorIteratorBaseEENKUlvE_clEvENKUlvE_clEvEUlhhE_EEEEvS5_RKT_EUlibE_EEviT1_.num_vgpr, 12
	.set _ZN2at6native32elementwise_kernel_manual_unrollILi128ELi4EZNS0_15gpu_kernel_implINS0_13BUnaryFunctorIhhhZZZNS0_18lshift_kernel_cudaERNS_18TensorIteratorBaseEENKUlvE_clEvENKUlvE_clEvEUlhhE_EEEEvS5_RKT_EUlibE_EEviT1_.num_agpr, 0
	.set _ZN2at6native32elementwise_kernel_manual_unrollILi128ELi4EZNS0_15gpu_kernel_implINS0_13BUnaryFunctorIhhhZZZNS0_18lshift_kernel_cudaERNS_18TensorIteratorBaseEENKUlvE_clEvENKUlvE_clEvEUlhhE_EEEEvS5_RKT_EUlibE_EEviT1_.numbered_sgpr, 50
	.set _ZN2at6native32elementwise_kernel_manual_unrollILi128ELi4EZNS0_15gpu_kernel_implINS0_13BUnaryFunctorIhhhZZZNS0_18lshift_kernel_cudaERNS_18TensorIteratorBaseEENKUlvE_clEvENKUlvE_clEvEUlhhE_EEEEvS5_RKT_EUlibE_EEviT1_.num_named_barrier, 0
	.set _ZN2at6native32elementwise_kernel_manual_unrollILi128ELi4EZNS0_15gpu_kernel_implINS0_13BUnaryFunctorIhhhZZZNS0_18lshift_kernel_cudaERNS_18TensorIteratorBaseEENKUlvE_clEvENKUlvE_clEvEUlhhE_EEEEvS5_RKT_EUlibE_EEviT1_.private_seg_size, 0
	.set _ZN2at6native32elementwise_kernel_manual_unrollILi128ELi4EZNS0_15gpu_kernel_implINS0_13BUnaryFunctorIhhhZZZNS0_18lshift_kernel_cudaERNS_18TensorIteratorBaseEENKUlvE_clEvENKUlvE_clEvEUlhhE_EEEEvS5_RKT_EUlibE_EEviT1_.uses_vcc, 1
	.set _ZN2at6native32elementwise_kernel_manual_unrollILi128ELi4EZNS0_15gpu_kernel_implINS0_13BUnaryFunctorIhhhZZZNS0_18lshift_kernel_cudaERNS_18TensorIteratorBaseEENKUlvE_clEvENKUlvE_clEvEUlhhE_EEEEvS5_RKT_EUlibE_EEviT1_.uses_flat_scratch, 0
	.set _ZN2at6native32elementwise_kernel_manual_unrollILi128ELi4EZNS0_15gpu_kernel_implINS0_13BUnaryFunctorIhhhZZZNS0_18lshift_kernel_cudaERNS_18TensorIteratorBaseEENKUlvE_clEvENKUlvE_clEvEUlhhE_EEEEvS5_RKT_EUlibE_EEviT1_.has_dyn_sized_stack, 0
	.set _ZN2at6native32elementwise_kernel_manual_unrollILi128ELi4EZNS0_15gpu_kernel_implINS0_13BUnaryFunctorIhhhZZZNS0_18lshift_kernel_cudaERNS_18TensorIteratorBaseEENKUlvE_clEvENKUlvE_clEvEUlhhE_EEEEvS5_RKT_EUlibE_EEviT1_.has_recursion, 0
	.set _ZN2at6native32elementwise_kernel_manual_unrollILi128ELi4EZNS0_15gpu_kernel_implINS0_13BUnaryFunctorIhhhZZZNS0_18lshift_kernel_cudaERNS_18TensorIteratorBaseEENKUlvE_clEvENKUlvE_clEvEUlhhE_EEEEvS5_RKT_EUlibE_EEviT1_.has_indirect_call, 0
	.section	.AMDGPU.csdata,"",@progbits
; Kernel info:
; codeLenInByte = 33616
; TotalNumSgprs: 54
; NumVgprs: 12
; ScratchSize: 0
; MemoryBound: 1
; FloatMode: 240
; IeeeMode: 1
; LDSByteSize: 0 bytes/workgroup (compile time only)
; SGPRBlocks: 6
; VGPRBlocks: 2
; NumSGPRsForWavesPerEU: 54
; NumVGPRsForWavesPerEU: 12
; Occupancy: 10
; WaveLimiterHint : 0
; COMPUTE_PGM_RSRC2:SCRATCH_EN: 0
; COMPUTE_PGM_RSRC2:USER_SGPR: 6
; COMPUTE_PGM_RSRC2:TRAP_HANDLER: 0
; COMPUTE_PGM_RSRC2:TGID_X_EN: 1
; COMPUTE_PGM_RSRC2:TGID_Y_EN: 0
; COMPUTE_PGM_RSRC2:TGID_Z_EN: 0
; COMPUTE_PGM_RSRC2:TIDIG_COMP_CNT: 0
	.section	.text._ZN2at6native32elementwise_kernel_manual_unrollILi128ELi4EZNS0_15gpu_kernel_implINS0_13BUnaryFunctorIhhhZZZNS0_18lshift_kernel_cudaERNS_18TensorIteratorBaseEENKUlvE_clEvENKUlvE_clEvEUlhhE_EEEEvS5_RKT_EUlibE0_EEviT1_,"axG",@progbits,_ZN2at6native32elementwise_kernel_manual_unrollILi128ELi4EZNS0_15gpu_kernel_implINS0_13BUnaryFunctorIhhhZZZNS0_18lshift_kernel_cudaERNS_18TensorIteratorBaseEENKUlvE_clEvENKUlvE_clEvEUlhhE_EEEEvS5_RKT_EUlibE0_EEviT1_,comdat
	.globl	_ZN2at6native32elementwise_kernel_manual_unrollILi128ELi4EZNS0_15gpu_kernel_implINS0_13BUnaryFunctorIhhhZZZNS0_18lshift_kernel_cudaERNS_18TensorIteratorBaseEENKUlvE_clEvENKUlvE_clEvEUlhhE_EEEEvS5_RKT_EUlibE0_EEviT1_ ; -- Begin function _ZN2at6native32elementwise_kernel_manual_unrollILi128ELi4EZNS0_15gpu_kernel_implINS0_13BUnaryFunctorIhhhZZZNS0_18lshift_kernel_cudaERNS_18TensorIteratorBaseEENKUlvE_clEvENKUlvE_clEvEUlhhE_EEEEvS5_RKT_EUlibE0_EEviT1_
	.p2align	8
	.type	_ZN2at6native32elementwise_kernel_manual_unrollILi128ELi4EZNS0_15gpu_kernel_implINS0_13BUnaryFunctorIhhhZZZNS0_18lshift_kernel_cudaERNS_18TensorIteratorBaseEENKUlvE_clEvENKUlvE_clEvEUlhhE_EEEEvS5_RKT_EUlibE0_EEviT1_,@function
_ZN2at6native32elementwise_kernel_manual_unrollILi128ELi4EZNS0_15gpu_kernel_implINS0_13BUnaryFunctorIhhhZZZNS0_18lshift_kernel_cudaERNS_18TensorIteratorBaseEENKUlvE_clEvENKUlvE_clEvEUlhhE_EEEEvS5_RKT_EUlibE0_EEviT1_: ; @_ZN2at6native32elementwise_kernel_manual_unrollILi128ELi4EZNS0_15gpu_kernel_implINS0_13BUnaryFunctorIhhhZZZNS0_18lshift_kernel_cudaERNS_18TensorIteratorBaseEENKUlvE_clEvENKUlvE_clEvEUlhhE_EEEEvS5_RKT_EUlibE0_EEviT1_
; %bb.0:
	s_load_dword s72, s[4:5], 0x0
	s_load_dword s33, s[4:5], 0x8
	s_add_u32 s34, s4, 8
	s_addc_u32 s35, s5, 0
	v_lshl_or_b32 v11, s6, 9, v0
	v_or_b32_e32 v13, 0x180, v11
	s_waitcnt lgkmcnt(0)
	s_add_i32 s74, s33, -1
	s_cmp_gt_u32 s74, 1
	v_cmp_le_i32_e32 vcc, s72, v13
	s_cselect_b64 s[40:41], -1, 0
	s_mov_b64 s[6:7], 0
	s_mov_b64 s[28:29], 0
	s_and_saveexec_b64 s[0:1], vcc
	s_xor_b64 s[42:43], exec, s[0:1]
	s_cbranch_execz .LBB15_1070
; %bb.1:
	v_mov_b32_e32 v0, 0
	global_load_ushort v1, v0, s[34:35] offset:345
	global_load_sbyte v2, v0, s[34:35] offset:347
	s_cmp_lg_u32 s33, 0
	s_load_dwordx4 s[36:39], s[34:35], 0x4
	s_load_dwordx2 s[46:47], s[34:35], 0x14
	s_load_dwordx4 s[28:31], s[34:35], 0xc4
	s_load_dwordx4 s[24:27], s[34:35], 0x148
	s_cselect_b64 s[52:53], -1, 0
	s_add_u32 s50, s34, 0xc4
	s_addc_u32 s51, s35, 0
	s_min_u32 s78, s74, 15
	s_cmp_gt_u32 s33, 1
	s_cselect_b64 s[48:49], -1, 0
	v_cmp_gt_i32_e32 vcc, s72, v11
	s_mov_b64 s[2:3], -1
	s_mov_b64 s[62:63], 0
	s_mov_b64 s[56:57], 0
	;; [unrolled: 1-line block ×3, first 2 shown]
	s_waitcnt vmcnt(1)
	v_readfirstlane_b32 s0, v1
	s_lshr_b32 s75, s0, 8
	s_and_b32 s76, s0, 0xff
	s_cmp_gt_u32 s76, 7
	s_waitcnt vmcnt(0)
	v_readfirstlane_b32 s77, v2
	s_cselect_b64 s[44:45], -1, 0
	s_and_saveexec_b64 s[58:59], vcc
	s_cbranch_execz .LBB15_262
; %bb.2:
	s_andn2_b64 vcc, exec, s[40:41]
	s_cbranch_vccnz .LBB15_7
; %bb.3:
	s_andn2_b64 vcc, exec, s[52:53]
	s_cbranch_vccnz .LBB15_8
; %bb.4:
	s_add_i32 s61, s78, 1
	s_cmp_eq_u32 s74, 2
	s_cbranch_scc1 .LBB15_9
; %bb.5:
	s_and_b32 s60, s61, 28
	v_mov_b32_e32 v2, 0
	s_mov_b32 s64, 0
	s_mov_b64 s[54:55], s[34:35]
	s_mov_b64 s[56:57], s[50:51]
	v_mov_b32_e32 v0, 0
	v_mov_b32_e32 v1, v11
.LBB15_6:                               ; =>This Inner Loop Header: Depth=1
	s_load_dwordx8 s[16:23], s[54:55], 0x4
	s_load_dwordx4 s[0:3], s[54:55], 0x24
	s_load_dwordx8 s[8:15], s[56:57], 0x0
	s_add_u32 s54, s54, 48
	s_addc_u32 s55, s55, 0
	s_waitcnt lgkmcnt(0)
	v_mul_hi_u32 v3, s17, v1
	s_add_i32 s64, s64, 4
	s_add_u32 s56, s56, 32
	s_addc_u32 s57, s57, 0
	v_add_u32_e32 v3, v1, v3
	v_lshrrev_b32_e32 v3, s18, v3
	v_mul_lo_u32 v4, v3, s16
	v_mul_hi_u32 v5, s20, v3
	s_cmp_lg_u32 s60, s64
	v_sub_u32_e32 v1, v1, v4
	v_add_u32_e32 v4, v3, v5
	v_mul_lo_u32 v5, v1, s8
	v_mul_lo_u32 v6, v1, s9
	v_lshrrev_b32_e32 v1, s21, v4
	v_mul_lo_u32 v4, v1, s19
	v_mul_hi_u32 v7, s23, v1
	v_sub_u32_e32 v3, v3, v4
	v_add_u32_e32 v4, v1, v7
	v_lshrrev_b32_e32 v4, s0, v4
	v_mul_hi_u32 v8, s2, v4
	v_mul_lo_u32 v9, v4, s22
	v_mul_lo_u32 v7, v3, s10
	v_mul_lo_u32 v3, v3, s11
	v_sub_u32_e32 v9, v1, v9
	v_add_u32_e32 v1, v4, v8
	v_lshrrev_b32_e32 v1, s3, v1
	v_mul_lo_u32 v8, v1, s1
	v_mul_lo_u32 v10, v9, s12
	v_mul_lo_u32 v9, v9, s13
	v_add3_u32 v0, v5, v0, v7
	v_sub_u32_e32 v4, v4, v8
	v_mul_lo_u32 v8, v4, s14
	v_mul_lo_u32 v4, v4, s15
	v_add3_u32 v2, v6, v2, v3
	v_add3_u32 v0, v10, v0, v8
	;; [unrolled: 1-line block ×3, first 2 shown]
	s_cbranch_scc1 .LBB15_6
	s_branch .LBB15_10
.LBB15_7:
                                        ; implicit-def: $vgpr0
                                        ; implicit-def: $vgpr2
	s_branch .LBB15_14
.LBB15_8:
	v_mov_b32_e32 v0, 0
	v_mov_b32_e32 v2, 0
	s_branch .LBB15_13
.LBB15_9:
	s_mov_b32 s60, 0
	v_mov_b32_e32 v0, 0
	v_mov_b32_e32 v2, 0
	;; [unrolled: 1-line block ×3, first 2 shown]
.LBB15_10:
	s_and_b32 s8, s61, 3
	s_cmp_eq_u32 s8, 0
	s_cbranch_scc1 .LBB15_13
; %bb.11:
	s_lshl_b32 s0, s60, 3
	s_add_u32 s0, s34, s0
	s_addc_u32 s1, s35, 0
	s_add_u32 s0, s0, 0xc4
	s_addc_u32 s1, s1, 0
	s_mul_i32 s2, s60, 12
	s_add_u32 s2, s34, s2
	s_addc_u32 s3, s35, 0
.LBB15_12:                              ; =>This Inner Loop Header: Depth=1
	s_load_dwordx2 s[10:11], s[2:3], 0x4
	s_load_dword s9, s[2:3], 0xc
	s_load_dwordx2 s[12:13], s[0:1], 0x0
	s_add_u32 s2, s2, 12
	s_addc_u32 s3, s3, 0
	s_waitcnt lgkmcnt(0)
	v_mul_hi_u32 v3, s11, v1
	s_add_u32 s0, s0, 8
	s_addc_u32 s1, s1, 0
	s_add_i32 s8, s8, -1
	v_add_u32_e32 v3, v1, v3
	v_lshrrev_b32_e32 v4, s9, v3
	v_mul_lo_u32 v3, v4, s10
	s_cmp_lg_u32 s8, 0
	v_sub_u32_e32 v3, v1, v3
	v_mad_u64_u32 v[0:1], s[10:11], v3, s12, v[0:1]
	v_mad_u64_u32 v[2:3], s[10:11], v3, s13, v[2:3]
	v_mov_b32_e32 v1, v4
	s_cbranch_scc1 .LBB15_12
.LBB15_13:
	s_cbranch_execnz .LBB15_16
.LBB15_14:
	s_waitcnt lgkmcnt(0)
	v_mul_hi_u32 v0, s37, v11
	s_andn2_b64 vcc, exec, s[48:49]
	v_add_u32_e32 v0, v11, v0
	v_lshrrev_b32_e32 v1, s38, v0
	v_mul_lo_u32 v0, v1, s36
	v_sub_u32_e32 v2, v11, v0
	v_mul_lo_u32 v0, v2, s28
	v_mul_lo_u32 v2, v2, s29
	s_cbranch_vccnz .LBB15_16
; %bb.15:
	v_mul_hi_u32 v3, s46, v1
	v_add_u32_e32 v3, v1, v3
	v_lshrrev_b32_e32 v3, s47, v3
	v_mul_lo_u32 v3, v3, s39
	v_sub_u32_e32 v3, v1, v3
	v_mad_u64_u32 v[0:1], s[0:1], v3, s30, v[0:1]
	v_mad_u64_u32 v[2:3], s[0:1], v3, s31, v[2:3]
.LBB15_16:
	s_waitcnt lgkmcnt(0)
	v_mov_b32_e32 v3, s27
	s_and_b32 s10, s77, 0xff
	v_add_co_u32_e32 v1, vcc, s26, v2
	s_cmp_lt_i32 s10, 11
	v_addc_co_u32_e32 v2, vcc, 0, v3, vcc
	s_cbranch_scc1 .LBB15_23
; %bb.17:
	s_and_b32 s11, 0xffff, s10
	s_cmp_gt_i32 s11, 25
	s_cbranch_scc0 .LBB15_32
; %bb.18:
	s_cmp_gt_i32 s11, 28
	s_cbranch_scc0 .LBB15_35
; %bb.19:
	;; [unrolled: 3-line block ×4, first 2 shown]
	s_cmp_eq_u32 s11, 46
	s_mov_b64 s[8:9], 0
	s_cbranch_scc0 .LBB15_41
; %bb.22:
	global_load_dword v3, v[1:2], off
	s_mov_b32 s0, 0x2f800000
	s_mov_b32 s1, 0xcf800000
	s_mov_b64 s[2:3], 0
	s_waitcnt vmcnt(0)
	v_lshlrev_b32_e32 v3, 16, v3
	v_trunc_f32_e32 v3, v3
	v_mul_f32_e64 v4, |v3|, s0
	v_floor_f32_e32 v4, v4
	v_fma_f32 v4, v4, s1, |v3|
	v_cvt_u32_f32_e32 v4, v4
	v_ashrrev_i32_e32 v3, 31, v3
	s_mov_b64 s[0:1], -1
	v_xor_b32_e32 v4, v4, v3
	v_sub_u32_e32 v3, v4, v3
	s_branch .LBB15_43
.LBB15_23:
	s_mov_b64 s[2:3], 0
                                        ; implicit-def: $vgpr3
	s_mov_b64 s[0:1], 0
	s_cbranch_execnz .LBB15_212
.LBB15_24:
	s_andn2_b64 vcc, exec, s[0:1]
	s_cbranch_vccnz .LBB15_259
.LBB15_25:
	s_waitcnt vmcnt(0)
	v_lshlrev_b32_e32 v1, s76, v3
	v_cndmask_b32_e64 v2, v1, 0, s[44:45]
	v_mov_b32_e32 v1, s25
	s_and_b32 s14, s75, 0xff
	v_add_co_u32_e32 v0, vcc, s24, v0
	s_cmp_lt_i32 s14, 11
	v_addc_co_u32_e32 v1, vcc, 0, v1, vcc
	s_cbranch_scc1 .LBB15_33
; %bb.26:
	s_and_b32 s15, 0xffff, s14
	s_cmp_gt_i32 s15, 25
	s_cbranch_scc0 .LBB15_36
; %bb.27:
	s_cmp_gt_i32 s15, 28
	s_cbranch_scc0 .LBB15_38
; %bb.28:
	;; [unrolled: 3-line block ×4, first 2 shown]
	s_mov_b64 s[10:11], 0
	s_mov_b64 s[0:1], -1
	s_cmp_eq_u32 s15, 46
	s_mov_b64 s[8:9], 0
	s_cbranch_scc0 .LBB15_47
; %bb.31:
	v_cvt_f32_ubyte0_e32 v3, v2
	v_bfe_u32 v4, v3, 16, 1
	s_movk_i32 s0, 0x7fff
	v_add3_u32 v3, v3, v4, s0
	v_lshrrev_b32_e32 v3, 16, v3
	global_store_dword v[0:1], v3, off
	s_mov_b64 s[8:9], -1
	s_mov_b64 s[0:1], 0
	s_branch .LBB15_47
.LBB15_32:
	s_mov_b64 s[2:3], 0
	s_mov_b64 s[0:1], 0
                                        ; implicit-def: $vgpr3
	s_cbranch_execnz .LBB15_179
	s_branch .LBB15_211
.LBB15_33:
	s_mov_b64 s[0:1], 0
	s_mov_b64 s[8:9], 0
	s_cbranch_execnz .LBB15_116
.LBB15_34:
	s_andn2_b64 vcc, exec, s[8:9]
	s_cbranch_vccnz .LBB15_260
	s_branch .LBB15_154
.LBB15_35:
	s_mov_b64 s[8:9], -1
	s_mov_b64 s[2:3], 0
	s_mov_b64 s[0:1], 0
                                        ; implicit-def: $vgpr3
	s_branch .LBB15_162
.LBB15_36:
	s_mov_b64 s[10:11], -1
	s_mov_b64 s[0:1], 0
	s_mov_b64 s[8:9], 0
	s_branch .LBB15_74
.LBB15_37:
	s_mov_b64 s[8:9], -1
	s_mov_b64 s[2:3], 0
	s_mov_b64 s[0:1], 0
                                        ; implicit-def: $vgpr3
	s_branch .LBB15_157
.LBB15_38:
	s_mov_b64 s[10:11], -1
	s_mov_b64 s[0:1], 0
	s_mov_b64 s[8:9], 0
	s_branch .LBB15_57
.LBB15_39:
	s_mov_b64 s[8:9], -1
	s_mov_b64 s[2:3], 0
	s_branch .LBB15_42
.LBB15_40:
	s_mov_b64 s[10:11], -1
	s_mov_b64 s[0:1], 0
	s_mov_b64 s[8:9], 0
	s_branch .LBB15_53
.LBB15_41:
	s_mov_b64 s[2:3], -1
.LBB15_42:
	s_mov_b64 s[0:1], 0
                                        ; implicit-def: $vgpr3
.LBB15_43:
	s_and_b64 vcc, exec, s[8:9]
	s_cbranch_vccz .LBB15_156
; %bb.44:
	s_cmp_eq_u32 s11, 44
	s_cbranch_scc0 .LBB15_155
; %bb.45:
	global_load_ubyte v3, v[1:2], off
	s_mov_b32 s0, 0x2f800000
	s_mov_b32 s1, 0xcf800000
	s_mov_b64 s[2:3], 0
	s_waitcnt vmcnt(0)
	v_lshlrev_b32_e32 v4, 23, v3
	v_trunc_f32_e32 v4, v4
	v_mul_f32_e64 v5, |v4|, s0
	v_floor_f32_e32 v5, v5
	v_fma_f32 v5, v5, s1, |v4|
	v_cvt_u32_f32_e32 v5, v5
	v_ashrrev_i32_e32 v4, 31, v4
	v_cmp_ne_u32_e32 vcc, 0, v3
	s_mov_b64 s[0:1], -1
	v_xor_b32_e32 v5, v5, v4
	v_sub_u32_e32 v4, v5, v4
	v_cndmask_b32_e32 v3, 0, v4, vcc
	s_branch .LBB15_156
.LBB15_46:
	s_mov_b64 s[10:11], -1
	s_mov_b64 s[0:1], 0
	s_mov_b64 s[8:9], 0
.LBB15_47:
	s_and_b64 vcc, exec, s[10:11]
	s_cbranch_vccz .LBB15_52
; %bb.48:
	s_cmp_eq_u32 s15, 44
	s_mov_b64 s[0:1], -1
	s_cbranch_scc0 .LBB15_52
; %bb.49:
	v_cvt_f32_ubyte0_e32 v4, v2
	v_lshrrev_b32_e32 v3, 23, v4
	s_movk_i32 s0, 0xff
	v_cmp_ne_u32_e32 vcc, s0, v3
	v_mov_b32_e32 v5, 0xff
	s_and_saveexec_b64 s[8:9], vcc
; %bb.50:
	s_mov_b32 s0, 0x3fffff
	v_and_b32_e32 v5, 0x400000, v4
	v_and_or_b32 v4, v4, s0, v3
	v_cmp_ne_u32_e32 vcc, 0, v5
	v_cmp_ne_u32_e64 s[0:1], 0, v4
	s_and_b64 s[0:1], vcc, s[0:1]
	v_cndmask_b32_e64 v4, 0, 1, s[0:1]
	v_add_u32_e32 v5, v3, v4
; %bb.51:
	s_or_b64 exec, exec, s[8:9]
	s_mov_b64 s[8:9], -1
	s_mov_b64 s[0:1], 0
	global_store_byte v[0:1], v5, off
.LBB15_52:
	s_mov_b64 s[10:11], 0
.LBB15_53:
	s_and_b64 vcc, exec, s[10:11]
	s_cbranch_vccz .LBB15_56
; %bb.54:
	s_cmp_eq_u32 s15, 29
	s_mov_b64 s[0:1], -1
	s_cbranch_scc0 .LBB15_56
; %bb.55:
	v_and_b32_e32 v3, 0xff, v2
	v_mov_b32_e32 v4, 0
	global_store_dwordx2 v[0:1], v[3:4], off
	s_mov_b64 s[8:9], -1
	s_mov_b64 s[0:1], 0
.LBB15_56:
	s_mov_b64 s[10:11], 0
.LBB15_57:
	s_and_b64 vcc, exec, s[10:11]
	s_cbranch_vccz .LBB15_73
; %bb.58:
	s_cmp_lt_i32 s15, 27
	s_mov_b64 s[8:9], -1
	s_cbranch_scc1 .LBB15_64
; %bb.59:
	s_cmp_gt_i32 s15, 27
	s_cbranch_scc0 .LBB15_61
; %bb.60:
	v_and_b32_e32 v3, 0xff, v2
	s_mov_b64 s[8:9], 0
	global_store_dword v[0:1], v3, off
.LBB15_61:
	s_andn2_b64 vcc, exec, s[8:9]
	s_cbranch_vccnz .LBB15_63
; %bb.62:
	v_and_b32_e32 v3, 0xff, v2
	global_store_short v[0:1], v3, off
.LBB15_63:
	s_mov_b64 s[8:9], 0
.LBB15_64:
	s_andn2_b64 vcc, exec, s[8:9]
	s_cbranch_vccnz .LBB15_72
; %bb.65:
	v_cvt_f32_ubyte0_e32 v4, v2
	s_mov_b32 s8, 0x43800000
	v_cmp_gt_u32_e32 vcc, s8, v4
	v_mov_b32_e32 v5, 0x80
	s_and_saveexec_b64 s[8:9], vcc
	s_cbranch_execz .LBB15_71
; %bb.66:
	s_mov_b32 s10, 0x3bffffff
	v_cmp_lt_u32_e32 vcc, s10, v4
	s_mov_b64 s[10:11], 0
                                        ; implicit-def: $vgpr3
	s_and_saveexec_b64 s[12:13], vcc
	s_xor_b64 s[12:13], exec, s[12:13]
	s_cbranch_execz .LBB15_303
; %bb.67:
	v_bfe_u32 v3, v4, 20, 1
	s_mov_b32 s16, 0x487ffff
	v_add3_u32 v3, v4, v3, s16
	s_mov_b64 s[10:11], exec
	v_lshrrev_b32_e32 v3, 20, v3
                                        ; implicit-def: $vgpr4
	s_andn2_saveexec_b64 s[12:13], s[12:13]
	s_cbranch_execnz .LBB15_304
.LBB15_68:
	s_or_b64 exec, exec, s[12:13]
	v_mov_b32_e32 v5, 0
	s_and_saveexec_b64 s[12:13], s[10:11]
.LBB15_69:
	v_mov_b32_e32 v5, v3
.LBB15_70:
	s_or_b64 exec, exec, s[12:13]
.LBB15_71:
	s_or_b64 exec, exec, s[8:9]
	global_store_byte v[0:1], v5, off
.LBB15_72:
	s_mov_b64 s[8:9], -1
.LBB15_73:
	s_mov_b64 s[10:11], 0
.LBB15_74:
	s_and_b64 vcc, exec, s[10:11]
	s_cbranch_vccz .LBB15_115
; %bb.75:
	s_cmp_gt_i32 s15, 22
	s_mov_b64 s[10:11], -1
	s_cbranch_scc0 .LBB15_107
; %bb.76:
	s_cmp_lt_i32 s15, 24
	s_mov_b64 s[8:9], -1
	s_cbranch_scc1 .LBB15_96
; %bb.77:
	s_cmp_gt_i32 s15, 24
	s_cbranch_scc0 .LBB15_85
; %bb.78:
	v_cvt_f32_ubyte0_e32 v4, v2
	s_mov_b32 s8, 0x47800000
	v_cmp_gt_u32_e32 vcc, s8, v4
	v_mov_b32_e32 v5, 0x80
	s_and_saveexec_b64 s[8:9], vcc
	s_cbranch_execz .LBB15_84
; %bb.79:
	s_mov_b32 s10, 0x37ffffff
	v_cmp_lt_u32_e32 vcc, s10, v4
	s_mov_b64 s[10:11], 0
                                        ; implicit-def: $vgpr3
	s_and_saveexec_b64 s[12:13], vcc
	s_xor_b64 s[12:13], exec, s[12:13]
	s_cbranch_execz .LBB15_307
; %bb.80:
	v_bfe_u32 v3, v4, 21, 1
	s_mov_b32 s16, 0x88fffff
	v_add3_u32 v3, v4, v3, s16
	s_mov_b64 s[10:11], exec
	v_lshrrev_b32_e32 v3, 21, v3
                                        ; implicit-def: $vgpr4
	s_andn2_saveexec_b64 s[12:13], s[12:13]
	s_cbranch_execnz .LBB15_308
.LBB15_81:
	s_or_b64 exec, exec, s[12:13]
	v_mov_b32_e32 v5, 0
	s_and_saveexec_b64 s[12:13], s[10:11]
.LBB15_82:
	v_mov_b32_e32 v5, v3
.LBB15_83:
	s_or_b64 exec, exec, s[12:13]
.LBB15_84:
	s_or_b64 exec, exec, s[8:9]
	s_mov_b64 s[8:9], 0
	global_store_byte v[0:1], v5, off
.LBB15_85:
	s_and_b64 vcc, exec, s[8:9]
	s_cbranch_vccz .LBB15_95
; %bb.86:
	v_cvt_f32_ubyte0_e32 v3, v2
	s_mov_b32 s8, 0x43f00000
	v_cmp_gt_u32_e32 vcc, s8, v3
                                        ; implicit-def: $vgpr4
	s_and_saveexec_b64 s[8:9], vcc
	s_xor_b64 s[8:9], exec, s[8:9]
	s_cbranch_execz .LBB15_92
; %bb.87:
	s_mov_b32 s10, 0x3c7fffff
	v_cmp_lt_u32_e32 vcc, s10, v3
                                        ; implicit-def: $vgpr4
	s_and_saveexec_b64 s[10:11], vcc
	s_xor_b64 s[10:11], exec, s[10:11]
; %bb.88:
	v_bfe_u32 v4, v3, 20, 1
	s_mov_b32 s12, 0x407ffff
	v_add3_u32 v3, v3, v4, s12
	v_lshrrev_b32_e32 v4, 20, v3
	v_and_b32_e32 v3, 0xff00000, v3
	s_mov_b32 s12, 0x7f00000
	v_mov_b32_e32 v5, 0x7e
	v_cmp_ne_u32_e32 vcc, s12, v3
	v_cndmask_b32_e32 v4, v5, v4, vcc
                                        ; implicit-def: $vgpr3
; %bb.89:
	s_andn2_saveexec_b64 s[10:11], s[10:11]
; %bb.90:
	v_add_f32_e32 v4, 0x46800000, v3
; %bb.91:
	s_or_b64 exec, exec, s[10:11]
                                        ; implicit-def: $vgpr3
.LBB15_92:
	s_andn2_saveexec_b64 s[8:9], s[8:9]
; %bb.93:
	s_mov_b32 s10, 0x7f800000
	v_mov_b32_e32 v4, 0x7e
	v_mov_b32_e32 v5, 0x7f
	v_cmp_lt_u32_e32 vcc, s10, v3
	v_cndmask_b32_e32 v4, v4, v5, vcc
; %bb.94:
	s_or_b64 exec, exec, s[8:9]
	global_store_byte v[0:1], v4, off
.LBB15_95:
	s_mov_b64 s[8:9], 0
.LBB15_96:
	s_andn2_b64 vcc, exec, s[8:9]
	s_cbranch_vccnz .LBB15_106
; %bb.97:
	v_cvt_f32_ubyte0_e32 v3, v2
	s_mov_b32 s8, 0x47800000
	v_cmp_gt_u32_e32 vcc, s8, v3
                                        ; implicit-def: $vgpr4
	s_and_saveexec_b64 s[8:9], vcc
	s_xor_b64 s[8:9], exec, s[8:9]
	s_cbranch_execz .LBB15_103
; %bb.98:
	s_mov_b32 s10, 0x387fffff
	v_cmp_lt_u32_e32 vcc, s10, v3
                                        ; implicit-def: $vgpr4
	s_and_saveexec_b64 s[10:11], vcc
	s_xor_b64 s[10:11], exec, s[10:11]
; %bb.99:
	v_bfe_u32 v4, v3, 21, 1
	s_mov_b32 s12, 0x80fffff
	v_add3_u32 v3, v3, v4, s12
	v_lshrrev_b32_e32 v4, 21, v3
                                        ; implicit-def: $vgpr3
; %bb.100:
	s_andn2_saveexec_b64 s[10:11], s[10:11]
; %bb.101:
	v_add_f32_e32 v4, 0x43000000, v3
; %bb.102:
	s_or_b64 exec, exec, s[10:11]
                                        ; implicit-def: $vgpr3
.LBB15_103:
	s_andn2_saveexec_b64 s[8:9], s[8:9]
; %bb.104:
	s_mov_b32 s10, 0x7f800000
	v_mov_b32_e32 v4, 0x7c
	v_mov_b32_e32 v5, 0x7f
	v_cmp_lt_u32_e32 vcc, s10, v3
	v_cndmask_b32_e32 v4, v4, v5, vcc
; %bb.105:
	s_or_b64 exec, exec, s[8:9]
	global_store_byte v[0:1], v4, off
.LBB15_106:
	s_mov_b64 s[10:11], 0
	s_mov_b64 s[8:9], -1
.LBB15_107:
	s_andn2_b64 vcc, exec, s[10:11]
	s_cbranch_vccnz .LBB15_115
; %bb.108:
	s_cmp_gt_i32 s15, 14
	s_mov_b64 s[10:11], -1
	s_cbranch_scc0 .LBB15_112
; %bb.109:
	s_cmp_eq_u32 s15, 15
	s_mov_b64 s[0:1], -1
	s_cbranch_scc0 .LBB15_111
; %bb.110:
	v_cvt_f32_ubyte0_e32 v3, v2
	v_bfe_u32 v4, v3, 16, 1
	s_movk_i32 s0, 0x7fff
	v_add3_u32 v3, v3, v4, s0
	global_store_short_d16_hi v[0:1], v3, off
	s_mov_b64 s[8:9], -1
	s_mov_b64 s[0:1], 0
.LBB15_111:
	s_mov_b64 s[10:11], 0
.LBB15_112:
	s_and_b64 vcc, exec, s[10:11]
	s_cbranch_vccz .LBB15_115
; %bb.113:
	s_cmp_eq_u32 s15, 11
	s_mov_b64 s[0:1], -1
	s_cbranch_scc0 .LBB15_115
; %bb.114:
	v_mov_b32_e32 v3, 0
	v_cmp_ne_u16_sdwa s[0:1], v2, v3 src0_sel:BYTE_0 src1_sel:DWORD
	v_cndmask_b32_e64 v3, 0, 1, s[0:1]
	s_mov_b64 s[8:9], -1
	s_mov_b64 s[0:1], 0
	global_store_byte v[0:1], v3, off
.LBB15_115:
	s_branch .LBB15_34
.LBB15_116:
	s_and_b32 s10, 0xffff, s14
	s_cmp_lt_i32 s10, 5
	s_mov_b64 s[8:9], -1
	s_cbranch_scc1 .LBB15_137
; %bb.117:
	s_cmp_lt_i32 s10, 8
	s_cbranch_scc1 .LBB15_127
; %bb.118:
	s_cmp_lt_i32 s10, 9
	s_cbranch_scc1 .LBB15_124
; %bb.119:
	s_cmp_gt_i32 s10, 9
	s_cbranch_scc0 .LBB15_121
; %bb.120:
	s_mov_b32 s8, 0xffff
	v_and_b32_sdwa v3, s8, v2 dst_sel:DWORD dst_unused:UNUSED_PAD src0_sel:DWORD src1_sel:BYTE_0
	v_cvt_f64_u32_e32 v[3:4], v3
	v_mov_b32_e32 v5, 0
	v_mov_b32_e32 v6, v5
	s_mov_b64 s[8:9], 0
	global_store_dwordx4 v[0:1], v[3:6], off
.LBB15_121:
	s_andn2_b64 vcc, exec, s[8:9]
	s_cbranch_vccnz .LBB15_123
; %bb.122:
	v_cvt_f32_ubyte0_e32 v3, v2
	v_mov_b32_e32 v4, 0
	global_store_dwordx2 v[0:1], v[3:4], off
.LBB15_123:
	s_mov_b64 s[8:9], 0
.LBB15_124:
	s_andn2_b64 vcc, exec, s[8:9]
	s_cbranch_vccnz .LBB15_126
; %bb.125:
	v_cvt_f16_u16_sdwa v3, v2 dst_sel:DWORD dst_unused:UNUSED_PAD src0_sel:BYTE_0
	global_store_dword v[0:1], v3, off
.LBB15_126:
	s_mov_b64 s[8:9], 0
.LBB15_127:
	s_andn2_b64 vcc, exec, s[8:9]
	s_cbranch_vccnz .LBB15_136
; %bb.128:
	s_cmp_lt_i32 s10, 6
	s_mov_b64 s[8:9], -1
	s_cbranch_scc1 .LBB15_134
; %bb.129:
	s_cmp_gt_i32 s10, 6
	s_cbranch_scc0 .LBB15_131
; %bb.130:
	s_mov_b32 s8, 0xffff
	v_and_b32_sdwa v3, s8, v2 dst_sel:DWORD dst_unused:UNUSED_PAD src0_sel:DWORD src1_sel:BYTE_0
	v_cvt_f64_u32_e32 v[3:4], v3
	s_mov_b64 s[8:9], 0
	global_store_dwordx2 v[0:1], v[3:4], off
.LBB15_131:
	s_andn2_b64 vcc, exec, s[8:9]
	s_cbranch_vccnz .LBB15_133
; %bb.132:
	v_cvt_f32_ubyte0_e32 v3, v2
	global_store_dword v[0:1], v3, off
.LBB15_133:
	s_mov_b64 s[8:9], 0
.LBB15_134:
	s_andn2_b64 vcc, exec, s[8:9]
	s_cbranch_vccnz .LBB15_136
; %bb.135:
	v_cvt_f16_u16_sdwa v3, v2 dst_sel:DWORD dst_unused:UNUSED_PAD src0_sel:BYTE_0
	global_store_short v[0:1], v3, off
.LBB15_136:
	s_mov_b64 s[8:9], 0
.LBB15_137:
	s_andn2_b64 vcc, exec, s[8:9]
	s_cbranch_vccnz .LBB15_153
; %bb.138:
	s_cmp_lt_i32 s10, 2
	s_mov_b64 s[8:9], -1
	s_cbranch_scc1 .LBB15_148
; %bb.139:
	s_cmp_lt_i32 s10, 3
	s_cbranch_scc1 .LBB15_145
; %bb.140:
	s_cmp_gt_i32 s10, 3
	s_cbranch_scc0 .LBB15_142
; %bb.141:
	v_and_b32_e32 v3, 0xff, v2
	v_mov_b32_e32 v4, 0
	global_store_dwordx2 v[0:1], v[3:4], off
	s_mov_b64 s[8:9], 0
.LBB15_142:
	s_andn2_b64 vcc, exec, s[8:9]
	s_cbranch_vccnz .LBB15_144
; %bb.143:
	v_and_b32_e32 v3, 0xff, v2
	global_store_dword v[0:1], v3, off
.LBB15_144:
	s_mov_b64 s[8:9], 0
.LBB15_145:
	s_andn2_b64 vcc, exec, s[8:9]
	s_cbranch_vccnz .LBB15_147
; %bb.146:
	v_and_b32_e32 v3, 0xff, v2
	global_store_short v[0:1], v3, off
.LBB15_147:
	s_mov_b64 s[8:9], 0
.LBB15_148:
	s_andn2_b64 vcc, exec, s[8:9]
	s_cbranch_vccnz .LBB15_153
; %bb.149:
	s_cmp_gt_i32 s10, 0
	s_mov_b64 s[8:9], -1
	s_cbranch_scc0 .LBB15_151
; %bb.150:
	global_store_byte v[0:1], v2, off
	s_mov_b64 s[8:9], 0
.LBB15_151:
	s_andn2_b64 vcc, exec, s[8:9]
	s_cbranch_vccnz .LBB15_153
; %bb.152:
	global_store_byte v[0:1], v2, off
.LBB15_153:
.LBB15_154:
	v_add_u32_e32 v11, 0x80, v11
	s_mov_b64 s[8:9], -1
	s_branch .LBB15_261
.LBB15_155:
	s_mov_b64 s[2:3], -1
                                        ; implicit-def: $vgpr3
.LBB15_156:
	s_mov_b64 s[8:9], 0
.LBB15_157:
	s_and_b64 vcc, exec, s[8:9]
	s_cbranch_vccz .LBB15_161
; %bb.158:
	s_cmp_eq_u32 s11, 29
	s_cbranch_scc0 .LBB15_160
; %bb.159:
	global_load_dwordx2 v[3:4], v[1:2], off
	s_mov_b64 s[0:1], -1
	s_mov_b64 s[2:3], 0
	s_branch .LBB15_161
.LBB15_160:
	s_mov_b64 s[2:3], -1
                                        ; implicit-def: $vgpr3
.LBB15_161:
	s_mov_b64 s[8:9], 0
.LBB15_162:
	s_and_b64 vcc, exec, s[8:9]
	s_cbranch_vccz .LBB15_178
; %bb.163:
	s_cmp_lt_i32 s11, 27
	s_cbranch_scc1 .LBB15_166
; %bb.164:
	s_cmp_gt_i32 s11, 27
	s_cbranch_scc0 .LBB15_167
; %bb.165:
	global_load_dword v3, v[1:2], off
	s_mov_b64 s[0:1], 0
	s_branch .LBB15_168
.LBB15_166:
	s_mov_b64 s[0:1], -1
                                        ; implicit-def: $vgpr3
	s_branch .LBB15_171
.LBB15_167:
	s_mov_b64 s[0:1], -1
                                        ; implicit-def: $vgpr3
.LBB15_168:
	s_andn2_b64 vcc, exec, s[0:1]
	s_cbranch_vccnz .LBB15_170
; %bb.169:
	global_load_ushort v3, v[1:2], off
.LBB15_170:
	s_mov_b64 s[0:1], 0
.LBB15_171:
	s_andn2_b64 vcc, exec, s[0:1]
	s_cbranch_vccnz .LBB15_177
; %bb.172:
	global_load_ubyte v4, v[1:2], off
	s_movk_i32 s0, 0x7f
	s_mov_b64 s[8:9], 0
	s_waitcnt vmcnt(0)
	v_cmp_lt_i16_e32 vcc, s0, v4
	s_and_saveexec_b64 s[0:1], vcc
	s_xor_b64 s[0:1], exec, s[0:1]
	s_cbranch_execz .LBB15_188
; %bb.173:
	s_movk_i32 s8, 0x80
	v_cmp_ne_u16_e32 vcc, s8, v4
	s_and_b64 s[8:9], vcc, exec
	s_andn2_saveexec_b64 s[0:1], s[0:1]
	s_cbranch_execnz .LBB15_189
.LBB15_174:
	s_or_b64 exec, exec, s[0:1]
	v_mov_b32_e32 v3, 0
	s_and_saveexec_b64 s[0:1], s[8:9]
	s_cbranch_execz .LBB15_176
.LBB15_175:
	v_lshlrev_b32_e32 v3, 24, v4
	v_and_b32_e32 v4, 0xffff, v4
	v_and_b32_e32 v5, 7, v4
	v_ffbh_u32_e32 v7, v5
	v_min_u32_e32 v7, 32, v7
	v_subrev_u32_e32 v8, 28, v7
	v_bfe_u32 v6, v4, 3, 4
	v_lshlrev_b32_e32 v4, v8, v4
	v_sub_u32_e32 v7, 29, v7
	v_and_b32_e32 v4, 7, v4
	v_cmp_eq_u32_e32 vcc, 0, v6
	v_cndmask_b32_e32 v6, v6, v7, vcc
	v_cndmask_b32_e32 v4, v5, v4, vcc
	v_mov_b32_e32 v5, 0x3b800000
	v_lshlrev_b32_e32 v4, 20, v4
	v_and_b32_e32 v3, 0x80000000, v3
	v_lshl_add_u32 v5, v6, 23, v5
	v_or3_b32 v3, v3, v5, v4
	v_trunc_f32_e32 v3, v3
	s_mov_b32 s8, 0x2f800000
	v_mul_f32_e64 v4, |v3|, s8
	v_floor_f32_e32 v4, v4
	s_mov_b32 s8, 0xcf800000
	v_fma_f32 v4, v4, s8, |v3|
	v_cvt_u32_f32_e32 v4, v4
	v_ashrrev_i32_e32 v3, 31, v3
	v_xor_b32_e32 v4, v4, v3
	v_sub_u32_e32 v3, v4, v3
.LBB15_176:
	s_or_b64 exec, exec, s[0:1]
.LBB15_177:
	s_mov_b64 s[0:1], -1
.LBB15_178:
	s_branch .LBB15_211
.LBB15_179:
	s_cmp_gt_i32 s11, 22
	s_cbranch_scc0 .LBB15_187
; %bb.180:
	s_cmp_lt_i32 s11, 24
	s_cbranch_scc1 .LBB15_190
; %bb.181:
	s_cmp_gt_i32 s11, 24
	s_cbranch_scc0 .LBB15_191
; %bb.182:
	global_load_ubyte v4, v[1:2], off
	s_movk_i32 s0, 0x7f
	s_mov_b64 s[8:9], 0
	s_waitcnt vmcnt(0)
	v_cmp_lt_i16_e32 vcc, s0, v4
	s_and_saveexec_b64 s[0:1], vcc
	s_xor_b64 s[0:1], exec, s[0:1]
	s_cbranch_execz .LBB15_203
; %bb.183:
	s_movk_i32 s8, 0x80
	v_cmp_ne_u16_e32 vcc, s8, v4
	s_and_b64 s[8:9], vcc, exec
	s_andn2_saveexec_b64 s[0:1], s[0:1]
	s_cbranch_execnz .LBB15_204
.LBB15_184:
	s_or_b64 exec, exec, s[0:1]
	v_mov_b32_e32 v3, 0
	s_and_saveexec_b64 s[0:1], s[8:9]
	s_cbranch_execz .LBB15_186
.LBB15_185:
	v_lshlrev_b32_e32 v3, 24, v4
	v_and_b32_e32 v4, 0xffff, v4
	v_and_b32_e32 v5, 3, v4
	v_ffbh_u32_e32 v7, v5
	v_min_u32_e32 v7, 32, v7
	v_subrev_u32_e32 v8, 29, v7
	v_bfe_u32 v6, v4, 2, 5
	v_lshlrev_b32_e32 v4, v8, v4
	v_sub_u32_e32 v7, 30, v7
	v_and_b32_e32 v4, 3, v4
	v_cmp_eq_u32_e32 vcc, 0, v6
	v_cndmask_b32_e32 v6, v6, v7, vcc
	v_cndmask_b32_e32 v4, v5, v4, vcc
	v_mov_b32_e32 v5, 0x37800000
	v_lshlrev_b32_e32 v4, 21, v4
	v_and_b32_e32 v3, 0x80000000, v3
	v_lshl_add_u32 v5, v6, 23, v5
	v_or3_b32 v3, v3, v5, v4
	v_trunc_f32_e32 v3, v3
	s_mov_b32 s8, 0x2f800000
	v_mul_f32_e64 v4, |v3|, s8
	v_floor_f32_e32 v4, v4
	s_mov_b32 s8, 0xcf800000
	v_fma_f32 v4, v4, s8, |v3|
	v_cvt_u32_f32_e32 v4, v4
	v_ashrrev_i32_e32 v3, 31, v3
	v_xor_b32_e32 v4, v4, v3
	v_sub_u32_e32 v3, v4, v3
.LBB15_186:
	s_or_b64 exec, exec, s[0:1]
	s_mov_b64 s[0:1], 0
	s_branch .LBB15_192
.LBB15_187:
	s_mov_b64 s[8:9], -1
                                        ; implicit-def: $vgpr3
	s_branch .LBB15_198
.LBB15_188:
	s_andn2_saveexec_b64 s[0:1], s[0:1]
	s_cbranch_execz .LBB15_174
.LBB15_189:
	v_cmp_ne_u16_e32 vcc, 0, v4
	s_andn2_b64 s[8:9], s[8:9], exec
	s_and_b64 s[12:13], vcc, exec
	s_or_b64 s[8:9], s[8:9], s[12:13]
	s_or_b64 exec, exec, s[0:1]
	v_mov_b32_e32 v3, 0
	s_and_saveexec_b64 s[0:1], s[8:9]
	s_cbranch_execnz .LBB15_175
	s_branch .LBB15_176
.LBB15_190:
	s_mov_b64 s[0:1], -1
                                        ; implicit-def: $vgpr3
	s_branch .LBB15_195
.LBB15_191:
	s_mov_b64 s[0:1], -1
                                        ; implicit-def: $vgpr3
.LBB15_192:
	s_and_b64 vcc, exec, s[0:1]
	s_cbranch_vccz .LBB15_194
; %bb.193:
	global_load_ubyte v3, v[1:2], off
	s_mov_b32 s0, 0x7f800000
	s_brev_b32 s1, 1
	s_mov_b32 s8, 0x2f800000
	s_waitcnt vmcnt(0)
	v_lshlrev_b32_e32 v3, 24, v3
	v_and_b32_e32 v4, 0x7f000000, v3
	v_ffbh_u32_e32 v5, v4
	v_min_u32_e32 v5, 32, v5
	v_sub_u32_e64 v5, v5, 4 clamp
	v_lshlrev_b32_e32 v7, v5, v4
	v_lshlrev_b32_e32 v5, 23, v5
	v_lshrrev_b32_e32 v7, 4, v7
	v_add_u32_e32 v6, 0x1000000, v4
	v_sub_u32_e32 v5, v7, v5
	v_ashrrev_i32_e32 v6, 8, v6
	v_add_u32_e32 v5, 0x3c000000, v5
	v_and_or_b32 v5, v6, s0, v5
	v_cmp_ne_u32_e32 vcc, 0, v4
	v_cndmask_b32_e32 v4, 0, v5, vcc
	v_and_or_b32 v3, v3, s1, v4
	v_trunc_f32_e32 v3, v3
	v_mul_f32_e64 v4, |v3|, s8
	v_floor_f32_e32 v4, v4
	s_mov_b32 s0, 0xcf800000
	v_fma_f32 v4, v4, s0, |v3|
	v_cvt_u32_f32_e32 v4, v4
	v_ashrrev_i32_e32 v3, 31, v3
	v_xor_b32_e32 v4, v4, v3
	v_sub_u32_e32 v3, v4, v3
.LBB15_194:
	s_mov_b64 s[0:1], 0
.LBB15_195:
	s_andn2_b64 vcc, exec, s[0:1]
	s_cbranch_vccnz .LBB15_197
; %bb.196:
	global_load_ubyte v3, v[1:2], off
	s_movk_i32 s0, 0x7f00
	s_brev_b32 s1, 16
	s_brev_b32 s8, 1
	s_mov_b32 s9, 0x2f800000
	s_waitcnt vmcnt(0)
	v_lshlrev_b16_e32 v4, 8, v3
	v_lshlrev_b32_e32 v3, 25, v3
	v_lshrrev_b32_e32 v5, 4, v3
	v_and_or_b32 v6, v4, s0, 0.5
	v_or_b32_e32 v5, 0x70000000, v5
	v_add_f32_e32 v6, -0.5, v6
	v_mul_f32_e32 v5, 0x7800000, v5
	v_cmp_gt_u32_e32 vcc, s1, v3
	v_bfe_i32 v4, v4, 0, 16
	v_cndmask_b32_e32 v3, v5, v6, vcc
	v_and_or_b32 v3, v4, s8, v3
	v_trunc_f32_e32 v3, v3
	v_mul_f32_e64 v4, |v3|, s9
	v_floor_f32_e32 v4, v4
	s_mov_b32 s0, 0xcf800000
	v_fma_f32 v4, v4, s0, |v3|
	v_cvt_u32_f32_e32 v4, v4
	v_ashrrev_i32_e32 v3, 31, v3
	v_xor_b32_e32 v4, v4, v3
	v_sub_u32_e32 v3, v4, v3
.LBB15_197:
	s_mov_b64 s[8:9], 0
	s_mov_b64 s[0:1], -1
.LBB15_198:
	s_andn2_b64 vcc, exec, s[8:9]
	s_cbranch_vccnz .LBB15_211
; %bb.199:
	s_cmp_gt_i32 s11, 14
	s_cbranch_scc0 .LBB15_202
; %bb.200:
	s_cmp_eq_u32 s11, 15
	s_cbranch_scc0 .LBB15_205
; %bb.201:
	global_load_ushort v3, v[1:2], off
	s_mov_b32 s0, 0x2f800000
	s_mov_b32 s1, 0xcf800000
	s_mov_b64 s[2:3], 0
	s_waitcnt vmcnt(0)
	v_lshlrev_b32_e32 v3, 16, v3
	v_trunc_f32_e32 v3, v3
	v_mul_f32_e64 v4, |v3|, s0
	v_floor_f32_e32 v4, v4
	v_fma_f32 v4, v4, s1, |v3|
	v_cvt_u32_f32_e32 v4, v4
	v_ashrrev_i32_e32 v3, 31, v3
	s_mov_b64 s[0:1], -1
	v_xor_b32_e32 v4, v4, v3
	v_sub_u32_e32 v3, v4, v3
	s_branch .LBB15_206
.LBB15_202:
	s_mov_b64 s[8:9], -1
                                        ; implicit-def: $vgpr3
	s_branch .LBB15_207
.LBB15_203:
	s_andn2_saveexec_b64 s[0:1], s[0:1]
	s_cbranch_execz .LBB15_184
.LBB15_204:
	v_cmp_ne_u16_e32 vcc, 0, v4
	s_andn2_b64 s[8:9], s[8:9], exec
	s_and_b64 s[12:13], vcc, exec
	s_or_b64 s[8:9], s[8:9], s[12:13]
	s_or_b64 exec, exec, s[0:1]
	v_mov_b32_e32 v3, 0
	s_and_saveexec_b64 s[0:1], s[8:9]
	s_cbranch_execnz .LBB15_185
	s_branch .LBB15_186
.LBB15_205:
	s_mov_b64 s[2:3], -1
                                        ; implicit-def: $vgpr3
.LBB15_206:
	s_mov_b64 s[8:9], 0
.LBB15_207:
	s_and_b64 vcc, exec, s[8:9]
	s_cbranch_vccz .LBB15_211
; %bb.208:
	s_cmp_eq_u32 s11, 11
	s_cbranch_scc0 .LBB15_210
; %bb.209:
	global_load_ubyte v3, v[1:2], off
	s_mov_b64 s[0:1], -1
	s_mov_b64 s[2:3], 0
	s_waitcnt vmcnt(0)
	v_cmp_ne_u16_e32 vcc, 0, v3
	v_cndmask_b32_e64 v3, 0, 1, vcc
	s_branch .LBB15_211
.LBB15_210:
	s_mov_b64 s[2:3], -1
                                        ; implicit-def: $vgpr3
.LBB15_211:
	s_branch .LBB15_24
.LBB15_212:
	s_and_b32 s8, 0xffff, s10
	s_cmp_lt_i32 s8, 5
	s_cbranch_scc1 .LBB15_217
; %bb.213:
	s_cmp_lt_i32 s8, 8
	s_cbranch_scc1 .LBB15_218
; %bb.214:
	;; [unrolled: 3-line block ×3, first 2 shown]
	s_cmp_gt_i32 s8, 9
	s_cbranch_scc0 .LBB15_220
; %bb.216:
	global_load_dwordx2 v[3:4], v[1:2], off
	s_movk_i32 s0, 0xffe0
	s_waitcnt vmcnt(0)
	v_trunc_f64_e32 v[3:4], v[3:4]
	v_ldexp_f64 v[5:6], v[3:4], s0
	s_mov_b32 s0, 0
	s_mov_b32 s1, 0xc1f00000
	v_floor_f64_e32 v[5:6], v[5:6]
	v_fma_f64 v[3:4], v[5:6], s[0:1], v[3:4]
	s_mov_b64 s[0:1], 0
	v_cvt_u32_f64_e32 v3, v[3:4]
	s_branch .LBB15_221
.LBB15_217:
                                        ; implicit-def: $vgpr3
	s_branch .LBB15_239
.LBB15_218:
	s_mov_b64 s[0:1], -1
                                        ; implicit-def: $vgpr3
	s_branch .LBB15_227
.LBB15_219:
	s_mov_b64 s[0:1], -1
                                        ; implicit-def: $vgpr3
	s_branch .LBB15_224
.LBB15_220:
	s_mov_b64 s[0:1], -1
                                        ; implicit-def: $vgpr3
.LBB15_221:
	s_andn2_b64 vcc, exec, s[0:1]
	s_cbranch_vccnz .LBB15_223
; %bb.222:
	global_load_dword v3, v[1:2], off
	s_mov_b32 s0, 0x2f800000
	s_waitcnt vmcnt(0)
	v_trunc_f32_e32 v3, v3
	v_mul_f32_e64 v4, |v3|, s0
	v_floor_f32_e32 v4, v4
	s_mov_b32 s0, 0xcf800000
	v_fma_f32 v4, v4, s0, |v3|
	v_cvt_u32_f32_e32 v4, v4
	v_ashrrev_i32_e32 v3, 31, v3
	v_xor_b32_e32 v4, v4, v3
	v_sub_u32_e32 v3, v4, v3
.LBB15_223:
	s_mov_b64 s[0:1], 0
.LBB15_224:
	s_andn2_b64 vcc, exec, s[0:1]
	s_cbranch_vccnz .LBB15_226
; %bb.225:
	global_load_dword v3, v[1:2], off
	s_waitcnt vmcnt(0)
	v_cvt_f32_f16_e32 v3, v3
	v_cvt_i32_f32_e32 v3, v3
.LBB15_226:
	s_mov_b64 s[0:1], 0
.LBB15_227:
	s_andn2_b64 vcc, exec, s[0:1]
	s_cbranch_vccnz .LBB15_238
; %bb.228:
	s_cmp_lt_i32 s8, 6
	s_cbranch_scc1 .LBB15_231
; %bb.229:
	s_cmp_gt_i32 s8, 6
	s_cbranch_scc0 .LBB15_232
; %bb.230:
	global_load_dwordx2 v[3:4], v[1:2], off
	s_movk_i32 s0, 0xffe0
	s_waitcnt vmcnt(0)
	v_trunc_f64_e32 v[3:4], v[3:4]
	v_ldexp_f64 v[5:6], v[3:4], s0
	s_mov_b32 s0, 0
	s_mov_b32 s1, 0xc1f00000
	v_floor_f64_e32 v[5:6], v[5:6]
	v_fma_f64 v[3:4], v[5:6], s[0:1], v[3:4]
	s_mov_b64 s[0:1], 0
	v_cvt_u32_f64_e32 v3, v[3:4]
	s_branch .LBB15_233
.LBB15_231:
	s_mov_b64 s[0:1], -1
                                        ; implicit-def: $vgpr3
	s_branch .LBB15_236
.LBB15_232:
	s_mov_b64 s[0:1], -1
                                        ; implicit-def: $vgpr3
.LBB15_233:
	s_andn2_b64 vcc, exec, s[0:1]
	s_cbranch_vccnz .LBB15_235
; %bb.234:
	global_load_dword v3, v[1:2], off
	s_mov_b32 s0, 0x2f800000
	s_waitcnt vmcnt(0)
	v_trunc_f32_e32 v3, v3
	v_mul_f32_e64 v4, |v3|, s0
	v_floor_f32_e32 v4, v4
	s_mov_b32 s0, 0xcf800000
	v_fma_f32 v4, v4, s0, |v3|
	v_cvt_u32_f32_e32 v4, v4
	v_ashrrev_i32_e32 v3, 31, v3
	v_xor_b32_e32 v4, v4, v3
	v_sub_u32_e32 v3, v4, v3
.LBB15_235:
	s_mov_b64 s[0:1], 0
.LBB15_236:
	s_andn2_b64 vcc, exec, s[0:1]
	s_cbranch_vccnz .LBB15_238
; %bb.237:
	global_load_ushort v3, v[1:2], off
	s_waitcnt vmcnt(0)
	v_cvt_f32_f16_e32 v3, v3
	v_cvt_i32_f32_e32 v3, v3
.LBB15_238:
	s_cbranch_execnz .LBB15_258
.LBB15_239:
	s_cmp_lt_i32 s8, 2
	s_cbranch_scc1 .LBB15_243
; %bb.240:
	s_cmp_lt_i32 s8, 3
	s_cbranch_scc1 .LBB15_244
; %bb.241:
	s_cmp_gt_i32 s8, 3
	s_cbranch_scc0 .LBB15_245
; %bb.242:
	global_load_dwordx2 v[3:4], v[1:2], off
	s_mov_b64 s[0:1], 0
	s_branch .LBB15_246
.LBB15_243:
	s_mov_b64 s[0:1], -1
                                        ; implicit-def: $vgpr3
	s_branch .LBB15_252
.LBB15_244:
	s_mov_b64 s[0:1], -1
                                        ; implicit-def: $vgpr3
	s_branch .LBB15_249
.LBB15_245:
	s_mov_b64 s[0:1], -1
                                        ; implicit-def: $vgpr3
.LBB15_246:
	s_andn2_b64 vcc, exec, s[0:1]
	s_cbranch_vccnz .LBB15_248
; %bb.247:
	global_load_dword v3, v[1:2], off
.LBB15_248:
	s_mov_b64 s[0:1], 0
.LBB15_249:
	s_andn2_b64 vcc, exec, s[0:1]
	s_cbranch_vccnz .LBB15_251
; %bb.250:
	global_load_ushort v3, v[1:2], off
.LBB15_251:
	s_mov_b64 s[0:1], 0
.LBB15_252:
	s_andn2_b64 vcc, exec, s[0:1]
	s_cbranch_vccnz .LBB15_258
; %bb.253:
	s_cmp_gt_i32 s8, 0
	s_cbranch_scc0 .LBB15_255
; %bb.254:
	global_load_ubyte v3, v[1:2], off
	s_mov_b64 s[0:1], 0
	s_branch .LBB15_256
.LBB15_255:
	s_mov_b64 s[0:1], -1
                                        ; implicit-def: $vgpr3
.LBB15_256:
	s_andn2_b64 vcc, exec, s[0:1]
	s_cbranch_vccnz .LBB15_258
; %bb.257:
	global_load_ubyte v3, v[1:2], off
.LBB15_258:
	s_branch .LBB15_25
.LBB15_259:
	s_mov_b64 s[0:1], 0
.LBB15_260:
	s_mov_b64 s[8:9], 0
                                        ; implicit-def: $vgpr11
.LBB15_261:
	s_and_b64 s[54:55], s[0:1], exec
	s_and_b64 s[56:57], s[2:3], exec
	s_orn2_b64 s[2:3], s[8:9], exec
.LBB15_262:
	s_or_b64 exec, exec, s[58:59]
	s_mov_b64 s[10:11], 0
	s_mov_b64 s[0:1], 0
                                        ; implicit-def: $sgpr14
                                        ; implicit-def: $vgpr1_vgpr2
                                        ; implicit-def: $vgpr0
                                        ; implicit-def: $vgpr3
	s_and_saveexec_b64 s[58:59], s[2:3]
	s_cbranch_execz .LBB15_269
; %bb.263:
	v_cmp_gt_i32_e32 vcc, s72, v11
	s_mov_b64 s[0:1], -1
	s_mov_b64 s[60:61], s[56:57]
	s_mov_b64 s[62:63], s[54:55]
	s_and_saveexec_b64 s[64:65], vcc
	s_cbranch_execz .LBB15_534
; %bb.264:
	s_andn2_b64 vcc, exec, s[40:41]
	s_cbranch_vccnz .LBB15_272
; %bb.265:
	s_andn2_b64 vcc, exec, s[52:53]
	s_cbranch_vccnz .LBB15_273
; %bb.266:
	s_add_i32 s67, s78, 1
	s_cmp_eq_u32 s74, 2
	s_cbranch_scc1 .LBB15_274
; %bb.267:
	s_and_b32 s66, s67, 28
	v_mov_b32_e32 v2, 0
	s_mov_b32 s68, 0
	s_mov_b64 s[60:61], s[34:35]
	s_mov_b64 s[62:63], s[50:51]
	v_mov_b32_e32 v0, 0
	v_mov_b32_e32 v1, v11
.LBB15_268:                             ; =>This Inner Loop Header: Depth=1
	s_load_dwordx8 s[16:23], s[60:61], 0x4
	s_load_dwordx4 s[0:3], s[60:61], 0x24
	s_load_dwordx8 s[8:15], s[62:63], 0x0
	s_add_u32 s60, s60, 48
	s_addc_u32 s61, s61, 0
	s_waitcnt vmcnt(0) lgkmcnt(0)
	v_mul_hi_u32 v3, s17, v1
	s_add_i32 s68, s68, 4
	s_add_u32 s62, s62, 32
	s_addc_u32 s63, s63, 0
	v_add_u32_e32 v3, v1, v3
	v_lshrrev_b32_e32 v3, s18, v3
	v_mul_lo_u32 v4, v3, s16
	v_mul_hi_u32 v5, s20, v3
	s_cmp_eq_u32 s66, s68
	v_sub_u32_e32 v1, v1, v4
	v_add_u32_e32 v4, v3, v5
	v_mul_lo_u32 v5, v1, s8
	v_mul_lo_u32 v6, v1, s9
	v_lshrrev_b32_e32 v1, s21, v4
	v_mul_lo_u32 v4, v1, s19
	v_mul_hi_u32 v7, s23, v1
	v_sub_u32_e32 v3, v3, v4
	v_add_u32_e32 v4, v1, v7
	v_lshrrev_b32_e32 v4, s0, v4
	v_mul_hi_u32 v8, s2, v4
	v_mul_lo_u32 v9, v4, s22
	v_mul_lo_u32 v7, v3, s10
	;; [unrolled: 1-line block ×3, first 2 shown]
	v_sub_u32_e32 v9, v1, v9
	v_add_u32_e32 v1, v4, v8
	v_lshrrev_b32_e32 v1, s3, v1
	v_mul_lo_u32 v8, v1, s1
	v_mul_lo_u32 v10, v9, s12
	;; [unrolled: 1-line block ×3, first 2 shown]
	v_add3_u32 v0, v5, v0, v7
	v_sub_u32_e32 v4, v4, v8
	v_mul_lo_u32 v8, v4, s14
	v_mul_lo_u32 v4, v4, s15
	v_add3_u32 v2, v6, v2, v3
	v_add3_u32 v0, v10, v0, v8
	;; [unrolled: 1-line block ×3, first 2 shown]
	s_cbranch_scc0 .LBB15_268
	s_branch .LBB15_275
.LBB15_269:
	s_or_b64 exec, exec, s[58:59]
	s_mov_b64 s[2:3], 0
	s_and_saveexec_b64 s[8:9], s[56:57]
	s_cbranch_execnz .LBB15_902
.LBB15_270:
	s_or_b64 exec, exec, s[8:9]
	s_and_saveexec_b64 s[8:9], s[62:63]
	s_xor_b64 s[8:9], exec, s[8:9]
	s_cbranch_execz .LBB15_903
.LBB15_271:
	global_load_ubyte v3, v[1:2], off
	s_or_b64 s[0:1], s[0:1], exec
	s_waitcnt vmcnt(0)
	v_cmp_ne_u16_e32 vcc, 0, v3
	v_cndmask_b32_e64 v3, 0, 1, vcc
	s_or_b64 exec, exec, s[8:9]
	s_and_saveexec_b64 s[8:9], s[10:11]
	s_cbranch_execz .LBB15_949
	s_branch .LBB15_904
.LBB15_272:
                                        ; implicit-def: $vgpr0
                                        ; implicit-def: $vgpr2
	s_andn2_b64 vcc, exec, s[0:1]
	s_cbranch_vccz .LBB15_279
	s_branch .LBB15_281
.LBB15_273:
	v_mov_b32_e32 v0, 0
	v_mov_b32_e32 v2, 0
	s_branch .LBB15_278
.LBB15_274:
	s_mov_b32 s66, 0
	v_mov_b32_e32 v0, 0
	v_mov_b32_e32 v2, 0
	;; [unrolled: 1-line block ×3, first 2 shown]
.LBB15_275:
	s_and_b32 s8, s67, 3
	s_cmp_eq_u32 s8, 0
	s_cbranch_scc1 .LBB15_278
; %bb.276:
	s_lshl_b32 s0, s66, 3
	s_add_u32 s0, s34, s0
	s_addc_u32 s1, s35, 0
	s_add_u32 s0, s0, 0xc4
	s_addc_u32 s1, s1, 0
	s_mul_i32 s2, s66, 12
	s_add_u32 s2, s34, s2
	s_addc_u32 s3, s35, 0
.LBB15_277:                             ; =>This Inner Loop Header: Depth=1
	s_load_dwordx2 s[10:11], s[2:3], 0x4
	s_load_dword s9, s[2:3], 0xc
	s_load_dwordx2 s[12:13], s[0:1], 0x0
	s_add_u32 s2, s2, 12
	s_addc_u32 s3, s3, 0
	s_waitcnt vmcnt(0) lgkmcnt(0)
	v_mul_hi_u32 v3, s11, v1
	s_add_u32 s0, s0, 8
	s_addc_u32 s1, s1, 0
	s_add_i32 s8, s8, -1
	v_add_u32_e32 v3, v1, v3
	v_lshrrev_b32_e32 v4, s9, v3
	v_mul_lo_u32 v3, v4, s10
	s_cmp_lg_u32 s8, 0
	v_sub_u32_e32 v3, v1, v3
	v_mad_u64_u32 v[0:1], s[10:11], v3, s12, v[0:1]
	v_mad_u64_u32 v[2:3], s[10:11], v3, s13, v[2:3]
	v_mov_b32_e32 v1, v4
	s_cbranch_scc1 .LBB15_277
.LBB15_278:
	s_cbranch_execnz .LBB15_281
.LBB15_279:
	s_waitcnt lgkmcnt(0)
	v_mul_hi_u32 v0, s37, v11
	s_andn2_b64 vcc, exec, s[48:49]
	v_add_u32_e32 v0, v11, v0
	v_lshrrev_b32_e32 v1, s38, v0
	v_mul_lo_u32 v0, v1, s36
	v_sub_u32_e32 v2, v11, v0
	v_mul_lo_u32 v0, v2, s28
	v_mul_lo_u32 v2, v2, s29
	s_cbranch_vccnz .LBB15_281
; %bb.280:
	s_waitcnt vmcnt(0)
	v_mul_hi_u32 v3, s46, v1
	v_add_u32_e32 v3, v1, v3
	v_lshrrev_b32_e32 v3, s47, v3
	v_mul_lo_u32 v3, v3, s39
	v_sub_u32_e32 v3, v1, v3
	v_mad_u64_u32 v[0:1], s[0:1], v3, s30, v[0:1]
	v_mad_u64_u32 v[2:3], s[0:1], v3, s31, v[2:3]
.LBB15_281:
	s_waitcnt vmcnt(0) lgkmcnt(0)
	v_mov_b32_e32 v3, s27
	s_and_b32 s10, s77, 0xff
	v_add_co_u32_e32 v1, vcc, s26, v2
	s_cmp_lt_i32 s10, 11
	v_addc_co_u32_e32 v2, vcc, 0, v3, vcc
	s_cbranch_scc1 .LBB15_288
; %bb.282:
	s_and_b32 s11, 0xffff, s10
	s_cmp_gt_i32 s11, 25
	s_cbranch_scc0 .LBB15_297
; %bb.283:
	s_cmp_gt_i32 s11, 28
	s_cbranch_scc0 .LBB15_299
; %bb.284:
	;; [unrolled: 3-line block ×4, first 2 shown]
	s_cmp_eq_u32 s11, 46
	s_mov_b64 s[8:9], 0
	s_cbranch_scc0 .LBB15_309
; %bb.287:
	global_load_dword v3, v[1:2], off
	s_mov_b32 s0, 0x2f800000
	s_mov_b32 s1, 0xcf800000
	s_mov_b64 s[2:3], 0
	s_waitcnt vmcnt(0)
	v_lshlrev_b32_e32 v3, 16, v3
	v_trunc_f32_e32 v3, v3
	v_mul_f32_e64 v4, |v3|, s0
	v_floor_f32_e32 v4, v4
	v_fma_f32 v4, v4, s1, |v3|
	v_cvt_u32_f32_e32 v4, v4
	v_ashrrev_i32_e32 v3, 31, v3
	s_mov_b64 s[0:1], -1
	v_xor_b32_e32 v4, v4, v3
	v_sub_u32_e32 v3, v4, v3
	s_branch .LBB15_310
.LBB15_288:
	s_mov_b64 s[0:1], 0
                                        ; implicit-def: $vgpr3
	s_mov_b64 s[2:3], s[56:57]
	s_cbranch_execnz .LBB15_483
.LBB15_289:
	s_andn2_b64 vcc, exec, s[0:1]
	s_cbranch_vccnz .LBB15_531
.LBB15_290:
	s_waitcnt vmcnt(0)
	v_lshlrev_b32_e32 v1, s76, v3
	v_cndmask_b32_e64 v2, v1, 0, s[44:45]
	v_mov_b32_e32 v1, s25
	s_and_b32 s14, s75, 0xff
	v_add_co_u32_e32 v0, vcc, s24, v0
	s_cmp_lt_i32 s14, 11
	v_addc_co_u32_e32 v1, vcc, 0, v1, vcc
	s_cbranch_scc1 .LBB15_298
; %bb.291:
	s_and_b32 s15, 0xffff, s14
	s_cmp_gt_i32 s15, 25
	s_cbranch_scc0 .LBB15_300
; %bb.292:
	s_cmp_gt_i32 s15, 28
	s_cbranch_scc0 .LBB15_302
; %bb.293:
	;; [unrolled: 3-line block ×4, first 2 shown]
	s_mov_b64 s[10:11], 0
	s_mov_b64 s[0:1], -1
	s_cmp_eq_u32 s15, 46
	s_mov_b64 s[8:9], 0
	s_cbranch_scc0 .LBB15_314
; %bb.296:
	v_cvt_f32_ubyte0_e32 v3, v2
	v_bfe_u32 v4, v3, 16, 1
	s_movk_i32 s0, 0x7fff
	v_add3_u32 v3, v3, v4, s0
	v_lshrrev_b32_e32 v3, 16, v3
	global_store_dword v[0:1], v3, off
	s_mov_b64 s[8:9], -1
	s_mov_b64 s[0:1], 0
	s_branch .LBB15_314
.LBB15_297:
	s_mov_b64 s[8:9], -1
	s_mov_b64 s[0:1], 0
	s_mov_b64 s[2:3], s[56:57]
                                        ; implicit-def: $vgpr3
	s_branch .LBB15_449
.LBB15_298:
	s_mov_b64 s[10:11], -1
	s_mov_b64 s[8:9], 0
	s_mov_b64 s[0:1], s[54:55]
	s_branch .LBB15_383
.LBB15_299:
	s_mov_b64 s[8:9], -1
	s_mov_b64 s[0:1], 0
	s_mov_b64 s[2:3], s[56:57]
                                        ; implicit-def: $vgpr3
	s_branch .LBB15_432
.LBB15_300:
	s_mov_b64 s[10:11], -1
	s_mov_b64 s[8:9], 0
	s_mov_b64 s[0:1], s[54:55]
	s_branch .LBB15_341
.LBB15_301:
	s_mov_b64 s[8:9], -1
	s_mov_b64 s[0:1], 0
	s_mov_b64 s[2:3], s[56:57]
                                        ; implicit-def: $vgpr3
	s_branch .LBB15_427
.LBB15_302:
	s_mov_b64 s[10:11], -1
	s_mov_b64 s[8:9], 0
	s_mov_b64 s[0:1], s[54:55]
	s_branch .LBB15_324
.LBB15_303:
	s_andn2_saveexec_b64 s[12:13], s[12:13]
	s_cbranch_execz .LBB15_68
.LBB15_304:
	v_add_f32_e32 v3, 0x46000000, v4
	v_and_b32_e32 v3, 0xff, v3
	v_cmp_ne_u32_e32 vcc, 0, v3
	s_andn2_b64 s[10:11], s[10:11], exec
	s_and_b64 s[16:17], vcc, exec
	s_or_b64 s[10:11], s[10:11], s[16:17]
	s_or_b64 exec, exec, s[12:13]
	v_mov_b32_e32 v5, 0
	s_and_saveexec_b64 s[12:13], s[10:11]
	s_cbranch_execnz .LBB15_69
	s_branch .LBB15_70
.LBB15_305:
	s_mov_b64 s[8:9], -1
	s_mov_b64 s[0:1], 0
	s_mov_b64 s[2:3], s[56:57]
                                        ; implicit-def: $vgpr3
	s_branch .LBB15_310
.LBB15_306:
	s_mov_b64 s[10:11], -1
	s_mov_b64 s[8:9], 0
	s_mov_b64 s[0:1], s[54:55]
	s_branch .LBB15_320
.LBB15_307:
	s_andn2_saveexec_b64 s[12:13], s[12:13]
	s_cbranch_execz .LBB15_81
.LBB15_308:
	v_add_f32_e32 v3, 0x42800000, v4
	v_and_b32_e32 v3, 0xff, v3
	v_cmp_ne_u32_e32 vcc, 0, v3
	s_andn2_b64 s[10:11], s[10:11], exec
	s_and_b64 s[16:17], vcc, exec
	s_or_b64 s[10:11], s[10:11], s[16:17]
	s_or_b64 exec, exec, s[12:13]
	v_mov_b32_e32 v5, 0
	s_and_saveexec_b64 s[12:13], s[10:11]
	s_cbranch_execnz .LBB15_82
	s_branch .LBB15_83
.LBB15_309:
	s_mov_b64 s[2:3], -1
                                        ; implicit-def: $vgpr3
	s_mov_b64 s[0:1], 0
.LBB15_310:
	s_and_b64 vcc, exec, s[8:9]
	s_cbranch_vccz .LBB15_426
; %bb.311:
	s_cmp_eq_u32 s11, 44
	s_cbranch_scc0 .LBB15_425
; %bb.312:
	global_load_ubyte v3, v[1:2], off
	s_mov_b32 s0, 0x2f800000
	s_mov_b32 s1, 0xcf800000
	s_mov_b64 s[2:3], 0
	s_waitcnt vmcnt(0)
	v_lshlrev_b32_e32 v4, 23, v3
	v_trunc_f32_e32 v4, v4
	v_mul_f32_e64 v5, |v4|, s0
	v_floor_f32_e32 v5, v5
	v_fma_f32 v5, v5, s1, |v4|
	v_cvt_u32_f32_e32 v5, v5
	v_ashrrev_i32_e32 v4, 31, v4
	v_cmp_ne_u32_e32 vcc, 0, v3
	s_mov_b64 s[0:1], -1
	v_xor_b32_e32 v5, v5, v4
	v_sub_u32_e32 v4, v5, v4
	v_cndmask_b32_e32 v3, 0, v4, vcc
	s_branch .LBB15_426
.LBB15_313:
	s_mov_b64 s[10:11], -1
	s_mov_b64 s[8:9], 0
	s_mov_b64 s[0:1], s[54:55]
.LBB15_314:
	s_and_b64 vcc, exec, s[10:11]
	s_cbranch_vccz .LBB15_319
; %bb.315:
	s_cmp_eq_u32 s15, 44
	s_mov_b64 s[0:1], -1
	s_cbranch_scc0 .LBB15_319
; %bb.316:
	v_cvt_f32_ubyte0_e32 v4, v2
	v_lshrrev_b32_e32 v3, 23, v4
	s_movk_i32 s0, 0xff
	v_cmp_ne_u32_e32 vcc, s0, v3
	v_mov_b32_e32 v5, 0xff
	s_and_saveexec_b64 s[8:9], vcc
; %bb.317:
	s_mov_b32 s0, 0x3fffff
	v_and_b32_e32 v5, 0x400000, v4
	v_and_or_b32 v4, v4, s0, v3
	v_cmp_ne_u32_e32 vcc, 0, v5
	v_cmp_ne_u32_e64 s[0:1], 0, v4
	s_and_b64 s[0:1], vcc, s[0:1]
	v_cndmask_b32_e64 v4, 0, 1, s[0:1]
	v_add_u32_e32 v5, v3, v4
; %bb.318:
	s_or_b64 exec, exec, s[8:9]
	s_mov_b64 s[8:9], -1
	s_mov_b64 s[0:1], 0
	global_store_byte v[0:1], v5, off
.LBB15_319:
	s_mov_b64 s[10:11], 0
.LBB15_320:
	s_and_b64 vcc, exec, s[10:11]
	s_cbranch_vccz .LBB15_323
; %bb.321:
	s_cmp_eq_u32 s15, 29
	s_mov_b64 s[0:1], -1
	s_cbranch_scc0 .LBB15_323
; %bb.322:
	v_and_b32_e32 v3, 0xff, v2
	v_mov_b32_e32 v4, 0
	global_store_dwordx2 v[0:1], v[3:4], off
	s_mov_b64 s[8:9], -1
	s_mov_b64 s[0:1], 0
.LBB15_323:
	s_mov_b64 s[10:11], 0
.LBB15_324:
	s_and_b64 vcc, exec, s[10:11]
	s_cbranch_vccz .LBB15_340
; %bb.325:
	s_cmp_lt_i32 s15, 27
	s_mov_b64 s[8:9], -1
	s_cbranch_scc1 .LBB15_331
; %bb.326:
	s_cmp_gt_i32 s15, 27
	s_cbranch_scc0 .LBB15_328
; %bb.327:
	v_and_b32_e32 v3, 0xff, v2
	s_mov_b64 s[8:9], 0
	global_store_dword v[0:1], v3, off
.LBB15_328:
	s_andn2_b64 vcc, exec, s[8:9]
	s_cbranch_vccnz .LBB15_330
; %bb.329:
	v_and_b32_e32 v3, 0xff, v2
	global_store_short v[0:1], v3, off
.LBB15_330:
	s_mov_b64 s[8:9], 0
.LBB15_331:
	s_andn2_b64 vcc, exec, s[8:9]
	s_cbranch_vccnz .LBB15_339
; %bb.332:
	v_cvt_f32_ubyte0_e32 v4, v2
	s_mov_b32 s8, 0x43800000
	v_cmp_gt_u32_e32 vcc, s8, v4
	v_mov_b32_e32 v5, 0x80
	s_and_saveexec_b64 s[8:9], vcc
	s_cbranch_execz .LBB15_338
; %bb.333:
	s_mov_b32 s10, 0x3bffffff
	v_cmp_lt_u32_e32 vcc, s10, v4
	s_mov_b64 s[10:11], 0
                                        ; implicit-def: $vgpr3
	s_and_saveexec_b64 s[12:13], vcc
	s_xor_b64 s[12:13], exec, s[12:13]
	s_cbranch_execz .LBB15_562
; %bb.334:
	v_bfe_u32 v3, v4, 20, 1
	s_mov_b32 s16, 0x487ffff
	v_add3_u32 v3, v4, v3, s16
	s_mov_b64 s[10:11], exec
	v_lshrrev_b32_e32 v3, 20, v3
                                        ; implicit-def: $vgpr4
	s_andn2_saveexec_b64 s[12:13], s[12:13]
	s_cbranch_execnz .LBB15_563
.LBB15_335:
	s_or_b64 exec, exec, s[12:13]
	v_mov_b32_e32 v5, 0
	s_and_saveexec_b64 s[12:13], s[10:11]
.LBB15_336:
	v_mov_b32_e32 v5, v3
.LBB15_337:
	s_or_b64 exec, exec, s[12:13]
.LBB15_338:
	s_or_b64 exec, exec, s[8:9]
	global_store_byte v[0:1], v5, off
.LBB15_339:
	s_mov_b64 s[8:9], -1
.LBB15_340:
	s_mov_b64 s[10:11], 0
.LBB15_341:
	s_and_b64 vcc, exec, s[10:11]
	s_cbranch_vccz .LBB15_382
; %bb.342:
	s_cmp_gt_i32 s15, 22
	s_mov_b64 s[10:11], -1
	s_cbranch_scc0 .LBB15_374
; %bb.343:
	s_cmp_lt_i32 s15, 24
	s_mov_b64 s[8:9], -1
	s_cbranch_scc1 .LBB15_363
; %bb.344:
	s_cmp_gt_i32 s15, 24
	s_cbranch_scc0 .LBB15_352
; %bb.345:
	v_cvt_f32_ubyte0_e32 v4, v2
	s_mov_b32 s8, 0x47800000
	v_cmp_gt_u32_e32 vcc, s8, v4
	v_mov_b32_e32 v5, 0x80
	s_and_saveexec_b64 s[8:9], vcc
	s_cbranch_execz .LBB15_351
; %bb.346:
	s_mov_b32 s10, 0x37ffffff
	v_cmp_lt_u32_e32 vcc, s10, v4
	s_mov_b64 s[10:11], 0
                                        ; implicit-def: $vgpr3
	s_and_saveexec_b64 s[12:13], vcc
	s_xor_b64 s[12:13], exec, s[12:13]
	s_cbranch_execz .LBB15_565
; %bb.347:
	v_bfe_u32 v3, v4, 21, 1
	s_mov_b32 s16, 0x88fffff
	v_add3_u32 v3, v4, v3, s16
	s_mov_b64 s[10:11], exec
	v_lshrrev_b32_e32 v3, 21, v3
                                        ; implicit-def: $vgpr4
	s_andn2_saveexec_b64 s[12:13], s[12:13]
	s_cbranch_execnz .LBB15_566
.LBB15_348:
	s_or_b64 exec, exec, s[12:13]
	v_mov_b32_e32 v5, 0
	s_and_saveexec_b64 s[12:13], s[10:11]
.LBB15_349:
	v_mov_b32_e32 v5, v3
.LBB15_350:
	s_or_b64 exec, exec, s[12:13]
.LBB15_351:
	s_or_b64 exec, exec, s[8:9]
	s_mov_b64 s[8:9], 0
	global_store_byte v[0:1], v5, off
.LBB15_352:
	s_and_b64 vcc, exec, s[8:9]
	s_cbranch_vccz .LBB15_362
; %bb.353:
	v_cvt_f32_ubyte0_e32 v3, v2
	s_mov_b32 s8, 0x43f00000
	v_cmp_gt_u32_e32 vcc, s8, v3
                                        ; implicit-def: $vgpr4
	s_and_saveexec_b64 s[8:9], vcc
	s_xor_b64 s[8:9], exec, s[8:9]
	s_cbranch_execz .LBB15_359
; %bb.354:
	s_mov_b32 s10, 0x3c7fffff
	v_cmp_lt_u32_e32 vcc, s10, v3
                                        ; implicit-def: $vgpr4
	s_and_saveexec_b64 s[10:11], vcc
	s_xor_b64 s[10:11], exec, s[10:11]
; %bb.355:
	v_bfe_u32 v4, v3, 20, 1
	s_mov_b32 s12, 0x407ffff
	v_add3_u32 v3, v3, v4, s12
	v_lshrrev_b32_e32 v4, 20, v3
	v_and_b32_e32 v3, 0xff00000, v3
	s_mov_b32 s12, 0x7f00000
	v_mov_b32_e32 v5, 0x7e
	v_cmp_ne_u32_e32 vcc, s12, v3
	v_cndmask_b32_e32 v4, v5, v4, vcc
                                        ; implicit-def: $vgpr3
; %bb.356:
	s_andn2_saveexec_b64 s[10:11], s[10:11]
; %bb.357:
	v_add_f32_e32 v4, 0x46800000, v3
; %bb.358:
	s_or_b64 exec, exec, s[10:11]
                                        ; implicit-def: $vgpr3
.LBB15_359:
	s_andn2_saveexec_b64 s[8:9], s[8:9]
; %bb.360:
	s_mov_b32 s10, 0x7f800000
	v_mov_b32_e32 v4, 0x7e
	v_mov_b32_e32 v5, 0x7f
	v_cmp_lt_u32_e32 vcc, s10, v3
	v_cndmask_b32_e32 v4, v4, v5, vcc
; %bb.361:
	s_or_b64 exec, exec, s[8:9]
	global_store_byte v[0:1], v4, off
.LBB15_362:
	s_mov_b64 s[8:9], 0
.LBB15_363:
	s_andn2_b64 vcc, exec, s[8:9]
	s_cbranch_vccnz .LBB15_373
; %bb.364:
	v_cvt_f32_ubyte0_e32 v3, v2
	s_mov_b32 s8, 0x47800000
	v_cmp_gt_u32_e32 vcc, s8, v3
                                        ; implicit-def: $vgpr4
	s_and_saveexec_b64 s[8:9], vcc
	s_xor_b64 s[8:9], exec, s[8:9]
	s_cbranch_execz .LBB15_370
; %bb.365:
	s_mov_b32 s10, 0x387fffff
	v_cmp_lt_u32_e32 vcc, s10, v3
                                        ; implicit-def: $vgpr4
	s_and_saveexec_b64 s[10:11], vcc
	s_xor_b64 s[10:11], exec, s[10:11]
; %bb.366:
	v_bfe_u32 v4, v3, 21, 1
	s_mov_b32 s12, 0x80fffff
	v_add3_u32 v3, v3, v4, s12
	v_lshrrev_b32_e32 v4, 21, v3
                                        ; implicit-def: $vgpr3
; %bb.367:
	s_andn2_saveexec_b64 s[10:11], s[10:11]
; %bb.368:
	v_add_f32_e32 v4, 0x43000000, v3
; %bb.369:
	s_or_b64 exec, exec, s[10:11]
                                        ; implicit-def: $vgpr3
.LBB15_370:
	s_andn2_saveexec_b64 s[8:9], s[8:9]
; %bb.371:
	s_mov_b32 s10, 0x7f800000
	v_mov_b32_e32 v4, 0x7c
	v_mov_b32_e32 v5, 0x7f
	v_cmp_lt_u32_e32 vcc, s10, v3
	v_cndmask_b32_e32 v4, v4, v5, vcc
; %bb.372:
	s_or_b64 exec, exec, s[8:9]
	global_store_byte v[0:1], v4, off
.LBB15_373:
	s_mov_b64 s[10:11], 0
	s_mov_b64 s[8:9], -1
.LBB15_374:
	s_andn2_b64 vcc, exec, s[10:11]
	s_cbranch_vccnz .LBB15_382
; %bb.375:
	s_cmp_gt_i32 s15, 14
	s_mov_b64 s[10:11], -1
	s_cbranch_scc0 .LBB15_379
; %bb.376:
	s_cmp_eq_u32 s15, 15
	s_mov_b64 s[0:1], -1
	s_cbranch_scc0 .LBB15_378
; %bb.377:
	v_cvt_f32_ubyte0_e32 v3, v2
	v_bfe_u32 v4, v3, 16, 1
	s_movk_i32 s0, 0x7fff
	v_add3_u32 v3, v3, v4, s0
	global_store_short_d16_hi v[0:1], v3, off
	s_mov_b64 s[8:9], -1
	s_mov_b64 s[0:1], 0
.LBB15_378:
	s_mov_b64 s[10:11], 0
.LBB15_379:
	s_and_b64 vcc, exec, s[10:11]
	s_cbranch_vccz .LBB15_382
; %bb.380:
	s_cmp_eq_u32 s15, 11
	s_mov_b64 s[0:1], -1
	s_cbranch_scc0 .LBB15_382
; %bb.381:
	v_mov_b32_e32 v3, 0
	v_cmp_ne_u16_sdwa s[0:1], v2, v3 src0_sel:BYTE_0 src1_sel:DWORD
	v_cndmask_b32_e64 v3, 0, 1, s[0:1]
	s_mov_b64 s[8:9], -1
	s_mov_b64 s[0:1], 0
	global_store_byte v[0:1], v3, off
.LBB15_382:
	s_mov_b64 s[10:11], 0
.LBB15_383:
	s_and_b64 vcc, exec, s[10:11]
	s_cbranch_vccz .LBB15_422
; %bb.384:
	s_and_b32 s10, 0xffff, s14
	s_cmp_lt_i32 s10, 5
	s_mov_b64 s[8:9], -1
	s_cbranch_scc1 .LBB15_405
; %bb.385:
	s_cmp_lt_i32 s10, 8
	s_cbranch_scc1 .LBB15_395
; %bb.386:
	s_cmp_lt_i32 s10, 9
	s_cbranch_scc1 .LBB15_392
; %bb.387:
	s_cmp_gt_i32 s10, 9
	s_cbranch_scc0 .LBB15_389
; %bb.388:
	s_mov_b32 s8, 0xffff
	v_and_b32_sdwa v3, s8, v2 dst_sel:DWORD dst_unused:UNUSED_PAD src0_sel:DWORD src1_sel:BYTE_0
	v_cvt_f64_u32_e32 v[3:4], v3
	v_mov_b32_e32 v5, 0
	v_mov_b32_e32 v6, v5
	s_mov_b64 s[8:9], 0
	global_store_dwordx4 v[0:1], v[3:6], off
.LBB15_389:
	s_andn2_b64 vcc, exec, s[8:9]
	s_cbranch_vccnz .LBB15_391
; %bb.390:
	v_cvt_f32_ubyte0_e32 v3, v2
	v_mov_b32_e32 v4, 0
	global_store_dwordx2 v[0:1], v[3:4], off
.LBB15_391:
	s_mov_b64 s[8:9], 0
.LBB15_392:
	s_andn2_b64 vcc, exec, s[8:9]
	s_cbranch_vccnz .LBB15_394
; %bb.393:
	v_cvt_f16_u16_sdwa v3, v2 dst_sel:DWORD dst_unused:UNUSED_PAD src0_sel:BYTE_0
	global_store_dword v[0:1], v3, off
.LBB15_394:
	s_mov_b64 s[8:9], 0
.LBB15_395:
	s_andn2_b64 vcc, exec, s[8:9]
	s_cbranch_vccnz .LBB15_404
; %bb.396:
	s_cmp_lt_i32 s10, 6
	s_mov_b64 s[8:9], -1
	s_cbranch_scc1 .LBB15_402
; %bb.397:
	s_cmp_gt_i32 s10, 6
	s_cbranch_scc0 .LBB15_399
; %bb.398:
	s_mov_b32 s8, 0xffff
	v_and_b32_sdwa v3, s8, v2 dst_sel:DWORD dst_unused:UNUSED_PAD src0_sel:DWORD src1_sel:BYTE_0
	v_cvt_f64_u32_e32 v[3:4], v3
	s_mov_b64 s[8:9], 0
	global_store_dwordx2 v[0:1], v[3:4], off
.LBB15_399:
	s_andn2_b64 vcc, exec, s[8:9]
	s_cbranch_vccnz .LBB15_401
; %bb.400:
	v_cvt_f32_ubyte0_e32 v3, v2
	global_store_dword v[0:1], v3, off
.LBB15_401:
	s_mov_b64 s[8:9], 0
.LBB15_402:
	s_andn2_b64 vcc, exec, s[8:9]
	s_cbranch_vccnz .LBB15_404
; %bb.403:
	v_cvt_f16_u16_sdwa v3, v2 dst_sel:DWORD dst_unused:UNUSED_PAD src0_sel:BYTE_0
	global_store_short v[0:1], v3, off
.LBB15_404:
	s_mov_b64 s[8:9], 0
.LBB15_405:
	s_andn2_b64 vcc, exec, s[8:9]
	s_cbranch_vccnz .LBB15_421
; %bb.406:
	s_cmp_lt_i32 s10, 2
	s_mov_b64 s[8:9], -1
	s_cbranch_scc1 .LBB15_416
; %bb.407:
	s_cmp_lt_i32 s10, 3
	s_cbranch_scc1 .LBB15_413
; %bb.408:
	s_cmp_gt_i32 s10, 3
	s_cbranch_scc0 .LBB15_410
; %bb.409:
	v_and_b32_e32 v3, 0xff, v2
	v_mov_b32_e32 v4, 0
	s_mov_b64 s[8:9], 0
	global_store_dwordx2 v[0:1], v[3:4], off
.LBB15_410:
	s_andn2_b64 vcc, exec, s[8:9]
	s_cbranch_vccnz .LBB15_412
; %bb.411:
	v_and_b32_e32 v3, 0xff, v2
	global_store_dword v[0:1], v3, off
.LBB15_412:
	s_mov_b64 s[8:9], 0
.LBB15_413:
	s_andn2_b64 vcc, exec, s[8:9]
	s_cbranch_vccnz .LBB15_415
; %bb.414:
	v_and_b32_e32 v3, 0xff, v2
	global_store_short v[0:1], v3, off
.LBB15_415:
	s_mov_b64 s[8:9], 0
.LBB15_416:
	s_andn2_b64 vcc, exec, s[8:9]
	s_cbranch_vccnz .LBB15_421
; %bb.417:
	s_cmp_gt_i32 s10, 0
	s_mov_b64 s[8:9], -1
	s_cbranch_scc0 .LBB15_419
; %bb.418:
	s_mov_b64 s[8:9], 0
	global_store_byte v[0:1], v2, off
.LBB15_419:
	s_andn2_b64 vcc, exec, s[8:9]
	s_cbranch_vccnz .LBB15_421
; %bb.420:
	global_store_byte v[0:1], v2, off
.LBB15_421:
	s_mov_b64 s[8:9], -1
.LBB15_422:
	s_andn2_b64 vcc, exec, s[8:9]
	s_cbranch_vccnz .LBB15_424
; %bb.423:
	v_add_u32_e32 v11, 0x80, v11
	s_mov_b64 s[8:9], -1
	s_branch .LBB15_533
.LBB15_424:
	s_mov_b64 s[8:9], 0
	s_branch .LBB15_532
.LBB15_425:
	s_mov_b64 s[2:3], -1
                                        ; implicit-def: $vgpr3
.LBB15_426:
	s_mov_b64 s[8:9], 0
.LBB15_427:
	s_and_b64 vcc, exec, s[8:9]
	s_cbranch_vccz .LBB15_431
; %bb.428:
	s_cmp_eq_u32 s11, 29
	s_cbranch_scc0 .LBB15_430
; %bb.429:
	global_load_dwordx2 v[3:4], v[1:2], off
	s_mov_b64 s[0:1], -1
	s_mov_b64 s[2:3], 0
	s_branch .LBB15_431
.LBB15_430:
	s_mov_b64 s[2:3], -1
                                        ; implicit-def: $vgpr3
.LBB15_431:
	s_mov_b64 s[8:9], 0
.LBB15_432:
	s_and_b64 vcc, exec, s[8:9]
	s_cbranch_vccz .LBB15_448
; %bb.433:
	s_cmp_lt_i32 s11, 27
	s_cbranch_scc1 .LBB15_436
; %bb.434:
	s_cmp_gt_i32 s11, 27
	s_cbranch_scc0 .LBB15_437
; %bb.435:
	global_load_dword v3, v[1:2], off
	s_mov_b64 s[0:1], 0
	s_branch .LBB15_438
.LBB15_436:
	s_mov_b64 s[0:1], -1
                                        ; implicit-def: $vgpr3
	s_branch .LBB15_441
.LBB15_437:
	s_mov_b64 s[0:1], -1
                                        ; implicit-def: $vgpr3
.LBB15_438:
	s_andn2_b64 vcc, exec, s[0:1]
	s_cbranch_vccnz .LBB15_440
; %bb.439:
	global_load_ushort v3, v[1:2], off
.LBB15_440:
	s_mov_b64 s[0:1], 0
.LBB15_441:
	s_andn2_b64 vcc, exec, s[0:1]
	s_cbranch_vccnz .LBB15_447
; %bb.442:
	global_load_ubyte v4, v[1:2], off
	s_movk_i32 s0, 0x7f
	s_mov_b64 s[8:9], 0
	s_waitcnt vmcnt(0)
	v_cmp_lt_i16_e32 vcc, s0, v4
	s_and_saveexec_b64 s[0:1], vcc
	s_xor_b64 s[0:1], exec, s[0:1]
	s_cbranch_execz .LBB15_459
; %bb.443:
	s_movk_i32 s8, 0x80
	v_cmp_ne_u16_e32 vcc, s8, v4
	s_and_b64 s[8:9], vcc, exec
	s_andn2_saveexec_b64 s[0:1], s[0:1]
	s_cbranch_execnz .LBB15_460
.LBB15_444:
	s_or_b64 exec, exec, s[0:1]
	v_mov_b32_e32 v3, 0
	s_and_saveexec_b64 s[0:1], s[8:9]
	s_cbranch_execz .LBB15_446
.LBB15_445:
	v_lshlrev_b32_e32 v3, 24, v4
	v_and_b32_e32 v4, 0xffff, v4
	v_and_b32_e32 v5, 7, v4
	v_ffbh_u32_e32 v7, v5
	v_min_u32_e32 v7, 32, v7
	v_subrev_u32_e32 v8, 28, v7
	v_bfe_u32 v6, v4, 3, 4
	v_lshlrev_b32_e32 v4, v8, v4
	v_sub_u32_e32 v7, 29, v7
	v_and_b32_e32 v4, 7, v4
	v_cmp_eq_u32_e32 vcc, 0, v6
	v_cndmask_b32_e32 v6, v6, v7, vcc
	v_cndmask_b32_e32 v4, v5, v4, vcc
	v_mov_b32_e32 v5, 0x3b800000
	v_lshlrev_b32_e32 v4, 20, v4
	v_and_b32_e32 v3, 0x80000000, v3
	v_lshl_add_u32 v5, v6, 23, v5
	v_or3_b32 v3, v3, v5, v4
	v_trunc_f32_e32 v3, v3
	s_mov_b32 s8, 0x2f800000
	v_mul_f32_e64 v4, |v3|, s8
	v_floor_f32_e32 v4, v4
	s_mov_b32 s8, 0xcf800000
	v_fma_f32 v4, v4, s8, |v3|
	v_cvt_u32_f32_e32 v4, v4
	v_ashrrev_i32_e32 v3, 31, v3
	v_xor_b32_e32 v4, v4, v3
	v_sub_u32_e32 v3, v4, v3
.LBB15_446:
	s_or_b64 exec, exec, s[0:1]
.LBB15_447:
	s_mov_b64 s[0:1], -1
.LBB15_448:
	s_mov_b64 s[8:9], 0
.LBB15_449:
	s_and_b64 vcc, exec, s[8:9]
	s_cbranch_vccz .LBB15_482
; %bb.450:
	s_cmp_gt_i32 s11, 22
	s_cbranch_scc0 .LBB15_458
; %bb.451:
	s_cmp_lt_i32 s11, 24
	s_cbranch_scc1 .LBB15_461
; %bb.452:
	s_cmp_gt_i32 s11, 24
	s_cbranch_scc0 .LBB15_462
; %bb.453:
	global_load_ubyte v4, v[1:2], off
	s_movk_i32 s0, 0x7f
	s_mov_b64 s[8:9], 0
	s_waitcnt vmcnt(0)
	v_cmp_lt_i16_e32 vcc, s0, v4
	s_and_saveexec_b64 s[0:1], vcc
	s_xor_b64 s[0:1], exec, s[0:1]
	s_cbranch_execz .LBB15_474
; %bb.454:
	s_movk_i32 s8, 0x80
	v_cmp_ne_u16_e32 vcc, s8, v4
	s_and_b64 s[8:9], vcc, exec
	s_andn2_saveexec_b64 s[0:1], s[0:1]
	s_cbranch_execnz .LBB15_475
.LBB15_455:
	s_or_b64 exec, exec, s[0:1]
	v_mov_b32_e32 v3, 0
	s_and_saveexec_b64 s[0:1], s[8:9]
	s_cbranch_execz .LBB15_457
.LBB15_456:
	v_lshlrev_b32_e32 v3, 24, v4
	v_and_b32_e32 v4, 0xffff, v4
	v_and_b32_e32 v5, 3, v4
	v_ffbh_u32_e32 v7, v5
	v_min_u32_e32 v7, 32, v7
	v_subrev_u32_e32 v8, 29, v7
	v_bfe_u32 v6, v4, 2, 5
	v_lshlrev_b32_e32 v4, v8, v4
	v_sub_u32_e32 v7, 30, v7
	v_and_b32_e32 v4, 3, v4
	v_cmp_eq_u32_e32 vcc, 0, v6
	v_cndmask_b32_e32 v6, v6, v7, vcc
	v_cndmask_b32_e32 v4, v5, v4, vcc
	v_mov_b32_e32 v5, 0x37800000
	v_lshlrev_b32_e32 v4, 21, v4
	v_and_b32_e32 v3, 0x80000000, v3
	v_lshl_add_u32 v5, v6, 23, v5
	v_or3_b32 v3, v3, v5, v4
	v_trunc_f32_e32 v3, v3
	s_mov_b32 s8, 0x2f800000
	v_mul_f32_e64 v4, |v3|, s8
	v_floor_f32_e32 v4, v4
	s_mov_b32 s8, 0xcf800000
	v_fma_f32 v4, v4, s8, |v3|
	v_cvt_u32_f32_e32 v4, v4
	v_ashrrev_i32_e32 v3, 31, v3
	v_xor_b32_e32 v4, v4, v3
	v_sub_u32_e32 v3, v4, v3
.LBB15_457:
	s_or_b64 exec, exec, s[0:1]
	s_mov_b64 s[0:1], 0
	s_branch .LBB15_463
.LBB15_458:
	s_mov_b64 s[8:9], -1
                                        ; implicit-def: $vgpr3
	s_branch .LBB15_469
.LBB15_459:
	s_andn2_saveexec_b64 s[0:1], s[0:1]
	s_cbranch_execz .LBB15_444
.LBB15_460:
	v_cmp_ne_u16_e32 vcc, 0, v4
	s_andn2_b64 s[8:9], s[8:9], exec
	s_and_b64 s[12:13], vcc, exec
	s_or_b64 s[8:9], s[8:9], s[12:13]
	s_or_b64 exec, exec, s[0:1]
	v_mov_b32_e32 v3, 0
	s_and_saveexec_b64 s[0:1], s[8:9]
	s_cbranch_execnz .LBB15_445
	s_branch .LBB15_446
.LBB15_461:
	s_mov_b64 s[0:1], -1
                                        ; implicit-def: $vgpr3
	s_branch .LBB15_466
.LBB15_462:
	s_mov_b64 s[0:1], -1
                                        ; implicit-def: $vgpr3
.LBB15_463:
	s_and_b64 vcc, exec, s[0:1]
	s_cbranch_vccz .LBB15_465
; %bb.464:
	global_load_ubyte v3, v[1:2], off
	s_mov_b32 s0, 0x7f800000
	s_brev_b32 s1, 1
	s_mov_b32 s8, 0x2f800000
	s_waitcnt vmcnt(0)
	v_lshlrev_b32_e32 v3, 24, v3
	v_and_b32_e32 v4, 0x7f000000, v3
	v_ffbh_u32_e32 v5, v4
	v_min_u32_e32 v5, 32, v5
	v_sub_u32_e64 v5, v5, 4 clamp
	v_lshlrev_b32_e32 v7, v5, v4
	v_lshlrev_b32_e32 v5, 23, v5
	v_lshrrev_b32_e32 v7, 4, v7
	v_add_u32_e32 v6, 0x1000000, v4
	v_sub_u32_e32 v5, v7, v5
	v_ashrrev_i32_e32 v6, 8, v6
	v_add_u32_e32 v5, 0x3c000000, v5
	v_and_or_b32 v5, v6, s0, v5
	v_cmp_ne_u32_e32 vcc, 0, v4
	v_cndmask_b32_e32 v4, 0, v5, vcc
	v_and_or_b32 v3, v3, s1, v4
	v_trunc_f32_e32 v3, v3
	v_mul_f32_e64 v4, |v3|, s8
	v_floor_f32_e32 v4, v4
	s_mov_b32 s0, 0xcf800000
	v_fma_f32 v4, v4, s0, |v3|
	v_cvt_u32_f32_e32 v4, v4
	v_ashrrev_i32_e32 v3, 31, v3
	v_xor_b32_e32 v4, v4, v3
	v_sub_u32_e32 v3, v4, v3
.LBB15_465:
	s_mov_b64 s[0:1], 0
.LBB15_466:
	s_andn2_b64 vcc, exec, s[0:1]
	s_cbranch_vccnz .LBB15_468
; %bb.467:
	global_load_ubyte v3, v[1:2], off
	s_movk_i32 s0, 0x7f00
	s_brev_b32 s1, 16
	s_brev_b32 s8, 1
	s_mov_b32 s9, 0x2f800000
	s_waitcnt vmcnt(0)
	v_lshlrev_b16_e32 v4, 8, v3
	v_lshlrev_b32_e32 v3, 25, v3
	v_lshrrev_b32_e32 v5, 4, v3
	v_and_or_b32 v6, v4, s0, 0.5
	v_or_b32_e32 v5, 0x70000000, v5
	v_add_f32_e32 v6, -0.5, v6
	v_mul_f32_e32 v5, 0x7800000, v5
	v_cmp_gt_u32_e32 vcc, s1, v3
	v_bfe_i32 v4, v4, 0, 16
	v_cndmask_b32_e32 v3, v5, v6, vcc
	v_and_or_b32 v3, v4, s8, v3
	v_trunc_f32_e32 v3, v3
	v_mul_f32_e64 v4, |v3|, s9
	v_floor_f32_e32 v4, v4
	s_mov_b32 s0, 0xcf800000
	v_fma_f32 v4, v4, s0, |v3|
	v_cvt_u32_f32_e32 v4, v4
	v_ashrrev_i32_e32 v3, 31, v3
	v_xor_b32_e32 v4, v4, v3
	v_sub_u32_e32 v3, v4, v3
.LBB15_468:
	s_mov_b64 s[8:9], 0
	s_mov_b64 s[0:1], -1
.LBB15_469:
	s_andn2_b64 vcc, exec, s[8:9]
	s_cbranch_vccnz .LBB15_482
; %bb.470:
	s_cmp_gt_i32 s11, 14
	s_cbranch_scc0 .LBB15_473
; %bb.471:
	s_cmp_eq_u32 s11, 15
	s_cbranch_scc0 .LBB15_476
; %bb.472:
	global_load_ushort v3, v[1:2], off
	s_mov_b32 s0, 0x2f800000
	s_mov_b32 s1, 0xcf800000
	s_mov_b64 s[2:3], 0
	s_waitcnt vmcnt(0)
	v_lshlrev_b32_e32 v3, 16, v3
	v_trunc_f32_e32 v3, v3
	v_mul_f32_e64 v4, |v3|, s0
	v_floor_f32_e32 v4, v4
	v_fma_f32 v4, v4, s1, |v3|
	v_cvt_u32_f32_e32 v4, v4
	v_ashrrev_i32_e32 v3, 31, v3
	s_mov_b64 s[0:1], -1
	v_xor_b32_e32 v4, v4, v3
	v_sub_u32_e32 v3, v4, v3
	s_branch .LBB15_477
.LBB15_473:
	s_mov_b64 s[8:9], -1
                                        ; implicit-def: $vgpr3
	s_branch .LBB15_478
.LBB15_474:
	s_andn2_saveexec_b64 s[0:1], s[0:1]
	s_cbranch_execz .LBB15_455
.LBB15_475:
	v_cmp_ne_u16_e32 vcc, 0, v4
	s_andn2_b64 s[8:9], s[8:9], exec
	s_and_b64 s[12:13], vcc, exec
	s_or_b64 s[8:9], s[8:9], s[12:13]
	s_or_b64 exec, exec, s[0:1]
	v_mov_b32_e32 v3, 0
	s_and_saveexec_b64 s[0:1], s[8:9]
	s_cbranch_execnz .LBB15_456
	s_branch .LBB15_457
.LBB15_476:
	s_mov_b64 s[2:3], -1
                                        ; implicit-def: $vgpr3
.LBB15_477:
	s_mov_b64 s[8:9], 0
.LBB15_478:
	s_and_b64 vcc, exec, s[8:9]
	s_cbranch_vccz .LBB15_482
; %bb.479:
	s_cmp_eq_u32 s11, 11
	s_cbranch_scc0 .LBB15_481
; %bb.480:
	global_load_ubyte v3, v[1:2], off
	s_mov_b64 s[0:1], -1
	s_mov_b64 s[2:3], 0
	s_waitcnt vmcnt(0)
	v_cmp_ne_u16_e32 vcc, 0, v3
	v_cndmask_b32_e64 v3, 0, 1, vcc
	s_branch .LBB15_482
.LBB15_481:
	s_mov_b64 s[2:3], -1
                                        ; implicit-def: $vgpr3
.LBB15_482:
	s_branch .LBB15_289
.LBB15_483:
	s_and_b32 s8, 0xffff, s10
	s_cmp_lt_i32 s8, 5
	s_cbranch_scc1 .LBB15_488
; %bb.484:
	s_cmp_lt_i32 s8, 8
	s_cbranch_scc1 .LBB15_489
; %bb.485:
	;; [unrolled: 3-line block ×3, first 2 shown]
	s_cmp_gt_i32 s8, 9
	s_cbranch_scc0 .LBB15_491
; %bb.487:
	global_load_dwordx2 v[3:4], v[1:2], off
	s_movk_i32 s0, 0xffe0
	s_waitcnt vmcnt(0)
	v_trunc_f64_e32 v[3:4], v[3:4]
	v_ldexp_f64 v[5:6], v[3:4], s0
	s_mov_b32 s0, 0
	s_mov_b32 s1, 0xc1f00000
	v_floor_f64_e32 v[5:6], v[5:6]
	v_fma_f64 v[3:4], v[5:6], s[0:1], v[3:4]
	s_mov_b64 s[0:1], 0
	v_cvt_u32_f64_e32 v3, v[3:4]
	s_branch .LBB15_492
.LBB15_488:
	s_mov_b64 s[0:1], -1
                                        ; implicit-def: $vgpr3
	s_branch .LBB15_510
.LBB15_489:
	s_mov_b64 s[0:1], -1
                                        ; implicit-def: $vgpr3
	s_branch .LBB15_498
.LBB15_490:
	s_mov_b64 s[0:1], -1
                                        ; implicit-def: $vgpr3
	s_branch .LBB15_495
.LBB15_491:
	s_mov_b64 s[0:1], -1
                                        ; implicit-def: $vgpr3
.LBB15_492:
	s_andn2_b64 vcc, exec, s[0:1]
	s_cbranch_vccnz .LBB15_494
; %bb.493:
	global_load_dword v3, v[1:2], off
	s_mov_b32 s0, 0x2f800000
	s_waitcnt vmcnt(0)
	v_trunc_f32_e32 v3, v3
	v_mul_f32_e64 v4, |v3|, s0
	v_floor_f32_e32 v4, v4
	s_mov_b32 s0, 0xcf800000
	v_fma_f32 v4, v4, s0, |v3|
	v_cvt_u32_f32_e32 v4, v4
	v_ashrrev_i32_e32 v3, 31, v3
	v_xor_b32_e32 v4, v4, v3
	v_sub_u32_e32 v3, v4, v3
.LBB15_494:
	s_mov_b64 s[0:1], 0
.LBB15_495:
	s_andn2_b64 vcc, exec, s[0:1]
	s_cbranch_vccnz .LBB15_497
; %bb.496:
	global_load_dword v3, v[1:2], off
	s_waitcnt vmcnt(0)
	v_cvt_f32_f16_e32 v3, v3
	v_cvt_i32_f32_e32 v3, v3
.LBB15_497:
	s_mov_b64 s[0:1], 0
.LBB15_498:
	s_andn2_b64 vcc, exec, s[0:1]
	s_cbranch_vccnz .LBB15_509
; %bb.499:
	s_cmp_lt_i32 s8, 6
	s_cbranch_scc1 .LBB15_502
; %bb.500:
	s_cmp_gt_i32 s8, 6
	s_cbranch_scc0 .LBB15_503
; %bb.501:
	global_load_dwordx2 v[3:4], v[1:2], off
	s_movk_i32 s0, 0xffe0
	s_waitcnt vmcnt(0)
	v_trunc_f64_e32 v[3:4], v[3:4]
	v_ldexp_f64 v[5:6], v[3:4], s0
	s_mov_b32 s0, 0
	s_mov_b32 s1, 0xc1f00000
	v_floor_f64_e32 v[5:6], v[5:6]
	v_fma_f64 v[3:4], v[5:6], s[0:1], v[3:4]
	s_mov_b64 s[0:1], 0
	v_cvt_u32_f64_e32 v3, v[3:4]
	s_branch .LBB15_504
.LBB15_502:
	s_mov_b64 s[0:1], -1
                                        ; implicit-def: $vgpr3
	s_branch .LBB15_507
.LBB15_503:
	s_mov_b64 s[0:1], -1
                                        ; implicit-def: $vgpr3
.LBB15_504:
	s_andn2_b64 vcc, exec, s[0:1]
	s_cbranch_vccnz .LBB15_506
; %bb.505:
	global_load_dword v3, v[1:2], off
	s_mov_b32 s0, 0x2f800000
	s_waitcnt vmcnt(0)
	v_trunc_f32_e32 v3, v3
	v_mul_f32_e64 v4, |v3|, s0
	v_floor_f32_e32 v4, v4
	s_mov_b32 s0, 0xcf800000
	v_fma_f32 v4, v4, s0, |v3|
	v_cvt_u32_f32_e32 v4, v4
	v_ashrrev_i32_e32 v3, 31, v3
	v_xor_b32_e32 v4, v4, v3
	v_sub_u32_e32 v3, v4, v3
.LBB15_506:
	s_mov_b64 s[0:1], 0
.LBB15_507:
	s_andn2_b64 vcc, exec, s[0:1]
	s_cbranch_vccnz .LBB15_509
; %bb.508:
	global_load_ushort v3, v[1:2], off
	s_waitcnt vmcnt(0)
	v_cvt_f32_f16_e32 v3, v3
	v_cvt_i32_f32_e32 v3, v3
.LBB15_509:
	s_mov_b64 s[0:1], 0
.LBB15_510:
	s_andn2_b64 vcc, exec, s[0:1]
	s_cbranch_vccnz .LBB15_530
; %bb.511:
	s_cmp_lt_i32 s8, 2
	s_cbranch_scc1 .LBB15_515
; %bb.512:
	s_cmp_lt_i32 s8, 3
	s_cbranch_scc1 .LBB15_516
; %bb.513:
	s_cmp_gt_i32 s8, 3
	s_cbranch_scc0 .LBB15_517
; %bb.514:
	global_load_dwordx2 v[3:4], v[1:2], off
	s_mov_b64 s[0:1], 0
	s_branch .LBB15_518
.LBB15_515:
	s_mov_b64 s[0:1], -1
                                        ; implicit-def: $vgpr3
	s_branch .LBB15_524
.LBB15_516:
	s_mov_b64 s[0:1], -1
                                        ; implicit-def: $vgpr3
	s_branch .LBB15_521
.LBB15_517:
	s_mov_b64 s[0:1], -1
                                        ; implicit-def: $vgpr3
.LBB15_518:
	s_andn2_b64 vcc, exec, s[0:1]
	s_cbranch_vccnz .LBB15_520
; %bb.519:
	global_load_dword v3, v[1:2], off
.LBB15_520:
	s_mov_b64 s[0:1], 0
.LBB15_521:
	s_andn2_b64 vcc, exec, s[0:1]
	s_cbranch_vccnz .LBB15_523
; %bb.522:
	global_load_ushort v3, v[1:2], off
.LBB15_523:
	s_mov_b64 s[0:1], 0
.LBB15_524:
	s_andn2_b64 vcc, exec, s[0:1]
	s_cbranch_vccnz .LBB15_530
; %bb.525:
	s_cmp_gt_i32 s8, 0
	s_cbranch_scc0 .LBB15_527
; %bb.526:
	global_load_ubyte v3, v[1:2], off
	s_mov_b64 s[0:1], 0
	s_branch .LBB15_528
.LBB15_527:
	s_mov_b64 s[0:1], -1
                                        ; implicit-def: $vgpr3
.LBB15_528:
	s_andn2_b64 vcc, exec, s[0:1]
	s_cbranch_vccnz .LBB15_530
; %bb.529:
	global_load_ubyte v3, v[1:2], off
.LBB15_530:
	s_branch .LBB15_290
.LBB15_531:
	s_mov_b64 s[8:9], 0
	s_mov_b64 s[0:1], s[54:55]
.LBB15_532:
                                        ; implicit-def: $vgpr11
.LBB15_533:
	s_andn2_b64 s[10:11], s[54:55], exec
	s_and_b64 s[0:1], s[0:1], exec
	s_or_b64 s[62:63], s[10:11], s[0:1]
	s_andn2_b64 s[0:1], s[56:57], exec
	s_and_b64 s[2:3], s[2:3], exec
	s_or_b64 s[60:61], s[0:1], s[2:3]
	s_orn2_b64 s[0:1], s[8:9], exec
.LBB15_534:
	s_or_b64 exec, exec, s[64:65]
	s_mov_b64 s[2:3], 0
	s_mov_b64 s[8:9], 0
	;; [unrolled: 1-line block ×3, first 2 shown]
                                        ; implicit-def: $sgpr14
                                        ; implicit-def: $vgpr1_vgpr2
                                        ; implicit-def: $vgpr0
                                        ; implicit-def: $vgpr3
	s_and_saveexec_b64 s[64:65], s[0:1]
	s_cbranch_execz .LBB15_901
; %bb.535:
	v_cmp_gt_i32_e32 vcc, s72, v11
	s_mov_b64 s[2:3], -1
	s_mov_b64 s[68:69], s[60:61]
	s_mov_b64 s[70:71], s[62:63]
	s_and_saveexec_b64 s[66:67], vcc
	s_cbranch_execz .LBB15_805
; %bb.536:
	s_andn2_b64 vcc, exec, s[40:41]
	s_cbranch_vccnz .LBB15_541
; %bb.537:
	s_andn2_b64 vcc, exec, s[52:53]
	s_cbranch_vccnz .LBB15_542
; %bb.538:
	s_add_i32 s79, s78, 1
	s_cmp_eq_u32 s74, 2
	s_cbranch_scc1 .LBB15_543
; %bb.539:
	s_and_b32 s73, s79, 28
	v_mov_b32_e32 v2, 0
	s_mov_b32 s80, 0
	s_mov_b64 s[68:69], s[34:35]
	s_mov_b64 s[70:71], s[50:51]
	v_mov_b32_e32 v0, 0
	v_mov_b32_e32 v1, v11
.LBB15_540:                             ; =>This Inner Loop Header: Depth=1
	s_load_dwordx8 s[16:23], s[68:69], 0x4
	s_load_dwordx4 s[0:3], s[68:69], 0x24
	s_load_dwordx8 s[8:15], s[70:71], 0x0
	s_add_u32 s68, s68, 48
	s_addc_u32 s69, s69, 0
	s_waitcnt vmcnt(0) lgkmcnt(0)
	v_mul_hi_u32 v3, s17, v1
	s_add_i32 s80, s80, 4
	s_add_u32 s70, s70, 32
	s_addc_u32 s71, s71, 0
	v_add_u32_e32 v3, v1, v3
	v_lshrrev_b32_e32 v3, s18, v3
	v_mul_lo_u32 v4, v3, s16
	v_mul_hi_u32 v5, s20, v3
	s_cmp_eq_u32 s73, s80
	v_sub_u32_e32 v1, v1, v4
	v_add_u32_e32 v4, v3, v5
	v_mul_lo_u32 v5, v1, s8
	v_mul_lo_u32 v6, v1, s9
	v_lshrrev_b32_e32 v1, s21, v4
	v_mul_lo_u32 v4, v1, s19
	v_mul_hi_u32 v7, s23, v1
	v_sub_u32_e32 v3, v3, v4
	v_add_u32_e32 v4, v1, v7
	v_lshrrev_b32_e32 v4, s0, v4
	v_mul_hi_u32 v8, s2, v4
	v_mul_lo_u32 v9, v4, s22
	v_mul_lo_u32 v7, v3, s10
	;; [unrolled: 1-line block ×3, first 2 shown]
	v_sub_u32_e32 v9, v1, v9
	v_add_u32_e32 v1, v4, v8
	v_lshrrev_b32_e32 v1, s3, v1
	v_mul_lo_u32 v8, v1, s1
	v_mul_lo_u32 v10, v9, s12
	v_mul_lo_u32 v9, v9, s13
	v_add3_u32 v0, v5, v0, v7
	v_sub_u32_e32 v4, v4, v8
	v_mul_lo_u32 v8, v4, s14
	v_mul_lo_u32 v4, v4, s15
	v_add3_u32 v2, v6, v2, v3
	v_add3_u32 v0, v10, v0, v8
	v_add3_u32 v2, v9, v2, v4
	s_cbranch_scc0 .LBB15_540
	s_branch .LBB15_544
.LBB15_541:
	s_mov_b64 s[0:1], -1
                                        ; implicit-def: $vgpr0
                                        ; implicit-def: $vgpr2
	s_branch .LBB15_548
.LBB15_542:
	v_mov_b32_e32 v0, 0
	v_mov_b32_e32 v2, 0
	s_branch .LBB15_547
.LBB15_543:
	s_mov_b32 s73, 0
	v_mov_b32_e32 v0, 0
	v_mov_b32_e32 v2, 0
	;; [unrolled: 1-line block ×3, first 2 shown]
.LBB15_544:
	s_and_b32 s8, s79, 3
	s_cmp_eq_u32 s8, 0
	s_cbranch_scc1 .LBB15_547
; %bb.545:
	s_lshl_b32 s0, s73, 3
	s_add_u32 s0, s34, s0
	s_addc_u32 s1, s35, 0
	s_add_u32 s0, s0, 0xc4
	s_addc_u32 s1, s1, 0
	s_mul_i32 s2, s73, 12
	s_add_u32 s2, s34, s2
	s_addc_u32 s3, s35, 0
.LBB15_546:                             ; =>This Inner Loop Header: Depth=1
	s_load_dwordx2 s[10:11], s[2:3], 0x4
	s_load_dword s9, s[2:3], 0xc
	s_load_dwordx2 s[12:13], s[0:1], 0x0
	s_add_u32 s2, s2, 12
	s_addc_u32 s3, s3, 0
	s_waitcnt vmcnt(0) lgkmcnt(0)
	v_mul_hi_u32 v3, s11, v1
	s_add_u32 s0, s0, 8
	s_addc_u32 s1, s1, 0
	s_add_i32 s8, s8, -1
	v_add_u32_e32 v3, v1, v3
	v_lshrrev_b32_e32 v4, s9, v3
	v_mul_lo_u32 v3, v4, s10
	s_cmp_lg_u32 s8, 0
	v_sub_u32_e32 v3, v1, v3
	v_mad_u64_u32 v[0:1], s[10:11], v3, s12, v[0:1]
	v_mad_u64_u32 v[2:3], s[10:11], v3, s13, v[2:3]
	v_mov_b32_e32 v1, v4
	s_cbranch_scc1 .LBB15_546
.LBB15_547:
	s_mov_b64 s[0:1], 0
.LBB15_548:
	s_andn2_b64 vcc, exec, s[0:1]
	s_cbranch_vccnz .LBB15_551
; %bb.549:
	s_waitcnt lgkmcnt(0)
	v_mul_hi_u32 v0, s37, v11
	s_andn2_b64 vcc, exec, s[48:49]
	v_add_u32_e32 v0, v11, v0
	v_lshrrev_b32_e32 v1, s38, v0
	v_mul_lo_u32 v0, v1, s36
	v_sub_u32_e32 v2, v11, v0
	v_mul_lo_u32 v0, v2, s28
	v_mul_lo_u32 v2, v2, s29
	s_cbranch_vccnz .LBB15_551
; %bb.550:
	s_waitcnt vmcnt(0)
	v_mul_hi_u32 v3, s46, v1
	v_add_u32_e32 v3, v1, v3
	v_lshrrev_b32_e32 v3, s47, v3
	v_mul_lo_u32 v3, v3, s39
	v_sub_u32_e32 v3, v1, v3
	v_mad_u64_u32 v[0:1], s[0:1], v3, s30, v[0:1]
	v_mad_u64_u32 v[2:3], s[0:1], v3, s31, v[2:3]
.LBB15_551:
	s_waitcnt vmcnt(0) lgkmcnt(0)
	v_mov_b32_e32 v3, s27
	s_and_b32 s10, s77, 0xff
	v_add_co_u32_e32 v1, vcc, s26, v2
	s_cmp_lt_i32 s10, 11
	v_addc_co_u32_e32 v2, vcc, 0, v3, vcc
	s_cbranch_scc1 .LBB15_558
; %bb.552:
	s_and_b32 s11, 0xffff, s10
	s_cmp_gt_i32 s11, 25
	s_cbranch_scc0 .LBB15_559
; %bb.553:
	s_cmp_gt_i32 s11, 28
	s_cbranch_scc0 .LBB15_560
; %bb.554:
	;; [unrolled: 3-line block ×4, first 2 shown]
	s_cmp_eq_u32 s11, 46
	s_mov_b64 s[8:9], 0
	s_cbranch_scc0 .LBB15_567
; %bb.557:
	global_load_dword v3, v[1:2], off
	s_mov_b32 s0, 0x2f800000
	s_mov_b32 s1, 0xcf800000
	s_mov_b64 s[2:3], 0
	s_waitcnt vmcnt(0)
	v_lshlrev_b32_e32 v3, 16, v3
	v_trunc_f32_e32 v3, v3
	v_mul_f32_e64 v4, |v3|, s0
	v_floor_f32_e32 v4, v4
	v_fma_f32 v4, v4, s1, |v3|
	v_cvt_u32_f32_e32 v4, v4
	v_ashrrev_i32_e32 v3, 31, v3
	s_mov_b64 s[0:1], -1
	v_xor_b32_e32 v4, v4, v3
	v_sub_u32_e32 v3, v4, v3
	s_branch .LBB15_568
.LBB15_558:
	s_mov_b64 s[8:9], -1
	s_mov_b64 s[0:1], 0
                                        ; implicit-def: $vgpr3
	s_mov_b64 s[2:3], s[60:61]
	s_branch .LBB15_629
.LBB15_559:
	s_mov_b64 s[8:9], -1
	s_mov_b64 s[0:1], 0
	s_mov_b64 s[2:3], s[60:61]
                                        ; implicit-def: $vgpr3
	s_branch .LBB15_595
.LBB15_560:
	s_mov_b64 s[8:9], -1
	s_mov_b64 s[0:1], 0
	s_mov_b64 s[2:3], s[60:61]
                                        ; implicit-def: $vgpr3
	s_branch .LBB15_578
.LBB15_561:
	s_mov_b64 s[8:9], -1
	s_mov_b64 s[0:1], 0
	s_mov_b64 s[2:3], s[60:61]
                                        ; implicit-def: $vgpr3
	s_branch .LBB15_573
.LBB15_562:
	s_andn2_saveexec_b64 s[12:13], s[12:13]
	s_cbranch_execz .LBB15_335
.LBB15_563:
	v_add_f32_e32 v3, 0x46000000, v4
	v_and_b32_e32 v3, 0xff, v3
	v_cmp_ne_u32_e32 vcc, 0, v3
	s_andn2_b64 s[10:11], s[10:11], exec
	s_and_b64 s[16:17], vcc, exec
	s_or_b64 s[10:11], s[10:11], s[16:17]
	s_or_b64 exec, exec, s[12:13]
	v_mov_b32_e32 v5, 0
	s_and_saveexec_b64 s[12:13], s[10:11]
	s_cbranch_execnz .LBB15_336
	s_branch .LBB15_337
.LBB15_564:
	s_mov_b64 s[8:9], -1
	s_mov_b64 s[0:1], 0
	s_mov_b64 s[2:3], s[60:61]
                                        ; implicit-def: $vgpr3
	s_branch .LBB15_568
.LBB15_565:
	s_andn2_saveexec_b64 s[12:13], s[12:13]
	s_cbranch_execz .LBB15_348
.LBB15_566:
	v_add_f32_e32 v3, 0x42800000, v4
	v_and_b32_e32 v3, 0xff, v3
	v_cmp_ne_u32_e32 vcc, 0, v3
	s_andn2_b64 s[10:11], s[10:11], exec
	s_and_b64 s[16:17], vcc, exec
	s_or_b64 s[10:11], s[10:11], s[16:17]
	s_or_b64 exec, exec, s[12:13]
	v_mov_b32_e32 v5, 0
	s_and_saveexec_b64 s[12:13], s[10:11]
	s_cbranch_execnz .LBB15_349
	s_branch .LBB15_350
.LBB15_567:
	s_mov_b64 s[2:3], -1
                                        ; implicit-def: $vgpr3
	s_mov_b64 s[0:1], 0
.LBB15_568:
	s_and_b64 vcc, exec, s[8:9]
	s_cbranch_vccz .LBB15_572
; %bb.569:
	s_cmp_eq_u32 s11, 44
	s_cbranch_scc0 .LBB15_571
; %bb.570:
	global_load_ubyte v3, v[1:2], off
	s_mov_b32 s0, 0x2f800000
	s_mov_b32 s1, 0xcf800000
	s_mov_b64 s[2:3], 0
	s_waitcnt vmcnt(0)
	v_lshlrev_b32_e32 v4, 23, v3
	v_trunc_f32_e32 v4, v4
	v_mul_f32_e64 v5, |v4|, s0
	v_floor_f32_e32 v5, v5
	v_fma_f32 v5, v5, s1, |v4|
	v_cvt_u32_f32_e32 v5, v5
	v_ashrrev_i32_e32 v4, 31, v4
	v_cmp_ne_u32_e32 vcc, 0, v3
	s_mov_b64 s[0:1], -1
	v_xor_b32_e32 v5, v5, v4
	v_sub_u32_e32 v4, v5, v4
	v_cndmask_b32_e32 v3, 0, v4, vcc
	s_branch .LBB15_572
.LBB15_571:
	s_mov_b64 s[2:3], -1
                                        ; implicit-def: $vgpr3
.LBB15_572:
	s_mov_b64 s[8:9], 0
.LBB15_573:
	s_and_b64 vcc, exec, s[8:9]
	s_cbranch_vccz .LBB15_577
; %bb.574:
	s_cmp_eq_u32 s11, 29
	s_cbranch_scc0 .LBB15_576
; %bb.575:
	global_load_dwordx2 v[3:4], v[1:2], off
	s_mov_b64 s[0:1], -1
	s_mov_b64 s[2:3], 0
	s_branch .LBB15_577
.LBB15_576:
	s_mov_b64 s[2:3], -1
                                        ; implicit-def: $vgpr3
.LBB15_577:
	s_mov_b64 s[8:9], 0
.LBB15_578:
	s_and_b64 vcc, exec, s[8:9]
	s_cbranch_vccz .LBB15_594
; %bb.579:
	s_cmp_lt_i32 s11, 27
	s_cbranch_scc1 .LBB15_582
; %bb.580:
	s_cmp_gt_i32 s11, 27
	s_cbranch_scc0 .LBB15_583
; %bb.581:
	global_load_dword v3, v[1:2], off
	s_mov_b64 s[0:1], 0
	s_branch .LBB15_584
.LBB15_582:
	s_mov_b64 s[0:1], -1
                                        ; implicit-def: $vgpr3
	s_branch .LBB15_587
.LBB15_583:
	s_mov_b64 s[0:1], -1
                                        ; implicit-def: $vgpr3
.LBB15_584:
	s_andn2_b64 vcc, exec, s[0:1]
	s_cbranch_vccnz .LBB15_586
; %bb.585:
	global_load_ushort v3, v[1:2], off
.LBB15_586:
	s_mov_b64 s[0:1], 0
.LBB15_587:
	s_andn2_b64 vcc, exec, s[0:1]
	s_cbranch_vccnz .LBB15_593
; %bb.588:
	global_load_ubyte v4, v[1:2], off
	s_movk_i32 s0, 0x7f
	s_mov_b64 s[8:9], 0
	s_waitcnt vmcnt(0)
	v_cmp_lt_i16_e32 vcc, s0, v4
	s_and_saveexec_b64 s[0:1], vcc
	s_xor_b64 s[0:1], exec, s[0:1]
	s_cbranch_execz .LBB15_605
; %bb.589:
	s_movk_i32 s8, 0x80
	v_cmp_ne_u16_e32 vcc, s8, v4
	s_and_b64 s[8:9], vcc, exec
	s_andn2_saveexec_b64 s[0:1], s[0:1]
	s_cbranch_execnz .LBB15_606
.LBB15_590:
	s_or_b64 exec, exec, s[0:1]
	v_mov_b32_e32 v3, 0
	s_and_saveexec_b64 s[0:1], s[8:9]
	s_cbranch_execz .LBB15_592
.LBB15_591:
	v_lshlrev_b32_e32 v3, 24, v4
	v_and_b32_e32 v4, 0xffff, v4
	v_and_b32_e32 v5, 7, v4
	v_ffbh_u32_e32 v7, v5
	v_min_u32_e32 v7, 32, v7
	v_subrev_u32_e32 v8, 28, v7
	v_bfe_u32 v6, v4, 3, 4
	v_lshlrev_b32_e32 v4, v8, v4
	v_sub_u32_e32 v7, 29, v7
	v_and_b32_e32 v4, 7, v4
	v_cmp_eq_u32_e32 vcc, 0, v6
	v_cndmask_b32_e32 v6, v6, v7, vcc
	v_cndmask_b32_e32 v4, v5, v4, vcc
	v_mov_b32_e32 v5, 0x3b800000
	v_lshlrev_b32_e32 v4, 20, v4
	v_and_b32_e32 v3, 0x80000000, v3
	v_lshl_add_u32 v5, v6, 23, v5
	v_or3_b32 v3, v3, v5, v4
	v_trunc_f32_e32 v3, v3
	s_mov_b32 s8, 0x2f800000
	v_mul_f32_e64 v4, |v3|, s8
	v_floor_f32_e32 v4, v4
	s_mov_b32 s8, 0xcf800000
	v_fma_f32 v4, v4, s8, |v3|
	v_cvt_u32_f32_e32 v4, v4
	v_ashrrev_i32_e32 v3, 31, v3
	v_xor_b32_e32 v4, v4, v3
	v_sub_u32_e32 v3, v4, v3
.LBB15_592:
	s_or_b64 exec, exec, s[0:1]
.LBB15_593:
	s_mov_b64 s[0:1], -1
.LBB15_594:
	s_mov_b64 s[8:9], 0
.LBB15_595:
	s_and_b64 vcc, exec, s[8:9]
	s_cbranch_vccz .LBB15_628
; %bb.596:
	s_cmp_gt_i32 s11, 22
	s_cbranch_scc0 .LBB15_604
; %bb.597:
	s_cmp_lt_i32 s11, 24
	s_cbranch_scc1 .LBB15_607
; %bb.598:
	s_cmp_gt_i32 s11, 24
	s_cbranch_scc0 .LBB15_608
; %bb.599:
	global_load_ubyte v4, v[1:2], off
	s_movk_i32 s0, 0x7f
	s_mov_b64 s[8:9], 0
	s_waitcnt vmcnt(0)
	v_cmp_lt_i16_e32 vcc, s0, v4
	s_and_saveexec_b64 s[0:1], vcc
	s_xor_b64 s[0:1], exec, s[0:1]
	s_cbranch_execz .LBB15_620
; %bb.600:
	s_movk_i32 s8, 0x80
	v_cmp_ne_u16_e32 vcc, s8, v4
	s_and_b64 s[8:9], vcc, exec
	s_andn2_saveexec_b64 s[0:1], s[0:1]
	s_cbranch_execnz .LBB15_621
.LBB15_601:
	s_or_b64 exec, exec, s[0:1]
	v_mov_b32_e32 v3, 0
	s_and_saveexec_b64 s[0:1], s[8:9]
	s_cbranch_execz .LBB15_603
.LBB15_602:
	v_lshlrev_b32_e32 v3, 24, v4
	v_and_b32_e32 v4, 0xffff, v4
	v_and_b32_e32 v5, 3, v4
	v_ffbh_u32_e32 v7, v5
	v_min_u32_e32 v7, 32, v7
	v_subrev_u32_e32 v8, 29, v7
	v_bfe_u32 v6, v4, 2, 5
	v_lshlrev_b32_e32 v4, v8, v4
	v_sub_u32_e32 v7, 30, v7
	v_and_b32_e32 v4, 3, v4
	v_cmp_eq_u32_e32 vcc, 0, v6
	v_cndmask_b32_e32 v6, v6, v7, vcc
	v_cndmask_b32_e32 v4, v5, v4, vcc
	v_mov_b32_e32 v5, 0x37800000
	v_lshlrev_b32_e32 v4, 21, v4
	v_and_b32_e32 v3, 0x80000000, v3
	v_lshl_add_u32 v5, v6, 23, v5
	v_or3_b32 v3, v3, v5, v4
	v_trunc_f32_e32 v3, v3
	s_mov_b32 s8, 0x2f800000
	v_mul_f32_e64 v4, |v3|, s8
	v_floor_f32_e32 v4, v4
	s_mov_b32 s8, 0xcf800000
	v_fma_f32 v4, v4, s8, |v3|
	v_cvt_u32_f32_e32 v4, v4
	v_ashrrev_i32_e32 v3, 31, v3
	v_xor_b32_e32 v4, v4, v3
	v_sub_u32_e32 v3, v4, v3
.LBB15_603:
	s_or_b64 exec, exec, s[0:1]
	s_mov_b64 s[0:1], 0
	s_branch .LBB15_609
.LBB15_604:
	s_mov_b64 s[8:9], -1
                                        ; implicit-def: $vgpr3
	s_branch .LBB15_615
.LBB15_605:
	s_andn2_saveexec_b64 s[0:1], s[0:1]
	s_cbranch_execz .LBB15_590
.LBB15_606:
	v_cmp_ne_u16_e32 vcc, 0, v4
	s_andn2_b64 s[8:9], s[8:9], exec
	s_and_b64 s[12:13], vcc, exec
	s_or_b64 s[8:9], s[8:9], s[12:13]
	s_or_b64 exec, exec, s[0:1]
	v_mov_b32_e32 v3, 0
	s_and_saveexec_b64 s[0:1], s[8:9]
	s_cbranch_execnz .LBB15_591
	s_branch .LBB15_592
.LBB15_607:
	s_mov_b64 s[0:1], -1
                                        ; implicit-def: $vgpr3
	s_branch .LBB15_612
.LBB15_608:
	s_mov_b64 s[0:1], -1
                                        ; implicit-def: $vgpr3
.LBB15_609:
	s_and_b64 vcc, exec, s[0:1]
	s_cbranch_vccz .LBB15_611
; %bb.610:
	global_load_ubyte v3, v[1:2], off
	s_mov_b32 s0, 0x7f800000
	s_brev_b32 s1, 1
	s_mov_b32 s8, 0x2f800000
	s_waitcnt vmcnt(0)
	v_lshlrev_b32_e32 v3, 24, v3
	v_and_b32_e32 v4, 0x7f000000, v3
	v_ffbh_u32_e32 v5, v4
	v_min_u32_e32 v5, 32, v5
	v_sub_u32_e64 v5, v5, 4 clamp
	v_lshlrev_b32_e32 v7, v5, v4
	v_lshlrev_b32_e32 v5, 23, v5
	v_lshrrev_b32_e32 v7, 4, v7
	v_add_u32_e32 v6, 0x1000000, v4
	v_sub_u32_e32 v5, v7, v5
	v_ashrrev_i32_e32 v6, 8, v6
	v_add_u32_e32 v5, 0x3c000000, v5
	v_and_or_b32 v5, v6, s0, v5
	v_cmp_ne_u32_e32 vcc, 0, v4
	v_cndmask_b32_e32 v4, 0, v5, vcc
	v_and_or_b32 v3, v3, s1, v4
	v_trunc_f32_e32 v3, v3
	v_mul_f32_e64 v4, |v3|, s8
	v_floor_f32_e32 v4, v4
	s_mov_b32 s0, 0xcf800000
	v_fma_f32 v4, v4, s0, |v3|
	v_cvt_u32_f32_e32 v4, v4
	v_ashrrev_i32_e32 v3, 31, v3
	v_xor_b32_e32 v4, v4, v3
	v_sub_u32_e32 v3, v4, v3
.LBB15_611:
	s_mov_b64 s[0:1], 0
.LBB15_612:
	s_andn2_b64 vcc, exec, s[0:1]
	s_cbranch_vccnz .LBB15_614
; %bb.613:
	global_load_ubyte v3, v[1:2], off
	s_movk_i32 s0, 0x7f00
	s_brev_b32 s1, 16
	s_brev_b32 s8, 1
	s_mov_b32 s9, 0x2f800000
	s_waitcnt vmcnt(0)
	v_lshlrev_b16_e32 v4, 8, v3
	v_lshlrev_b32_e32 v3, 25, v3
	v_lshrrev_b32_e32 v5, 4, v3
	v_and_or_b32 v6, v4, s0, 0.5
	v_or_b32_e32 v5, 0x70000000, v5
	v_add_f32_e32 v6, -0.5, v6
	v_mul_f32_e32 v5, 0x7800000, v5
	v_cmp_gt_u32_e32 vcc, s1, v3
	v_bfe_i32 v4, v4, 0, 16
	v_cndmask_b32_e32 v3, v5, v6, vcc
	v_and_or_b32 v3, v4, s8, v3
	v_trunc_f32_e32 v3, v3
	v_mul_f32_e64 v4, |v3|, s9
	v_floor_f32_e32 v4, v4
	s_mov_b32 s0, 0xcf800000
	v_fma_f32 v4, v4, s0, |v3|
	v_cvt_u32_f32_e32 v4, v4
	v_ashrrev_i32_e32 v3, 31, v3
	v_xor_b32_e32 v4, v4, v3
	v_sub_u32_e32 v3, v4, v3
.LBB15_614:
	s_mov_b64 s[8:9], 0
	s_mov_b64 s[0:1], -1
.LBB15_615:
	s_andn2_b64 vcc, exec, s[8:9]
	s_cbranch_vccnz .LBB15_628
; %bb.616:
	s_cmp_gt_i32 s11, 14
	s_cbranch_scc0 .LBB15_619
; %bb.617:
	s_cmp_eq_u32 s11, 15
	s_cbranch_scc0 .LBB15_622
; %bb.618:
	global_load_ushort v3, v[1:2], off
	s_mov_b32 s0, 0x2f800000
	s_mov_b32 s1, 0xcf800000
	s_mov_b64 s[2:3], 0
	s_waitcnt vmcnt(0)
	v_lshlrev_b32_e32 v3, 16, v3
	v_trunc_f32_e32 v3, v3
	v_mul_f32_e64 v4, |v3|, s0
	v_floor_f32_e32 v4, v4
	v_fma_f32 v4, v4, s1, |v3|
	v_cvt_u32_f32_e32 v4, v4
	v_ashrrev_i32_e32 v3, 31, v3
	s_mov_b64 s[0:1], -1
	v_xor_b32_e32 v4, v4, v3
	v_sub_u32_e32 v3, v4, v3
	s_branch .LBB15_623
.LBB15_619:
	s_mov_b64 s[8:9], -1
                                        ; implicit-def: $vgpr3
	s_branch .LBB15_624
.LBB15_620:
	s_andn2_saveexec_b64 s[0:1], s[0:1]
	s_cbranch_execz .LBB15_601
.LBB15_621:
	v_cmp_ne_u16_e32 vcc, 0, v4
	s_andn2_b64 s[8:9], s[8:9], exec
	s_and_b64 s[12:13], vcc, exec
	s_or_b64 s[8:9], s[8:9], s[12:13]
	s_or_b64 exec, exec, s[0:1]
	v_mov_b32_e32 v3, 0
	s_and_saveexec_b64 s[0:1], s[8:9]
	s_cbranch_execnz .LBB15_602
	s_branch .LBB15_603
.LBB15_622:
	s_mov_b64 s[2:3], -1
                                        ; implicit-def: $vgpr3
.LBB15_623:
	s_mov_b64 s[8:9], 0
.LBB15_624:
	s_and_b64 vcc, exec, s[8:9]
	s_cbranch_vccz .LBB15_628
; %bb.625:
	s_cmp_eq_u32 s11, 11
	s_cbranch_scc0 .LBB15_627
; %bb.626:
	global_load_ubyte v3, v[1:2], off
	s_mov_b64 s[0:1], -1
	s_mov_b64 s[2:3], 0
	s_waitcnt vmcnt(0)
	v_cmp_ne_u16_e32 vcc, 0, v3
	v_cndmask_b32_e64 v3, 0, 1, vcc
	s_branch .LBB15_628
.LBB15_627:
	s_mov_b64 s[2:3], -1
                                        ; implicit-def: $vgpr3
.LBB15_628:
	s_mov_b64 s[8:9], 0
.LBB15_629:
	s_and_b64 vcc, exec, s[8:9]
	s_cbranch_vccz .LBB15_678
; %bb.630:
	s_and_b32 s8, 0xffff, s10
	s_cmp_lt_i32 s8, 5
	s_cbranch_scc1 .LBB15_635
; %bb.631:
	s_cmp_lt_i32 s8, 8
	s_cbranch_scc1 .LBB15_636
; %bb.632:
	;; [unrolled: 3-line block ×3, first 2 shown]
	s_cmp_gt_i32 s8, 9
	s_cbranch_scc0 .LBB15_638
; %bb.634:
	global_load_dwordx2 v[3:4], v[1:2], off
	s_movk_i32 s0, 0xffe0
	s_waitcnt vmcnt(0)
	v_trunc_f64_e32 v[3:4], v[3:4]
	v_ldexp_f64 v[5:6], v[3:4], s0
	s_mov_b32 s0, 0
	s_mov_b32 s1, 0xc1f00000
	v_floor_f64_e32 v[5:6], v[5:6]
	v_fma_f64 v[3:4], v[5:6], s[0:1], v[3:4]
	s_mov_b64 s[0:1], 0
	v_cvt_u32_f64_e32 v3, v[3:4]
	s_branch .LBB15_639
.LBB15_635:
	s_mov_b64 s[0:1], -1
                                        ; implicit-def: $vgpr3
	s_branch .LBB15_657
.LBB15_636:
	s_mov_b64 s[0:1], -1
                                        ; implicit-def: $vgpr3
	s_branch .LBB15_645
.LBB15_637:
	s_mov_b64 s[0:1], -1
                                        ; implicit-def: $vgpr3
	s_branch .LBB15_642
.LBB15_638:
	s_mov_b64 s[0:1], -1
                                        ; implicit-def: $vgpr3
.LBB15_639:
	s_andn2_b64 vcc, exec, s[0:1]
	s_cbranch_vccnz .LBB15_641
; %bb.640:
	global_load_dword v3, v[1:2], off
	s_mov_b32 s0, 0x2f800000
	s_waitcnt vmcnt(0)
	v_trunc_f32_e32 v3, v3
	v_mul_f32_e64 v4, |v3|, s0
	v_floor_f32_e32 v4, v4
	s_mov_b32 s0, 0xcf800000
	v_fma_f32 v4, v4, s0, |v3|
	v_cvt_u32_f32_e32 v4, v4
	v_ashrrev_i32_e32 v3, 31, v3
	v_xor_b32_e32 v4, v4, v3
	v_sub_u32_e32 v3, v4, v3
.LBB15_641:
	s_mov_b64 s[0:1], 0
.LBB15_642:
	s_andn2_b64 vcc, exec, s[0:1]
	s_cbranch_vccnz .LBB15_644
; %bb.643:
	global_load_dword v3, v[1:2], off
	s_waitcnt vmcnt(0)
	v_cvt_f32_f16_e32 v3, v3
	v_cvt_i32_f32_e32 v3, v3
.LBB15_644:
	s_mov_b64 s[0:1], 0
.LBB15_645:
	s_andn2_b64 vcc, exec, s[0:1]
	s_cbranch_vccnz .LBB15_656
; %bb.646:
	s_cmp_lt_i32 s8, 6
	s_cbranch_scc1 .LBB15_649
; %bb.647:
	s_cmp_gt_i32 s8, 6
	s_cbranch_scc0 .LBB15_650
; %bb.648:
	global_load_dwordx2 v[3:4], v[1:2], off
	s_movk_i32 s0, 0xffe0
	s_waitcnt vmcnt(0)
	v_trunc_f64_e32 v[3:4], v[3:4]
	v_ldexp_f64 v[5:6], v[3:4], s0
	s_mov_b32 s0, 0
	s_mov_b32 s1, 0xc1f00000
	v_floor_f64_e32 v[5:6], v[5:6]
	v_fma_f64 v[3:4], v[5:6], s[0:1], v[3:4]
	s_mov_b64 s[0:1], 0
	v_cvt_u32_f64_e32 v3, v[3:4]
	s_branch .LBB15_651
.LBB15_649:
	s_mov_b64 s[0:1], -1
                                        ; implicit-def: $vgpr3
	s_branch .LBB15_654
.LBB15_650:
	s_mov_b64 s[0:1], -1
                                        ; implicit-def: $vgpr3
.LBB15_651:
	s_andn2_b64 vcc, exec, s[0:1]
	s_cbranch_vccnz .LBB15_653
; %bb.652:
	global_load_dword v3, v[1:2], off
	s_mov_b32 s0, 0x2f800000
	s_waitcnt vmcnt(0)
	v_trunc_f32_e32 v3, v3
	v_mul_f32_e64 v4, |v3|, s0
	v_floor_f32_e32 v4, v4
	s_mov_b32 s0, 0xcf800000
	v_fma_f32 v4, v4, s0, |v3|
	v_cvt_u32_f32_e32 v4, v4
	v_ashrrev_i32_e32 v3, 31, v3
	v_xor_b32_e32 v4, v4, v3
	v_sub_u32_e32 v3, v4, v3
.LBB15_653:
	s_mov_b64 s[0:1], 0
.LBB15_654:
	s_andn2_b64 vcc, exec, s[0:1]
	s_cbranch_vccnz .LBB15_656
; %bb.655:
	global_load_ushort v3, v[1:2], off
	s_waitcnt vmcnt(0)
	v_cvt_f32_f16_e32 v3, v3
	v_cvt_i32_f32_e32 v3, v3
.LBB15_656:
	s_mov_b64 s[0:1], 0
.LBB15_657:
	s_andn2_b64 vcc, exec, s[0:1]
	s_cbranch_vccnz .LBB15_677
; %bb.658:
	s_cmp_lt_i32 s8, 2
	s_cbranch_scc1 .LBB15_662
; %bb.659:
	s_cmp_lt_i32 s8, 3
	s_cbranch_scc1 .LBB15_663
; %bb.660:
	s_cmp_gt_i32 s8, 3
	s_cbranch_scc0 .LBB15_664
; %bb.661:
	global_load_dwordx2 v[3:4], v[1:2], off
	s_mov_b64 s[0:1], 0
	s_branch .LBB15_665
.LBB15_662:
	s_mov_b64 s[0:1], -1
                                        ; implicit-def: $vgpr3
	s_branch .LBB15_671
.LBB15_663:
	s_mov_b64 s[0:1], -1
                                        ; implicit-def: $vgpr3
	s_branch .LBB15_668
.LBB15_664:
	s_mov_b64 s[0:1], -1
                                        ; implicit-def: $vgpr3
.LBB15_665:
	s_andn2_b64 vcc, exec, s[0:1]
	s_cbranch_vccnz .LBB15_667
; %bb.666:
	global_load_dword v3, v[1:2], off
.LBB15_667:
	s_mov_b64 s[0:1], 0
.LBB15_668:
	s_andn2_b64 vcc, exec, s[0:1]
	s_cbranch_vccnz .LBB15_670
; %bb.669:
	global_load_ushort v3, v[1:2], off
.LBB15_670:
	s_mov_b64 s[0:1], 0
.LBB15_671:
	s_andn2_b64 vcc, exec, s[0:1]
	s_cbranch_vccnz .LBB15_677
; %bb.672:
	s_cmp_gt_i32 s8, 0
	s_cbranch_scc0 .LBB15_674
; %bb.673:
	global_load_ubyte v3, v[1:2], off
	s_mov_b64 s[0:1], 0
	s_branch .LBB15_675
.LBB15_674:
	s_mov_b64 s[0:1], -1
                                        ; implicit-def: $vgpr3
.LBB15_675:
	s_andn2_b64 vcc, exec, s[0:1]
	s_cbranch_vccnz .LBB15_677
; %bb.676:
	global_load_ubyte v3, v[1:2], off
.LBB15_677:
	s_mov_b64 s[0:1], -1
.LBB15_678:
	s_andn2_b64 vcc, exec, s[0:1]
	s_cbranch_vccnz .LBB15_686
; %bb.679:
	s_waitcnt vmcnt(0)
	v_lshlrev_b32_e32 v1, s76, v3
	v_cndmask_b32_e64 v2, v1, 0, s[44:45]
	v_mov_b32_e32 v1, s25
	s_and_b32 s14, s75, 0xff
	v_add_co_u32_e32 v0, vcc, s24, v0
	s_cmp_lt_i32 s14, 11
	v_addc_co_u32_e32 v1, vcc, 0, v1, vcc
	s_cbranch_scc1 .LBB15_687
; %bb.680:
	s_and_b32 s15, 0xffff, s14
	s_cmp_gt_i32 s15, 25
	s_cbranch_scc0 .LBB15_688
; %bb.681:
	s_cmp_gt_i32 s15, 28
	s_cbranch_scc0 .LBB15_689
; %bb.682:
	;; [unrolled: 3-line block ×4, first 2 shown]
	s_mov_b64 s[10:11], 0
	s_mov_b64 s[0:1], -1
	s_cmp_eq_u32 s15, 46
	s_mov_b64 s[8:9], 0
	s_cbranch_scc0 .LBB15_692
; %bb.685:
	v_cvt_f32_ubyte0_e32 v3, v2
	v_bfe_u32 v4, v3, 16, 1
	s_movk_i32 s0, 0x7fff
	v_add3_u32 v3, v3, v4, s0
	v_lshrrev_b32_e32 v3, 16, v3
	global_store_dword v[0:1], v3, off
	s_mov_b64 s[8:9], -1
	s_mov_b64 s[0:1], 0
	s_branch .LBB15_692
.LBB15_686:
	s_mov_b64 s[8:9], 0
	s_mov_b64 s[0:1], s[62:63]
	s_branch .LBB15_803
.LBB15_687:
	s_mov_b64 s[10:11], -1
	s_mov_b64 s[8:9], 0
	s_mov_b64 s[0:1], s[62:63]
	s_branch .LBB15_761
.LBB15_688:
	s_mov_b64 s[10:11], -1
	s_mov_b64 s[8:9], 0
	s_mov_b64 s[0:1], s[62:63]
	s_branch .LBB15_719
.LBB15_689:
	s_mov_b64 s[10:11], -1
	s_mov_b64 s[8:9], 0
	s_mov_b64 s[0:1], s[62:63]
	s_branch .LBB15_702
.LBB15_690:
	s_mov_b64 s[10:11], -1
	s_mov_b64 s[8:9], 0
	s_mov_b64 s[0:1], s[62:63]
	s_branch .LBB15_698
.LBB15_691:
	s_mov_b64 s[10:11], -1
	s_mov_b64 s[8:9], 0
	s_mov_b64 s[0:1], s[62:63]
.LBB15_692:
	s_and_b64 vcc, exec, s[10:11]
	s_cbranch_vccz .LBB15_697
; %bb.693:
	s_cmp_eq_u32 s15, 44
	s_mov_b64 s[0:1], -1
	s_cbranch_scc0 .LBB15_697
; %bb.694:
	v_cvt_f32_ubyte0_e32 v4, v2
	v_lshrrev_b32_e32 v3, 23, v4
	s_movk_i32 s0, 0xff
	v_cmp_ne_u32_e32 vcc, s0, v3
	v_mov_b32_e32 v5, 0xff
	s_and_saveexec_b64 s[8:9], vcc
; %bb.695:
	s_mov_b32 s0, 0x3fffff
	v_and_b32_e32 v5, 0x400000, v4
	v_and_or_b32 v4, v4, s0, v3
	v_cmp_ne_u32_e32 vcc, 0, v5
	v_cmp_ne_u32_e64 s[0:1], 0, v4
	s_and_b64 s[0:1], vcc, s[0:1]
	v_cndmask_b32_e64 v4, 0, 1, s[0:1]
	v_add_u32_e32 v5, v3, v4
; %bb.696:
	s_or_b64 exec, exec, s[8:9]
	s_mov_b64 s[8:9], -1
	s_mov_b64 s[0:1], 0
	global_store_byte v[0:1], v5, off
.LBB15_697:
	s_mov_b64 s[10:11], 0
.LBB15_698:
	s_and_b64 vcc, exec, s[10:11]
	s_cbranch_vccz .LBB15_701
; %bb.699:
	s_cmp_eq_u32 s15, 29
	s_mov_b64 s[0:1], -1
	s_cbranch_scc0 .LBB15_701
; %bb.700:
	v_and_b32_e32 v3, 0xff, v2
	v_mov_b32_e32 v4, 0
	global_store_dwordx2 v[0:1], v[3:4], off
	s_mov_b64 s[8:9], -1
	s_mov_b64 s[0:1], 0
.LBB15_701:
	s_mov_b64 s[10:11], 0
.LBB15_702:
	s_and_b64 vcc, exec, s[10:11]
	s_cbranch_vccz .LBB15_718
; %bb.703:
	s_cmp_lt_i32 s15, 27
	s_mov_b64 s[8:9], -1
	s_cbranch_scc1 .LBB15_709
; %bb.704:
	s_cmp_gt_i32 s15, 27
	s_cbranch_scc0 .LBB15_706
; %bb.705:
	v_and_b32_e32 v3, 0xff, v2
	s_mov_b64 s[8:9], 0
	global_store_dword v[0:1], v3, off
.LBB15_706:
	s_andn2_b64 vcc, exec, s[8:9]
	s_cbranch_vccnz .LBB15_708
; %bb.707:
	v_and_b32_e32 v3, 0xff, v2
	global_store_short v[0:1], v3, off
.LBB15_708:
	s_mov_b64 s[8:9], 0
.LBB15_709:
	s_andn2_b64 vcc, exec, s[8:9]
	s_cbranch_vccnz .LBB15_717
; %bb.710:
	v_cvt_f32_ubyte0_e32 v4, v2
	s_mov_b32 s8, 0x43800000
	v_cmp_gt_u32_e32 vcc, s8, v4
	v_mov_b32_e32 v5, 0x80
	s_and_saveexec_b64 s[8:9], vcc
	s_cbranch_execz .LBB15_716
; %bb.711:
	s_mov_b32 s10, 0x3bffffff
	v_cmp_lt_u32_e32 vcc, s10, v4
	s_mov_b64 s[10:11], 0
                                        ; implicit-def: $vgpr3
	s_and_saveexec_b64 s[12:13], vcc
	s_xor_b64 s[12:13], exec, s[12:13]
	s_cbranch_execz .LBB15_833
; %bb.712:
	v_bfe_u32 v3, v4, 20, 1
	s_mov_b32 s16, 0x487ffff
	v_add3_u32 v3, v4, v3, s16
	s_mov_b64 s[10:11], exec
	v_lshrrev_b32_e32 v3, 20, v3
                                        ; implicit-def: $vgpr4
	s_andn2_saveexec_b64 s[12:13], s[12:13]
	s_cbranch_execnz .LBB15_834
.LBB15_713:
	s_or_b64 exec, exec, s[12:13]
	v_mov_b32_e32 v5, 0
	s_and_saveexec_b64 s[12:13], s[10:11]
.LBB15_714:
	v_mov_b32_e32 v5, v3
.LBB15_715:
	s_or_b64 exec, exec, s[12:13]
.LBB15_716:
	s_or_b64 exec, exec, s[8:9]
	global_store_byte v[0:1], v5, off
.LBB15_717:
	s_mov_b64 s[8:9], -1
.LBB15_718:
	s_mov_b64 s[10:11], 0
.LBB15_719:
	s_and_b64 vcc, exec, s[10:11]
	s_cbranch_vccz .LBB15_760
; %bb.720:
	s_cmp_gt_i32 s15, 22
	s_mov_b64 s[10:11], -1
	s_cbranch_scc0 .LBB15_752
; %bb.721:
	s_cmp_lt_i32 s15, 24
	s_mov_b64 s[8:9], -1
	s_cbranch_scc1 .LBB15_741
; %bb.722:
	s_cmp_gt_i32 s15, 24
	s_cbranch_scc0 .LBB15_730
; %bb.723:
	v_cvt_f32_ubyte0_e32 v4, v2
	s_mov_b32 s8, 0x47800000
	v_cmp_gt_u32_e32 vcc, s8, v4
	v_mov_b32_e32 v5, 0x80
	s_and_saveexec_b64 s[8:9], vcc
	s_cbranch_execz .LBB15_729
; %bb.724:
	s_mov_b32 s10, 0x37ffffff
	v_cmp_lt_u32_e32 vcc, s10, v4
	s_mov_b64 s[10:11], 0
                                        ; implicit-def: $vgpr3
	s_and_saveexec_b64 s[12:13], vcc
	s_xor_b64 s[12:13], exec, s[12:13]
	s_cbranch_execz .LBB15_836
; %bb.725:
	v_bfe_u32 v3, v4, 21, 1
	s_mov_b32 s16, 0x88fffff
	v_add3_u32 v3, v4, v3, s16
	s_mov_b64 s[10:11], exec
	v_lshrrev_b32_e32 v3, 21, v3
                                        ; implicit-def: $vgpr4
	s_andn2_saveexec_b64 s[12:13], s[12:13]
	s_cbranch_execnz .LBB15_837
.LBB15_726:
	s_or_b64 exec, exec, s[12:13]
	v_mov_b32_e32 v5, 0
	s_and_saveexec_b64 s[12:13], s[10:11]
.LBB15_727:
	v_mov_b32_e32 v5, v3
.LBB15_728:
	s_or_b64 exec, exec, s[12:13]
.LBB15_729:
	s_or_b64 exec, exec, s[8:9]
	s_mov_b64 s[8:9], 0
	global_store_byte v[0:1], v5, off
.LBB15_730:
	s_and_b64 vcc, exec, s[8:9]
	s_cbranch_vccz .LBB15_740
; %bb.731:
	v_cvt_f32_ubyte0_e32 v3, v2
	s_mov_b32 s8, 0x43f00000
	v_cmp_gt_u32_e32 vcc, s8, v3
                                        ; implicit-def: $vgpr4
	s_and_saveexec_b64 s[8:9], vcc
	s_xor_b64 s[8:9], exec, s[8:9]
	s_cbranch_execz .LBB15_737
; %bb.732:
	s_mov_b32 s10, 0x3c7fffff
	v_cmp_lt_u32_e32 vcc, s10, v3
                                        ; implicit-def: $vgpr4
	s_and_saveexec_b64 s[10:11], vcc
	s_xor_b64 s[10:11], exec, s[10:11]
; %bb.733:
	v_bfe_u32 v4, v3, 20, 1
	s_mov_b32 s12, 0x407ffff
	v_add3_u32 v3, v3, v4, s12
	v_lshrrev_b32_e32 v4, 20, v3
	v_and_b32_e32 v3, 0xff00000, v3
	s_mov_b32 s12, 0x7f00000
	v_mov_b32_e32 v5, 0x7e
	v_cmp_ne_u32_e32 vcc, s12, v3
	v_cndmask_b32_e32 v4, v5, v4, vcc
                                        ; implicit-def: $vgpr3
; %bb.734:
	s_andn2_saveexec_b64 s[10:11], s[10:11]
; %bb.735:
	v_add_f32_e32 v4, 0x46800000, v3
; %bb.736:
	s_or_b64 exec, exec, s[10:11]
                                        ; implicit-def: $vgpr3
.LBB15_737:
	s_andn2_saveexec_b64 s[8:9], s[8:9]
; %bb.738:
	s_mov_b32 s10, 0x7f800000
	v_mov_b32_e32 v4, 0x7e
	v_mov_b32_e32 v5, 0x7f
	v_cmp_lt_u32_e32 vcc, s10, v3
	v_cndmask_b32_e32 v4, v4, v5, vcc
; %bb.739:
	s_or_b64 exec, exec, s[8:9]
	global_store_byte v[0:1], v4, off
.LBB15_740:
	s_mov_b64 s[8:9], 0
.LBB15_741:
	s_andn2_b64 vcc, exec, s[8:9]
	s_cbranch_vccnz .LBB15_751
; %bb.742:
	v_cvt_f32_ubyte0_e32 v3, v2
	s_mov_b32 s8, 0x47800000
	v_cmp_gt_u32_e32 vcc, s8, v3
                                        ; implicit-def: $vgpr4
	s_and_saveexec_b64 s[8:9], vcc
	s_xor_b64 s[8:9], exec, s[8:9]
	s_cbranch_execz .LBB15_748
; %bb.743:
	s_mov_b32 s10, 0x387fffff
	v_cmp_lt_u32_e32 vcc, s10, v3
                                        ; implicit-def: $vgpr4
	s_and_saveexec_b64 s[10:11], vcc
	s_xor_b64 s[10:11], exec, s[10:11]
; %bb.744:
	v_bfe_u32 v4, v3, 21, 1
	s_mov_b32 s12, 0x80fffff
	v_add3_u32 v3, v3, v4, s12
	v_lshrrev_b32_e32 v4, 21, v3
                                        ; implicit-def: $vgpr3
; %bb.745:
	s_andn2_saveexec_b64 s[10:11], s[10:11]
; %bb.746:
	v_add_f32_e32 v4, 0x43000000, v3
; %bb.747:
	s_or_b64 exec, exec, s[10:11]
                                        ; implicit-def: $vgpr3
.LBB15_748:
	s_andn2_saveexec_b64 s[8:9], s[8:9]
; %bb.749:
	s_mov_b32 s10, 0x7f800000
	v_mov_b32_e32 v4, 0x7c
	v_mov_b32_e32 v5, 0x7f
	v_cmp_lt_u32_e32 vcc, s10, v3
	v_cndmask_b32_e32 v4, v4, v5, vcc
; %bb.750:
	s_or_b64 exec, exec, s[8:9]
	global_store_byte v[0:1], v4, off
.LBB15_751:
	s_mov_b64 s[10:11], 0
	s_mov_b64 s[8:9], -1
.LBB15_752:
	s_andn2_b64 vcc, exec, s[10:11]
	s_cbranch_vccnz .LBB15_760
; %bb.753:
	s_cmp_gt_i32 s15, 14
	s_mov_b64 s[10:11], -1
	s_cbranch_scc0 .LBB15_757
; %bb.754:
	s_cmp_eq_u32 s15, 15
	s_mov_b64 s[0:1], -1
	s_cbranch_scc0 .LBB15_756
; %bb.755:
	v_cvt_f32_ubyte0_e32 v3, v2
	v_bfe_u32 v4, v3, 16, 1
	s_movk_i32 s0, 0x7fff
	v_add3_u32 v3, v3, v4, s0
	global_store_short_d16_hi v[0:1], v3, off
	s_mov_b64 s[8:9], -1
	s_mov_b64 s[0:1], 0
.LBB15_756:
	s_mov_b64 s[10:11], 0
.LBB15_757:
	s_and_b64 vcc, exec, s[10:11]
	s_cbranch_vccz .LBB15_760
; %bb.758:
	s_cmp_eq_u32 s15, 11
	s_mov_b64 s[0:1], -1
	s_cbranch_scc0 .LBB15_760
; %bb.759:
	v_mov_b32_e32 v3, 0
	v_cmp_ne_u16_sdwa s[0:1], v2, v3 src0_sel:BYTE_0 src1_sel:DWORD
	v_cndmask_b32_e64 v3, 0, 1, s[0:1]
	s_mov_b64 s[8:9], -1
	s_mov_b64 s[0:1], 0
	global_store_byte v[0:1], v3, off
.LBB15_760:
	s_mov_b64 s[10:11], 0
.LBB15_761:
	s_and_b64 vcc, exec, s[10:11]
	s_cbranch_vccz .LBB15_800
; %bb.762:
	s_and_b32 s10, 0xffff, s14
	s_cmp_lt_i32 s10, 5
	s_mov_b64 s[8:9], -1
	s_cbranch_scc1 .LBB15_783
; %bb.763:
	s_cmp_lt_i32 s10, 8
	s_cbranch_scc1 .LBB15_773
; %bb.764:
	s_cmp_lt_i32 s10, 9
	s_cbranch_scc1 .LBB15_770
; %bb.765:
	s_cmp_gt_i32 s10, 9
	s_cbranch_scc0 .LBB15_767
; %bb.766:
	s_mov_b32 s8, 0xffff
	v_and_b32_sdwa v3, s8, v2 dst_sel:DWORD dst_unused:UNUSED_PAD src0_sel:DWORD src1_sel:BYTE_0
	v_cvt_f64_u32_e32 v[3:4], v3
	v_mov_b32_e32 v5, 0
	v_mov_b32_e32 v6, v5
	s_mov_b64 s[8:9], 0
	global_store_dwordx4 v[0:1], v[3:6], off
.LBB15_767:
	s_andn2_b64 vcc, exec, s[8:9]
	s_cbranch_vccnz .LBB15_769
; %bb.768:
	v_cvt_f32_ubyte0_e32 v3, v2
	v_mov_b32_e32 v4, 0
	global_store_dwordx2 v[0:1], v[3:4], off
.LBB15_769:
	s_mov_b64 s[8:9], 0
.LBB15_770:
	s_andn2_b64 vcc, exec, s[8:9]
	s_cbranch_vccnz .LBB15_772
; %bb.771:
	v_cvt_f16_u16_sdwa v3, v2 dst_sel:DWORD dst_unused:UNUSED_PAD src0_sel:BYTE_0
	global_store_dword v[0:1], v3, off
.LBB15_772:
	s_mov_b64 s[8:9], 0
.LBB15_773:
	s_andn2_b64 vcc, exec, s[8:9]
	s_cbranch_vccnz .LBB15_782
; %bb.774:
	s_cmp_lt_i32 s10, 6
	s_mov_b64 s[8:9], -1
	s_cbranch_scc1 .LBB15_780
; %bb.775:
	s_cmp_gt_i32 s10, 6
	s_cbranch_scc0 .LBB15_777
; %bb.776:
	s_mov_b32 s8, 0xffff
	v_and_b32_sdwa v3, s8, v2 dst_sel:DWORD dst_unused:UNUSED_PAD src0_sel:DWORD src1_sel:BYTE_0
	v_cvt_f64_u32_e32 v[3:4], v3
	s_mov_b64 s[8:9], 0
	global_store_dwordx2 v[0:1], v[3:4], off
.LBB15_777:
	s_andn2_b64 vcc, exec, s[8:9]
	s_cbranch_vccnz .LBB15_779
; %bb.778:
	v_cvt_f32_ubyte0_e32 v3, v2
	global_store_dword v[0:1], v3, off
.LBB15_779:
	s_mov_b64 s[8:9], 0
.LBB15_780:
	s_andn2_b64 vcc, exec, s[8:9]
	s_cbranch_vccnz .LBB15_782
; %bb.781:
	v_cvt_f16_u16_sdwa v3, v2 dst_sel:DWORD dst_unused:UNUSED_PAD src0_sel:BYTE_0
	global_store_short v[0:1], v3, off
.LBB15_782:
	s_mov_b64 s[8:9], 0
.LBB15_783:
	s_andn2_b64 vcc, exec, s[8:9]
	s_cbranch_vccnz .LBB15_799
; %bb.784:
	s_cmp_lt_i32 s10, 2
	s_mov_b64 s[8:9], -1
	s_cbranch_scc1 .LBB15_794
; %bb.785:
	s_cmp_lt_i32 s10, 3
	s_cbranch_scc1 .LBB15_791
; %bb.786:
	s_cmp_gt_i32 s10, 3
	s_cbranch_scc0 .LBB15_788
; %bb.787:
	v_and_b32_e32 v3, 0xff, v2
	v_mov_b32_e32 v4, 0
	s_mov_b64 s[8:9], 0
	global_store_dwordx2 v[0:1], v[3:4], off
.LBB15_788:
	s_andn2_b64 vcc, exec, s[8:9]
	s_cbranch_vccnz .LBB15_790
; %bb.789:
	v_and_b32_e32 v3, 0xff, v2
	global_store_dword v[0:1], v3, off
.LBB15_790:
	s_mov_b64 s[8:9], 0
.LBB15_791:
	s_andn2_b64 vcc, exec, s[8:9]
	s_cbranch_vccnz .LBB15_793
; %bb.792:
	v_and_b32_e32 v3, 0xff, v2
	global_store_short v[0:1], v3, off
.LBB15_793:
	s_mov_b64 s[8:9], 0
.LBB15_794:
	s_andn2_b64 vcc, exec, s[8:9]
	s_cbranch_vccnz .LBB15_799
; %bb.795:
	s_cmp_gt_i32 s10, 0
	s_mov_b64 s[8:9], -1
	s_cbranch_scc0 .LBB15_797
; %bb.796:
	s_mov_b64 s[8:9], 0
	global_store_byte v[0:1], v2, off
.LBB15_797:
	s_andn2_b64 vcc, exec, s[8:9]
	s_cbranch_vccnz .LBB15_799
; %bb.798:
	global_store_byte v[0:1], v2, off
.LBB15_799:
	s_mov_b64 s[8:9], -1
.LBB15_800:
	s_andn2_b64 vcc, exec, s[8:9]
	s_cbranch_vccnz .LBB15_802
; %bb.801:
	v_add_u32_e32 v11, 0x80, v11
	s_mov_b64 s[8:9], -1
	s_branch .LBB15_804
.LBB15_802:
	s_mov_b64 s[8:9], 0
.LBB15_803:
                                        ; implicit-def: $vgpr11
.LBB15_804:
	s_andn2_b64 s[10:11], s[62:63], exec
	s_and_b64 s[0:1], s[0:1], exec
	s_or_b64 s[70:71], s[10:11], s[0:1]
	s_andn2_b64 s[0:1], s[60:61], exec
	s_and_b64 s[2:3], s[2:3], exec
	s_or_b64 s[68:69], s[0:1], s[2:3]
	s_orn2_b64 s[2:3], s[8:9], exec
.LBB15_805:
	s_or_b64 exec, exec, s[66:67]
	s_mov_b64 s[0:1], 0
	s_mov_b64 s[8:9], 0
	;; [unrolled: 1-line block ×3, first 2 shown]
                                        ; implicit-def: $sgpr14
                                        ; implicit-def: $vgpr1_vgpr2
                                        ; implicit-def: $vgpr0
                                        ; implicit-def: $vgpr3
	s_and_saveexec_b64 s[66:67], s[2:3]
	s_cbranch_execz .LBB15_900
; %bb.806:
	v_cmp_gt_i32_e32 vcc, s72, v11
	s_mov_b64 s[2:3], 0
	s_mov_b64 s[12:13], s[68:69]
                                        ; implicit-def: $sgpr14
                                        ; implicit-def: $vgpr1_vgpr2
                                        ; implicit-def: $vgpr0
                                        ; implicit-def: $vgpr3
	s_and_saveexec_b64 s[72:73], vcc
	s_cbranch_execz .LBB15_899
; %bb.807:
	s_andn2_b64 vcc, exec, s[40:41]
	s_cbranch_vccnz .LBB15_812
; %bb.808:
	s_andn2_b64 vcc, exec, s[52:53]
	s_cbranch_vccnz .LBB15_813
; %bb.809:
	s_add_i32 s79, s78, 1
	s_cmp_eq_u32 s74, 2
	s_cbranch_scc1 .LBB15_814
; %bb.810:
	s_and_b32 s78, s79, 28
	v_mov_b32_e32 v2, 0
	s_mov_b32 s80, 0
	s_mov_b64 s[52:53], s[34:35]
	v_mov_b32_e32 v0, 0
	v_mov_b32_e32 v1, v11
.LBB15_811:                             ; =>This Inner Loop Header: Depth=1
	s_load_dwordx8 s[16:23], s[52:53], 0x4
	s_load_dwordx4 s[0:3], s[52:53], 0x24
	s_load_dwordx8 s[8:15], s[50:51], 0x0
	s_add_u32 s52, s52, 48
	s_addc_u32 s53, s53, 0
	s_waitcnt vmcnt(0) lgkmcnt(0)
	v_mul_hi_u32 v3, s17, v1
	s_add_i32 s80, s80, 4
	s_add_u32 s50, s50, 32
	s_addc_u32 s51, s51, 0
	v_add_u32_e32 v3, v1, v3
	v_lshrrev_b32_e32 v3, s18, v3
	v_mul_lo_u32 v4, v3, s16
	v_mul_hi_u32 v5, s20, v3
	s_cmp_eq_u32 s78, s80
	v_sub_u32_e32 v1, v1, v4
	v_add_u32_e32 v4, v3, v5
	v_mul_lo_u32 v5, v1, s8
	v_mul_lo_u32 v6, v1, s9
	v_lshrrev_b32_e32 v1, s21, v4
	v_mul_lo_u32 v4, v1, s19
	v_mul_hi_u32 v7, s23, v1
	v_sub_u32_e32 v3, v3, v4
	v_add_u32_e32 v4, v1, v7
	v_lshrrev_b32_e32 v4, s0, v4
	v_mul_hi_u32 v8, s2, v4
	v_mul_lo_u32 v9, v4, s22
	v_mul_lo_u32 v7, v3, s10
	;; [unrolled: 1-line block ×3, first 2 shown]
	v_sub_u32_e32 v9, v1, v9
	v_add_u32_e32 v1, v4, v8
	v_lshrrev_b32_e32 v1, s3, v1
	v_mul_lo_u32 v8, v1, s1
	v_mul_lo_u32 v10, v9, s12
	;; [unrolled: 1-line block ×3, first 2 shown]
	v_add3_u32 v0, v5, v0, v7
	v_sub_u32_e32 v4, v4, v8
	v_mul_lo_u32 v8, v4, s14
	v_mul_lo_u32 v4, v4, s15
	v_add3_u32 v2, v6, v2, v3
	v_add3_u32 v0, v10, v0, v8
	;; [unrolled: 1-line block ×3, first 2 shown]
	s_cbranch_scc0 .LBB15_811
	s_branch .LBB15_815
.LBB15_812:
	s_mov_b64 s[0:1], -1
                                        ; implicit-def: $vgpr0
                                        ; implicit-def: $vgpr2
	s_branch .LBB15_819
.LBB15_813:
	v_mov_b32_e32 v0, 0
	v_mov_b32_e32 v2, 0
	s_branch .LBB15_818
.LBB15_814:
	s_mov_b32 s78, 0
	v_mov_b32_e32 v0, 0
	v_mov_b32_e32 v2, 0
	;; [unrolled: 1-line block ×3, first 2 shown]
.LBB15_815:
	s_and_b32 s8, s79, 3
	s_cmp_eq_u32 s8, 0
	s_cbranch_scc1 .LBB15_818
; %bb.816:
	s_lshl_b32 s0, s78, 3
	s_add_u32 s0, s34, s0
	s_addc_u32 s1, s35, 0
	s_add_u32 s0, s0, 0xc4
	s_addc_u32 s1, s1, 0
	s_mul_i32 s2, s78, 12
	s_add_u32 s2, s34, s2
	s_addc_u32 s3, s35, 0
.LBB15_817:                             ; =>This Inner Loop Header: Depth=1
	s_load_dwordx2 s[10:11], s[2:3], 0x4
	s_load_dword s9, s[2:3], 0xc
	s_load_dwordx2 s[12:13], s[0:1], 0x0
	s_add_u32 s2, s2, 12
	s_addc_u32 s3, s3, 0
	s_waitcnt vmcnt(0) lgkmcnt(0)
	v_mul_hi_u32 v3, s11, v1
	s_add_u32 s0, s0, 8
	s_addc_u32 s1, s1, 0
	s_add_i32 s8, s8, -1
	v_add_u32_e32 v3, v1, v3
	v_lshrrev_b32_e32 v4, s9, v3
	v_mul_lo_u32 v3, v4, s10
	s_cmp_lg_u32 s8, 0
	v_sub_u32_e32 v3, v1, v3
	v_mad_u64_u32 v[0:1], s[10:11], v3, s12, v[0:1]
	v_mad_u64_u32 v[2:3], s[10:11], v3, s13, v[2:3]
	v_mov_b32_e32 v1, v4
	s_cbranch_scc1 .LBB15_817
.LBB15_818:
	s_mov_b64 s[0:1], 0
.LBB15_819:
	s_andn2_b64 vcc, exec, s[0:1]
	s_cbranch_vccnz .LBB15_822
; %bb.820:
	s_waitcnt lgkmcnt(0)
	v_mul_hi_u32 v0, s37, v11
	s_andn2_b64 vcc, exec, s[48:49]
	v_add_u32_e32 v0, v11, v0
	v_lshrrev_b32_e32 v1, s38, v0
	v_mul_lo_u32 v0, v1, s36
	v_sub_u32_e32 v2, v11, v0
	v_mul_lo_u32 v0, v2, s28
	v_mul_lo_u32 v2, v2, s29
	s_cbranch_vccnz .LBB15_822
; %bb.821:
	s_waitcnt vmcnt(0)
	v_mul_hi_u32 v3, s46, v1
	v_add_u32_e32 v3, v1, v3
	v_lshrrev_b32_e32 v3, s47, v3
	v_mul_lo_u32 v3, v3, s39
	v_sub_u32_e32 v3, v1, v3
	v_mad_u64_u32 v[0:1], s[0:1], v3, s30, v[0:1]
	v_mad_u64_u32 v[2:3], s[0:1], v3, s31, v[2:3]
.LBB15_822:
	s_waitcnt vmcnt(0) lgkmcnt(0)
	v_mov_b32_e32 v3, s27
	s_and_b32 s14, s77, 0xff
	v_add_co_u32_e32 v1, vcc, s26, v2
	s_cmp_lt_i32 s14, 11
	v_addc_co_u32_e32 v2, vcc, 0, v3, vcc
	s_cbranch_scc1 .LBB15_829
; %bb.823:
	s_and_b32 s12, 0xffff, s14
	s_cmp_gt_i32 s12, 25
	s_mov_b64 s[2:3], 0
	s_cbranch_scc0 .LBB15_830
; %bb.824:
	s_cmp_gt_i32 s12, 28
	s_cbranch_scc0 .LBB15_831
; %bb.825:
	s_cmp_gt_i32 s12, 43
	;; [unrolled: 3-line block ×3, first 2 shown]
	s_cbranch_scc0 .LBB15_835
; %bb.827:
	s_cmp_eq_u32 s12, 46
	s_mov_b64 s[10:11], 0
	s_cbranch_scc0 .LBB15_838
; %bb.828:
	global_load_dword v3, v[1:2], off
	s_mov_b32 s0, 0x2f800000
	s_mov_b32 s1, 0xcf800000
	s_mov_b64 s[8:9], -1
	s_waitcnt vmcnt(0)
	v_lshlrev_b32_e32 v3, 16, v3
	v_trunc_f32_e32 v3, v3
	v_mul_f32_e64 v4, |v3|, s0
	v_floor_f32_e32 v4, v4
	v_fma_f32 v4, v4, s1, |v3|
	v_cvt_u32_f32_e32 v4, v4
	v_ashrrev_i32_e32 v3, 31, v3
	s_mov_b64 s[0:1], 0
	v_xor_b32_e32 v4, v4, v3
	v_sub_u32_e32 v3, v4, v3
	s_branch .LBB15_839
.LBB15_829:
	s_mov_b64 s[12:13], -1
	s_mov_b64 s[8:9], 0
	s_mov_b64 s[2:3], 0
	;; [unrolled: 1-line block ×3, first 2 shown]
                                        ; implicit-def: $vgpr3
	s_branch .LBB15_898
.LBB15_830:
	s_mov_b64 s[10:11], -1
	s_mov_b64 s[8:9], 0
	s_mov_b64 s[0:1], s[68:69]
                                        ; implicit-def: $vgpr3
	s_branch .LBB15_866
.LBB15_831:
	s_mov_b64 s[10:11], -1
	s_mov_b64 s[8:9], 0
	s_mov_b64 s[0:1], s[68:69]
                                        ; implicit-def: $vgpr3
	s_branch .LBB15_849
.LBB15_832:
	s_mov_b64 s[10:11], -1
	s_mov_b64 s[8:9], 0
	s_mov_b64 s[0:1], s[68:69]
                                        ; implicit-def: $vgpr3
	s_branch .LBB15_844
.LBB15_833:
	s_andn2_saveexec_b64 s[12:13], s[12:13]
	s_cbranch_execz .LBB15_713
.LBB15_834:
	v_add_f32_e32 v3, 0x46000000, v4
	v_and_b32_e32 v3, 0xff, v3
	v_cmp_ne_u32_e32 vcc, 0, v3
	s_andn2_b64 s[10:11], s[10:11], exec
	s_and_b64 s[16:17], vcc, exec
	s_or_b64 s[10:11], s[10:11], s[16:17]
	s_or_b64 exec, exec, s[12:13]
	v_mov_b32_e32 v5, 0
	s_and_saveexec_b64 s[12:13], s[10:11]
	s_cbranch_execnz .LBB15_714
	s_branch .LBB15_715
.LBB15_835:
	s_mov_b64 s[10:11], -1
	s_mov_b64 s[8:9], 0
	s_mov_b64 s[0:1], s[68:69]
                                        ; implicit-def: $vgpr3
	s_branch .LBB15_839
.LBB15_836:
	s_andn2_saveexec_b64 s[12:13], s[12:13]
	s_cbranch_execz .LBB15_726
.LBB15_837:
	v_add_f32_e32 v3, 0x42800000, v4
	v_and_b32_e32 v3, 0xff, v3
	v_cmp_ne_u32_e32 vcc, 0, v3
	s_andn2_b64 s[10:11], s[10:11], exec
	s_and_b64 s[16:17], vcc, exec
	s_or_b64 s[10:11], s[10:11], s[16:17]
	s_or_b64 exec, exec, s[12:13]
	v_mov_b32_e32 v5, 0
	s_and_saveexec_b64 s[12:13], s[10:11]
	s_cbranch_execnz .LBB15_727
	s_branch .LBB15_728
.LBB15_838:
	s_mov_b64 s[0:1], -1
                                        ; implicit-def: $vgpr3
	s_mov_b64 s[8:9], 0
.LBB15_839:
	s_and_b64 vcc, exec, s[10:11]
	s_cbranch_vccz .LBB15_843
; %bb.840:
	s_cmp_eq_u32 s12, 44
	s_cbranch_scc0 .LBB15_842
; %bb.841:
	global_load_ubyte v3, v[1:2], off
	s_mov_b32 s0, 0x2f800000
	s_mov_b32 s1, 0xcf800000
	s_mov_b64 s[8:9], -1
	s_waitcnt vmcnt(0)
	v_lshlrev_b32_e32 v4, 23, v3
	v_trunc_f32_e32 v4, v4
	v_mul_f32_e64 v5, |v4|, s0
	v_floor_f32_e32 v5, v5
	v_fma_f32 v5, v5, s1, |v4|
	v_cvt_u32_f32_e32 v5, v5
	v_ashrrev_i32_e32 v4, 31, v4
	v_cmp_ne_u32_e32 vcc, 0, v3
	s_mov_b64 s[0:1], 0
	v_xor_b32_e32 v5, v5, v4
	v_sub_u32_e32 v4, v5, v4
	v_cndmask_b32_e32 v3, 0, v4, vcc
	s_branch .LBB15_843
.LBB15_842:
	s_mov_b64 s[0:1], -1
                                        ; implicit-def: $vgpr3
.LBB15_843:
	s_mov_b64 s[10:11], 0
.LBB15_844:
	s_and_b64 vcc, exec, s[10:11]
	s_cbranch_vccz .LBB15_848
; %bb.845:
	s_cmp_eq_u32 s12, 29
	s_cbranch_scc0 .LBB15_847
; %bb.846:
	global_load_dwordx2 v[3:4], v[1:2], off
	s_mov_b64 s[0:1], 0
	s_mov_b64 s[8:9], -1
	s_branch .LBB15_848
.LBB15_847:
	s_mov_b64 s[0:1], -1
                                        ; implicit-def: $vgpr3
.LBB15_848:
	s_mov_b64 s[10:11], 0
.LBB15_849:
	s_and_b64 vcc, exec, s[10:11]
	s_cbranch_vccz .LBB15_865
; %bb.850:
	s_cmp_lt_i32 s12, 27
	s_cbranch_scc1 .LBB15_853
; %bb.851:
	s_cmp_gt_i32 s12, 27
	s_cbranch_scc0 .LBB15_854
; %bb.852:
	global_load_dword v3, v[1:2], off
	s_mov_b64 s[8:9], 0
	s_branch .LBB15_855
.LBB15_853:
	s_mov_b64 s[8:9], -1
                                        ; implicit-def: $vgpr3
	s_branch .LBB15_858
.LBB15_854:
	s_mov_b64 s[8:9], -1
                                        ; implicit-def: $vgpr3
.LBB15_855:
	s_andn2_b64 vcc, exec, s[8:9]
	s_cbranch_vccnz .LBB15_857
; %bb.856:
	global_load_ushort v3, v[1:2], off
.LBB15_857:
	s_mov_b64 s[8:9], 0
.LBB15_858:
	s_andn2_b64 vcc, exec, s[8:9]
	s_cbranch_vccnz .LBB15_864
; %bb.859:
	global_load_ubyte v4, v[1:2], off
	s_movk_i32 s8, 0x7f
	s_mov_b64 s[10:11], 0
	s_waitcnt vmcnt(0)
	v_cmp_lt_i16_e32 vcc, s8, v4
	s_and_saveexec_b64 s[8:9], vcc
	s_xor_b64 s[8:9], exec, s[8:9]
	s_cbranch_execz .LBB15_876
; %bb.860:
	s_movk_i32 s10, 0x80
	v_cmp_ne_u16_e32 vcc, s10, v4
	s_and_b64 s[10:11], vcc, exec
	s_andn2_saveexec_b64 s[8:9], s[8:9]
	s_cbranch_execnz .LBB15_877
.LBB15_861:
	s_or_b64 exec, exec, s[8:9]
	v_mov_b32_e32 v3, 0
	s_and_saveexec_b64 s[8:9], s[10:11]
	s_cbranch_execz .LBB15_863
.LBB15_862:
	v_lshlrev_b32_e32 v3, 24, v4
	v_and_b32_e32 v4, 0xffff, v4
	v_and_b32_e32 v5, 7, v4
	v_ffbh_u32_e32 v7, v5
	v_min_u32_e32 v7, 32, v7
	v_subrev_u32_e32 v8, 28, v7
	v_bfe_u32 v6, v4, 3, 4
	v_lshlrev_b32_e32 v4, v8, v4
	v_sub_u32_e32 v7, 29, v7
	v_and_b32_e32 v4, 7, v4
	v_cmp_eq_u32_e32 vcc, 0, v6
	v_cndmask_b32_e32 v6, v6, v7, vcc
	v_cndmask_b32_e32 v4, v5, v4, vcc
	v_mov_b32_e32 v5, 0x3b800000
	v_lshlrev_b32_e32 v4, 20, v4
	v_and_b32_e32 v3, 0x80000000, v3
	v_lshl_add_u32 v5, v6, 23, v5
	v_or3_b32 v3, v3, v5, v4
	v_trunc_f32_e32 v3, v3
	s_mov_b32 s10, 0x2f800000
	v_mul_f32_e64 v4, |v3|, s10
	v_floor_f32_e32 v4, v4
	s_mov_b32 s10, 0xcf800000
	v_fma_f32 v4, v4, s10, |v3|
	v_cvt_u32_f32_e32 v4, v4
	v_ashrrev_i32_e32 v3, 31, v3
	v_xor_b32_e32 v4, v4, v3
	v_sub_u32_e32 v3, v4, v3
.LBB15_863:
	s_or_b64 exec, exec, s[8:9]
.LBB15_864:
	s_mov_b64 s[8:9], -1
.LBB15_865:
	s_mov_b64 s[10:11], 0
.LBB15_866:
	s_and_b64 vcc, exec, s[10:11]
	s_cbranch_vccz .LBB15_897
; %bb.867:
	s_cmp_gt_i32 s12, 22
	s_cbranch_scc0 .LBB15_875
; %bb.868:
	s_cmp_lt_i32 s12, 24
	s_cbranch_scc1 .LBB15_878
; %bb.869:
	s_cmp_gt_i32 s12, 24
	s_cbranch_scc0 .LBB15_879
; %bb.870:
	global_load_ubyte v4, v[1:2], off
	s_movk_i32 s2, 0x7f
	s_mov_b64 s[8:9], 0
	s_waitcnt vmcnt(0)
	v_cmp_lt_i16_e32 vcc, s2, v4
	s_and_saveexec_b64 s[2:3], vcc
	s_xor_b64 s[2:3], exec, s[2:3]
	s_cbranch_execz .LBB15_891
; %bb.871:
	s_movk_i32 s8, 0x80
	v_cmp_ne_u16_e32 vcc, s8, v4
	s_and_b64 s[8:9], vcc, exec
	s_andn2_saveexec_b64 s[2:3], s[2:3]
	s_cbranch_execnz .LBB15_892
.LBB15_872:
	s_or_b64 exec, exec, s[2:3]
	v_mov_b32_e32 v3, 0
	s_and_saveexec_b64 s[2:3], s[8:9]
	s_cbranch_execz .LBB15_874
.LBB15_873:
	v_lshlrev_b32_e32 v3, 24, v4
	v_and_b32_e32 v4, 0xffff, v4
	v_and_b32_e32 v5, 3, v4
	v_ffbh_u32_e32 v7, v5
	v_min_u32_e32 v7, 32, v7
	v_subrev_u32_e32 v8, 29, v7
	v_bfe_u32 v6, v4, 2, 5
	v_lshlrev_b32_e32 v4, v8, v4
	v_sub_u32_e32 v7, 30, v7
	v_and_b32_e32 v4, 3, v4
	v_cmp_eq_u32_e32 vcc, 0, v6
	v_cndmask_b32_e32 v6, v6, v7, vcc
	v_cndmask_b32_e32 v4, v5, v4, vcc
	v_mov_b32_e32 v5, 0x37800000
	v_lshlrev_b32_e32 v4, 21, v4
	v_and_b32_e32 v3, 0x80000000, v3
	v_lshl_add_u32 v5, v6, 23, v5
	v_or3_b32 v3, v3, v5, v4
	v_trunc_f32_e32 v3, v3
	s_mov_b32 s8, 0x2f800000
	v_mul_f32_e64 v4, |v3|, s8
	v_floor_f32_e32 v4, v4
	s_mov_b32 s8, 0xcf800000
	v_fma_f32 v4, v4, s8, |v3|
	v_cvt_u32_f32_e32 v4, v4
	v_ashrrev_i32_e32 v3, 31, v3
	v_xor_b32_e32 v4, v4, v3
	v_sub_u32_e32 v3, v4, v3
.LBB15_874:
	s_or_b64 exec, exec, s[2:3]
	s_mov_b64 s[2:3], 0
	s_branch .LBB15_880
.LBB15_875:
	s_mov_b64 s[2:3], -1
                                        ; implicit-def: $vgpr3
	s_branch .LBB15_886
.LBB15_876:
	s_andn2_saveexec_b64 s[8:9], s[8:9]
	s_cbranch_execz .LBB15_861
.LBB15_877:
	v_cmp_ne_u16_e32 vcc, 0, v4
	s_andn2_b64 s[10:11], s[10:11], exec
	s_and_b64 s[16:17], vcc, exec
	s_or_b64 s[10:11], s[10:11], s[16:17]
	s_or_b64 exec, exec, s[8:9]
	v_mov_b32_e32 v3, 0
	s_and_saveexec_b64 s[8:9], s[10:11]
	s_cbranch_execnz .LBB15_862
	s_branch .LBB15_863
.LBB15_878:
	s_mov_b64 s[2:3], -1
                                        ; implicit-def: $vgpr3
	s_branch .LBB15_883
.LBB15_879:
	s_mov_b64 s[2:3], -1
                                        ; implicit-def: $vgpr3
.LBB15_880:
	s_and_b64 vcc, exec, s[2:3]
	s_cbranch_vccz .LBB15_882
; %bb.881:
	global_load_ubyte v3, v[1:2], off
	s_mov_b32 s2, 0x7f800000
	s_brev_b32 s3, 1
	s_mov_b32 s8, 0x2f800000
	s_waitcnt vmcnt(0)
	v_lshlrev_b32_e32 v3, 24, v3
	v_and_b32_e32 v4, 0x7f000000, v3
	v_ffbh_u32_e32 v5, v4
	v_min_u32_e32 v5, 32, v5
	v_sub_u32_e64 v5, v5, 4 clamp
	v_lshlrev_b32_e32 v7, v5, v4
	v_lshlrev_b32_e32 v5, 23, v5
	v_lshrrev_b32_e32 v7, 4, v7
	v_add_u32_e32 v6, 0x1000000, v4
	v_sub_u32_e32 v5, v7, v5
	v_ashrrev_i32_e32 v6, 8, v6
	v_add_u32_e32 v5, 0x3c000000, v5
	v_and_or_b32 v5, v6, s2, v5
	v_cmp_ne_u32_e32 vcc, 0, v4
	v_cndmask_b32_e32 v4, 0, v5, vcc
	v_and_or_b32 v3, v3, s3, v4
	v_trunc_f32_e32 v3, v3
	v_mul_f32_e64 v4, |v3|, s8
	v_floor_f32_e32 v4, v4
	s_mov_b32 s2, 0xcf800000
	v_fma_f32 v4, v4, s2, |v3|
	v_cvt_u32_f32_e32 v4, v4
	v_ashrrev_i32_e32 v3, 31, v3
	v_xor_b32_e32 v4, v4, v3
	v_sub_u32_e32 v3, v4, v3
.LBB15_882:
	s_mov_b64 s[2:3], 0
.LBB15_883:
	s_andn2_b64 vcc, exec, s[2:3]
	s_cbranch_vccnz .LBB15_885
; %bb.884:
	global_load_ubyte v3, v[1:2], off
	s_movk_i32 s2, 0x7f00
	s_brev_b32 s3, 16
	s_brev_b32 s8, 1
	s_mov_b32 s9, 0x2f800000
	s_waitcnt vmcnt(0)
	v_lshlrev_b16_e32 v4, 8, v3
	v_lshlrev_b32_e32 v3, 25, v3
	v_lshrrev_b32_e32 v5, 4, v3
	v_and_or_b32 v6, v4, s2, 0.5
	v_or_b32_e32 v5, 0x70000000, v5
	v_add_f32_e32 v6, -0.5, v6
	v_mul_f32_e32 v5, 0x7800000, v5
	v_cmp_gt_u32_e32 vcc, s3, v3
	v_bfe_i32 v4, v4, 0, 16
	v_cndmask_b32_e32 v3, v5, v6, vcc
	v_and_or_b32 v3, v4, s8, v3
	v_trunc_f32_e32 v3, v3
	v_mul_f32_e64 v4, |v3|, s9
	v_floor_f32_e32 v4, v4
	s_mov_b32 s2, 0xcf800000
	v_fma_f32 v4, v4, s2, |v3|
	v_cvt_u32_f32_e32 v4, v4
	v_ashrrev_i32_e32 v3, 31, v3
	v_xor_b32_e32 v4, v4, v3
	v_sub_u32_e32 v3, v4, v3
.LBB15_885:
	s_mov_b64 s[2:3], 0
	s_mov_b64 s[8:9], -1
.LBB15_886:
	s_andn2_b64 vcc, exec, s[2:3]
	s_mov_b64 s[2:3], 0
	s_cbranch_vccnz .LBB15_897
; %bb.887:
	s_cmp_gt_i32 s12, 14
	s_cbranch_scc0 .LBB15_890
; %bb.888:
	s_cmp_eq_u32 s12, 15
	s_cbranch_scc0 .LBB15_893
; %bb.889:
	global_load_ushort v3, v[1:2], off
	s_mov_b32 s0, 0x2f800000
	s_mov_b32 s1, 0xcf800000
	s_mov_b64 s[8:9], -1
	s_waitcnt vmcnt(0)
	v_lshlrev_b32_e32 v3, 16, v3
	v_trunc_f32_e32 v3, v3
	v_mul_f32_e64 v4, |v3|, s0
	v_floor_f32_e32 v4, v4
	v_fma_f32 v4, v4, s1, |v3|
	v_cvt_u32_f32_e32 v4, v4
	v_ashrrev_i32_e32 v3, 31, v3
	s_mov_b64 s[0:1], 0
	v_xor_b32_e32 v4, v4, v3
	v_sub_u32_e32 v3, v4, v3
	s_branch .LBB15_894
.LBB15_890:
	s_mov_b64 s[10:11], -1
                                        ; implicit-def: $vgpr3
	s_branch .LBB15_895
.LBB15_891:
	s_andn2_saveexec_b64 s[2:3], s[2:3]
	s_cbranch_execz .LBB15_872
.LBB15_892:
	v_cmp_ne_u16_e32 vcc, 0, v4
	s_andn2_b64 s[8:9], s[8:9], exec
	s_and_b64 s[10:11], vcc, exec
	s_or_b64 s[8:9], s[8:9], s[10:11]
	s_or_b64 exec, exec, s[2:3]
	v_mov_b32_e32 v3, 0
	s_and_saveexec_b64 s[2:3], s[8:9]
	s_cbranch_execnz .LBB15_873
	s_branch .LBB15_874
.LBB15_893:
	s_mov_b64 s[0:1], -1
                                        ; implicit-def: $vgpr3
.LBB15_894:
	s_mov_b64 s[10:11], 0
.LBB15_895:
	s_and_b64 vcc, exec, s[10:11]
	s_cbranch_vccz .LBB15_897
; %bb.896:
	s_cmp_lg_u32 s12, 11
	s_cselect_b64 s[10:11], -1, 0
	s_andn2_b64 s[0:1], s[0:1], exec
	s_and_b64 s[10:11], s[10:11], exec
	s_mov_b64 s[2:3], -1
	s_or_b64 s[0:1], s[0:1], s[10:11]
.LBB15_897:
	s_mov_b64 s[12:13], 0
.LBB15_898:
	s_and_b64 s[10:11], s[8:9], exec
	s_and_b64 s[8:9], s[12:13], exec
	s_andn2_b64 s[12:13], s[68:69], exec
	s_and_b64 s[0:1], s[0:1], exec
	s_and_b64 s[2:3], s[2:3], exec
	s_or_b64 s[12:13], s[12:13], s[0:1]
.LBB15_899:
	s_or_b64 exec, exec, s[72:73]
	s_and_b64 s[0:1], s[2:3], exec
	s_andn2_b64 s[2:3], s[68:69], exec
	s_and_b64 s[12:13], s[12:13], exec
	s_and_b64 s[10:11], s[10:11], exec
	;; [unrolled: 1-line block ×3, first 2 shown]
	s_or_b64 s[68:69], s[2:3], s[12:13]
.LBB15_900:
	s_or_b64 exec, exec, s[66:67]
	s_andn2_b64 s[2:3], s[62:63], exec
	s_and_b64 s[12:13], s[70:71], exec
	s_or_b64 s[62:63], s[2:3], s[12:13]
	s_and_b64 s[2:3], s[0:1], exec
	s_andn2_b64 s[0:1], s[60:61], exec
	s_and_b64 s[12:13], s[68:69], exec
	s_and_b64 s[10:11], s[10:11], exec
	;; [unrolled: 1-line block ×3, first 2 shown]
	s_or_b64 s[60:61], s[0:1], s[12:13]
.LBB15_901:
	s_or_b64 exec, exec, s[64:65]
	s_andn2_b64 s[0:1], s[54:55], exec
	s_and_b64 s[12:13], s[62:63], exec
	s_or_b64 s[54:55], s[0:1], s[12:13]
	s_and_b64 s[0:1], s[10:11], exec
	s_and_b64 s[10:11], s[8:9], exec
	;; [unrolled: 1-line block ×3, first 2 shown]
	s_andn2_b64 s[2:3], s[56:57], exec
	s_and_b64 s[8:9], s[60:61], exec
	s_or_b64 s[56:57], s[2:3], s[8:9]
	s_or_b64 exec, exec, s[58:59]
	s_mov_b64 s[2:3], 0
	s_and_saveexec_b64 s[8:9], s[56:57]
	s_cbranch_execz .LBB15_270
.LBB15_902:
	s_mov_b64 s[2:3], exec
	s_andn2_b64 s[62:63], s[62:63], exec
	s_trap 2
	s_or_b64 exec, exec, s[8:9]
	s_and_saveexec_b64 s[8:9], s[62:63]
	s_xor_b64 s[8:9], exec, s[8:9]
	s_cbranch_execnz .LBB15_271
.LBB15_903:
	s_or_b64 exec, exec, s[8:9]
	s_and_saveexec_b64 s[8:9], s[10:11]
	s_cbranch_execz .LBB15_949
.LBB15_904:
	s_sext_i32_i16 s10, s14
	s_cmp_lt_i32 s10, 5
	s_cbranch_scc1 .LBB15_909
; %bb.905:
	s_cmp_lt_i32 s10, 8
	s_cbranch_scc1 .LBB15_910
; %bb.906:
	;; [unrolled: 3-line block ×3, first 2 shown]
	s_cmp_gt_i32 s10, 9
	s_cbranch_scc0 .LBB15_912
; %bb.908:
	global_load_dwordx2 v[3:4], v[1:2], off
	s_movk_i32 s10, 0xffe0
	s_waitcnt vmcnt(0)
	v_trunc_f64_e32 v[3:4], v[3:4]
	v_ldexp_f64 v[5:6], v[3:4], s10
	s_mov_b32 s10, 0
	s_mov_b32 s11, 0xc1f00000
	v_floor_f64_e32 v[5:6], v[5:6]
	v_fma_f64 v[3:4], v[5:6], s[10:11], v[3:4]
	s_mov_b64 s[10:11], 0
	v_cvt_u32_f64_e32 v3, v[3:4]
	s_branch .LBB15_913
.LBB15_909:
                                        ; implicit-def: $vgpr3
	s_branch .LBB15_930
.LBB15_910:
                                        ; implicit-def: $vgpr3
	s_branch .LBB15_919
.LBB15_911:
	s_mov_b64 s[10:11], -1
                                        ; implicit-def: $vgpr3
	s_branch .LBB15_916
.LBB15_912:
	s_mov_b64 s[10:11], -1
                                        ; implicit-def: $vgpr3
.LBB15_913:
	s_andn2_b64 vcc, exec, s[10:11]
	s_cbranch_vccnz .LBB15_915
; %bb.914:
	global_load_dword v3, v[1:2], off
	s_mov_b32 s10, 0x2f800000
	s_waitcnt vmcnt(0)
	v_trunc_f32_e32 v3, v3
	v_mul_f32_e64 v4, |v3|, s10
	v_floor_f32_e32 v4, v4
	s_mov_b32 s10, 0xcf800000
	v_fma_f32 v4, v4, s10, |v3|
	v_cvt_u32_f32_e32 v4, v4
	v_ashrrev_i32_e32 v3, 31, v3
	v_xor_b32_e32 v4, v4, v3
	v_sub_u32_e32 v3, v4, v3
.LBB15_915:
	s_mov_b64 s[10:11], 0
.LBB15_916:
	s_andn2_b64 vcc, exec, s[10:11]
	s_cbranch_vccnz .LBB15_918
; %bb.917:
	global_load_dword v3, v[1:2], off
	s_waitcnt vmcnt(0)
	v_cvt_f32_f16_e32 v3, v3
	v_cvt_i32_f32_e32 v3, v3
.LBB15_918:
	s_cbranch_execnz .LBB15_929
.LBB15_919:
	s_sext_i32_i16 s10, s14
	s_cmp_lt_i32 s10, 6
	s_cbranch_scc1 .LBB15_922
; %bb.920:
	s_cmp_gt_i32 s10, 6
	s_cbranch_scc0 .LBB15_923
; %bb.921:
	global_load_dwordx2 v[3:4], v[1:2], off
	s_movk_i32 s10, 0xffe0
	s_waitcnt vmcnt(0)
	v_trunc_f64_e32 v[3:4], v[3:4]
	v_ldexp_f64 v[5:6], v[3:4], s10
	s_mov_b32 s10, 0
	s_mov_b32 s11, 0xc1f00000
	v_floor_f64_e32 v[5:6], v[5:6]
	v_fma_f64 v[3:4], v[5:6], s[10:11], v[3:4]
	s_mov_b64 s[10:11], 0
	v_cvt_u32_f64_e32 v3, v[3:4]
	s_branch .LBB15_924
.LBB15_922:
	s_mov_b64 s[10:11], -1
                                        ; implicit-def: $vgpr3
	s_branch .LBB15_927
.LBB15_923:
	s_mov_b64 s[10:11], -1
                                        ; implicit-def: $vgpr3
.LBB15_924:
	s_andn2_b64 vcc, exec, s[10:11]
	s_cbranch_vccnz .LBB15_926
; %bb.925:
	global_load_dword v3, v[1:2], off
	s_mov_b32 s10, 0x2f800000
	s_waitcnt vmcnt(0)
	v_trunc_f32_e32 v3, v3
	v_mul_f32_e64 v4, |v3|, s10
	v_floor_f32_e32 v4, v4
	s_mov_b32 s10, 0xcf800000
	v_fma_f32 v4, v4, s10, |v3|
	v_cvt_u32_f32_e32 v4, v4
	v_ashrrev_i32_e32 v3, 31, v3
	v_xor_b32_e32 v4, v4, v3
	v_sub_u32_e32 v3, v4, v3
.LBB15_926:
	s_mov_b64 s[10:11], 0
.LBB15_927:
	s_andn2_b64 vcc, exec, s[10:11]
	s_cbranch_vccnz .LBB15_929
; %bb.928:
	global_load_ushort v3, v[1:2], off
	s_waitcnt vmcnt(0)
	v_cvt_f32_f16_e32 v3, v3
	v_cvt_i32_f32_e32 v3, v3
.LBB15_929:
	s_cbranch_execnz .LBB15_948
.LBB15_930:
	s_sext_i32_i16 s10, s14
	s_cmp_lt_i32 s10, 2
	s_cbranch_scc1 .LBB15_934
; %bb.931:
	s_cmp_lt_i32 s10, 3
	s_cbranch_scc1 .LBB15_935
; %bb.932:
	s_cmp_gt_i32 s10, 3
	s_cbranch_scc0 .LBB15_936
; %bb.933:
	global_load_dwordx2 v[3:4], v[1:2], off
	s_mov_b64 s[10:11], 0
	s_branch .LBB15_937
.LBB15_934:
                                        ; implicit-def: $vgpr3
	s_branch .LBB15_943
.LBB15_935:
	s_mov_b64 s[10:11], -1
                                        ; implicit-def: $vgpr3
	s_branch .LBB15_940
.LBB15_936:
	s_mov_b64 s[10:11], -1
                                        ; implicit-def: $vgpr3
.LBB15_937:
	s_andn2_b64 vcc, exec, s[10:11]
	s_cbranch_vccnz .LBB15_939
; %bb.938:
	global_load_dword v3, v[1:2], off
.LBB15_939:
	s_mov_b64 s[10:11], 0
.LBB15_940:
	s_andn2_b64 vcc, exec, s[10:11]
	s_cbranch_vccnz .LBB15_942
; %bb.941:
	global_load_ushort v3, v[1:2], off
.LBB15_942:
	s_cbranch_execnz .LBB15_948
.LBB15_943:
	s_sext_i32_i16 s10, s14
	s_cmp_gt_i32 s10, 0
	s_cbranch_scc0 .LBB15_945
; %bb.944:
	global_load_ubyte v3, v[1:2], off
	s_mov_b64 s[10:11], 0
	s_branch .LBB15_946
.LBB15_945:
	s_mov_b64 s[10:11], -1
                                        ; implicit-def: $vgpr3
.LBB15_946:
	s_andn2_b64 vcc, exec, s[10:11]
	s_cbranch_vccnz .LBB15_948
; %bb.947:
	global_load_ubyte v3, v[1:2], off
.LBB15_948:
	s_or_b64 s[0:1], s[0:1], exec
.LBB15_949:
	s_or_b64 exec, exec, s[8:9]
	s_mov_b64 s[12:13], 0
	s_mov_b64 s[10:11], 0
                                        ; implicit-def: $sgpr18
                                        ; implicit-def: $vgpr1_vgpr2
                                        ; implicit-def: $vgpr4
	s_and_saveexec_b64 s[8:9], s[0:1]
	s_cbranch_execz .LBB15_1024
; %bb.950:
	s_waitcnt vmcnt(0)
	v_lshlrev_b32_e32 v1, s76, v3
	v_cndmask_b32_e64 v4, v1, 0, s[44:45]
	s_waitcnt lgkmcnt(0)
	v_mov_b32_e32 v2, s25
	s_and_b32 s18, s75, 0xff
	v_add_co_u32_e32 v1, vcc, s24, v0
	s_cmp_lt_i32 s18, 11
	v_addc_co_u32_e32 v2, vcc, 0, v2, vcc
	s_cbranch_scc1 .LBB15_1027
; %bb.951:
	s_and_b32 s19, 0xffff, s18
	s_mov_b64 s[12:13], -1
	s_cmp_gt_i32 s19, 25
	s_mov_b64 s[0:1], s[54:55]
	s_cbranch_scc0 .LBB15_984
; %bb.952:
	s_mov_b64 s[10:11], -1
	s_cmp_gt_i32 s19, 28
	s_mov_b64 s[0:1], s[54:55]
	s_cbranch_scc0 .LBB15_968
; %bb.953:
	s_cmp_gt_i32 s19, 43
	s_mov_b64 s[0:1], s[54:55]
	s_cbranch_scc0 .LBB15_964
; %bb.954:
	;; [unrolled: 4-line block ×3, first 2 shown]
	s_cmp_eq_u32 s19, 46
	s_mov_b64 s[0:1], -1
	s_cbranch_scc0 .LBB15_957
; %bb.956:
	v_cvt_f32_ubyte0_e32 v0, v4
	v_bfe_u32 v3, v0, 16, 1
	s_movk_i32 s0, 0x7fff
	v_add3_u32 v0, v0, v3, s0
	v_lshrrev_b32_e32 v0, 16, v0
	global_store_dword v[1:2], v0, off
	s_mov_b64 s[0:1], 0
.LBB15_957:
	s_mov_b64 s[10:11], 0
.LBB15_958:
	s_and_b64 vcc, exec, s[10:11]
	s_cbranch_vccz .LBB15_963
; %bb.959:
	s_cmp_eq_u32 s19, 44
	s_mov_b64 s[0:1], -1
	s_cbranch_scc0 .LBB15_963
; %bb.960:
	v_cvt_f32_ubyte0_e32 v3, v4
	v_lshrrev_b32_e32 v0, 23, v3
	s_movk_i32 s0, 0xff
	v_cmp_ne_u32_e32 vcc, s0, v0
	v_mov_b32_e32 v5, 0xff
	s_and_saveexec_b64 s[10:11], vcc
; %bb.961:
	s_mov_b32 s0, 0x3fffff
	v_and_b32_e32 v5, 0x400000, v3
	v_and_or_b32 v3, v3, s0, v0
	v_cmp_ne_u32_e32 vcc, 0, v5
	v_cmp_ne_u32_e64 s[0:1], 0, v3
	s_and_b64 s[0:1], vcc, s[0:1]
	v_cndmask_b32_e64 v3, 0, 1, s[0:1]
	v_add_u32_e32 v5, v0, v3
; %bb.962:
	s_or_b64 exec, exec, s[10:11]
	s_mov_b64 s[0:1], 0
	global_store_byte v[1:2], v5, off
.LBB15_963:
	s_mov_b64 s[10:11], 0
.LBB15_964:
	s_and_b64 vcc, exec, s[10:11]
	s_cbranch_vccz .LBB15_967
; %bb.965:
	s_cmp_eq_u32 s19, 29
	s_mov_b64 s[0:1], -1
	s_cbranch_scc0 .LBB15_967
; %bb.966:
	v_and_b32_e32 v5, 0xff, v4
	v_mov_b32_e32 v6, 0
	global_store_dwordx2 v[1:2], v[5:6], off
	s_mov_b64 s[0:1], 0
.LBB15_967:
	s_mov_b64 s[10:11], 0
.LBB15_968:
	s_and_b64 vcc, exec, s[10:11]
	s_cbranch_vccz .LBB15_983
; %bb.969:
	s_cmp_lt_i32 s19, 27
	s_mov_b64 s[10:11], -1
	s_cbranch_scc1 .LBB15_975
; %bb.970:
	s_cmp_gt_i32 s19, 27
	s_cbranch_scc0 .LBB15_972
; %bb.971:
	v_and_b32_e32 v0, 0xff, v4
	s_mov_b64 s[10:11], 0
	global_store_dword v[1:2], v0, off
.LBB15_972:
	s_andn2_b64 vcc, exec, s[10:11]
	s_cbranch_vccnz .LBB15_974
; %bb.973:
	v_and_b32_e32 v0, 0xff, v4
	global_store_short v[1:2], v0, off
.LBB15_974:
	s_mov_b64 s[10:11], 0
.LBB15_975:
	s_andn2_b64 vcc, exec, s[10:11]
	s_cbranch_vccnz .LBB15_983
; %bb.976:
	v_cvt_f32_ubyte0_e32 v3, v4
	s_mov_b32 s10, 0x43800000
	v_cmp_gt_u32_e32 vcc, s10, v3
	v_mov_b32_e32 v5, 0x80
	s_and_saveexec_b64 s[10:11], vcc
	s_cbranch_execz .LBB15_982
; %bb.977:
	s_mov_b32 s12, 0x3bffffff
	v_cmp_lt_u32_e32 vcc, s12, v3
	s_mov_b64 s[12:13], 0
                                        ; implicit-def: $vgpr0
	s_and_saveexec_b64 s[14:15], vcc
	s_xor_b64 s[14:15], exec, s[14:15]
	s_cbranch_execz .LBB15_1140
; %bb.978:
	v_bfe_u32 v0, v3, 20, 1
	s_mov_b32 s16, 0x487ffff
	v_add3_u32 v0, v3, v0, s16
	s_mov_b64 s[12:13], exec
	v_lshrrev_b32_e32 v0, 20, v0
                                        ; implicit-def: $vgpr3
	s_andn2_saveexec_b64 s[14:15], s[14:15]
	s_cbranch_execnz .LBB15_1141
.LBB15_979:
	s_or_b64 exec, exec, s[14:15]
	v_mov_b32_e32 v5, 0
	s_and_saveexec_b64 s[14:15], s[12:13]
.LBB15_980:
	v_mov_b32_e32 v5, v0
.LBB15_981:
	s_or_b64 exec, exec, s[14:15]
.LBB15_982:
	s_or_b64 exec, exec, s[10:11]
	global_store_byte v[1:2], v5, off
.LBB15_983:
	s_mov_b64 s[12:13], 0
.LBB15_984:
	s_mov_b64 s[10:11], 0
	s_and_b64 vcc, exec, s[12:13]
	s_cbranch_vccz .LBB15_1028
; %bb.985:
	s_cmp_gt_i32 s19, 22
	s_mov_b64 s[12:13], -1
	s_cbranch_scc0 .LBB15_1017
; %bb.986:
	s_cmp_lt_i32 s19, 24
	s_cbranch_scc1 .LBB15_1006
; %bb.987:
	s_cmp_gt_i32 s19, 24
	s_cbranch_scc0 .LBB15_995
; %bb.988:
	v_cvt_f32_ubyte0_e32 v3, v4
	s_mov_b32 s12, 0x47800000
	v_cmp_gt_u32_e32 vcc, s12, v3
	v_mov_b32_e32 v5, 0x80
	s_and_saveexec_b64 s[12:13], vcc
	s_cbranch_execz .LBB15_994
; %bb.989:
	s_mov_b32 s14, 0x37ffffff
	v_cmp_lt_u32_e32 vcc, s14, v3
	s_mov_b64 s[14:15], 0
                                        ; implicit-def: $vgpr0
	s_and_saveexec_b64 s[16:17], vcc
	s_xor_b64 s[16:17], exec, s[16:17]
	s_cbranch_execz .LBB15_1260
; %bb.990:
	v_bfe_u32 v0, v3, 21, 1
	s_mov_b32 s20, 0x88fffff
	v_add3_u32 v0, v3, v0, s20
	s_mov_b64 s[14:15], exec
	v_lshrrev_b32_e32 v0, 21, v0
                                        ; implicit-def: $vgpr3
	s_andn2_saveexec_b64 s[16:17], s[16:17]
	s_cbranch_execnz .LBB15_1261
.LBB15_991:
	s_or_b64 exec, exec, s[16:17]
	v_mov_b32_e32 v5, 0
	s_and_saveexec_b64 s[16:17], s[14:15]
.LBB15_992:
	v_mov_b32_e32 v5, v0
.LBB15_993:
	s_or_b64 exec, exec, s[16:17]
.LBB15_994:
	s_or_b64 exec, exec, s[12:13]
	s_mov_b64 s[12:13], 0
	global_store_byte v[1:2], v5, off
.LBB15_995:
	s_and_b64 vcc, exec, s[12:13]
	s_cbranch_vccz .LBB15_1005
; %bb.996:
	v_cvt_f32_ubyte0_e32 v0, v4
	s_mov_b32 s12, 0x43f00000
	v_cmp_gt_u32_e32 vcc, s12, v0
                                        ; implicit-def: $vgpr3
	s_and_saveexec_b64 s[12:13], vcc
	s_xor_b64 s[12:13], exec, s[12:13]
	s_cbranch_execz .LBB15_1002
; %bb.997:
	s_mov_b32 s14, 0x3c7fffff
	v_cmp_lt_u32_e32 vcc, s14, v0
                                        ; implicit-def: $vgpr3
	s_and_saveexec_b64 s[14:15], vcc
	s_xor_b64 s[14:15], exec, s[14:15]
; %bb.998:
	v_bfe_u32 v3, v0, 20, 1
	s_mov_b32 s16, 0x407ffff
	v_add3_u32 v0, v0, v3, s16
	v_lshrrev_b32_e32 v3, 20, v0
	v_and_b32_e32 v0, 0xff00000, v0
	s_mov_b32 s16, 0x7f00000
	v_mov_b32_e32 v5, 0x7e
	v_cmp_ne_u32_e32 vcc, s16, v0
	v_cndmask_b32_e32 v3, v5, v3, vcc
                                        ; implicit-def: $vgpr0
; %bb.999:
	s_andn2_saveexec_b64 s[14:15], s[14:15]
; %bb.1000:
	v_add_f32_e32 v3, 0x46800000, v0
; %bb.1001:
	s_or_b64 exec, exec, s[14:15]
                                        ; implicit-def: $vgpr0
.LBB15_1002:
	s_andn2_saveexec_b64 s[12:13], s[12:13]
; %bb.1003:
	s_mov_b32 s14, 0x7f800000
	v_mov_b32_e32 v3, 0x7e
	v_mov_b32_e32 v5, 0x7f
	v_cmp_lt_u32_e32 vcc, s14, v0
	v_cndmask_b32_e32 v3, v3, v5, vcc
; %bb.1004:
	s_or_b64 exec, exec, s[12:13]
	global_store_byte v[1:2], v3, off
.LBB15_1005:
	s_mov_b64 s[12:13], 0
.LBB15_1006:
	s_andn2_b64 vcc, exec, s[12:13]
	s_cbranch_vccnz .LBB15_1016
; %bb.1007:
	v_cvt_f32_ubyte0_e32 v0, v4
	s_mov_b32 s12, 0x47800000
	v_cmp_gt_u32_e32 vcc, s12, v0
                                        ; implicit-def: $vgpr3
	s_and_saveexec_b64 s[12:13], vcc
	s_xor_b64 s[12:13], exec, s[12:13]
	s_cbranch_execz .LBB15_1013
; %bb.1008:
	s_mov_b32 s14, 0x387fffff
	v_cmp_lt_u32_e32 vcc, s14, v0
                                        ; implicit-def: $vgpr3
	s_and_saveexec_b64 s[14:15], vcc
	s_xor_b64 s[14:15], exec, s[14:15]
; %bb.1009:
	v_bfe_u32 v3, v0, 21, 1
	s_mov_b32 s16, 0x80fffff
	v_add3_u32 v0, v0, v3, s16
	v_lshrrev_b32_e32 v3, 21, v0
                                        ; implicit-def: $vgpr0
; %bb.1010:
	s_andn2_saveexec_b64 s[14:15], s[14:15]
; %bb.1011:
	v_add_f32_e32 v3, 0x43000000, v0
; %bb.1012:
	s_or_b64 exec, exec, s[14:15]
                                        ; implicit-def: $vgpr0
.LBB15_1013:
	s_andn2_saveexec_b64 s[12:13], s[12:13]
; %bb.1014:
	s_mov_b32 s14, 0x7f800000
	v_mov_b32_e32 v3, 0x7c
	v_mov_b32_e32 v5, 0x7f
	v_cmp_lt_u32_e32 vcc, s14, v0
	v_cndmask_b32_e32 v3, v3, v5, vcc
; %bb.1015:
	s_or_b64 exec, exec, s[12:13]
	global_store_byte v[1:2], v3, off
.LBB15_1016:
	s_mov_b64 s[12:13], 0
.LBB15_1017:
	s_andn2_b64 vcc, exec, s[12:13]
	s_mov_b64 s[12:13], 0
	s_cbranch_vccnz .LBB15_1029
; %bb.1018:
	s_cmp_gt_i32 s19, 14
	s_mov_b64 s[14:15], -1
	s_cbranch_scc0 .LBB15_1022
; %bb.1019:
	s_cmp_eq_u32 s19, 15
	s_mov_b64 s[0:1], -1
	s_cbranch_scc0 .LBB15_1021
; %bb.1020:
	v_cvt_f32_ubyte0_e32 v0, v4
	v_bfe_u32 v3, v0, 16, 1
	s_movk_i32 s0, 0x7fff
	v_add3_u32 v0, v0, v3, s0
	global_store_short_d16_hi v[1:2], v0, off
	s_mov_b64 s[0:1], 0
.LBB15_1021:
	s_mov_b64 s[14:15], 0
.LBB15_1022:
	s_and_b64 vcc, exec, s[14:15]
	s_cbranch_vccz .LBB15_1029
; %bb.1023:
	s_cmp_lg_u32 s19, 11
	s_cselect_b64 s[14:15], -1, 0
	s_andn2_b64 s[0:1], s[0:1], exec
	s_and_b64 s[14:15], s[14:15], exec
	s_mov_b64 s[12:13], -1
	s_or_b64 s[0:1], s[0:1], s[14:15]
	s_branch .LBB15_1029
.LBB15_1024:
	s_or_b64 exec, exec, s[8:9]
	s_and_saveexec_b64 s[0:1], s[54:55]
	s_cbranch_execnz .LBB15_1030
.LBB15_1025:
	s_or_b64 exec, exec, s[0:1]
	s_and_saveexec_b64 s[0:1], s[12:13]
	s_xor_b64 s[0:1], exec, s[0:1]
	s_cbranch_execz .LBB15_1031
.LBB15_1026:
	v_mov_b32_e32 v0, 0
	s_waitcnt vmcnt(0)
	v_cmp_ne_u16_sdwa s[8:9], v4, v0 src0_sel:BYTE_0 src1_sel:DWORD
	v_cndmask_b32_e64 v0, 0, 1, s[8:9]
	global_store_byte v[1:2], v0, off
	s_or_b64 exec, exec, s[0:1]
	s_and_saveexec_b64 s[0:1], s[10:11]
	s_xor_b64 s[0:1], exec, s[0:1]
	s_cbranch_execz .LBB15_1069
	s_branch .LBB15_1032
.LBB15_1027:
	s_mov_b64 s[10:11], -1
	s_mov_b64 s[0:1], s[54:55]
	s_branch .LBB15_1029
.LBB15_1028:
	s_mov_b64 s[12:13], 0
.LBB15_1029:
	s_andn2_b64 s[14:15], s[54:55], exec
	s_and_b64 s[0:1], s[0:1], exec
	s_and_b64 s[10:11], s[10:11], exec
	;; [unrolled: 1-line block ×3, first 2 shown]
	s_or_b64 s[54:55], s[14:15], s[0:1]
	s_or_b64 exec, exec, s[8:9]
	s_and_saveexec_b64 s[0:1], s[54:55]
	s_cbranch_execz .LBB15_1025
.LBB15_1030:
	s_or_b64 s[2:3], s[2:3], exec
	s_andn2_b64 s[12:13], s[12:13], exec
	s_trap 2
	s_or_b64 exec, exec, s[0:1]
	s_and_saveexec_b64 s[0:1], s[12:13]
	s_xor_b64 s[0:1], exec, s[0:1]
	s_cbranch_execnz .LBB15_1026
.LBB15_1031:
	s_or_b64 exec, exec, s[0:1]
	s_and_saveexec_b64 s[0:1], s[10:11]
	s_xor_b64 s[0:1], exec, s[0:1]
	s_cbranch_execz .LBB15_1069
.LBB15_1032:
	s_sext_i32_i16 s10, s18
	s_cmp_lt_i32 s10, 5
	s_mov_b64 s[8:9], -1
	s_cbranch_scc1 .LBB15_1053
; %bb.1033:
	s_cmp_lt_i32 s10, 8
	s_cbranch_scc1 .LBB15_1043
; %bb.1034:
	s_cmp_lt_i32 s10, 9
	s_cbranch_scc1 .LBB15_1040
; %bb.1035:
	s_cmp_gt_i32 s10, 9
	s_cbranch_scc0 .LBB15_1037
; %bb.1036:
	s_mov_b32 s8, 0xffff
	s_waitcnt vmcnt(0)
	v_and_b32_sdwa v0, s8, v4 dst_sel:DWORD dst_unused:UNUSED_PAD src0_sel:DWORD src1_sel:BYTE_0
	v_cvt_f64_u32_e32 v[5:6], v0
	v_mov_b32_e32 v7, 0
	v_mov_b32_e32 v8, v7
	s_mov_b64 s[8:9], 0
	global_store_dwordx4 v[1:2], v[5:8], off
.LBB15_1037:
	s_andn2_b64 vcc, exec, s[8:9]
	s_cbranch_vccnz .LBB15_1039
; %bb.1038:
	s_waitcnt vmcnt(0)
	v_cvt_f32_ubyte0_e32 v5, v4
	v_mov_b32_e32 v6, 0
	global_store_dwordx2 v[1:2], v[5:6], off
.LBB15_1039:
	s_mov_b64 s[8:9], 0
.LBB15_1040:
	s_andn2_b64 vcc, exec, s[8:9]
	s_cbranch_vccnz .LBB15_1042
; %bb.1041:
	s_waitcnt vmcnt(0)
	v_cvt_f16_u16_sdwa v0, v4 dst_sel:DWORD dst_unused:UNUSED_PAD src0_sel:BYTE_0
	global_store_dword v[1:2], v0, off
.LBB15_1042:
	s_mov_b64 s[8:9], 0
.LBB15_1043:
	s_andn2_b64 vcc, exec, s[8:9]
	s_cbranch_vccnz .LBB15_1052
; %bb.1044:
	s_sext_i32_i16 s10, s18
	s_cmp_lt_i32 s10, 6
	s_mov_b64 s[8:9], -1
	s_cbranch_scc1 .LBB15_1050
; %bb.1045:
	s_cmp_gt_i32 s10, 6
	s_cbranch_scc0 .LBB15_1047
; %bb.1046:
	s_mov_b32 s8, 0xffff
	s_waitcnt vmcnt(0)
	v_and_b32_sdwa v0, s8, v4 dst_sel:DWORD dst_unused:UNUSED_PAD src0_sel:DWORD src1_sel:BYTE_0
	v_cvt_f64_u32_e32 v[5:6], v0
	s_mov_b64 s[8:9], 0
	global_store_dwordx2 v[1:2], v[5:6], off
.LBB15_1047:
	s_andn2_b64 vcc, exec, s[8:9]
	s_cbranch_vccnz .LBB15_1049
; %bb.1048:
	s_waitcnt vmcnt(0)
	v_cvt_f32_ubyte0_e32 v0, v4
	global_store_dword v[1:2], v0, off
.LBB15_1049:
	s_mov_b64 s[8:9], 0
.LBB15_1050:
	s_andn2_b64 vcc, exec, s[8:9]
	s_cbranch_vccnz .LBB15_1052
; %bb.1051:
	s_waitcnt vmcnt(0)
	v_cvt_f16_u16_sdwa v0, v4 dst_sel:DWORD dst_unused:UNUSED_PAD src0_sel:BYTE_0
	global_store_short v[1:2], v0, off
.LBB15_1052:
	s_mov_b64 s[8:9], 0
.LBB15_1053:
	s_andn2_b64 vcc, exec, s[8:9]
	s_cbranch_vccnz .LBB15_1069
; %bb.1054:
	s_sext_i32_i16 s10, s18
	s_cmp_lt_i32 s10, 2
	s_mov_b64 s[8:9], -1
	s_cbranch_scc1 .LBB15_1064
; %bb.1055:
	s_cmp_lt_i32 s10, 3
	s_cbranch_scc1 .LBB15_1061
; %bb.1056:
	s_cmp_gt_i32 s10, 3
	s_cbranch_scc0 .LBB15_1058
; %bb.1057:
	s_waitcnt vmcnt(0)
	v_and_b32_e32 v5, 0xff, v4
	v_mov_b32_e32 v6, 0
	s_mov_b64 s[8:9], 0
	global_store_dwordx2 v[1:2], v[5:6], off
.LBB15_1058:
	s_andn2_b64 vcc, exec, s[8:9]
	s_cbranch_vccnz .LBB15_1060
; %bb.1059:
	s_waitcnt vmcnt(0)
	v_and_b32_e32 v0, 0xff, v4
	global_store_dword v[1:2], v0, off
.LBB15_1060:
	s_mov_b64 s[8:9], 0
.LBB15_1061:
	s_andn2_b64 vcc, exec, s[8:9]
	s_cbranch_vccnz .LBB15_1063
; %bb.1062:
	s_waitcnt vmcnt(0)
	v_and_b32_e32 v0, 0xff, v4
	global_store_short v[1:2], v0, off
.LBB15_1063:
	s_mov_b64 s[8:9], 0
.LBB15_1064:
	s_andn2_b64 vcc, exec, s[8:9]
	s_cbranch_vccnz .LBB15_1069
; %bb.1065:
	s_sext_i32_i16 s8, s18
	s_cmp_gt_i32 s8, 0
	s_mov_b64 s[8:9], -1
	s_cbranch_scc0 .LBB15_1067
; %bb.1066:
	s_mov_b64 s[8:9], 0
	s_waitcnt vmcnt(0)
	global_store_byte v[1:2], v4, off
.LBB15_1067:
	s_andn2_b64 vcc, exec, s[8:9]
	s_cbranch_vccnz .LBB15_1069
; %bb.1068:
	s_waitcnt vmcnt(0)
	global_store_byte v[1:2], v4, off
.LBB15_1069:
	s_or_b64 exec, exec, s[0:1]
	s_waitcnt lgkmcnt(0)
	s_and_b64 s[28:29], s[2:3], exec
                                        ; implicit-def: $vgpr13
                                        ; implicit-def: $vgpr11
.LBB15_1070:
	s_or_saveexec_b64 s[30:31], s[42:43]
	s_mov_b64 s[0:1], 0
                                        ; implicit-def: $vgpr0_vgpr1
                                        ; implicit-def: $sgpr16
                                        ; implicit-def: $vgpr2
	s_xor_b64 exec, exec, s[30:31]
	s_cbranch_execz .LBB15_2057
; %bb.1071:
	v_cndmask_b32_e64 v0, 0, 1, s[40:41]
	v_cmp_ne_u32_e64 s[0:1], 1, v0
	s_andn2_b64 vcc, exec, s[40:41]
	s_cbranch_vccnz .LBB15_1077
; %bb.1072:
	s_cmp_lg_u32 s33, 0
	s_mov_b32 s36, 0
	s_cbranch_scc0 .LBB15_1078
; %bb.1073:
	s_min_u32 s37, s74, 15
	s_add_i32 s37, s37, 1
	s_cmp_eq_u32 s74, 2
	s_cbranch_scc1 .LBB15_1079
; %bb.1074:
	s_and_b32 s36, s37, 28
	s_add_u32 s2, s34, 0xc4
	s_addc_u32 s3, s35, 0
	v_mov_b32_e32 v8, 0
	s_mov_b32 s38, 0
	s_mov_b64 s[6:7], s[34:35]
	v_mov_b32_e32 v6, 0
	v_mov_b32_e32 v0, v11
.LBB15_1075:                            ; =>This Inner Loop Header: Depth=1
	s_load_dwordx8 s[16:23], s[6:7], 0x4
	s_load_dwordx4 s[24:27], s[6:7], 0x24
	s_load_dwordx8 s[8:15], s[2:3], 0x0
	s_add_u32 s6, s6, 48
	s_addc_u32 s7, s7, 0
	s_waitcnt lgkmcnt(0)
	v_mul_hi_u32 v1, s17, v0
	s_add_i32 s38, s38, 4
	s_add_u32 s2, s2, 32
	s_addc_u32 s3, s3, 0
	v_add_u32_e32 v1, v0, v1
	v_lshrrev_b32_e32 v1, s18, v1
	v_mul_lo_u32 v2, v1, s16
	s_waitcnt vmcnt(0)
	v_mul_hi_u32 v3, s20, v1
	s_cmp_lg_u32 s36, s38
	v_sub_u32_e32 v0, v0, v2
	v_add_u32_e32 v2, v1, v3
	v_mul_lo_u32 v3, v0, s8
	v_mul_lo_u32 v4, v0, s9
	v_lshrrev_b32_e32 v0, s21, v2
	v_mul_lo_u32 v2, v0, s19
	v_mul_hi_u32 v5, s23, v0
	v_sub_u32_e32 v1, v1, v2
	v_add_u32_e32 v2, v0, v5
	v_lshrrev_b32_e32 v2, s24, v2
	v_mul_hi_u32 v7, s26, v2
	v_mul_lo_u32 v9, v2, s22
	v_mul_lo_u32 v5, v1, s10
	;; [unrolled: 1-line block ×3, first 2 shown]
	v_sub_u32_e32 v9, v0, v9
	v_add_u32_e32 v0, v2, v7
	v_lshrrev_b32_e32 v0, s27, v0
	v_mul_lo_u32 v7, v0, s25
	v_mul_lo_u32 v10, v9, s12
	;; [unrolled: 1-line block ×3, first 2 shown]
	v_add3_u32 v3, v3, v6, v5
	v_sub_u32_e32 v2, v2, v7
	v_mul_lo_u32 v7, v2, s14
	v_mul_lo_u32 v2, v2, s15
	v_add3_u32 v1, v4, v8, v1
	v_add3_u32 v6, v10, v3, v7
	;; [unrolled: 1-line block ×3, first 2 shown]
	s_cbranch_scc1 .LBB15_1075
; %bb.1076:
	s_and_b32 s8, s37, 3
	s_cmp_eq_u32 s8, 0
	s_cbranch_scc0 .LBB15_1080
	s_branch .LBB15_1082
.LBB15_1077:
                                        ; implicit-def: $vgpr6
                                        ; implicit-def: $vgpr8
	s_branch .LBB15_1083
.LBB15_1078:
	v_mov_b32_e32 v6, 0
	v_mov_b32_e32 v8, 0
	s_branch .LBB15_1082
.LBB15_1079:
	v_mov_b32_e32 v6, 0
	v_mov_b32_e32 v8, 0
	;; [unrolled: 1-line block ×3, first 2 shown]
	s_and_b32 s8, s37, 3
	s_cmp_eq_u32 s8, 0
	s_cbranch_scc1 .LBB15_1082
.LBB15_1080:
	s_lshl_b32 s2, s36, 3
	s_add_u32 s2, s34, s2
	s_addc_u32 s3, s35, 0
	s_add_u32 s2, s2, 0xc4
	s_addc_u32 s3, s3, 0
	s_mul_i32 s6, s36, 12
	s_add_u32 s6, s34, s6
	s_addc_u32 s7, s35, 0
.LBB15_1081:                            ; =>This Inner Loop Header: Depth=1
	s_load_dwordx2 s[10:11], s[6:7], 0x4
	s_load_dword s9, s[6:7], 0xc
	s_load_dwordx2 s[12:13], s[2:3], 0x0
	s_add_u32 s6, s6, 12
	s_addc_u32 s7, s7, 0
	s_waitcnt lgkmcnt(0)
	v_mul_hi_u32 v1, s11, v0
	s_add_u32 s2, s2, 8
	s_addc_u32 s3, s3, 0
	s_add_i32 s8, s8, -1
	v_add_u32_e32 v1, v0, v1
	v_lshrrev_b32_e32 v1, s9, v1
	v_mul_lo_u32 v2, v1, s10
	s_cmp_lg_u32 s8, 0
	v_sub_u32_e32 v0, v0, v2
	v_mad_u64_u32 v[6:7], s[10:11], v0, s12, v[6:7]
	v_mad_u64_u32 v[8:9], s[10:11], v0, s13, v[8:9]
	v_mov_b32_e32 v0, v1
	s_cbranch_scc1 .LBB15_1081
.LBB15_1082:
	s_cbranch_execnz .LBB15_1085
.LBB15_1083:
	s_load_dwordx4 s[8:11], s[34:35], 0x4
	s_load_dwordx2 s[2:3], s[34:35], 0xc4
	s_cmp_lt_u32 s33, 2
	s_waitcnt lgkmcnt(0)
	v_mul_hi_u32 v0, s9, v11
	v_add_u32_e32 v0, v11, v0
	v_lshrrev_b32_e32 v0, s10, v0
	v_mul_lo_u32 v1, v0, s8
	v_sub_u32_e32 v1, v11, v1
	v_mul_lo_u32 v6, v1, s2
	v_mul_lo_u32 v8, v1, s3
	s_cbranch_scc1 .LBB15_1085
; %bb.1084:
	s_load_dwordx4 s[8:11], s[34:35], 0x10
	s_load_dwordx2 s[2:3], s[34:35], 0xcc
	s_waitcnt lgkmcnt(0)
	v_mul_hi_u32 v1, s9, v0
	v_add_u32_e32 v1, v0, v1
	v_lshrrev_b32_e32 v1, s10, v1
	v_mul_lo_u32 v1, v1, s8
	v_sub_u32_e32 v0, v0, v1
	v_mad_u64_u32 v[6:7], s[6:7], v0, s2, v[6:7]
	v_mad_u64_u32 v[8:9], s[2:3], v0, s3, v[8:9]
.LBB15_1085:
	s_and_b64 vcc, exec, s[0:1]
	v_add_u32_e32 v0, 0x80, v11
	s_cbranch_vccnz .LBB15_1091
; %bb.1086:
	s_cmp_lg_u32 s33, 0
	s_mov_b32 s36, 0
	s_cbranch_scc0 .LBB15_1092
; %bb.1087:
	s_min_u32 s37, s74, 15
	s_add_i32 s37, s37, 1
	s_cmp_eq_u32 s74, 2
	s_cbranch_scc1 .LBB15_1093
; %bb.1088:
	s_and_b32 s36, s37, 28
	s_add_u32 s2, s34, 0xc4
	s_addc_u32 s3, s35, 0
	v_mov_b32_e32 v9, 0
	s_mov_b32 s38, 0
	s_mov_b64 s[6:7], s[34:35]
	s_waitcnt vmcnt(0)
	v_mov_b32_e32 v4, 0
	v_mov_b32_e32 v1, v0
.LBB15_1089:                            ; =>This Inner Loop Header: Depth=1
	s_load_dwordx8 s[16:23], s[6:7], 0x4
	s_load_dwordx4 s[24:27], s[6:7], 0x24
	s_load_dwordx8 s[8:15], s[2:3], 0x0
	s_add_u32 s6, s6, 48
	s_addc_u32 s7, s7, 0
	s_waitcnt lgkmcnt(0)
	v_mul_hi_u32 v2, s17, v1
	s_add_i32 s38, s38, 4
	s_add_u32 s2, s2, 32
	s_addc_u32 s3, s3, 0
	v_add_u32_e32 v2, v1, v2
	v_lshrrev_b32_e32 v2, s18, v2
	v_mul_lo_u32 v3, v2, s16
	v_mul_hi_u32 v5, s20, v2
	s_cmp_lg_u32 s36, s38
	v_sub_u32_e32 v1, v1, v3
	v_add_u32_e32 v3, v2, v5
	v_mul_lo_u32 v5, v1, s8
	v_mul_lo_u32 v7, v1, s9
	v_lshrrev_b32_e32 v1, s21, v3
	v_mul_lo_u32 v3, v1, s19
	v_mul_hi_u32 v10, s23, v1
	v_sub_u32_e32 v2, v2, v3
	v_add_u32_e32 v3, v1, v10
	v_lshrrev_b32_e32 v3, s24, v3
	v_mul_hi_u32 v12, s26, v3
	v_mul_lo_u32 v14, v3, s22
	v_mul_lo_u32 v10, v2, s10
	;; [unrolled: 1-line block ×3, first 2 shown]
	v_sub_u32_e32 v14, v1, v14
	v_add_u32_e32 v1, v3, v12
	v_lshrrev_b32_e32 v1, s27, v1
	v_mul_lo_u32 v12, v1, s25
	v_mul_lo_u32 v15, v14, s12
	;; [unrolled: 1-line block ×3, first 2 shown]
	v_add3_u32 v4, v5, v4, v10
	v_sub_u32_e32 v3, v3, v12
	v_mul_lo_u32 v12, v3, s14
	v_mul_lo_u32 v3, v3, s15
	v_add3_u32 v2, v7, v9, v2
	v_add3_u32 v4, v15, v4, v12
	;; [unrolled: 1-line block ×3, first 2 shown]
	s_cbranch_scc1 .LBB15_1089
; %bb.1090:
	s_and_b32 s8, s37, 3
	s_cmp_eq_u32 s8, 0
	s_cbranch_scc0 .LBB15_1094
	s_branch .LBB15_1096
.LBB15_1091:
                                        ; implicit-def: $vgpr4
                                        ; implicit-def: $vgpr9
	s_branch .LBB15_1097
.LBB15_1092:
	s_waitcnt vmcnt(0)
	v_mov_b32_e32 v4, 0
	v_mov_b32_e32 v9, 0
	s_branch .LBB15_1096
.LBB15_1093:
	s_waitcnt vmcnt(0)
	v_mov_b32_e32 v4, 0
	v_mov_b32_e32 v9, 0
	;; [unrolled: 1-line block ×3, first 2 shown]
	s_and_b32 s8, s37, 3
	s_cmp_eq_u32 s8, 0
	s_cbranch_scc1 .LBB15_1096
.LBB15_1094:
	s_lshl_b32 s2, s36, 3
	s_add_u32 s2, s34, s2
	s_addc_u32 s3, s35, 0
	s_add_u32 s2, s2, 0xc4
	s_addc_u32 s3, s3, 0
	s_mul_i32 s6, s36, 12
	s_add_u32 s6, s34, s6
	s_addc_u32 s7, s35, 0
.LBB15_1095:                            ; =>This Inner Loop Header: Depth=1
	s_load_dwordx2 s[10:11], s[6:7], 0x4
	s_load_dword s9, s[6:7], 0xc
	s_load_dwordx2 s[12:13], s[2:3], 0x0
	s_add_u32 s6, s6, 12
	s_addc_u32 s7, s7, 0
	s_waitcnt lgkmcnt(0)
	v_mul_hi_u32 v2, s11, v1
	s_add_u32 s2, s2, 8
	s_addc_u32 s3, s3, 0
	s_add_i32 s8, s8, -1
	v_add_u32_e32 v2, v1, v2
	v_lshrrev_b32_e32 v2, s9, v2
	v_mul_lo_u32 v3, v2, s10
	s_cmp_lg_u32 s8, 0
	v_sub_u32_e32 v1, v1, v3
	v_mad_u64_u32 v[4:5], s[10:11], v1, s12, v[4:5]
	v_mad_u64_u32 v[9:10], s[10:11], v1, s13, v[9:10]
	v_mov_b32_e32 v1, v2
	s_cbranch_scc1 .LBB15_1095
.LBB15_1096:
	s_cbranch_execnz .LBB15_1099
.LBB15_1097:
	s_load_dwordx4 s[8:11], s[34:35], 0x4
	s_load_dwordx2 s[2:3], s[34:35], 0xc4
	s_cmp_lt_u32 s33, 2
	s_waitcnt lgkmcnt(0)
	v_mul_hi_u32 v1, s9, v0
	v_add_u32_e32 v1, v0, v1
	v_lshrrev_b32_e32 v1, s10, v1
	v_mul_lo_u32 v2, v1, s8
	v_sub_u32_e32 v0, v0, v2
	s_waitcnt vmcnt(0)
	v_mul_lo_u32 v4, v0, s2
	v_mul_lo_u32 v9, v0, s3
	s_cbranch_scc1 .LBB15_1099
; %bb.1098:
	s_load_dwordx4 s[8:11], s[34:35], 0x10
	s_load_dwordx2 s[2:3], s[34:35], 0xcc
	s_waitcnt lgkmcnt(0)
	v_mul_hi_u32 v0, s9, v1
	v_add_u32_e32 v0, v1, v0
	v_lshrrev_b32_e32 v0, s10, v0
	v_mul_lo_u32 v0, v0, s8
	v_sub_u32_e32 v0, v1, v0
	v_mad_u64_u32 v[4:5], s[6:7], v0, s2, v[4:5]
	v_mad_u64_u32 v[9:10], s[2:3], v0, s3, v[9:10]
.LBB15_1099:
	s_and_b64 vcc, exec, s[0:1]
	v_add_u32_e32 v0, 0x100, v11
	s_cbranch_vccnz .LBB15_1105
; %bb.1100:
	s_cmp_lg_u32 s33, 0
	s_mov_b32 s36, 0
	s_cbranch_scc0 .LBB15_1106
; %bb.1101:
	s_min_u32 s37, s74, 15
	s_add_i32 s37, s37, 1
	s_cmp_eq_u32 s74, 2
	s_cbranch_scc1 .LBB15_1107
; %bb.1102:
	s_and_b32 s36, s37, 28
	s_add_u32 s2, s34, 0xc4
	s_addc_u32 s3, s35, 0
	v_mov_b32_e32 v10, 0
	s_mov_b32 s38, 0
	s_mov_b64 s[6:7], s[34:35]
	v_mov_b32_e32 v2, 0
	v_mov_b32_e32 v1, v0
.LBB15_1103:                            ; =>This Inner Loop Header: Depth=1
	s_load_dwordx8 s[16:23], s[6:7], 0x4
	s_load_dwordx4 s[24:27], s[6:7], 0x24
	s_load_dwordx8 s[8:15], s[2:3], 0x0
	s_add_u32 s6, s6, 48
	s_addc_u32 s7, s7, 0
	s_waitcnt vmcnt(0) lgkmcnt(0)
	v_mul_hi_u32 v3, s17, v1
	s_add_i32 s38, s38, 4
	s_add_u32 s2, s2, 32
	s_addc_u32 s3, s3, 0
	v_add_u32_e32 v3, v1, v3
	v_lshrrev_b32_e32 v3, s18, v3
	v_mul_lo_u32 v5, v3, s16
	v_mul_hi_u32 v7, s20, v3
	s_cmp_lg_u32 s36, s38
	v_sub_u32_e32 v1, v1, v5
	v_add_u32_e32 v5, v3, v7
	v_mul_lo_u32 v7, v1, s8
	v_mul_lo_u32 v11, v1, s9
	v_lshrrev_b32_e32 v1, s21, v5
	v_mul_lo_u32 v5, v1, s19
	v_mul_hi_u32 v12, s23, v1
	v_sub_u32_e32 v3, v3, v5
	v_add_u32_e32 v5, v1, v12
	v_lshrrev_b32_e32 v5, s24, v5
	v_mul_hi_u32 v14, s26, v5
	v_mul_lo_u32 v15, v5, s22
	v_mul_lo_u32 v12, v3, s10
	;; [unrolled: 1-line block ×3, first 2 shown]
	v_sub_u32_e32 v15, v1, v15
	v_add_u32_e32 v1, v5, v14
	v_lshrrev_b32_e32 v1, s27, v1
	v_mul_lo_u32 v14, v1, s25
	v_mul_lo_u32 v16, v15, s12
	;; [unrolled: 1-line block ×3, first 2 shown]
	v_add3_u32 v2, v7, v2, v12
	v_sub_u32_e32 v5, v5, v14
	v_mul_lo_u32 v14, v5, s14
	v_mul_lo_u32 v5, v5, s15
	v_add3_u32 v3, v11, v10, v3
	v_add3_u32 v2, v16, v2, v14
	;; [unrolled: 1-line block ×3, first 2 shown]
	s_cbranch_scc1 .LBB15_1103
; %bb.1104:
	s_and_b32 s8, s37, 3
	s_cmp_eq_u32 s8, 0
	s_cbranch_scc0 .LBB15_1108
	s_branch .LBB15_1110
.LBB15_1105:
                                        ; implicit-def: $vgpr2
                                        ; implicit-def: $vgpr10
	s_branch .LBB15_1111
.LBB15_1106:
	v_mov_b32_e32 v2, 0
	v_mov_b32_e32 v10, 0
	s_branch .LBB15_1110
.LBB15_1107:
	v_mov_b32_e32 v2, 0
	v_mov_b32_e32 v10, 0
	;; [unrolled: 1-line block ×3, first 2 shown]
	s_and_b32 s8, s37, 3
	s_cmp_eq_u32 s8, 0
	s_cbranch_scc1 .LBB15_1110
.LBB15_1108:
	s_lshl_b32 s2, s36, 3
	s_add_u32 s2, s34, s2
	s_addc_u32 s3, s35, 0
	s_add_u32 s2, s2, 0xc4
	s_addc_u32 s3, s3, 0
	s_mul_i32 s6, s36, 12
	s_add_u32 s6, s34, s6
	s_addc_u32 s7, s35, 0
.LBB15_1109:                            ; =>This Inner Loop Header: Depth=1
	s_load_dwordx2 s[10:11], s[6:7], 0x4
	s_load_dword s9, s[6:7], 0xc
	s_load_dwordx2 s[12:13], s[2:3], 0x0
	s_add_u32 s6, s6, 12
	s_addc_u32 s7, s7, 0
	s_waitcnt vmcnt(0) lgkmcnt(0)
	v_mul_hi_u32 v3, s11, v1
	s_add_u32 s2, s2, 8
	s_addc_u32 s3, s3, 0
	s_add_i32 s8, s8, -1
	v_add_u32_e32 v3, v1, v3
	v_lshrrev_b32_e32 v5, s9, v3
	v_mul_lo_u32 v3, v5, s10
	s_cmp_lg_u32 s8, 0
	v_sub_u32_e32 v1, v1, v3
	v_mad_u64_u32 v[2:3], s[10:11], v1, s12, v[2:3]
	v_mad_u64_u32 v[10:11], s[10:11], v1, s13, v[10:11]
	v_mov_b32_e32 v1, v5
	s_cbranch_scc1 .LBB15_1109
.LBB15_1110:
	s_cbranch_execnz .LBB15_1113
.LBB15_1111:
	s_load_dwordx4 s[8:11], s[34:35], 0x4
	s_load_dwordx2 s[2:3], s[34:35], 0xc4
	s_cmp_lt_u32 s33, 2
	s_waitcnt lgkmcnt(0)
	v_mul_hi_u32 v1, s9, v0
	v_add_u32_e32 v1, v0, v1
	v_lshrrev_b32_e32 v1, s10, v1
	v_mul_lo_u32 v2, v1, s8
	v_sub_u32_e32 v0, v0, v2
	v_mul_lo_u32 v2, v0, s2
	v_mul_lo_u32 v10, v0, s3
	s_cbranch_scc1 .LBB15_1113
; %bb.1112:
	s_load_dwordx4 s[8:11], s[34:35], 0x10
	s_load_dwordx2 s[2:3], s[34:35], 0xcc
	s_waitcnt lgkmcnt(0)
	v_mul_hi_u32 v0, s9, v1
	v_add_u32_e32 v0, v1, v0
	v_lshrrev_b32_e32 v0, s10, v0
	v_mul_lo_u32 v0, v0, s8
	v_sub_u32_e32 v0, v1, v0
	s_waitcnt vmcnt(0)
	v_mad_u64_u32 v[2:3], s[6:7], v0, s2, v[2:3]
	v_mad_u64_u32 v[10:11], s[2:3], v0, s3, v[10:11]
.LBB15_1113:
	s_and_b64 vcc, exec, s[0:1]
	s_cbranch_vccnz .LBB15_1119
; %bb.1114:
	s_cmp_lg_u32 s33, 0
	s_mov_b32 s26, 0
	s_cbranch_scc0 .LBB15_1120
; %bb.1115:
	s_min_u32 s27, s74, 15
	s_add_i32 s27, s27, 1
	s_cmp_eq_u32 s74, 2
	s_cbranch_scc1 .LBB15_1121
; %bb.1116:
	s_and_b32 s26, s27, 28
	s_add_u32 s6, s34, 0xc4
	s_addc_u32 s7, s35, 0
	v_mov_b32_e32 v11, 0
	s_mov_b32 s36, 0
	s_mov_b64 s[24:25], s[34:35]
	v_mov_b32_e32 v0, 0
	v_mov_b32_e32 v1, v13
.LBB15_1117:                            ; =>This Inner Loop Header: Depth=1
	s_load_dwordx8 s[16:23], s[24:25], 0x4
	s_load_dwordx4 s[0:3], s[24:25], 0x24
	s_load_dwordx8 s[8:15], s[6:7], 0x0
	s_add_u32 s24, s24, 48
	s_addc_u32 s25, s25, 0
	s_waitcnt vmcnt(0) lgkmcnt(0)
	v_mul_hi_u32 v3, s17, v1
	s_add_i32 s36, s36, 4
	s_add_u32 s6, s6, 32
	s_addc_u32 s7, s7, 0
	v_add_u32_e32 v3, v1, v3
	v_lshrrev_b32_e32 v3, s18, v3
	v_mul_lo_u32 v5, v3, s16
	v_mul_hi_u32 v7, s20, v3
	s_cmp_lg_u32 s26, s36
	v_sub_u32_e32 v1, v1, v5
	v_add_u32_e32 v5, v3, v7
	v_mul_lo_u32 v7, v1, s8
	v_mul_lo_u32 v12, v1, s9
	v_lshrrev_b32_e32 v1, s21, v5
	v_mul_lo_u32 v5, v1, s19
	v_mul_hi_u32 v14, s23, v1
	v_sub_u32_e32 v3, v3, v5
	v_add_u32_e32 v5, v1, v14
	v_lshrrev_b32_e32 v5, s0, v5
	v_mul_hi_u32 v15, s2, v5
	v_mul_lo_u32 v16, v5, s22
	v_mul_lo_u32 v14, v3, s10
	;; [unrolled: 1-line block ×3, first 2 shown]
	v_sub_u32_e32 v16, v1, v16
	v_add_u32_e32 v1, v5, v15
	v_lshrrev_b32_e32 v1, s3, v1
	v_mul_lo_u32 v15, v1, s1
	v_mul_lo_u32 v17, v16, s12
	;; [unrolled: 1-line block ×3, first 2 shown]
	v_add3_u32 v0, v7, v0, v14
	v_sub_u32_e32 v5, v5, v15
	v_mul_lo_u32 v15, v5, s14
	v_mul_lo_u32 v5, v5, s15
	v_add3_u32 v3, v12, v11, v3
	v_add3_u32 v0, v17, v0, v15
	;; [unrolled: 1-line block ×3, first 2 shown]
	s_cbranch_scc1 .LBB15_1117
; %bb.1118:
	s_and_b32 s6, s27, 3
	s_cmp_eq_u32 s6, 0
	s_cbranch_scc0 .LBB15_1122
	s_branch .LBB15_1124
.LBB15_1119:
                                        ; implicit-def: $vgpr0
                                        ; implicit-def: $vgpr11
	s_branch .LBB15_1125
.LBB15_1120:
	v_mov_b32_e32 v0, 0
	v_mov_b32_e32 v11, 0
	s_branch .LBB15_1124
.LBB15_1121:
	v_mov_b32_e32 v0, 0
	v_mov_b32_e32 v11, 0
	;; [unrolled: 1-line block ×3, first 2 shown]
	s_and_b32 s6, s27, 3
	s_cmp_eq_u32 s6, 0
	s_cbranch_scc1 .LBB15_1124
.LBB15_1122:
	s_lshl_b32 s0, s26, 3
	s_add_u32 s0, s34, s0
	s_addc_u32 s1, s35, 0
	s_add_u32 s0, s0, 0xc4
	s_addc_u32 s1, s1, 0
	s_mul_i32 s2, s26, 12
	s_add_u32 s2, s34, s2
	s_addc_u32 s3, s35, 0
.LBB15_1123:                            ; =>This Inner Loop Header: Depth=1
	s_load_dwordx2 s[8:9], s[2:3], 0x4
	s_load_dword s7, s[2:3], 0xc
	s_load_dwordx2 s[10:11], s[0:1], 0x0
	s_add_u32 s2, s2, 12
	s_addc_u32 s3, s3, 0
	s_waitcnt vmcnt(0) lgkmcnt(0)
	v_mul_hi_u32 v3, s9, v1
	s_add_u32 s0, s0, 8
	s_addc_u32 s1, s1, 0
	s_add_i32 s6, s6, -1
	v_add_u32_e32 v3, v1, v3
	v_lshrrev_b32_e32 v3, s7, v3
	v_mul_lo_u32 v5, v3, s8
	s_cmp_lg_u32 s6, 0
	v_sub_u32_e32 v5, v1, v5
	v_mad_u64_u32 v[0:1], s[8:9], v5, s10, v[0:1]
	v_mad_u64_u32 v[11:12], s[8:9], v5, s11, v[11:12]
	v_mov_b32_e32 v1, v3
	s_cbranch_scc1 .LBB15_1123
.LBB15_1124:
	s_cbranch_execnz .LBB15_1127
.LBB15_1125:
	s_load_dwordx4 s[0:3], s[34:35], 0x4
	s_load_dwordx2 s[6:7], s[34:35], 0xc4
	s_cmp_lt_u32 s33, 2
	s_waitcnt lgkmcnt(0)
	v_mul_hi_u32 v0, s1, v13
	v_add_u32_e32 v0, v13, v0
	v_lshrrev_b32_e32 v1, s2, v0
	v_mul_lo_u32 v0, v1, s0
	s_waitcnt vmcnt(0)
	v_sub_u32_e32 v3, v13, v0
	v_mul_lo_u32 v0, v3, s6
	v_mul_lo_u32 v11, v3, s7
	s_cbranch_scc1 .LBB15_1127
; %bb.1126:
	s_load_dwordx4 s[0:3], s[34:35], 0x10
	s_load_dwordx2 s[6:7], s[34:35], 0xcc
	s_waitcnt lgkmcnt(0)
	v_mul_hi_u32 v3, s1, v1
	v_add_u32_e32 v3, v1, v3
	v_lshrrev_b32_e32 v3, s2, v3
	v_mul_lo_u32 v3, v3, s0
	v_sub_u32_e32 v3, v1, v3
	v_mad_u64_u32 v[0:1], s[0:1], v3, s6, v[0:1]
	v_mad_u64_u32 v[11:12], s[0:1], v3, s7, v[11:12]
.LBB15_1127:
	s_load_dword s16, s[4:5], 0x160
	s_load_dwordx4 s[8:11], s[34:35], 0x148
	s_waitcnt lgkmcnt(0)
	s_lshr_b32 s12, s16, 24
	v_mov_b32_e32 v1, s11
	v_add_co_u32_e32 v12, vcc, s10, v8
	s_cmp_lt_i32 s12, 11
	v_addc_co_u32_e32 v13, vcc, 0, v1, vcc
	s_cbranch_scc1 .LBB15_1134
; %bb.1128:
	s_and_b32 s13, 0xffff, s12
	s_cmp_gt_i32 s13, 25
	s_mov_b64 s[4:5], 0
	s_cbranch_scc0 .LBB15_1136
; %bb.1129:
	s_cmp_gt_i32 s13, 28
	s_cbranch_scc0 .LBB15_1137
; %bb.1130:
	s_cmp_gt_i32 s13, 43
	;; [unrolled: 3-line block ×3, first 2 shown]
	s_cbranch_scc0 .LBB15_1139
; %bb.1132:
	s_cmp_eq_u32 s13, 46
	s_mov_b64 s[2:3], 0
	s_cbranch_scc0 .LBB15_1142
; %bb.1133:
	global_load_dword v1, v[12:13], off
	s_mov_b32 s0, 0x2f800000
	s_mov_b32 s1, 0xcf800000
	s_mov_b64 s[6:7], -1
	s_waitcnt vmcnt(0)
	v_lshlrev_b32_e32 v1, 16, v1
	v_trunc_f32_e32 v1, v1
	v_mul_f32_e64 v3, |v1|, s0
	v_floor_f32_e32 v3, v3
	v_fma_f32 v3, v3, s1, |v1|
	v_cvt_u32_f32_e32 v3, v3
	v_ashrrev_i32_e32 v1, 31, v1
	s_mov_b64 s[0:1], 0
	v_xor_b32_e32 v3, v3, v1
	v_sub_u32_e32 v7, v3, v1
	s_branch .LBB15_1143
.LBB15_1134:
	s_mov_b64 s[6:7], 0
                                        ; implicit-def: $vgpr7
	s_mov_b64 s[2:3], s[28:29]
	s_cbranch_execnz .LBB15_1201
.LBB15_1135:
	s_andn2_b64 vcc, exec, s[6:7]
	s_cbranch_vccz .LBB15_1246
	s_branch .LBB15_2055
.LBB15_1136:
	s_mov_b64 s[6:7], 0
	s_mov_b64 s[0:1], 0
                                        ; implicit-def: $vgpr7
	s_cbranch_execnz .LBB15_1168
	s_branch .LBB15_1197
.LBB15_1137:
	s_mov_b64 s[6:7], 0
	s_mov_b64 s[0:1], 0
                                        ; implicit-def: $vgpr7
	s_cbranch_execz .LBB15_1167
	s_branch .LBB15_1152
.LBB15_1138:
	s_mov_b64 s[6:7], 0
	s_mov_b64 s[0:1], 0
                                        ; implicit-def: $vgpr7
	s_cbranch_execnz .LBB15_1148
	s_branch .LBB15_1151
.LBB15_1139:
	s_mov_b64 s[2:3], -1
	s_mov_b64 s[6:7], 0
	s_mov_b64 s[0:1], 0
                                        ; implicit-def: $vgpr7
	s_branch .LBB15_1143
.LBB15_1140:
	s_andn2_saveexec_b64 s[14:15], s[14:15]
	s_cbranch_execz .LBB15_979
.LBB15_1141:
	v_add_f32_e32 v0, 0x46000000, v3
	v_and_b32_e32 v0, 0xff, v0
	v_cmp_ne_u32_e32 vcc, 0, v0
	s_andn2_b64 s[12:13], s[12:13], exec
	s_and_b64 s[16:17], vcc, exec
	s_or_b64 s[12:13], s[12:13], s[16:17]
	s_or_b64 exec, exec, s[14:15]
	v_mov_b32_e32 v5, 0
	s_and_saveexec_b64 s[14:15], s[12:13]
	s_cbranch_execnz .LBB15_980
	s_branch .LBB15_981
.LBB15_1142:
	s_mov_b64 s[0:1], -1
                                        ; implicit-def: $vgpr7
	s_mov_b64 s[6:7], 0
.LBB15_1143:
	s_and_b64 vcc, exec, s[2:3]
	s_cbranch_vccz .LBB15_1146
; %bb.1144:
	s_cmp_eq_u32 s13, 44
	s_cbranch_scc0 .LBB15_1147
; %bb.1145:
	global_load_ubyte v1, v[12:13], off
	s_mov_b32 s0, 0x2f800000
	s_mov_b32 s1, 0xcf800000
	s_mov_b64 s[6:7], -1
	s_waitcnt vmcnt(0)
	v_lshlrev_b32_e32 v3, 23, v1
	v_trunc_f32_e32 v3, v3
	v_mul_f32_e64 v5, |v3|, s0
	v_floor_f32_e32 v5, v5
	v_fma_f32 v5, v5, s1, |v3|
	v_cvt_u32_f32_e32 v5, v5
	v_ashrrev_i32_e32 v3, 31, v3
	v_cmp_ne_u32_e32 vcc, 0, v1
	s_mov_b64 s[0:1], 0
	v_xor_b32_e32 v5, v5, v3
	v_sub_u32_e32 v3, v5, v3
	v_cndmask_b32_e32 v7, 0, v3, vcc
.LBB15_1146:
	s_branch .LBB15_1151
.LBB15_1147:
	s_mov_b64 s[0:1], -1
                                        ; implicit-def: $vgpr7
	s_branch .LBB15_1151
.LBB15_1148:
	s_cmp_eq_u32 s13, 29
	s_cbranch_scc0 .LBB15_1150
; %bb.1149:
	global_load_dwordx2 v[7:8], v[12:13], off
	s_mov_b64 s[0:1], 0
	s_mov_b64 s[6:7], -1
	s_branch .LBB15_1151
.LBB15_1150:
	s_mov_b64 s[0:1], -1
                                        ; implicit-def: $vgpr7
.LBB15_1151:
	s_branch .LBB15_1167
.LBB15_1152:
	s_cmp_lt_i32 s13, 27
	s_cbranch_scc1 .LBB15_1155
; %bb.1153:
	s_cmp_gt_i32 s13, 27
	s_cbranch_scc0 .LBB15_1156
; %bb.1154:
	global_load_dword v7, v[12:13], off
	s_mov_b64 s[2:3], 0
	s_branch .LBB15_1157
.LBB15_1155:
	s_mov_b64 s[2:3], -1
                                        ; implicit-def: $vgpr7
	s_branch .LBB15_1160
.LBB15_1156:
	s_mov_b64 s[2:3], -1
                                        ; implicit-def: $vgpr7
.LBB15_1157:
	s_andn2_b64 vcc, exec, s[2:3]
	s_cbranch_vccnz .LBB15_1159
; %bb.1158:
	global_load_ushort v7, v[12:13], off
.LBB15_1159:
	s_mov_b64 s[2:3], 0
.LBB15_1160:
	s_andn2_b64 vcc, exec, s[2:3]
	s_cbranch_vccnz .LBB15_1166
; %bb.1161:
	global_load_ubyte v1, v[12:13], off
	s_movk_i32 s2, 0x7f
	s_mov_b64 s[6:7], 0
	s_waitcnt vmcnt(0)
	v_cmp_lt_i16_e32 vcc, s2, v1
	s_and_saveexec_b64 s[2:3], vcc
	s_xor_b64 s[2:3], exec, s[2:3]
	s_cbranch_execz .LBB15_1177
; %bb.1162:
	s_movk_i32 s6, 0x80
	v_cmp_ne_u16_e32 vcc, s6, v1
	s_and_b64 s[6:7], vcc, exec
	s_andn2_saveexec_b64 s[2:3], s[2:3]
	s_cbranch_execnz .LBB15_1178
.LBB15_1163:
	s_or_b64 exec, exec, s[2:3]
	v_mov_b32_e32 v7, 0
	s_and_saveexec_b64 s[2:3], s[6:7]
	s_cbranch_execz .LBB15_1165
.LBB15_1164:
	v_lshlrev_b32_e32 v3, 24, v1
	v_and_b32_e32 v1, 0xffff, v1
	v_and_b32_e32 v5, 7, v1
	v_ffbh_u32_e32 v8, v5
	v_min_u32_e32 v8, 32, v8
	v_subrev_u32_e32 v14, 28, v8
	v_bfe_u32 v7, v1, 3, 4
	v_lshlrev_b32_e32 v1, v14, v1
	v_sub_u32_e32 v8, 29, v8
	v_and_b32_e32 v1, 7, v1
	v_cmp_eq_u32_e32 vcc, 0, v7
	v_cndmask_b32_e32 v7, v7, v8, vcc
	v_cndmask_b32_e32 v1, v5, v1, vcc
	v_mov_b32_e32 v5, 0x3b800000
	v_lshlrev_b32_e32 v1, 20, v1
	v_and_b32_e32 v3, 0x80000000, v3
	v_lshl_add_u32 v5, v7, 23, v5
	v_or3_b32 v1, v3, v5, v1
	v_trunc_f32_e32 v1, v1
	s_mov_b32 s6, 0x2f800000
	v_mul_f32_e64 v3, |v1|, s6
	v_floor_f32_e32 v3, v3
	s_mov_b32 s6, 0xcf800000
	v_fma_f32 v3, v3, s6, |v1|
	v_cvt_u32_f32_e32 v3, v3
	v_ashrrev_i32_e32 v1, 31, v1
	v_xor_b32_e32 v3, v3, v1
	v_sub_u32_e32 v7, v3, v1
.LBB15_1165:
	s_or_b64 exec, exec, s[2:3]
.LBB15_1166:
	s_mov_b64 s[6:7], -1
.LBB15_1167:
	s_branch .LBB15_1197
.LBB15_1168:
	s_cmp_gt_i32 s13, 22
	s_cbranch_scc0 .LBB15_1176
; %bb.1169:
	s_cmp_lt_i32 s13, 24
	s_cbranch_scc1 .LBB15_1179
; %bb.1170:
	s_cmp_gt_i32 s13, 24
	s_cbranch_scc0 .LBB15_1180
; %bb.1171:
	global_load_ubyte v1, v[12:13], off
	s_movk_i32 s2, 0x7f
	s_waitcnt vmcnt(0)
	v_cmp_lt_i16_e32 vcc, s2, v1
	s_and_saveexec_b64 s[2:3], vcc
	s_xor_b64 s[2:3], exec, s[2:3]
	s_cbranch_execz .LBB15_1191
; %bb.1172:
	s_movk_i32 s4, 0x80
	v_cmp_ne_u16_e32 vcc, s4, v1
	s_and_b64 s[4:5], vcc, exec
	s_andn2_saveexec_b64 s[2:3], s[2:3]
	s_cbranch_execnz .LBB15_1192
.LBB15_1173:
	s_or_b64 exec, exec, s[2:3]
	v_mov_b32_e32 v7, 0
	s_and_saveexec_b64 s[2:3], s[4:5]
	s_cbranch_execz .LBB15_1175
.LBB15_1174:
	v_lshlrev_b32_e32 v3, 24, v1
	v_and_b32_e32 v1, 0xffff, v1
	v_and_b32_e32 v5, 3, v1
	v_ffbh_u32_e32 v8, v5
	v_min_u32_e32 v8, 32, v8
	v_subrev_u32_e32 v14, 29, v8
	v_bfe_u32 v7, v1, 2, 5
	v_lshlrev_b32_e32 v1, v14, v1
	v_sub_u32_e32 v8, 30, v8
	v_and_b32_e32 v1, 3, v1
	v_cmp_eq_u32_e32 vcc, 0, v7
	v_cndmask_b32_e32 v7, v7, v8, vcc
	v_cndmask_b32_e32 v1, v5, v1, vcc
	v_mov_b32_e32 v5, 0x37800000
	v_lshlrev_b32_e32 v1, 21, v1
	v_and_b32_e32 v3, 0x80000000, v3
	v_lshl_add_u32 v5, v7, 23, v5
	v_or3_b32 v1, v3, v5, v1
	v_trunc_f32_e32 v1, v1
	s_mov_b32 s4, 0x2f800000
	v_mul_f32_e64 v3, |v1|, s4
	v_floor_f32_e32 v3, v3
	s_mov_b32 s4, 0xcf800000
	v_fma_f32 v3, v3, s4, |v1|
	v_cvt_u32_f32_e32 v3, v3
	v_ashrrev_i32_e32 v1, 31, v1
	v_xor_b32_e32 v3, v3, v1
	v_sub_u32_e32 v7, v3, v1
.LBB15_1175:
	s_or_b64 exec, exec, s[2:3]
	s_mov_b64 s[2:3], 0
	s_branch .LBB15_1181
.LBB15_1176:
                                        ; implicit-def: $vgpr7
	s_mov_b64 s[4:5], 0
	s_branch .LBB15_1187
.LBB15_1177:
	s_andn2_saveexec_b64 s[2:3], s[2:3]
	s_cbranch_execz .LBB15_1163
.LBB15_1178:
	v_cmp_ne_u16_e32 vcc, 0, v1
	s_andn2_b64 s[6:7], s[6:7], exec
	s_and_b64 s[14:15], vcc, exec
	s_or_b64 s[6:7], s[6:7], s[14:15]
	s_or_b64 exec, exec, s[2:3]
	v_mov_b32_e32 v7, 0
	s_and_saveexec_b64 s[2:3], s[6:7]
	s_cbranch_execnz .LBB15_1164
	s_branch .LBB15_1165
.LBB15_1179:
	s_mov_b64 s[2:3], -1
                                        ; implicit-def: $vgpr7
	s_branch .LBB15_1184
.LBB15_1180:
	s_mov_b64 s[2:3], -1
                                        ; implicit-def: $vgpr7
.LBB15_1181:
	s_and_b64 vcc, exec, s[2:3]
	s_cbranch_vccz .LBB15_1183
; %bb.1182:
	global_load_ubyte v1, v[12:13], off
	s_mov_b32 s2, 0x7f800000
	s_brev_b32 s3, 1
	s_mov_b32 s4, 0x2f800000
	s_waitcnt vmcnt(0)
	v_lshlrev_b32_e32 v1, 24, v1
	v_and_b32_e32 v3, 0x7f000000, v1
	v_ffbh_u32_e32 v5, v3
	v_min_u32_e32 v5, 32, v5
	v_sub_u32_e64 v5, v5, 4 clamp
	v_lshlrev_b32_e32 v8, v5, v3
	v_lshlrev_b32_e32 v5, 23, v5
	v_lshrrev_b32_e32 v8, 4, v8
	v_add_u32_e32 v7, 0x1000000, v3
	v_sub_u32_e32 v5, v8, v5
	v_ashrrev_i32_e32 v7, 8, v7
	v_add_u32_e32 v5, 0x3c000000, v5
	v_and_or_b32 v5, v7, s2, v5
	v_cmp_ne_u32_e32 vcc, 0, v3
	v_cndmask_b32_e32 v3, 0, v5, vcc
	v_and_or_b32 v1, v1, s3, v3
	v_trunc_f32_e32 v1, v1
	v_mul_f32_e64 v3, |v1|, s4
	v_floor_f32_e32 v3, v3
	s_mov_b32 s2, 0xcf800000
	v_fma_f32 v3, v3, s2, |v1|
	v_cvt_u32_f32_e32 v3, v3
	v_ashrrev_i32_e32 v1, 31, v1
	v_xor_b32_e32 v3, v3, v1
	v_sub_u32_e32 v7, v3, v1
.LBB15_1183:
	s_mov_b64 s[2:3], 0
.LBB15_1184:
	s_andn2_b64 vcc, exec, s[2:3]
	s_cbranch_vccnz .LBB15_1186
; %bb.1185:
	global_load_ubyte v1, v[12:13], off
	s_movk_i32 s2, 0x7f00
	s_brev_b32 s3, 16
	s_brev_b32 s4, 1
	s_mov_b32 s5, 0x2f800000
	s_waitcnt vmcnt(0)
	v_lshlrev_b16_e32 v3, 8, v1
	v_lshlrev_b32_e32 v1, 25, v1
	v_lshrrev_b32_e32 v5, 4, v1
	v_and_or_b32 v7, v3, s2, 0.5
	v_or_b32_e32 v5, 0x70000000, v5
	v_add_f32_e32 v7, -0.5, v7
	v_mul_f32_e32 v5, 0x7800000, v5
	v_cmp_gt_u32_e32 vcc, s3, v1
	v_bfe_i32 v3, v3, 0, 16
	v_cndmask_b32_e32 v1, v5, v7, vcc
	v_and_or_b32 v1, v3, s4, v1
	v_trunc_f32_e32 v1, v1
	v_mul_f32_e64 v3, |v1|, s5
	v_floor_f32_e32 v3, v3
	s_mov_b32 s2, 0xcf800000
	v_fma_f32 v3, v3, s2, |v1|
	v_cvt_u32_f32_e32 v3, v3
	v_ashrrev_i32_e32 v1, 31, v1
	v_xor_b32_e32 v3, v3, v1
	v_sub_u32_e32 v7, v3, v1
.LBB15_1186:
	s_mov_b64 s[6:7], -1
	s_mov_b64 s[4:5], 0
	s_cbranch_execnz .LBB15_1197
.LBB15_1187:
	s_cmp_gt_i32 s13, 14
	s_cbranch_scc0 .LBB15_1190
; %bb.1188:
	s_cmp_eq_u32 s13, 15
	s_cbranch_scc0 .LBB15_1193
; %bb.1189:
	global_load_ushort v1, v[12:13], off
	s_mov_b32 s0, 0x2f800000
	s_mov_b32 s1, 0xcf800000
	s_mov_b64 s[6:7], -1
	s_waitcnt vmcnt(0)
	v_lshlrev_b32_e32 v1, 16, v1
	v_trunc_f32_e32 v1, v1
	v_mul_f32_e64 v3, |v1|, s0
	v_floor_f32_e32 v3, v3
	v_fma_f32 v3, v3, s1, |v1|
	v_cvt_u32_f32_e32 v3, v3
	v_ashrrev_i32_e32 v1, 31, v1
	s_mov_b64 s[0:1], 0
	v_xor_b32_e32 v3, v3, v1
	v_sub_u32_e32 v7, v3, v1
	s_branch .LBB15_1194
.LBB15_1190:
	s_mov_b64 s[2:3], -1
                                        ; implicit-def: $vgpr7
	s_branch .LBB15_1195
.LBB15_1191:
	s_andn2_saveexec_b64 s[2:3], s[2:3]
	s_cbranch_execz .LBB15_1173
.LBB15_1192:
	v_cmp_ne_u16_e32 vcc, 0, v1
	s_andn2_b64 s[4:5], s[4:5], exec
	s_and_b64 s[6:7], vcc, exec
	s_or_b64 s[4:5], s[4:5], s[6:7]
	s_or_b64 exec, exec, s[2:3]
	v_mov_b32_e32 v7, 0
	s_and_saveexec_b64 s[2:3], s[4:5]
	s_cbranch_execnz .LBB15_1174
	s_branch .LBB15_1175
.LBB15_1193:
	s_mov_b64 s[0:1], -1
                                        ; implicit-def: $vgpr7
.LBB15_1194:
	s_mov_b64 s[2:3], 0
.LBB15_1195:
	s_and_b64 vcc, exec, s[2:3]
	s_cbranch_vccz .LBB15_1197
; %bb.1196:
	s_cmp_lg_u32 s13, 11
	s_mov_b64 s[4:5], -1
	s_cselect_b64 s[0:1], -1, 0
.LBB15_1197:
	s_and_b64 vcc, exec, s[0:1]
	s_mov_b64 s[2:3], s[28:29]
	s_cbranch_vccnz .LBB15_1258
; %bb.1198:
	s_andn2_b64 vcc, exec, s[4:5]
	s_cbranch_vccnz .LBB15_1200
.LBB15_1199:
	global_load_ubyte v1, v[12:13], off
	s_mov_b64 s[6:7], -1
	s_waitcnt vmcnt(0)
	v_cmp_ne_u16_e32 vcc, 0, v1
	v_cndmask_b32_e64 v7, 0, 1, vcc
.LBB15_1200:
	s_branch .LBB15_1135
.LBB15_1201:
	s_and_b32 s4, 0xffff, s12
	s_cmp_lt_i32 s4, 5
	s_cbranch_scc1 .LBB15_1206
; %bb.1202:
	s_cmp_lt_i32 s4, 8
	s_cbranch_scc1 .LBB15_1207
; %bb.1203:
	;; [unrolled: 3-line block ×3, first 2 shown]
	s_cmp_gt_i32 s4, 9
	s_cbranch_scc0 .LBB15_1209
; %bb.1205:
	global_load_dwordx2 v[7:8], v[12:13], off
	s_movk_i32 s0, 0xffe0
	s_waitcnt vmcnt(0)
	v_trunc_f64_e32 v[7:8], v[7:8]
	v_ldexp_f64 v[14:15], v[7:8], s0
	s_mov_b32 s0, 0
	s_mov_b32 s1, 0xc1f00000
	v_floor_f64_e32 v[14:15], v[14:15]
	v_fma_f64 v[7:8], v[14:15], s[0:1], v[7:8]
	s_mov_b64 s[0:1], 0
	v_cvt_u32_f64_e32 v7, v[7:8]
	s_branch .LBB15_1210
.LBB15_1206:
                                        ; implicit-def: $vgpr7
	s_branch .LBB15_1227
.LBB15_1207:
                                        ; implicit-def: $vgpr7
	s_branch .LBB15_1216
.LBB15_1208:
	s_mov_b64 s[0:1], -1
                                        ; implicit-def: $vgpr7
	s_branch .LBB15_1213
.LBB15_1209:
	s_mov_b64 s[0:1], -1
                                        ; implicit-def: $vgpr7
.LBB15_1210:
	s_andn2_b64 vcc, exec, s[0:1]
	s_cbranch_vccnz .LBB15_1212
; %bb.1211:
	global_load_dword v1, v[12:13], off
	s_mov_b32 s0, 0x2f800000
	s_waitcnt vmcnt(0)
	v_trunc_f32_e32 v1, v1
	v_mul_f32_e64 v3, |v1|, s0
	v_floor_f32_e32 v3, v3
	s_mov_b32 s0, 0xcf800000
	v_fma_f32 v3, v3, s0, |v1|
	v_cvt_u32_f32_e32 v3, v3
	v_ashrrev_i32_e32 v1, 31, v1
	v_xor_b32_e32 v3, v3, v1
	v_sub_u32_e32 v7, v3, v1
.LBB15_1212:
	s_mov_b64 s[0:1], 0
.LBB15_1213:
	s_andn2_b64 vcc, exec, s[0:1]
	s_cbranch_vccnz .LBB15_1215
; %bb.1214:
	global_load_dword v1, v[12:13], off
	s_waitcnt vmcnt(0)
	v_cvt_f32_f16_e32 v1, v1
	v_cvt_i32_f32_e32 v7, v1
.LBB15_1215:
	s_cbranch_execnz .LBB15_1226
.LBB15_1216:
	s_cmp_lt_i32 s4, 6
	s_cbranch_scc1 .LBB15_1219
; %bb.1217:
	s_cmp_gt_i32 s4, 6
	s_cbranch_scc0 .LBB15_1220
; %bb.1218:
	global_load_dwordx2 v[7:8], v[12:13], off
	s_movk_i32 s0, 0xffe0
	s_waitcnt vmcnt(0)
	v_trunc_f64_e32 v[7:8], v[7:8]
	v_ldexp_f64 v[14:15], v[7:8], s0
	s_mov_b32 s0, 0
	s_mov_b32 s1, 0xc1f00000
	v_floor_f64_e32 v[14:15], v[14:15]
	v_fma_f64 v[7:8], v[14:15], s[0:1], v[7:8]
	s_mov_b64 s[0:1], 0
	v_cvt_u32_f64_e32 v7, v[7:8]
	s_branch .LBB15_1221
.LBB15_1219:
	s_mov_b64 s[0:1], -1
                                        ; implicit-def: $vgpr7
	s_branch .LBB15_1224
.LBB15_1220:
	s_mov_b64 s[0:1], -1
                                        ; implicit-def: $vgpr7
.LBB15_1221:
	s_andn2_b64 vcc, exec, s[0:1]
	s_cbranch_vccnz .LBB15_1223
; %bb.1222:
	global_load_dword v1, v[12:13], off
	s_mov_b32 s0, 0x2f800000
	s_waitcnt vmcnt(0)
	v_trunc_f32_e32 v1, v1
	v_mul_f32_e64 v3, |v1|, s0
	v_floor_f32_e32 v3, v3
	s_mov_b32 s0, 0xcf800000
	v_fma_f32 v3, v3, s0, |v1|
	v_cvt_u32_f32_e32 v3, v3
	v_ashrrev_i32_e32 v1, 31, v1
	v_xor_b32_e32 v3, v3, v1
	v_sub_u32_e32 v7, v3, v1
.LBB15_1223:
	s_mov_b64 s[0:1], 0
.LBB15_1224:
	s_andn2_b64 vcc, exec, s[0:1]
	s_cbranch_vccnz .LBB15_1226
; %bb.1225:
	global_load_ushort v1, v[12:13], off
	s_waitcnt vmcnt(0)
	v_cvt_f32_f16_e32 v1, v1
	v_cvt_i32_f32_e32 v7, v1
.LBB15_1226:
	s_cbranch_execnz .LBB15_1245
.LBB15_1227:
	s_cmp_lt_i32 s4, 2
	s_cbranch_scc1 .LBB15_1231
; %bb.1228:
	s_cmp_lt_i32 s4, 3
	s_cbranch_scc1 .LBB15_1232
; %bb.1229:
	s_cmp_gt_i32 s4, 3
	s_cbranch_scc0 .LBB15_1233
; %bb.1230:
	global_load_dwordx2 v[7:8], v[12:13], off
	s_mov_b64 s[0:1], 0
	s_branch .LBB15_1234
.LBB15_1231:
                                        ; implicit-def: $vgpr7
	s_branch .LBB15_1240
.LBB15_1232:
	s_mov_b64 s[0:1], -1
                                        ; implicit-def: $vgpr7
	s_branch .LBB15_1237
.LBB15_1233:
	s_mov_b64 s[0:1], -1
                                        ; implicit-def: $vgpr7
.LBB15_1234:
	s_andn2_b64 vcc, exec, s[0:1]
	s_cbranch_vccnz .LBB15_1236
; %bb.1235:
	global_load_dword v7, v[12:13], off
.LBB15_1236:
	s_mov_b64 s[0:1], 0
.LBB15_1237:
	s_andn2_b64 vcc, exec, s[0:1]
	s_cbranch_vccnz .LBB15_1239
; %bb.1238:
	global_load_ushort v7, v[12:13], off
.LBB15_1239:
	s_cbranch_execnz .LBB15_1245
.LBB15_1240:
	s_cmp_gt_i32 s4, 0
	s_cbranch_scc0 .LBB15_1242
; %bb.1241:
	global_load_ubyte v7, v[12:13], off
	s_mov_b64 s[0:1], 0
	s_branch .LBB15_1243
.LBB15_1242:
	s_mov_b64 s[0:1], -1
                                        ; implicit-def: $vgpr7
.LBB15_1243:
	s_andn2_b64 vcc, exec, s[0:1]
	s_cbranch_vccnz .LBB15_1245
; %bb.1244:
	global_load_ubyte v7, v[12:13], off
.LBB15_1245:
.LBB15_1246:
	v_mov_b32_e32 v1, s11
	s_and_b32 s14, 0xffff, s12
	v_add_co_u32_e32 v12, vcc, s10, v9
	s_cmp_lt_i32 s14, 11
	v_addc_co_u32_e32 v13, vcc, 0, v1, vcc
	s_cbranch_scc1 .LBB15_1253
; %bb.1247:
	s_cmp_gt_i32 s14, 25
	s_mov_b64 s[4:5], 0
	s_cbranch_scc0 .LBB15_1255
; %bb.1248:
	s_cmp_gt_i32 s14, 28
	s_cbranch_scc0 .LBB15_1256
; %bb.1249:
	s_cmp_gt_i32 s14, 43
	;; [unrolled: 3-line block ×3, first 2 shown]
	s_cbranch_scc0 .LBB15_1259
; %bb.1251:
	s_cmp_eq_u32 s14, 46
	s_mov_b64 s[12:13], 0
	s_cbranch_scc0 .LBB15_1262
; %bb.1252:
	global_load_dword v1, v[12:13], off
	s_mov_b32 s0, 0x2f800000
	s_mov_b32 s1, 0xcf800000
	s_mov_b64 s[6:7], -1
	s_waitcnt vmcnt(0)
	v_lshlrev_b32_e32 v1, 16, v1
	v_trunc_f32_e32 v1, v1
	v_mul_f32_e64 v3, |v1|, s0
	v_floor_f32_e32 v3, v3
	v_fma_f32 v3, v3, s1, |v1|
	v_cvt_u32_f32_e32 v3, v3
	v_ashrrev_i32_e32 v1, 31, v1
	s_mov_b64 s[0:1], 0
	v_xor_b32_e32 v3, v3, v1
	v_sub_u32_e32 v8, v3, v1
	s_branch .LBB15_1263
.LBB15_1253:
	s_mov_b64 s[6:7], 0
                                        ; implicit-def: $vgpr8
	s_cbranch_execnz .LBB15_1324
.LBB15_1254:
	s_andn2_b64 vcc, exec, s[6:7]
	s_cbranch_vccnz .LBB15_2055
	s_branch .LBB15_1371
.LBB15_1255:
	s_mov_b64 s[6:7], 0
	s_mov_b64 s[0:1], 0
                                        ; implicit-def: $vgpr8
	s_cbranch_execnz .LBB15_1290
	s_branch .LBB15_1320
.LBB15_1256:
	s_mov_b64 s[12:13], -1
	s_mov_b64 s[6:7], 0
	s_mov_b64 s[0:1], 0
                                        ; implicit-def: $vgpr8
	s_branch .LBB15_1273
.LBB15_1257:
	s_mov_b64 s[12:13], -1
	s_mov_b64 s[6:7], 0
	s_mov_b64 s[0:1], 0
                                        ; implicit-def: $vgpr8
	s_branch .LBB15_1268
.LBB15_1258:
	s_or_b64 s[2:3], s[28:29], exec
	s_trap 2
	s_cbranch_execz .LBB15_1199
	s_branch .LBB15_1200
.LBB15_1259:
	s_mov_b64 s[12:13], -1
	s_mov_b64 s[6:7], 0
	s_mov_b64 s[0:1], 0
                                        ; implicit-def: $vgpr8
	s_branch .LBB15_1263
.LBB15_1260:
	s_andn2_saveexec_b64 s[16:17], s[16:17]
	s_cbranch_execz .LBB15_991
.LBB15_1261:
	v_add_f32_e32 v0, 0x42800000, v3
	v_and_b32_e32 v0, 0xff, v0
	v_cmp_ne_u32_e32 vcc, 0, v0
	s_andn2_b64 s[14:15], s[14:15], exec
	s_and_b64 s[20:21], vcc, exec
	s_or_b64 s[14:15], s[14:15], s[20:21]
	s_or_b64 exec, exec, s[16:17]
	v_mov_b32_e32 v5, 0
	s_and_saveexec_b64 s[16:17], s[14:15]
	s_cbranch_execnz .LBB15_992
	s_branch .LBB15_993
.LBB15_1262:
	s_mov_b64 s[0:1], -1
                                        ; implicit-def: $vgpr8
	s_mov_b64 s[6:7], 0
.LBB15_1263:
	s_and_b64 vcc, exec, s[12:13]
	s_cbranch_vccz .LBB15_1267
; %bb.1264:
	s_cmp_eq_u32 s14, 44
	s_cbranch_scc0 .LBB15_1266
; %bb.1265:
	global_load_ubyte v1, v[12:13], off
	s_mov_b32 s0, 0x2f800000
	s_mov_b32 s1, 0xcf800000
	s_mov_b64 s[6:7], -1
	s_waitcnt vmcnt(0)
	v_lshlrev_b32_e32 v3, 23, v1
	v_trunc_f32_e32 v3, v3
	v_mul_f32_e64 v5, |v3|, s0
	v_floor_f32_e32 v5, v5
	v_fma_f32 v5, v5, s1, |v3|
	v_cvt_u32_f32_e32 v5, v5
	v_ashrrev_i32_e32 v3, 31, v3
	v_cmp_ne_u32_e32 vcc, 0, v1
	s_mov_b64 s[0:1], 0
	v_xor_b32_e32 v5, v5, v3
	v_sub_u32_e32 v3, v5, v3
	v_cndmask_b32_e32 v8, 0, v3, vcc
	s_branch .LBB15_1267
.LBB15_1266:
	s_mov_b64 s[0:1], -1
                                        ; implicit-def: $vgpr8
.LBB15_1267:
	s_mov_b64 s[12:13], 0
.LBB15_1268:
	s_and_b64 vcc, exec, s[12:13]
	s_cbranch_vccz .LBB15_1272
; %bb.1269:
	s_cmp_eq_u32 s14, 29
	s_cbranch_scc0 .LBB15_1271
; %bb.1270:
	global_load_dwordx2 v[8:9], v[12:13], off
	s_mov_b64 s[0:1], 0
	s_mov_b64 s[6:7], -1
	s_branch .LBB15_1272
.LBB15_1271:
	s_mov_b64 s[0:1], -1
                                        ; implicit-def: $vgpr8
.LBB15_1272:
	s_mov_b64 s[12:13], 0
.LBB15_1273:
	s_and_b64 vcc, exec, s[12:13]
	s_cbranch_vccz .LBB15_1289
; %bb.1274:
	s_cmp_lt_i32 s14, 27
	s_cbranch_scc1 .LBB15_1277
; %bb.1275:
	s_cmp_gt_i32 s14, 27
	s_cbranch_scc0 .LBB15_1278
; %bb.1276:
	global_load_dword v8, v[12:13], off
	s_mov_b64 s[6:7], 0
	s_branch .LBB15_1279
.LBB15_1277:
	s_mov_b64 s[6:7], -1
                                        ; implicit-def: $vgpr8
	s_branch .LBB15_1282
.LBB15_1278:
	s_mov_b64 s[6:7], -1
                                        ; implicit-def: $vgpr8
.LBB15_1279:
	s_andn2_b64 vcc, exec, s[6:7]
	s_cbranch_vccnz .LBB15_1281
; %bb.1280:
	global_load_ushort v8, v[12:13], off
.LBB15_1281:
	s_mov_b64 s[6:7], 0
.LBB15_1282:
	s_andn2_b64 vcc, exec, s[6:7]
	s_cbranch_vccnz .LBB15_1288
; %bb.1283:
	global_load_ubyte v1, v[12:13], off
	s_movk_i32 s6, 0x7f
	s_mov_b64 s[12:13], 0
	s_waitcnt vmcnt(0)
	v_cmp_lt_i16_e32 vcc, s6, v1
	s_and_saveexec_b64 s[6:7], vcc
	s_xor_b64 s[6:7], exec, s[6:7]
	s_cbranch_execz .LBB15_1299
; %bb.1284:
	s_movk_i32 s12, 0x80
	v_cmp_ne_u16_e32 vcc, s12, v1
	s_and_b64 s[12:13], vcc, exec
	s_andn2_saveexec_b64 s[6:7], s[6:7]
	s_cbranch_execnz .LBB15_1300
.LBB15_1285:
	s_or_b64 exec, exec, s[6:7]
	v_mov_b32_e32 v8, 0
	s_and_saveexec_b64 s[6:7], s[12:13]
	s_cbranch_execz .LBB15_1287
.LBB15_1286:
	v_lshlrev_b32_e32 v3, 24, v1
	v_and_b32_e32 v1, 0xffff, v1
	v_and_b32_e32 v5, 7, v1
	v_ffbh_u32_e32 v9, v5
	v_min_u32_e32 v9, 32, v9
	v_subrev_u32_e32 v14, 28, v9
	v_bfe_u32 v8, v1, 3, 4
	v_lshlrev_b32_e32 v1, v14, v1
	v_sub_u32_e32 v9, 29, v9
	v_and_b32_e32 v1, 7, v1
	v_cmp_eq_u32_e32 vcc, 0, v8
	v_cndmask_b32_e32 v8, v8, v9, vcc
	v_cndmask_b32_e32 v1, v5, v1, vcc
	v_mov_b32_e32 v5, 0x3b800000
	v_lshlrev_b32_e32 v1, 20, v1
	v_and_b32_e32 v3, 0x80000000, v3
	v_lshl_add_u32 v5, v8, 23, v5
	v_or3_b32 v1, v3, v5, v1
	v_trunc_f32_e32 v1, v1
	s_mov_b32 s12, 0x2f800000
	v_mul_f32_e64 v3, |v1|, s12
	v_floor_f32_e32 v3, v3
	s_mov_b32 s12, 0xcf800000
	v_fma_f32 v3, v3, s12, |v1|
	v_cvt_u32_f32_e32 v3, v3
	v_ashrrev_i32_e32 v1, 31, v1
	v_xor_b32_e32 v3, v3, v1
	v_sub_u32_e32 v8, v3, v1
.LBB15_1287:
	s_or_b64 exec, exec, s[6:7]
.LBB15_1288:
	s_mov_b64 s[6:7], -1
.LBB15_1289:
	s_branch .LBB15_1320
.LBB15_1290:
	s_cmp_gt_i32 s14, 22
	s_cbranch_scc0 .LBB15_1298
; %bb.1291:
	s_cmp_lt_i32 s14, 24
	s_cbranch_scc1 .LBB15_1301
; %bb.1292:
	s_cmp_gt_i32 s14, 24
	s_cbranch_scc0 .LBB15_1302
; %bb.1293:
	global_load_ubyte v1, v[12:13], off
	s_movk_i32 s4, 0x7f
	s_mov_b64 s[6:7], 0
	s_waitcnt vmcnt(0)
	v_cmp_lt_i16_e32 vcc, s4, v1
	s_and_saveexec_b64 s[4:5], vcc
	s_xor_b64 s[4:5], exec, s[4:5]
	s_cbranch_execz .LBB15_1314
; %bb.1294:
	s_movk_i32 s6, 0x80
	v_cmp_ne_u16_e32 vcc, s6, v1
	s_and_b64 s[6:7], vcc, exec
	s_andn2_saveexec_b64 s[4:5], s[4:5]
	s_cbranch_execnz .LBB15_1315
.LBB15_1295:
	s_or_b64 exec, exec, s[4:5]
	v_mov_b32_e32 v8, 0
	s_and_saveexec_b64 s[4:5], s[6:7]
	s_cbranch_execz .LBB15_1297
.LBB15_1296:
	v_lshlrev_b32_e32 v3, 24, v1
	v_and_b32_e32 v1, 0xffff, v1
	v_and_b32_e32 v5, 3, v1
	v_ffbh_u32_e32 v9, v5
	v_min_u32_e32 v9, 32, v9
	v_subrev_u32_e32 v14, 29, v9
	v_bfe_u32 v8, v1, 2, 5
	v_lshlrev_b32_e32 v1, v14, v1
	v_sub_u32_e32 v9, 30, v9
	v_and_b32_e32 v1, 3, v1
	v_cmp_eq_u32_e32 vcc, 0, v8
	v_cndmask_b32_e32 v8, v8, v9, vcc
	v_cndmask_b32_e32 v1, v5, v1, vcc
	v_mov_b32_e32 v5, 0x37800000
	v_lshlrev_b32_e32 v1, 21, v1
	v_and_b32_e32 v3, 0x80000000, v3
	v_lshl_add_u32 v5, v8, 23, v5
	v_or3_b32 v1, v3, v5, v1
	v_trunc_f32_e32 v1, v1
	s_mov_b32 s6, 0x2f800000
	v_mul_f32_e64 v3, |v1|, s6
	v_floor_f32_e32 v3, v3
	s_mov_b32 s6, 0xcf800000
	v_fma_f32 v3, v3, s6, |v1|
	v_cvt_u32_f32_e32 v3, v3
	v_ashrrev_i32_e32 v1, 31, v1
	v_xor_b32_e32 v3, v3, v1
	v_sub_u32_e32 v8, v3, v1
.LBB15_1297:
	s_or_b64 exec, exec, s[4:5]
	s_mov_b64 s[4:5], 0
	s_branch .LBB15_1303
.LBB15_1298:
	s_mov_b64 s[4:5], -1
                                        ; implicit-def: $vgpr8
	s_branch .LBB15_1309
.LBB15_1299:
	s_andn2_saveexec_b64 s[6:7], s[6:7]
	s_cbranch_execz .LBB15_1285
.LBB15_1300:
	v_cmp_ne_u16_e32 vcc, 0, v1
	s_andn2_b64 s[12:13], s[12:13], exec
	s_and_b64 s[18:19], vcc, exec
	s_or_b64 s[12:13], s[12:13], s[18:19]
	s_or_b64 exec, exec, s[6:7]
	v_mov_b32_e32 v8, 0
	s_and_saveexec_b64 s[6:7], s[12:13]
	s_cbranch_execnz .LBB15_1286
	s_branch .LBB15_1287
.LBB15_1301:
	s_mov_b64 s[4:5], -1
                                        ; implicit-def: $vgpr8
	s_branch .LBB15_1306
.LBB15_1302:
	s_mov_b64 s[4:5], -1
                                        ; implicit-def: $vgpr8
.LBB15_1303:
	s_and_b64 vcc, exec, s[4:5]
	s_cbranch_vccz .LBB15_1305
; %bb.1304:
	global_load_ubyte v1, v[12:13], off
	s_mov_b32 s4, 0x7f800000
	s_brev_b32 s5, 1
	s_mov_b32 s6, 0x2f800000
	s_waitcnt vmcnt(0)
	v_lshlrev_b32_e32 v1, 24, v1
	v_and_b32_e32 v3, 0x7f000000, v1
	v_ffbh_u32_e32 v5, v3
	v_min_u32_e32 v5, 32, v5
	v_sub_u32_e64 v5, v5, 4 clamp
	v_lshlrev_b32_e32 v9, v5, v3
	v_lshlrev_b32_e32 v5, 23, v5
	v_lshrrev_b32_e32 v9, 4, v9
	v_add_u32_e32 v8, 0x1000000, v3
	v_sub_u32_e32 v5, v9, v5
	v_ashrrev_i32_e32 v8, 8, v8
	v_add_u32_e32 v5, 0x3c000000, v5
	v_and_or_b32 v5, v8, s4, v5
	v_cmp_ne_u32_e32 vcc, 0, v3
	v_cndmask_b32_e32 v3, 0, v5, vcc
	v_and_or_b32 v1, v1, s5, v3
	v_trunc_f32_e32 v1, v1
	v_mul_f32_e64 v3, |v1|, s6
	v_floor_f32_e32 v3, v3
	s_mov_b32 s4, 0xcf800000
	v_fma_f32 v3, v3, s4, |v1|
	v_cvt_u32_f32_e32 v3, v3
	v_ashrrev_i32_e32 v1, 31, v1
	v_xor_b32_e32 v3, v3, v1
	v_sub_u32_e32 v8, v3, v1
.LBB15_1305:
	s_mov_b64 s[4:5], 0
.LBB15_1306:
	s_andn2_b64 vcc, exec, s[4:5]
	s_cbranch_vccnz .LBB15_1308
; %bb.1307:
	global_load_ubyte v1, v[12:13], off
	s_movk_i32 s4, 0x7f00
	s_brev_b32 s5, 16
	s_brev_b32 s6, 1
	s_mov_b32 s7, 0x2f800000
	s_waitcnt vmcnt(0)
	v_lshlrev_b16_e32 v3, 8, v1
	v_lshlrev_b32_e32 v1, 25, v1
	v_lshrrev_b32_e32 v5, 4, v1
	v_and_or_b32 v8, v3, s4, 0.5
	v_or_b32_e32 v5, 0x70000000, v5
	v_add_f32_e32 v8, -0.5, v8
	v_mul_f32_e32 v5, 0x7800000, v5
	v_cmp_gt_u32_e32 vcc, s5, v1
	v_bfe_i32 v3, v3, 0, 16
	v_cndmask_b32_e32 v1, v5, v8, vcc
	v_and_or_b32 v1, v3, s6, v1
	v_trunc_f32_e32 v1, v1
	v_mul_f32_e64 v3, |v1|, s7
	v_floor_f32_e32 v3, v3
	s_mov_b32 s4, 0xcf800000
	v_fma_f32 v3, v3, s4, |v1|
	v_cvt_u32_f32_e32 v3, v3
	v_ashrrev_i32_e32 v1, 31, v1
	v_xor_b32_e32 v3, v3, v1
	v_sub_u32_e32 v8, v3, v1
.LBB15_1308:
	s_mov_b64 s[4:5], 0
	s_mov_b64 s[6:7], -1
.LBB15_1309:
	s_andn2_b64 vcc, exec, s[4:5]
	s_mov_b64 s[4:5], 0
	s_cbranch_vccnz .LBB15_1320
; %bb.1310:
	s_cmp_gt_i32 s14, 14
	s_cbranch_scc0 .LBB15_1313
; %bb.1311:
	s_cmp_eq_u32 s14, 15
	s_cbranch_scc0 .LBB15_1316
; %bb.1312:
	global_load_ushort v1, v[12:13], off
	s_mov_b32 s0, 0x2f800000
	s_mov_b32 s1, 0xcf800000
	s_mov_b64 s[6:7], -1
	s_waitcnt vmcnt(0)
	v_lshlrev_b32_e32 v1, 16, v1
	v_trunc_f32_e32 v1, v1
	v_mul_f32_e64 v3, |v1|, s0
	v_floor_f32_e32 v3, v3
	v_fma_f32 v3, v3, s1, |v1|
	v_cvt_u32_f32_e32 v3, v3
	v_ashrrev_i32_e32 v1, 31, v1
	s_mov_b64 s[0:1], 0
	v_xor_b32_e32 v3, v3, v1
	v_sub_u32_e32 v8, v3, v1
	s_branch .LBB15_1317
.LBB15_1313:
	s_mov_b64 s[12:13], -1
                                        ; implicit-def: $vgpr8
	s_branch .LBB15_1318
.LBB15_1314:
	s_andn2_saveexec_b64 s[4:5], s[4:5]
	s_cbranch_execz .LBB15_1295
.LBB15_1315:
	v_cmp_ne_u16_e32 vcc, 0, v1
	s_andn2_b64 s[6:7], s[6:7], exec
	s_and_b64 s[12:13], vcc, exec
	s_or_b64 s[6:7], s[6:7], s[12:13]
	s_or_b64 exec, exec, s[4:5]
	v_mov_b32_e32 v8, 0
	s_and_saveexec_b64 s[4:5], s[6:7]
	s_cbranch_execnz .LBB15_1296
	s_branch .LBB15_1297
.LBB15_1316:
	s_mov_b64 s[0:1], -1
                                        ; implicit-def: $vgpr8
.LBB15_1317:
	s_mov_b64 s[12:13], 0
.LBB15_1318:
	s_and_b64 vcc, exec, s[12:13]
	s_cbranch_vccz .LBB15_1320
; %bb.1319:
	s_cmp_lg_u32 s14, 11
	s_mov_b64 s[4:5], -1
	s_cselect_b64 s[0:1], -1, 0
.LBB15_1320:
	s_and_b64 vcc, exec, s[0:1]
	s_cbranch_vccnz .LBB15_1383
; %bb.1321:
	s_andn2_b64 vcc, exec, s[4:5]
	s_cbranch_vccnz .LBB15_1323
.LBB15_1322:
	global_load_ubyte v1, v[12:13], off
	s_mov_b64 s[6:7], -1
	s_waitcnt vmcnt(0)
	v_cmp_ne_u16_e32 vcc, 0, v1
	v_cndmask_b32_e64 v8, 0, 1, vcc
.LBB15_1323:
	s_branch .LBB15_1254
.LBB15_1324:
	s_cmp_lt_i32 s14, 5
	s_cbranch_scc1 .LBB15_1329
; %bb.1325:
	s_cmp_lt_i32 s14, 8
	s_cbranch_scc1 .LBB15_1330
; %bb.1326:
	;; [unrolled: 3-line block ×3, first 2 shown]
	s_cmp_gt_i32 s14, 9
	s_cbranch_scc0 .LBB15_1332
; %bb.1328:
	global_load_dwordx2 v[8:9], v[12:13], off
	s_movk_i32 s0, 0xffe0
	s_waitcnt vmcnt(0)
	v_trunc_f64_e32 v[8:9], v[8:9]
	v_ldexp_f64 v[14:15], v[8:9], s0
	s_mov_b32 s0, 0
	s_mov_b32 s1, 0xc1f00000
	v_floor_f64_e32 v[14:15], v[14:15]
	v_fma_f64 v[8:9], v[14:15], s[0:1], v[8:9]
	s_mov_b64 s[0:1], 0
	v_cvt_u32_f64_e32 v8, v[8:9]
	s_branch .LBB15_1333
.LBB15_1329:
                                        ; implicit-def: $vgpr8
	s_branch .LBB15_1351
.LBB15_1330:
	s_mov_b64 s[0:1], -1
                                        ; implicit-def: $vgpr8
	s_branch .LBB15_1339
.LBB15_1331:
	s_mov_b64 s[0:1], -1
                                        ; implicit-def: $vgpr8
	s_branch .LBB15_1336
.LBB15_1332:
	s_mov_b64 s[0:1], -1
                                        ; implicit-def: $vgpr8
.LBB15_1333:
	s_andn2_b64 vcc, exec, s[0:1]
	s_cbranch_vccnz .LBB15_1335
; %bb.1334:
	global_load_dword v1, v[12:13], off
	s_mov_b32 s0, 0x2f800000
	s_waitcnt vmcnt(0)
	v_trunc_f32_e32 v1, v1
	v_mul_f32_e64 v3, |v1|, s0
	v_floor_f32_e32 v3, v3
	s_mov_b32 s0, 0xcf800000
	v_fma_f32 v3, v3, s0, |v1|
	v_cvt_u32_f32_e32 v3, v3
	v_ashrrev_i32_e32 v1, 31, v1
	v_xor_b32_e32 v3, v3, v1
	v_sub_u32_e32 v8, v3, v1
.LBB15_1335:
	s_mov_b64 s[0:1], 0
.LBB15_1336:
	s_andn2_b64 vcc, exec, s[0:1]
	s_cbranch_vccnz .LBB15_1338
; %bb.1337:
	global_load_dword v1, v[12:13], off
	s_waitcnt vmcnt(0)
	v_cvt_f32_f16_e32 v1, v1
	v_cvt_i32_f32_e32 v8, v1
.LBB15_1338:
	s_mov_b64 s[0:1], 0
.LBB15_1339:
	s_andn2_b64 vcc, exec, s[0:1]
	s_cbranch_vccnz .LBB15_1350
; %bb.1340:
	s_cmp_lt_i32 s14, 6
	s_cbranch_scc1 .LBB15_1343
; %bb.1341:
	s_cmp_gt_i32 s14, 6
	s_cbranch_scc0 .LBB15_1344
; %bb.1342:
	global_load_dwordx2 v[8:9], v[12:13], off
	s_movk_i32 s0, 0xffe0
	s_waitcnt vmcnt(0)
	v_trunc_f64_e32 v[8:9], v[8:9]
	v_ldexp_f64 v[14:15], v[8:9], s0
	s_mov_b32 s0, 0
	s_mov_b32 s1, 0xc1f00000
	v_floor_f64_e32 v[14:15], v[14:15]
	v_fma_f64 v[8:9], v[14:15], s[0:1], v[8:9]
	s_mov_b64 s[0:1], 0
	v_cvt_u32_f64_e32 v8, v[8:9]
	s_branch .LBB15_1345
.LBB15_1343:
	s_mov_b64 s[0:1], -1
                                        ; implicit-def: $vgpr8
	s_branch .LBB15_1348
.LBB15_1344:
	s_mov_b64 s[0:1], -1
                                        ; implicit-def: $vgpr8
.LBB15_1345:
	s_andn2_b64 vcc, exec, s[0:1]
	s_cbranch_vccnz .LBB15_1347
; %bb.1346:
	global_load_dword v1, v[12:13], off
	s_mov_b32 s0, 0x2f800000
	s_waitcnt vmcnt(0)
	v_trunc_f32_e32 v1, v1
	v_mul_f32_e64 v3, |v1|, s0
	v_floor_f32_e32 v3, v3
	s_mov_b32 s0, 0xcf800000
	v_fma_f32 v3, v3, s0, |v1|
	v_cvt_u32_f32_e32 v3, v3
	v_ashrrev_i32_e32 v1, 31, v1
	v_xor_b32_e32 v3, v3, v1
	v_sub_u32_e32 v8, v3, v1
.LBB15_1347:
	s_mov_b64 s[0:1], 0
.LBB15_1348:
	s_andn2_b64 vcc, exec, s[0:1]
	s_cbranch_vccnz .LBB15_1350
; %bb.1349:
	global_load_ushort v1, v[12:13], off
	s_waitcnt vmcnt(0)
	v_cvt_f32_f16_e32 v1, v1
	v_cvt_i32_f32_e32 v8, v1
.LBB15_1350:
	s_cbranch_execnz .LBB15_1370
.LBB15_1351:
	s_cmp_lt_i32 s14, 2
	s_cbranch_scc1 .LBB15_1355
; %bb.1352:
	s_cmp_lt_i32 s14, 3
	s_cbranch_scc1 .LBB15_1356
; %bb.1353:
	s_cmp_gt_i32 s14, 3
	s_cbranch_scc0 .LBB15_1357
; %bb.1354:
	global_load_dwordx2 v[8:9], v[12:13], off
	s_mov_b64 s[0:1], 0
	s_branch .LBB15_1358
.LBB15_1355:
	s_mov_b64 s[0:1], -1
                                        ; implicit-def: $vgpr8
	s_branch .LBB15_1364
.LBB15_1356:
	s_mov_b64 s[0:1], -1
                                        ; implicit-def: $vgpr8
	s_branch .LBB15_1361
.LBB15_1357:
	s_mov_b64 s[0:1], -1
                                        ; implicit-def: $vgpr8
.LBB15_1358:
	s_andn2_b64 vcc, exec, s[0:1]
	s_cbranch_vccnz .LBB15_1360
; %bb.1359:
	global_load_dword v8, v[12:13], off
.LBB15_1360:
	s_mov_b64 s[0:1], 0
.LBB15_1361:
	s_andn2_b64 vcc, exec, s[0:1]
	s_cbranch_vccnz .LBB15_1363
; %bb.1362:
	global_load_ushort v8, v[12:13], off
.LBB15_1363:
	s_mov_b64 s[0:1], 0
.LBB15_1364:
	s_andn2_b64 vcc, exec, s[0:1]
	s_cbranch_vccnz .LBB15_1370
; %bb.1365:
	s_cmp_gt_i32 s14, 0
	s_cbranch_scc0 .LBB15_1367
; %bb.1366:
	global_load_ubyte v8, v[12:13], off
	s_mov_b64 s[0:1], 0
	s_branch .LBB15_1368
.LBB15_1367:
	s_mov_b64 s[0:1], -1
                                        ; implicit-def: $vgpr8
.LBB15_1368:
	s_andn2_b64 vcc, exec, s[0:1]
	s_cbranch_vccnz .LBB15_1370
; %bb.1369:
	global_load_ubyte v8, v[12:13], off
.LBB15_1370:
.LBB15_1371:
	v_mov_b32_e32 v1, s11
	v_add_co_u32_e32 v12, vcc, s10, v10
	s_cmp_lt_i32 s14, 11
	v_addc_co_u32_e32 v13, vcc, 0, v1, vcc
	s_cbranch_scc1 .LBB15_1378
; %bb.1372:
	s_cmp_gt_i32 s14, 25
	s_mov_b64 s[4:5], 0
	s_cbranch_scc0 .LBB15_1380
; %bb.1373:
	s_cmp_gt_i32 s14, 28
	s_cbranch_scc0 .LBB15_1381
; %bb.1374:
	s_cmp_gt_i32 s14, 43
	;; [unrolled: 3-line block ×3, first 2 shown]
	s_cbranch_scc0 .LBB15_1384
; %bb.1376:
	s_cmp_eq_u32 s14, 46
	s_mov_b64 s[12:13], 0
	s_cbranch_scc0 .LBB15_1385
; %bb.1377:
	global_load_dword v1, v[12:13], off
	s_mov_b32 s0, 0x2f800000
	s_mov_b32 s1, 0xcf800000
	s_mov_b64 s[6:7], -1
	s_waitcnt vmcnt(0)
	v_lshlrev_b32_e32 v1, 16, v1
	v_trunc_f32_e32 v1, v1
	v_mul_f32_e64 v3, |v1|, s0
	v_floor_f32_e32 v3, v3
	v_fma_f32 v3, v3, s1, |v1|
	v_cvt_u32_f32_e32 v3, v3
	v_ashrrev_i32_e32 v1, 31, v1
	s_mov_b64 s[0:1], 0
	v_xor_b32_e32 v3, v3, v1
	v_sub_u32_e32 v9, v3, v1
	s_branch .LBB15_1386
.LBB15_1378:
	s_mov_b64 s[6:7], 0
                                        ; implicit-def: $vgpr9
	s_cbranch_execnz .LBB15_1448
.LBB15_1379:
	s_andn2_b64 vcc, exec, s[6:7]
	s_cbranch_vccnz .LBB15_2055
	s_branch .LBB15_1496
.LBB15_1380:
	s_mov_b64 s[12:13], -1
	s_mov_b64 s[6:7], 0
	s_mov_b64 s[0:1], 0
                                        ; implicit-def: $vgpr9
	s_branch .LBB15_1413
.LBB15_1381:
	s_mov_b64 s[12:13], -1
	s_mov_b64 s[6:7], 0
	s_mov_b64 s[0:1], 0
                                        ; implicit-def: $vgpr9
	s_branch .LBB15_1396
.LBB15_1382:
	s_mov_b64 s[12:13], -1
	s_mov_b64 s[6:7], 0
	s_mov_b64 s[0:1], 0
                                        ; implicit-def: $vgpr9
	s_branch .LBB15_1391
.LBB15_1383:
	s_trap 2
	s_or_b64 s[2:3], s[2:3], exec
	s_cbranch_execz .LBB15_1322
	s_branch .LBB15_1323
.LBB15_1384:
	s_mov_b64 s[12:13], -1
	s_mov_b64 s[6:7], 0
	s_mov_b64 s[0:1], 0
                                        ; implicit-def: $vgpr9
	s_branch .LBB15_1386
.LBB15_1385:
	s_mov_b64 s[0:1], -1
                                        ; implicit-def: $vgpr9
	s_mov_b64 s[6:7], 0
.LBB15_1386:
	s_and_b64 vcc, exec, s[12:13]
	s_cbranch_vccz .LBB15_1390
; %bb.1387:
	s_cmp_eq_u32 s14, 44
	s_cbranch_scc0 .LBB15_1389
; %bb.1388:
	global_load_ubyte v1, v[12:13], off
	s_mov_b32 s0, 0x2f800000
	s_mov_b32 s1, 0xcf800000
	s_mov_b64 s[6:7], -1
	s_waitcnt vmcnt(0)
	v_lshlrev_b32_e32 v3, 23, v1
	v_trunc_f32_e32 v3, v3
	v_mul_f32_e64 v5, |v3|, s0
	v_floor_f32_e32 v5, v5
	v_fma_f32 v5, v5, s1, |v3|
	v_cvt_u32_f32_e32 v5, v5
	v_ashrrev_i32_e32 v3, 31, v3
	v_cmp_ne_u32_e32 vcc, 0, v1
	s_mov_b64 s[0:1], 0
	v_xor_b32_e32 v5, v5, v3
	v_sub_u32_e32 v3, v5, v3
	v_cndmask_b32_e32 v9, 0, v3, vcc
	s_branch .LBB15_1390
.LBB15_1389:
	s_mov_b64 s[0:1], -1
                                        ; implicit-def: $vgpr9
.LBB15_1390:
	s_mov_b64 s[12:13], 0
.LBB15_1391:
	s_and_b64 vcc, exec, s[12:13]
	s_cbranch_vccz .LBB15_1395
; %bb.1392:
	s_cmp_eq_u32 s14, 29
	s_cbranch_scc0 .LBB15_1394
; %bb.1393:
	global_load_dwordx2 v[9:10], v[12:13], off
	s_mov_b64 s[0:1], 0
	s_mov_b64 s[6:7], -1
	s_branch .LBB15_1395
.LBB15_1394:
	s_mov_b64 s[0:1], -1
                                        ; implicit-def: $vgpr9
.LBB15_1395:
	s_mov_b64 s[12:13], 0
.LBB15_1396:
	s_and_b64 vcc, exec, s[12:13]
	s_cbranch_vccz .LBB15_1412
; %bb.1397:
	s_cmp_lt_i32 s14, 27
	s_cbranch_scc1 .LBB15_1400
; %bb.1398:
	s_cmp_gt_i32 s14, 27
	s_cbranch_scc0 .LBB15_1401
; %bb.1399:
	global_load_dword v9, v[12:13], off
	s_mov_b64 s[6:7], 0
	s_branch .LBB15_1402
.LBB15_1400:
	s_mov_b64 s[6:7], -1
                                        ; implicit-def: $vgpr9
	s_branch .LBB15_1405
.LBB15_1401:
	s_mov_b64 s[6:7], -1
                                        ; implicit-def: $vgpr9
.LBB15_1402:
	s_andn2_b64 vcc, exec, s[6:7]
	s_cbranch_vccnz .LBB15_1404
; %bb.1403:
	global_load_ushort v9, v[12:13], off
.LBB15_1404:
	s_mov_b64 s[6:7], 0
.LBB15_1405:
	s_andn2_b64 vcc, exec, s[6:7]
	s_cbranch_vccnz .LBB15_1411
; %bb.1406:
	global_load_ubyte v1, v[12:13], off
	s_movk_i32 s6, 0x7f
	s_mov_b64 s[12:13], 0
	s_waitcnt vmcnt(0)
	v_cmp_lt_i16_e32 vcc, s6, v1
	s_and_saveexec_b64 s[6:7], vcc
	s_xor_b64 s[6:7], exec, s[6:7]
	s_cbranch_execz .LBB15_1423
; %bb.1407:
	s_movk_i32 s12, 0x80
	v_cmp_ne_u16_e32 vcc, s12, v1
	s_and_b64 s[12:13], vcc, exec
	s_andn2_saveexec_b64 s[6:7], s[6:7]
	s_cbranch_execnz .LBB15_1424
.LBB15_1408:
	s_or_b64 exec, exec, s[6:7]
	v_mov_b32_e32 v9, 0
	s_and_saveexec_b64 s[6:7], s[12:13]
	s_cbranch_execz .LBB15_1410
.LBB15_1409:
	v_lshlrev_b32_e32 v3, 24, v1
	v_and_b32_e32 v1, 0xffff, v1
	v_and_b32_e32 v5, 7, v1
	v_ffbh_u32_e32 v10, v5
	v_min_u32_e32 v10, 32, v10
	v_subrev_u32_e32 v14, 28, v10
	v_bfe_u32 v9, v1, 3, 4
	v_lshlrev_b32_e32 v1, v14, v1
	v_sub_u32_e32 v10, 29, v10
	v_and_b32_e32 v1, 7, v1
	v_cmp_eq_u32_e32 vcc, 0, v9
	v_cndmask_b32_e32 v9, v9, v10, vcc
	v_cndmask_b32_e32 v1, v5, v1, vcc
	v_mov_b32_e32 v5, 0x3b800000
	v_lshlrev_b32_e32 v1, 20, v1
	v_and_b32_e32 v3, 0x80000000, v3
	v_lshl_add_u32 v5, v9, 23, v5
	v_or3_b32 v1, v3, v5, v1
	v_trunc_f32_e32 v1, v1
	s_mov_b32 s12, 0x2f800000
	v_mul_f32_e64 v3, |v1|, s12
	v_floor_f32_e32 v3, v3
	s_mov_b32 s12, 0xcf800000
	v_fma_f32 v3, v3, s12, |v1|
	v_cvt_u32_f32_e32 v3, v3
	v_ashrrev_i32_e32 v1, 31, v1
	v_xor_b32_e32 v3, v3, v1
	v_sub_u32_e32 v9, v3, v1
.LBB15_1410:
	s_or_b64 exec, exec, s[6:7]
.LBB15_1411:
	s_mov_b64 s[6:7], -1
.LBB15_1412:
	s_mov_b64 s[12:13], 0
.LBB15_1413:
	s_and_b64 vcc, exec, s[12:13]
	s_cbranch_vccz .LBB15_1444
; %bb.1414:
	s_cmp_gt_i32 s14, 22
	s_cbranch_scc0 .LBB15_1422
; %bb.1415:
	s_cmp_lt_i32 s14, 24
	s_cbranch_scc1 .LBB15_1425
; %bb.1416:
	s_cmp_gt_i32 s14, 24
	s_cbranch_scc0 .LBB15_1426
; %bb.1417:
	global_load_ubyte v1, v[12:13], off
	s_movk_i32 s4, 0x7f
	s_mov_b64 s[6:7], 0
	s_waitcnt vmcnt(0)
	v_cmp_lt_i16_e32 vcc, s4, v1
	s_and_saveexec_b64 s[4:5], vcc
	s_xor_b64 s[4:5], exec, s[4:5]
	s_cbranch_execz .LBB15_1438
; %bb.1418:
	s_movk_i32 s6, 0x80
	v_cmp_ne_u16_e32 vcc, s6, v1
	s_and_b64 s[6:7], vcc, exec
	s_andn2_saveexec_b64 s[4:5], s[4:5]
	s_cbranch_execnz .LBB15_1439
.LBB15_1419:
	s_or_b64 exec, exec, s[4:5]
	v_mov_b32_e32 v9, 0
	s_and_saveexec_b64 s[4:5], s[6:7]
	s_cbranch_execz .LBB15_1421
.LBB15_1420:
	v_lshlrev_b32_e32 v3, 24, v1
	v_and_b32_e32 v1, 0xffff, v1
	v_and_b32_e32 v5, 3, v1
	v_ffbh_u32_e32 v10, v5
	v_min_u32_e32 v10, 32, v10
	v_subrev_u32_e32 v14, 29, v10
	v_bfe_u32 v9, v1, 2, 5
	v_lshlrev_b32_e32 v1, v14, v1
	v_sub_u32_e32 v10, 30, v10
	v_and_b32_e32 v1, 3, v1
	v_cmp_eq_u32_e32 vcc, 0, v9
	v_cndmask_b32_e32 v9, v9, v10, vcc
	v_cndmask_b32_e32 v1, v5, v1, vcc
	v_mov_b32_e32 v5, 0x37800000
	v_lshlrev_b32_e32 v1, 21, v1
	v_and_b32_e32 v3, 0x80000000, v3
	v_lshl_add_u32 v5, v9, 23, v5
	v_or3_b32 v1, v3, v5, v1
	v_trunc_f32_e32 v1, v1
	s_mov_b32 s6, 0x2f800000
	v_mul_f32_e64 v3, |v1|, s6
	v_floor_f32_e32 v3, v3
	s_mov_b32 s6, 0xcf800000
	v_fma_f32 v3, v3, s6, |v1|
	v_cvt_u32_f32_e32 v3, v3
	v_ashrrev_i32_e32 v1, 31, v1
	v_xor_b32_e32 v3, v3, v1
	v_sub_u32_e32 v9, v3, v1
.LBB15_1421:
	s_or_b64 exec, exec, s[4:5]
	s_mov_b64 s[4:5], 0
	s_branch .LBB15_1427
.LBB15_1422:
	s_mov_b64 s[4:5], -1
                                        ; implicit-def: $vgpr9
	s_branch .LBB15_1433
.LBB15_1423:
	s_andn2_saveexec_b64 s[6:7], s[6:7]
	s_cbranch_execz .LBB15_1408
.LBB15_1424:
	v_cmp_ne_u16_e32 vcc, 0, v1
	s_andn2_b64 s[12:13], s[12:13], exec
	s_and_b64 s[18:19], vcc, exec
	s_or_b64 s[12:13], s[12:13], s[18:19]
	s_or_b64 exec, exec, s[6:7]
	v_mov_b32_e32 v9, 0
	s_and_saveexec_b64 s[6:7], s[12:13]
	s_cbranch_execnz .LBB15_1409
	s_branch .LBB15_1410
.LBB15_1425:
	s_mov_b64 s[4:5], -1
                                        ; implicit-def: $vgpr9
	s_branch .LBB15_1430
.LBB15_1426:
	s_mov_b64 s[4:5], -1
                                        ; implicit-def: $vgpr9
.LBB15_1427:
	s_and_b64 vcc, exec, s[4:5]
	s_cbranch_vccz .LBB15_1429
; %bb.1428:
	global_load_ubyte v1, v[12:13], off
	s_mov_b32 s4, 0x7f800000
	s_brev_b32 s5, 1
	s_mov_b32 s6, 0x2f800000
	s_waitcnt vmcnt(0)
	v_lshlrev_b32_e32 v1, 24, v1
	v_and_b32_e32 v3, 0x7f000000, v1
	v_ffbh_u32_e32 v5, v3
	v_min_u32_e32 v5, 32, v5
	v_sub_u32_e64 v5, v5, 4 clamp
	v_lshlrev_b32_e32 v10, v5, v3
	v_lshlrev_b32_e32 v5, 23, v5
	v_lshrrev_b32_e32 v10, 4, v10
	v_add_u32_e32 v9, 0x1000000, v3
	v_sub_u32_e32 v5, v10, v5
	v_ashrrev_i32_e32 v9, 8, v9
	v_add_u32_e32 v5, 0x3c000000, v5
	v_and_or_b32 v5, v9, s4, v5
	v_cmp_ne_u32_e32 vcc, 0, v3
	v_cndmask_b32_e32 v3, 0, v5, vcc
	v_and_or_b32 v1, v1, s5, v3
	v_trunc_f32_e32 v1, v1
	v_mul_f32_e64 v3, |v1|, s6
	v_floor_f32_e32 v3, v3
	s_mov_b32 s4, 0xcf800000
	v_fma_f32 v3, v3, s4, |v1|
	v_cvt_u32_f32_e32 v3, v3
	v_ashrrev_i32_e32 v1, 31, v1
	v_xor_b32_e32 v3, v3, v1
	v_sub_u32_e32 v9, v3, v1
.LBB15_1429:
	s_mov_b64 s[4:5], 0
.LBB15_1430:
	s_andn2_b64 vcc, exec, s[4:5]
	s_cbranch_vccnz .LBB15_1432
; %bb.1431:
	global_load_ubyte v1, v[12:13], off
	s_movk_i32 s4, 0x7f00
	s_brev_b32 s5, 16
	s_brev_b32 s6, 1
	s_mov_b32 s7, 0x2f800000
	s_waitcnt vmcnt(0)
	v_lshlrev_b16_e32 v3, 8, v1
	v_lshlrev_b32_e32 v1, 25, v1
	v_lshrrev_b32_e32 v5, 4, v1
	v_and_or_b32 v9, v3, s4, 0.5
	v_or_b32_e32 v5, 0x70000000, v5
	v_add_f32_e32 v9, -0.5, v9
	v_mul_f32_e32 v5, 0x7800000, v5
	v_cmp_gt_u32_e32 vcc, s5, v1
	v_bfe_i32 v3, v3, 0, 16
	v_cndmask_b32_e32 v1, v5, v9, vcc
	v_and_or_b32 v1, v3, s6, v1
	v_trunc_f32_e32 v1, v1
	v_mul_f32_e64 v3, |v1|, s7
	v_floor_f32_e32 v3, v3
	s_mov_b32 s4, 0xcf800000
	v_fma_f32 v3, v3, s4, |v1|
	v_cvt_u32_f32_e32 v3, v3
	v_ashrrev_i32_e32 v1, 31, v1
	v_xor_b32_e32 v3, v3, v1
	v_sub_u32_e32 v9, v3, v1
.LBB15_1432:
	s_mov_b64 s[4:5], 0
	s_mov_b64 s[6:7], -1
.LBB15_1433:
	s_andn2_b64 vcc, exec, s[4:5]
	s_mov_b64 s[4:5], 0
	s_cbranch_vccnz .LBB15_1444
; %bb.1434:
	s_cmp_gt_i32 s14, 14
	s_cbranch_scc0 .LBB15_1437
; %bb.1435:
	s_cmp_eq_u32 s14, 15
	s_cbranch_scc0 .LBB15_1440
; %bb.1436:
	global_load_ushort v1, v[12:13], off
	s_mov_b32 s0, 0x2f800000
	s_mov_b32 s1, 0xcf800000
	s_mov_b64 s[6:7], -1
	s_waitcnt vmcnt(0)
	v_lshlrev_b32_e32 v1, 16, v1
	v_trunc_f32_e32 v1, v1
	v_mul_f32_e64 v3, |v1|, s0
	v_floor_f32_e32 v3, v3
	v_fma_f32 v3, v3, s1, |v1|
	v_cvt_u32_f32_e32 v3, v3
	v_ashrrev_i32_e32 v1, 31, v1
	s_mov_b64 s[0:1], 0
	v_xor_b32_e32 v3, v3, v1
	v_sub_u32_e32 v9, v3, v1
	s_branch .LBB15_1441
.LBB15_1437:
	s_mov_b64 s[12:13], -1
                                        ; implicit-def: $vgpr9
	s_branch .LBB15_1442
.LBB15_1438:
	s_andn2_saveexec_b64 s[4:5], s[4:5]
	s_cbranch_execz .LBB15_1419
.LBB15_1439:
	v_cmp_ne_u16_e32 vcc, 0, v1
	s_andn2_b64 s[6:7], s[6:7], exec
	s_and_b64 s[12:13], vcc, exec
	s_or_b64 s[6:7], s[6:7], s[12:13]
	s_or_b64 exec, exec, s[4:5]
	v_mov_b32_e32 v9, 0
	s_and_saveexec_b64 s[4:5], s[6:7]
	s_cbranch_execnz .LBB15_1420
	s_branch .LBB15_1421
.LBB15_1440:
	s_mov_b64 s[0:1], -1
                                        ; implicit-def: $vgpr9
.LBB15_1441:
	s_mov_b64 s[12:13], 0
.LBB15_1442:
	s_and_b64 vcc, exec, s[12:13]
	s_cbranch_vccz .LBB15_1444
; %bb.1443:
	s_cmp_lg_u32 s14, 11
	s_mov_b64 s[4:5], -1
	s_cselect_b64 s[0:1], -1, 0
.LBB15_1444:
	s_and_b64 vcc, exec, s[0:1]
	s_cbranch_vccnz .LBB15_1507
; %bb.1445:
	s_andn2_b64 vcc, exec, s[4:5]
	s_cbranch_vccnz .LBB15_1447
.LBB15_1446:
	global_load_ubyte v1, v[12:13], off
	s_mov_b64 s[6:7], -1
	s_waitcnt vmcnt(0)
	v_cmp_ne_u16_e32 vcc, 0, v1
	v_cndmask_b32_e64 v9, 0, 1, vcc
.LBB15_1447:
	s_branch .LBB15_1379
.LBB15_1448:
	s_cmp_lt_i32 s14, 5
	s_cbranch_scc1 .LBB15_1453
; %bb.1449:
	s_cmp_lt_i32 s14, 8
	s_cbranch_scc1 .LBB15_1454
; %bb.1450:
	;; [unrolled: 3-line block ×3, first 2 shown]
	s_cmp_gt_i32 s14, 9
	s_cbranch_scc0 .LBB15_1456
; %bb.1452:
	global_load_dwordx2 v[9:10], v[12:13], off
	s_movk_i32 s0, 0xffe0
	s_waitcnt vmcnt(0)
	v_trunc_f64_e32 v[9:10], v[9:10]
	v_ldexp_f64 v[14:15], v[9:10], s0
	s_mov_b32 s0, 0
	s_mov_b32 s1, 0xc1f00000
	v_floor_f64_e32 v[14:15], v[14:15]
	v_fma_f64 v[9:10], v[14:15], s[0:1], v[9:10]
	s_mov_b64 s[0:1], 0
	v_cvt_u32_f64_e32 v9, v[9:10]
	s_branch .LBB15_1457
.LBB15_1453:
	s_mov_b64 s[0:1], -1
                                        ; implicit-def: $vgpr9
	s_branch .LBB15_1475
.LBB15_1454:
	s_mov_b64 s[0:1], -1
                                        ; implicit-def: $vgpr9
	s_branch .LBB15_1463
.LBB15_1455:
	s_mov_b64 s[0:1], -1
                                        ; implicit-def: $vgpr9
	s_branch .LBB15_1460
.LBB15_1456:
	s_mov_b64 s[0:1], -1
                                        ; implicit-def: $vgpr9
.LBB15_1457:
	s_andn2_b64 vcc, exec, s[0:1]
	s_cbranch_vccnz .LBB15_1459
; %bb.1458:
	global_load_dword v1, v[12:13], off
	s_mov_b32 s0, 0x2f800000
	s_waitcnt vmcnt(0)
	v_trunc_f32_e32 v1, v1
	v_mul_f32_e64 v3, |v1|, s0
	v_floor_f32_e32 v3, v3
	s_mov_b32 s0, 0xcf800000
	v_fma_f32 v3, v3, s0, |v1|
	v_cvt_u32_f32_e32 v3, v3
	v_ashrrev_i32_e32 v1, 31, v1
	v_xor_b32_e32 v3, v3, v1
	v_sub_u32_e32 v9, v3, v1
.LBB15_1459:
	s_mov_b64 s[0:1], 0
.LBB15_1460:
	s_andn2_b64 vcc, exec, s[0:1]
	s_cbranch_vccnz .LBB15_1462
; %bb.1461:
	global_load_dword v1, v[12:13], off
	s_waitcnt vmcnt(0)
	v_cvt_f32_f16_e32 v1, v1
	v_cvt_i32_f32_e32 v9, v1
.LBB15_1462:
	s_mov_b64 s[0:1], 0
.LBB15_1463:
	s_andn2_b64 vcc, exec, s[0:1]
	s_cbranch_vccnz .LBB15_1474
; %bb.1464:
	s_cmp_lt_i32 s14, 6
	s_cbranch_scc1 .LBB15_1467
; %bb.1465:
	s_cmp_gt_i32 s14, 6
	s_cbranch_scc0 .LBB15_1468
; %bb.1466:
	global_load_dwordx2 v[9:10], v[12:13], off
	s_movk_i32 s0, 0xffe0
	s_waitcnt vmcnt(0)
	v_trunc_f64_e32 v[9:10], v[9:10]
	v_ldexp_f64 v[14:15], v[9:10], s0
	s_mov_b32 s0, 0
	s_mov_b32 s1, 0xc1f00000
	v_floor_f64_e32 v[14:15], v[14:15]
	v_fma_f64 v[9:10], v[14:15], s[0:1], v[9:10]
	s_mov_b64 s[0:1], 0
	v_cvt_u32_f64_e32 v9, v[9:10]
	s_branch .LBB15_1469
.LBB15_1467:
	s_mov_b64 s[0:1], -1
                                        ; implicit-def: $vgpr9
	s_branch .LBB15_1472
.LBB15_1468:
	s_mov_b64 s[0:1], -1
                                        ; implicit-def: $vgpr9
.LBB15_1469:
	s_andn2_b64 vcc, exec, s[0:1]
	s_cbranch_vccnz .LBB15_1471
; %bb.1470:
	global_load_dword v1, v[12:13], off
	s_mov_b32 s0, 0x2f800000
	s_waitcnt vmcnt(0)
	v_trunc_f32_e32 v1, v1
	v_mul_f32_e64 v3, |v1|, s0
	v_floor_f32_e32 v3, v3
	s_mov_b32 s0, 0xcf800000
	v_fma_f32 v3, v3, s0, |v1|
	v_cvt_u32_f32_e32 v3, v3
	v_ashrrev_i32_e32 v1, 31, v1
	v_xor_b32_e32 v3, v3, v1
	v_sub_u32_e32 v9, v3, v1
.LBB15_1471:
	s_mov_b64 s[0:1], 0
.LBB15_1472:
	s_andn2_b64 vcc, exec, s[0:1]
	s_cbranch_vccnz .LBB15_1474
; %bb.1473:
	global_load_ushort v1, v[12:13], off
	s_waitcnt vmcnt(0)
	v_cvt_f32_f16_e32 v1, v1
	v_cvt_i32_f32_e32 v9, v1
.LBB15_1474:
	s_mov_b64 s[0:1], 0
.LBB15_1475:
	s_andn2_b64 vcc, exec, s[0:1]
	s_cbranch_vccnz .LBB15_1495
; %bb.1476:
	s_cmp_lt_i32 s14, 2
	s_cbranch_scc1 .LBB15_1480
; %bb.1477:
	s_cmp_lt_i32 s14, 3
	s_cbranch_scc1 .LBB15_1481
; %bb.1478:
	s_cmp_gt_i32 s14, 3
	s_cbranch_scc0 .LBB15_1482
; %bb.1479:
	global_load_dwordx2 v[9:10], v[12:13], off
	s_mov_b64 s[0:1], 0
	s_branch .LBB15_1483
.LBB15_1480:
	s_mov_b64 s[0:1], -1
                                        ; implicit-def: $vgpr9
	s_branch .LBB15_1489
.LBB15_1481:
	s_mov_b64 s[0:1], -1
                                        ; implicit-def: $vgpr9
	s_branch .LBB15_1486
.LBB15_1482:
	s_mov_b64 s[0:1], -1
                                        ; implicit-def: $vgpr9
.LBB15_1483:
	s_andn2_b64 vcc, exec, s[0:1]
	s_cbranch_vccnz .LBB15_1485
; %bb.1484:
	global_load_dword v9, v[12:13], off
.LBB15_1485:
	s_mov_b64 s[0:1], 0
.LBB15_1486:
	s_andn2_b64 vcc, exec, s[0:1]
	s_cbranch_vccnz .LBB15_1488
; %bb.1487:
	global_load_ushort v9, v[12:13], off
.LBB15_1488:
	s_mov_b64 s[0:1], 0
.LBB15_1489:
	s_andn2_b64 vcc, exec, s[0:1]
	s_cbranch_vccnz .LBB15_1495
; %bb.1490:
	s_cmp_gt_i32 s14, 0
	s_cbranch_scc0 .LBB15_1492
; %bb.1491:
	global_load_ubyte v9, v[12:13], off
	s_mov_b64 s[0:1], 0
	s_branch .LBB15_1493
.LBB15_1492:
	s_mov_b64 s[0:1], -1
                                        ; implicit-def: $vgpr9
.LBB15_1493:
	s_andn2_b64 vcc, exec, s[0:1]
	s_cbranch_vccnz .LBB15_1495
; %bb.1494:
	global_load_ubyte v9, v[12:13], off
.LBB15_1495:
.LBB15_1496:
	v_mov_b32_e32 v1, s11
	v_add_co_u32_e32 v12, vcc, s10, v11
	s_cmp_lt_i32 s14, 11
	v_addc_co_u32_e32 v13, vcc, 0, v1, vcc
	s_cbranch_scc1 .LBB15_1503
; %bb.1497:
	s_cmp_gt_i32 s14, 25
	s_mov_b64 s[4:5], 0
	s_cbranch_scc0 .LBB15_1504
; %bb.1498:
	s_cmp_gt_i32 s14, 28
	s_cbranch_scc0 .LBB15_1505
; %bb.1499:
	s_cmp_gt_i32 s14, 43
	;; [unrolled: 3-line block ×3, first 2 shown]
	s_cbranch_scc0 .LBB15_1508
; %bb.1501:
	s_cmp_eq_u32 s14, 46
	s_mov_b64 s[10:11], 0
	s_cbranch_scc0 .LBB15_1509
; %bb.1502:
	global_load_dword v1, v[12:13], off
	s_mov_b32 s0, 0x2f800000
	s_mov_b32 s1, 0xcf800000
	s_mov_b64 s[6:7], -1
	s_waitcnt vmcnt(0)
	v_lshlrev_b32_e32 v1, 16, v1
	v_trunc_f32_e32 v1, v1
	v_mul_f32_e64 v3, |v1|, s0
	v_floor_f32_e32 v3, v3
	v_fma_f32 v3, v3, s1, |v1|
	v_cvt_u32_f32_e32 v3, v3
	v_ashrrev_i32_e32 v1, 31, v1
	s_mov_b64 s[0:1], 0
	v_xor_b32_e32 v3, v3, v1
	v_sub_u32_e32 v10, v3, v1
	s_branch .LBB15_1510
.LBB15_1503:
	s_mov_b64 s[0:1], -1
	s_mov_b64 s[6:7], 0
                                        ; implicit-def: $vgpr10
	s_branch .LBB15_1572
.LBB15_1504:
	s_mov_b64 s[10:11], -1
	s_mov_b64 s[6:7], 0
	s_mov_b64 s[0:1], 0
                                        ; implicit-def: $vgpr10
	s_branch .LBB15_1537
.LBB15_1505:
	s_mov_b64 s[10:11], -1
	s_mov_b64 s[6:7], 0
	s_mov_b64 s[0:1], 0
                                        ; implicit-def: $vgpr10
	s_branch .LBB15_1520
.LBB15_1506:
	s_mov_b64 s[10:11], -1
	s_mov_b64 s[6:7], 0
	s_mov_b64 s[0:1], 0
                                        ; implicit-def: $vgpr10
	s_branch .LBB15_1515
.LBB15_1507:
	s_trap 2
	s_or_b64 s[2:3], s[2:3], exec
	s_cbranch_execz .LBB15_1446
	s_branch .LBB15_1447
.LBB15_1508:
	s_mov_b64 s[10:11], -1
	s_mov_b64 s[6:7], 0
	s_mov_b64 s[0:1], 0
                                        ; implicit-def: $vgpr10
	s_branch .LBB15_1510
.LBB15_1509:
	s_mov_b64 s[0:1], -1
                                        ; implicit-def: $vgpr10
	s_mov_b64 s[6:7], 0
.LBB15_1510:
	s_and_b64 vcc, exec, s[10:11]
	s_cbranch_vccz .LBB15_1514
; %bb.1511:
	s_cmp_eq_u32 s14, 44
	s_cbranch_scc0 .LBB15_1513
; %bb.1512:
	global_load_ubyte v1, v[12:13], off
	s_mov_b32 s0, 0x2f800000
	s_mov_b32 s1, 0xcf800000
	s_mov_b64 s[6:7], -1
	s_waitcnt vmcnt(0)
	v_lshlrev_b32_e32 v3, 23, v1
	v_trunc_f32_e32 v3, v3
	v_mul_f32_e64 v5, |v3|, s0
	v_floor_f32_e32 v5, v5
	v_fma_f32 v5, v5, s1, |v3|
	v_cvt_u32_f32_e32 v5, v5
	v_ashrrev_i32_e32 v3, 31, v3
	v_cmp_ne_u32_e32 vcc, 0, v1
	s_mov_b64 s[0:1], 0
	v_xor_b32_e32 v5, v5, v3
	v_sub_u32_e32 v3, v5, v3
	v_cndmask_b32_e32 v10, 0, v3, vcc
	s_branch .LBB15_1514
.LBB15_1513:
	s_mov_b64 s[0:1], -1
                                        ; implicit-def: $vgpr10
.LBB15_1514:
	s_mov_b64 s[10:11], 0
.LBB15_1515:
	s_and_b64 vcc, exec, s[10:11]
	s_cbranch_vccz .LBB15_1519
; %bb.1516:
	s_cmp_eq_u32 s14, 29
	s_cbranch_scc0 .LBB15_1518
; %bb.1517:
	global_load_dwordx2 v[10:11], v[12:13], off
	s_mov_b64 s[0:1], 0
	s_mov_b64 s[6:7], -1
	s_branch .LBB15_1519
.LBB15_1518:
	s_mov_b64 s[0:1], -1
                                        ; implicit-def: $vgpr10
.LBB15_1519:
	s_mov_b64 s[10:11], 0
.LBB15_1520:
	s_and_b64 vcc, exec, s[10:11]
	s_cbranch_vccz .LBB15_1536
; %bb.1521:
	s_cmp_lt_i32 s14, 27
	s_cbranch_scc1 .LBB15_1524
; %bb.1522:
	s_cmp_gt_i32 s14, 27
	s_cbranch_scc0 .LBB15_1525
; %bb.1523:
	global_load_dword v10, v[12:13], off
	s_mov_b64 s[6:7], 0
	s_branch .LBB15_1526
.LBB15_1524:
	s_mov_b64 s[6:7], -1
                                        ; implicit-def: $vgpr10
	s_branch .LBB15_1529
.LBB15_1525:
	s_mov_b64 s[6:7], -1
                                        ; implicit-def: $vgpr10
.LBB15_1526:
	s_andn2_b64 vcc, exec, s[6:7]
	s_cbranch_vccnz .LBB15_1528
; %bb.1527:
	global_load_ushort v10, v[12:13], off
.LBB15_1528:
	s_mov_b64 s[6:7], 0
.LBB15_1529:
	s_andn2_b64 vcc, exec, s[6:7]
	s_cbranch_vccnz .LBB15_1535
; %bb.1530:
	global_load_ubyte v1, v[12:13], off
	s_movk_i32 s6, 0x7f
	s_mov_b64 s[10:11], 0
	s_waitcnt vmcnt(0)
	v_cmp_lt_i16_e32 vcc, s6, v1
	s_and_saveexec_b64 s[6:7], vcc
	s_xor_b64 s[6:7], exec, s[6:7]
	s_cbranch_execz .LBB15_1547
; %bb.1531:
	s_movk_i32 s10, 0x80
	v_cmp_ne_u16_e32 vcc, s10, v1
	s_and_b64 s[10:11], vcc, exec
	s_andn2_saveexec_b64 s[6:7], s[6:7]
	s_cbranch_execnz .LBB15_1548
.LBB15_1532:
	s_or_b64 exec, exec, s[6:7]
	v_mov_b32_e32 v10, 0
	s_and_saveexec_b64 s[6:7], s[10:11]
	s_cbranch_execz .LBB15_1534
.LBB15_1533:
	v_lshlrev_b32_e32 v3, 24, v1
	v_and_b32_e32 v1, 0xffff, v1
	v_and_b32_e32 v5, 7, v1
	v_ffbh_u32_e32 v11, v5
	v_min_u32_e32 v11, 32, v11
	v_subrev_u32_e32 v14, 28, v11
	v_bfe_u32 v10, v1, 3, 4
	v_lshlrev_b32_e32 v1, v14, v1
	v_sub_u32_e32 v11, 29, v11
	v_and_b32_e32 v1, 7, v1
	v_cmp_eq_u32_e32 vcc, 0, v10
	v_cndmask_b32_e32 v10, v10, v11, vcc
	v_cndmask_b32_e32 v1, v5, v1, vcc
	v_mov_b32_e32 v5, 0x3b800000
	v_lshlrev_b32_e32 v1, 20, v1
	v_and_b32_e32 v3, 0x80000000, v3
	v_lshl_add_u32 v5, v10, 23, v5
	v_or3_b32 v1, v3, v5, v1
	v_trunc_f32_e32 v1, v1
	s_mov_b32 s10, 0x2f800000
	v_mul_f32_e64 v3, |v1|, s10
	v_floor_f32_e32 v3, v3
	s_mov_b32 s10, 0xcf800000
	v_fma_f32 v3, v3, s10, |v1|
	v_cvt_u32_f32_e32 v3, v3
	v_ashrrev_i32_e32 v1, 31, v1
	v_xor_b32_e32 v3, v3, v1
	v_sub_u32_e32 v10, v3, v1
.LBB15_1534:
	s_or_b64 exec, exec, s[6:7]
.LBB15_1535:
	s_mov_b64 s[6:7], -1
.LBB15_1536:
	s_mov_b64 s[10:11], 0
.LBB15_1537:
	s_and_b64 vcc, exec, s[10:11]
	s_cbranch_vccz .LBB15_1568
; %bb.1538:
	s_cmp_gt_i32 s14, 22
	s_cbranch_scc0 .LBB15_1546
; %bb.1539:
	s_cmp_lt_i32 s14, 24
	s_cbranch_scc1 .LBB15_1549
; %bb.1540:
	s_cmp_gt_i32 s14, 24
	s_cbranch_scc0 .LBB15_1550
; %bb.1541:
	global_load_ubyte v1, v[12:13], off
	s_movk_i32 s4, 0x7f
	s_mov_b64 s[6:7], 0
	s_waitcnt vmcnt(0)
	v_cmp_lt_i16_e32 vcc, s4, v1
	s_and_saveexec_b64 s[4:5], vcc
	s_xor_b64 s[4:5], exec, s[4:5]
	s_cbranch_execz .LBB15_1562
; %bb.1542:
	s_movk_i32 s6, 0x80
	v_cmp_ne_u16_e32 vcc, s6, v1
	s_and_b64 s[6:7], vcc, exec
	s_andn2_saveexec_b64 s[4:5], s[4:5]
	s_cbranch_execnz .LBB15_1563
.LBB15_1543:
	s_or_b64 exec, exec, s[4:5]
	v_mov_b32_e32 v10, 0
	s_and_saveexec_b64 s[4:5], s[6:7]
	s_cbranch_execz .LBB15_1545
.LBB15_1544:
	v_lshlrev_b32_e32 v3, 24, v1
	v_and_b32_e32 v1, 0xffff, v1
	v_and_b32_e32 v5, 3, v1
	v_ffbh_u32_e32 v11, v5
	v_min_u32_e32 v11, 32, v11
	v_subrev_u32_e32 v14, 29, v11
	v_bfe_u32 v10, v1, 2, 5
	v_lshlrev_b32_e32 v1, v14, v1
	v_sub_u32_e32 v11, 30, v11
	v_and_b32_e32 v1, 3, v1
	v_cmp_eq_u32_e32 vcc, 0, v10
	v_cndmask_b32_e32 v10, v10, v11, vcc
	v_cndmask_b32_e32 v1, v5, v1, vcc
	v_mov_b32_e32 v5, 0x37800000
	v_lshlrev_b32_e32 v1, 21, v1
	v_and_b32_e32 v3, 0x80000000, v3
	v_lshl_add_u32 v5, v10, 23, v5
	v_or3_b32 v1, v3, v5, v1
	v_trunc_f32_e32 v1, v1
	s_mov_b32 s6, 0x2f800000
	v_mul_f32_e64 v3, |v1|, s6
	v_floor_f32_e32 v3, v3
	s_mov_b32 s6, 0xcf800000
	v_fma_f32 v3, v3, s6, |v1|
	v_cvt_u32_f32_e32 v3, v3
	v_ashrrev_i32_e32 v1, 31, v1
	v_xor_b32_e32 v3, v3, v1
	v_sub_u32_e32 v10, v3, v1
.LBB15_1545:
	s_or_b64 exec, exec, s[4:5]
	s_mov_b64 s[4:5], 0
	s_branch .LBB15_1551
.LBB15_1546:
	s_mov_b64 s[4:5], -1
                                        ; implicit-def: $vgpr10
	s_branch .LBB15_1557
.LBB15_1547:
	s_andn2_saveexec_b64 s[6:7], s[6:7]
	s_cbranch_execz .LBB15_1532
.LBB15_1548:
	v_cmp_ne_u16_e32 vcc, 0, v1
	s_andn2_b64 s[10:11], s[10:11], exec
	s_and_b64 s[12:13], vcc, exec
	s_or_b64 s[10:11], s[10:11], s[12:13]
	s_or_b64 exec, exec, s[6:7]
	v_mov_b32_e32 v10, 0
	s_and_saveexec_b64 s[6:7], s[10:11]
	s_cbranch_execnz .LBB15_1533
	s_branch .LBB15_1534
.LBB15_1549:
	s_mov_b64 s[4:5], -1
                                        ; implicit-def: $vgpr10
	s_branch .LBB15_1554
.LBB15_1550:
	s_mov_b64 s[4:5], -1
                                        ; implicit-def: $vgpr10
.LBB15_1551:
	s_and_b64 vcc, exec, s[4:5]
	s_cbranch_vccz .LBB15_1553
; %bb.1552:
	global_load_ubyte v1, v[12:13], off
	s_mov_b32 s4, 0x7f800000
	s_brev_b32 s5, 1
	s_mov_b32 s6, 0x2f800000
	s_waitcnt vmcnt(0)
	v_lshlrev_b32_e32 v1, 24, v1
	v_and_b32_e32 v3, 0x7f000000, v1
	v_ffbh_u32_e32 v5, v3
	v_min_u32_e32 v5, 32, v5
	v_sub_u32_e64 v5, v5, 4 clamp
	v_lshlrev_b32_e32 v11, v5, v3
	v_lshlrev_b32_e32 v5, 23, v5
	v_lshrrev_b32_e32 v11, 4, v11
	v_add_u32_e32 v10, 0x1000000, v3
	v_sub_u32_e32 v5, v11, v5
	v_ashrrev_i32_e32 v10, 8, v10
	v_add_u32_e32 v5, 0x3c000000, v5
	v_and_or_b32 v5, v10, s4, v5
	v_cmp_ne_u32_e32 vcc, 0, v3
	v_cndmask_b32_e32 v3, 0, v5, vcc
	v_and_or_b32 v1, v1, s5, v3
	v_trunc_f32_e32 v1, v1
	v_mul_f32_e64 v3, |v1|, s6
	v_floor_f32_e32 v3, v3
	s_mov_b32 s4, 0xcf800000
	v_fma_f32 v3, v3, s4, |v1|
	v_cvt_u32_f32_e32 v3, v3
	v_ashrrev_i32_e32 v1, 31, v1
	v_xor_b32_e32 v3, v3, v1
	v_sub_u32_e32 v10, v3, v1
.LBB15_1553:
	s_mov_b64 s[4:5], 0
.LBB15_1554:
	s_andn2_b64 vcc, exec, s[4:5]
	s_cbranch_vccnz .LBB15_1556
; %bb.1555:
	global_load_ubyte v1, v[12:13], off
	s_movk_i32 s4, 0x7f00
	s_brev_b32 s5, 16
	s_brev_b32 s6, 1
	s_mov_b32 s7, 0x2f800000
	s_waitcnt vmcnt(0)
	v_lshlrev_b16_e32 v3, 8, v1
	v_lshlrev_b32_e32 v1, 25, v1
	v_lshrrev_b32_e32 v5, 4, v1
	v_and_or_b32 v10, v3, s4, 0.5
	v_or_b32_e32 v5, 0x70000000, v5
	v_add_f32_e32 v10, -0.5, v10
	v_mul_f32_e32 v5, 0x7800000, v5
	v_cmp_gt_u32_e32 vcc, s5, v1
	v_bfe_i32 v3, v3, 0, 16
	v_cndmask_b32_e32 v1, v5, v10, vcc
	v_and_or_b32 v1, v3, s6, v1
	v_trunc_f32_e32 v1, v1
	v_mul_f32_e64 v3, |v1|, s7
	v_floor_f32_e32 v3, v3
	s_mov_b32 s4, 0xcf800000
	v_fma_f32 v3, v3, s4, |v1|
	v_cvt_u32_f32_e32 v3, v3
	v_ashrrev_i32_e32 v1, 31, v1
	v_xor_b32_e32 v3, v3, v1
	v_sub_u32_e32 v10, v3, v1
.LBB15_1556:
	s_mov_b64 s[4:5], 0
	s_mov_b64 s[6:7], -1
.LBB15_1557:
	s_andn2_b64 vcc, exec, s[4:5]
	s_mov_b64 s[4:5], 0
	s_cbranch_vccnz .LBB15_1568
; %bb.1558:
	s_cmp_gt_i32 s14, 14
	s_cbranch_scc0 .LBB15_1561
; %bb.1559:
	s_cmp_eq_u32 s14, 15
	s_cbranch_scc0 .LBB15_1564
; %bb.1560:
	global_load_ushort v1, v[12:13], off
	s_mov_b32 s0, 0x2f800000
	s_mov_b32 s1, 0xcf800000
	s_mov_b64 s[6:7], -1
	s_waitcnt vmcnt(0)
	v_lshlrev_b32_e32 v1, 16, v1
	v_trunc_f32_e32 v1, v1
	v_mul_f32_e64 v3, |v1|, s0
	v_floor_f32_e32 v3, v3
	v_fma_f32 v3, v3, s1, |v1|
	v_cvt_u32_f32_e32 v3, v3
	v_ashrrev_i32_e32 v1, 31, v1
	s_mov_b64 s[0:1], 0
	v_xor_b32_e32 v3, v3, v1
	v_sub_u32_e32 v10, v3, v1
	s_branch .LBB15_1565
.LBB15_1561:
	s_mov_b64 s[10:11], -1
                                        ; implicit-def: $vgpr10
	s_branch .LBB15_1566
.LBB15_1562:
	s_andn2_saveexec_b64 s[4:5], s[4:5]
	s_cbranch_execz .LBB15_1543
.LBB15_1563:
	v_cmp_ne_u16_e32 vcc, 0, v1
	s_andn2_b64 s[6:7], s[6:7], exec
	s_and_b64 s[10:11], vcc, exec
	s_or_b64 s[6:7], s[6:7], s[10:11]
	s_or_b64 exec, exec, s[4:5]
	v_mov_b32_e32 v10, 0
	s_and_saveexec_b64 s[4:5], s[6:7]
	s_cbranch_execnz .LBB15_1544
	s_branch .LBB15_1545
.LBB15_1564:
	s_mov_b64 s[0:1], -1
                                        ; implicit-def: $vgpr10
.LBB15_1565:
	s_mov_b64 s[10:11], 0
.LBB15_1566:
	s_and_b64 vcc, exec, s[10:11]
	s_cbranch_vccz .LBB15_1568
; %bb.1567:
	s_cmp_lg_u32 s14, 11
	s_mov_b64 s[4:5], -1
	s_cselect_b64 s[0:1], -1, 0
.LBB15_1568:
	s_and_b64 vcc, exec, s[0:1]
	s_cbranch_vccnz .LBB15_2101
; %bb.1569:
	s_andn2_b64 vcc, exec, s[4:5]
	s_cbranch_vccnz .LBB15_1571
.LBB15_1570:
	global_load_ubyte v1, v[12:13], off
	s_mov_b64 s[6:7], -1
	s_waitcnt vmcnt(0)
	v_cmp_ne_u16_e32 vcc, 0, v1
	v_cndmask_b32_e64 v10, 0, 1, vcc
.LBB15_1571:
	s_mov_b64 s[0:1], 0
.LBB15_1572:
	s_and_b64 vcc, exec, s[0:1]
	s_cbranch_vccz .LBB15_1621
; %bb.1573:
	s_cmp_lt_i32 s14, 5
	s_cbranch_scc1 .LBB15_1578
; %bb.1574:
	s_cmp_lt_i32 s14, 8
	s_cbranch_scc1 .LBB15_1579
	;; [unrolled: 3-line block ×3, first 2 shown]
; %bb.1576:
	s_cmp_gt_i32 s14, 9
	s_cbranch_scc0 .LBB15_1581
; %bb.1577:
	global_load_dwordx2 v[10:11], v[12:13], off
	s_movk_i32 s0, 0xffe0
	s_waitcnt vmcnt(0)
	v_trunc_f64_e32 v[10:11], v[10:11]
	v_ldexp_f64 v[14:15], v[10:11], s0
	s_mov_b32 s0, 0
	s_mov_b32 s1, 0xc1f00000
	v_floor_f64_e32 v[14:15], v[14:15]
	v_fma_f64 v[10:11], v[14:15], s[0:1], v[10:11]
	s_mov_b64 s[0:1], 0
	v_cvt_u32_f64_e32 v10, v[10:11]
	s_branch .LBB15_1582
.LBB15_1578:
	s_mov_b64 s[0:1], -1
                                        ; implicit-def: $vgpr10
	s_branch .LBB15_1600
.LBB15_1579:
	s_mov_b64 s[0:1], -1
                                        ; implicit-def: $vgpr10
	s_branch .LBB15_1588
.LBB15_1580:
	s_mov_b64 s[0:1], -1
                                        ; implicit-def: $vgpr10
	s_branch .LBB15_1585
.LBB15_1581:
	s_mov_b64 s[0:1], -1
                                        ; implicit-def: $vgpr10
.LBB15_1582:
	s_andn2_b64 vcc, exec, s[0:1]
	s_cbranch_vccnz .LBB15_1584
; %bb.1583:
	global_load_dword v1, v[12:13], off
	s_mov_b32 s0, 0x2f800000
	s_waitcnt vmcnt(0)
	v_trunc_f32_e32 v1, v1
	v_mul_f32_e64 v3, |v1|, s0
	v_floor_f32_e32 v3, v3
	s_mov_b32 s0, 0xcf800000
	v_fma_f32 v3, v3, s0, |v1|
	v_cvt_u32_f32_e32 v3, v3
	v_ashrrev_i32_e32 v1, 31, v1
	v_xor_b32_e32 v3, v3, v1
	v_sub_u32_e32 v10, v3, v1
.LBB15_1584:
	s_mov_b64 s[0:1], 0
.LBB15_1585:
	s_andn2_b64 vcc, exec, s[0:1]
	s_cbranch_vccnz .LBB15_1587
; %bb.1586:
	global_load_dword v1, v[12:13], off
	s_waitcnt vmcnt(0)
	v_cvt_f32_f16_e32 v1, v1
	v_cvt_i32_f32_e32 v10, v1
.LBB15_1587:
	s_mov_b64 s[0:1], 0
.LBB15_1588:
	s_andn2_b64 vcc, exec, s[0:1]
	s_cbranch_vccnz .LBB15_1599
; %bb.1589:
	s_cmp_lt_i32 s14, 6
	s_cbranch_scc1 .LBB15_1592
; %bb.1590:
	s_cmp_gt_i32 s14, 6
	s_cbranch_scc0 .LBB15_1593
; %bb.1591:
	global_load_dwordx2 v[10:11], v[12:13], off
	s_movk_i32 s0, 0xffe0
	s_waitcnt vmcnt(0)
	v_trunc_f64_e32 v[10:11], v[10:11]
	v_ldexp_f64 v[14:15], v[10:11], s0
	s_mov_b32 s0, 0
	s_mov_b32 s1, 0xc1f00000
	v_floor_f64_e32 v[14:15], v[14:15]
	v_fma_f64 v[10:11], v[14:15], s[0:1], v[10:11]
	s_mov_b64 s[0:1], 0
	v_cvt_u32_f64_e32 v10, v[10:11]
	s_branch .LBB15_1594
.LBB15_1592:
	s_mov_b64 s[0:1], -1
                                        ; implicit-def: $vgpr10
	s_branch .LBB15_1597
.LBB15_1593:
	s_mov_b64 s[0:1], -1
                                        ; implicit-def: $vgpr10
.LBB15_1594:
	s_andn2_b64 vcc, exec, s[0:1]
	s_cbranch_vccnz .LBB15_1596
; %bb.1595:
	global_load_dword v1, v[12:13], off
	s_mov_b32 s0, 0x2f800000
	s_waitcnt vmcnt(0)
	v_trunc_f32_e32 v1, v1
	v_mul_f32_e64 v3, |v1|, s0
	v_floor_f32_e32 v3, v3
	s_mov_b32 s0, 0xcf800000
	v_fma_f32 v3, v3, s0, |v1|
	v_cvt_u32_f32_e32 v3, v3
	v_ashrrev_i32_e32 v1, 31, v1
	v_xor_b32_e32 v3, v3, v1
	v_sub_u32_e32 v10, v3, v1
.LBB15_1596:
	s_mov_b64 s[0:1], 0
.LBB15_1597:
	s_andn2_b64 vcc, exec, s[0:1]
	s_cbranch_vccnz .LBB15_1599
; %bb.1598:
	global_load_ushort v1, v[12:13], off
	s_waitcnt vmcnt(0)
	v_cvt_f32_f16_e32 v1, v1
	v_cvt_i32_f32_e32 v10, v1
.LBB15_1599:
	s_mov_b64 s[0:1], 0
.LBB15_1600:
	s_andn2_b64 vcc, exec, s[0:1]
	s_cbranch_vccnz .LBB15_1620
; %bb.1601:
	s_cmp_lt_i32 s14, 2
	s_cbranch_scc1 .LBB15_1605
; %bb.1602:
	s_cmp_lt_i32 s14, 3
	s_cbranch_scc1 .LBB15_1606
; %bb.1603:
	s_cmp_gt_i32 s14, 3
	s_cbranch_scc0 .LBB15_1607
; %bb.1604:
	global_load_dwordx2 v[10:11], v[12:13], off
	s_mov_b64 s[0:1], 0
	s_branch .LBB15_1608
.LBB15_1605:
	s_mov_b64 s[0:1], -1
                                        ; implicit-def: $vgpr10
	s_branch .LBB15_1614
.LBB15_1606:
	s_mov_b64 s[0:1], -1
                                        ; implicit-def: $vgpr10
	s_branch .LBB15_1611
.LBB15_1607:
	s_mov_b64 s[0:1], -1
                                        ; implicit-def: $vgpr10
.LBB15_1608:
	s_andn2_b64 vcc, exec, s[0:1]
	s_cbranch_vccnz .LBB15_1610
; %bb.1609:
	global_load_dword v10, v[12:13], off
.LBB15_1610:
	s_mov_b64 s[0:1], 0
.LBB15_1611:
	s_andn2_b64 vcc, exec, s[0:1]
	s_cbranch_vccnz .LBB15_1613
; %bb.1612:
	global_load_ushort v10, v[12:13], off
.LBB15_1613:
	s_mov_b64 s[0:1], 0
.LBB15_1614:
	s_andn2_b64 vcc, exec, s[0:1]
	s_cbranch_vccnz .LBB15_1620
; %bb.1615:
	s_cmp_gt_i32 s14, 0
	s_cbranch_scc0 .LBB15_1617
; %bb.1616:
	global_load_ubyte v10, v[12:13], off
	s_mov_b64 s[0:1], 0
	s_branch .LBB15_1618
.LBB15_1617:
	s_mov_b64 s[0:1], -1
                                        ; implicit-def: $vgpr10
.LBB15_1618:
	s_andn2_b64 vcc, exec, s[0:1]
	s_cbranch_vccnz .LBB15_1620
; %bb.1619:
	global_load_ubyte v10, v[12:13], off
.LBB15_1620:
	s_mov_b64 s[6:7], -1
.LBB15_1621:
	s_andn2_b64 vcc, exec, s[6:7]
	s_cbranch_vccnz .LBB15_2055
; %bb.1622:
	s_lshr_b32 s0, s16, 8
	s_and_b32 s17, s0, 0xff
	s_cmp_gt_u32 s17, 7
	s_waitcnt vmcnt(0)
	v_lshlrev_b32_e32 v1, s0, v7
	s_cselect_b64 s[4:5], -1, 0
	s_bfe_u32 s18, s16, 0x80010
	v_mov_b32_e32 v3, s9
	v_add_co_u32_e32 v5, vcc, s8, v6
	v_cndmask_b32_e64 v1, v1, 0, s[4:5]
	s_cmp_lt_i32 s18, 11
	v_addc_co_u32_e32 v6, vcc, 0, v3, vcc
	s_cbranch_scc1 .LBB15_1700
; %bb.1623:
	s_and_b32 s19, 0xffff, s18
	s_mov_b64 s[12:13], -1
	s_mov_b64 s[6:7], 0
	s_cmp_gt_i32 s19, 25
	s_mov_b64 s[10:11], 0
	s_mov_b64 s[0:1], 0
	s_cbranch_scc0 .LBB15_1656
; %bb.1624:
	s_cmp_gt_i32 s19, 28
	s_cbranch_scc0 .LBB15_1639
; %bb.1625:
	s_cmp_gt_i32 s19, 43
	s_cbranch_scc0 .LBB15_1635
; %bb.1626:
	s_cmp_gt_i32 s19, 45
	s_cbranch_scc0 .LBB15_1629
; %bb.1627:
	s_mov_b64 s[0:1], -1
	s_mov_b64 s[12:13], 0
	s_cmp_eq_u32 s19, 46
	s_cbranch_scc0 .LBB15_1629
; %bb.1628:
	v_cvt_f32_ubyte0_e32 v3, v1
	v_bfe_u32 v7, v3, 16, 1
	s_movk_i32 s0, 0x7fff
	v_add3_u32 v3, v3, v7, s0
	v_lshrrev_b32_e32 v3, 16, v3
	global_store_dword v[5:6], v3, off
	s_mov_b64 s[0:1], 0
	s_mov_b64 s[10:11], -1
.LBB15_1629:
	s_and_b64 vcc, exec, s[12:13]
	s_cbranch_vccz .LBB15_1634
; %bb.1630:
	s_cmp_eq_u32 s19, 44
	s_mov_b64 s[0:1], -1
	s_cbranch_scc0 .LBB15_1634
; %bb.1631:
	v_cvt_f32_ubyte0_e32 v7, v1
	v_lshrrev_b32_e32 v3, 23, v7
	s_movk_i32 s0, 0xff
	v_cmp_ne_u32_e32 vcc, s0, v3
	v_mov_b32_e32 v11, 0xff
	s_and_saveexec_b64 s[10:11], vcc
; %bb.1632:
	s_mov_b32 s0, 0x3fffff
	v_and_b32_e32 v11, 0x400000, v7
	v_and_or_b32 v7, v7, s0, v3
	v_cmp_ne_u32_e32 vcc, 0, v11
	v_cmp_ne_u32_e64 s[0:1], 0, v7
	s_and_b64 s[0:1], vcc, s[0:1]
	v_cndmask_b32_e64 v7, 0, 1, s[0:1]
	v_add_u32_e32 v11, v3, v7
; %bb.1633:
	s_or_b64 exec, exec, s[10:11]
	s_mov_b64 s[0:1], 0
	s_mov_b64 s[10:11], -1
	global_store_byte v[5:6], v11, off
.LBB15_1634:
	s_mov_b64 s[12:13], 0
.LBB15_1635:
	s_and_b64 vcc, exec, s[12:13]
	s_cbranch_vccz .LBB15_1638
; %bb.1636:
	s_cmp_eq_u32 s19, 29
	s_mov_b64 s[0:1], -1
	s_cbranch_scc0 .LBB15_1638
; %bb.1637:
	v_and_b32_e32 v11, 0xff, v1
	v_mov_b32_e32 v12, 0
	global_store_dwordx2 v[5:6], v[11:12], off
	s_mov_b64 s[0:1], 0
	s_mov_b64 s[10:11], -1
.LBB15_1638:
	s_mov_b64 s[12:13], 0
.LBB15_1639:
	s_and_b64 vcc, exec, s[12:13]
	s_cbranch_vccz .LBB15_1655
; %bb.1640:
	s_cmp_lt_i32 s19, 27
	s_mov_b64 s[10:11], -1
	s_cbranch_scc1 .LBB15_1646
; %bb.1641:
	s_cmp_gt_i32 s19, 27
	s_cbranch_scc0 .LBB15_1643
; %bb.1642:
	v_and_b32_e32 v3, 0xff, v1
	s_mov_b64 s[10:11], 0
	global_store_dword v[5:6], v3, off
.LBB15_1643:
	s_andn2_b64 vcc, exec, s[10:11]
	s_cbranch_vccnz .LBB15_1645
; %bb.1644:
	v_and_b32_e32 v3, 0xff, v1
	global_store_short v[5:6], v3, off
.LBB15_1645:
	s_mov_b64 s[10:11], 0
.LBB15_1646:
	s_andn2_b64 vcc, exec, s[10:11]
	s_cbranch_vccnz .LBB15_1654
; %bb.1647:
	v_cvt_f32_ubyte0_e32 v7, v1
	s_mov_b32 s10, 0x43800000
	v_cmp_gt_u32_e32 vcc, s10, v7
	v_mov_b32_e32 v11, 0x80
	s_and_saveexec_b64 s[10:11], vcc
	s_cbranch_execz .LBB15_1653
; %bb.1648:
	s_mov_b32 s12, 0x3bffffff
	v_cmp_lt_u32_e32 vcc, s12, v7
	s_mov_b64 s[12:13], 0
                                        ; implicit-def: $vgpr3
	s_and_saveexec_b64 s[14:15], vcc
	s_xor_b64 s[14:15], exec, s[14:15]
	s_cbranch_execz .LBB15_2102
; %bb.1649:
	v_bfe_u32 v3, v7, 20, 1
	s_mov_b32 s20, 0x487ffff
	v_add3_u32 v3, v7, v3, s20
	s_mov_b64 s[12:13], exec
	v_lshrrev_b32_e32 v3, 20, v3
                                        ; implicit-def: $vgpr7
	s_andn2_saveexec_b64 s[14:15], s[14:15]
	s_cbranch_execnz .LBB15_2103
.LBB15_1650:
	s_or_b64 exec, exec, s[14:15]
	v_mov_b32_e32 v11, 0
	s_and_saveexec_b64 s[14:15], s[12:13]
.LBB15_1651:
	v_mov_b32_e32 v11, v3
.LBB15_1652:
	s_or_b64 exec, exec, s[14:15]
.LBB15_1653:
	s_or_b64 exec, exec, s[10:11]
	global_store_byte v[5:6], v11, off
.LBB15_1654:
	s_mov_b64 s[10:11], -1
.LBB15_1655:
	s_mov_b64 s[12:13], 0
.LBB15_1656:
	s_and_b64 vcc, exec, s[12:13]
	s_cbranch_vccz .LBB15_1696
; %bb.1657:
	s_cmp_gt_i32 s19, 22
	s_mov_b64 s[6:7], -1
	s_cbranch_scc0 .LBB15_1689
; %bb.1658:
	s_cmp_lt_i32 s19, 24
	s_cbranch_scc1 .LBB15_1678
; %bb.1659:
	s_cmp_gt_i32 s19, 24
	s_cbranch_scc0 .LBB15_1667
; %bb.1660:
	v_cvt_f32_ubyte0_e32 v7, v1
	s_mov_b32 s6, 0x47800000
	v_cmp_gt_u32_e32 vcc, s6, v7
	v_mov_b32_e32 v11, 0x80
	s_and_saveexec_b64 s[6:7], vcc
	s_cbranch_execz .LBB15_1666
; %bb.1661:
	s_mov_b32 s10, 0x37ffffff
	v_cmp_lt_u32_e32 vcc, s10, v7
	s_mov_b64 s[10:11], 0
                                        ; implicit-def: $vgpr3
	s_and_saveexec_b64 s[12:13], vcc
	s_xor_b64 s[12:13], exec, s[12:13]
	s_cbranch_execz .LBB15_2105
; %bb.1662:
	v_bfe_u32 v3, v7, 21, 1
	s_mov_b32 s14, 0x88fffff
	v_add3_u32 v3, v7, v3, s14
	s_mov_b64 s[10:11], exec
	v_lshrrev_b32_e32 v3, 21, v3
                                        ; implicit-def: $vgpr7
	s_andn2_saveexec_b64 s[12:13], s[12:13]
	s_cbranch_execnz .LBB15_2106
.LBB15_1663:
	s_or_b64 exec, exec, s[12:13]
	v_mov_b32_e32 v11, 0
	s_and_saveexec_b64 s[12:13], s[10:11]
.LBB15_1664:
	v_mov_b32_e32 v11, v3
.LBB15_1665:
	s_or_b64 exec, exec, s[12:13]
.LBB15_1666:
	s_or_b64 exec, exec, s[6:7]
	s_mov_b64 s[6:7], 0
	global_store_byte v[5:6], v11, off
.LBB15_1667:
	s_and_b64 vcc, exec, s[6:7]
	s_cbranch_vccz .LBB15_1677
; %bb.1668:
	v_cvt_f32_ubyte0_e32 v3, v1
	s_mov_b32 s6, 0x43f00000
	v_cmp_gt_u32_e32 vcc, s6, v3
                                        ; implicit-def: $vgpr7
	s_and_saveexec_b64 s[6:7], vcc
	s_xor_b64 s[6:7], exec, s[6:7]
	s_cbranch_execz .LBB15_1674
; %bb.1669:
	s_mov_b32 s10, 0x3c7fffff
	v_cmp_lt_u32_e32 vcc, s10, v3
                                        ; implicit-def: $vgpr7
	s_and_saveexec_b64 s[10:11], vcc
	s_xor_b64 s[10:11], exec, s[10:11]
; %bb.1670:
	v_bfe_u32 v7, v3, 20, 1
	s_mov_b32 s12, 0x407ffff
	v_add3_u32 v3, v3, v7, s12
	v_lshrrev_b32_e32 v7, 20, v3
	v_and_b32_e32 v3, 0xff00000, v3
	s_mov_b32 s12, 0x7f00000
	v_mov_b32_e32 v11, 0x7e
	v_cmp_ne_u32_e32 vcc, s12, v3
	v_cndmask_b32_e32 v7, v11, v7, vcc
                                        ; implicit-def: $vgpr3
; %bb.1671:
	s_andn2_saveexec_b64 s[10:11], s[10:11]
; %bb.1672:
	v_add_f32_e32 v7, 0x46800000, v3
; %bb.1673:
	s_or_b64 exec, exec, s[10:11]
                                        ; implicit-def: $vgpr3
.LBB15_1674:
	s_andn2_saveexec_b64 s[6:7], s[6:7]
; %bb.1675:
	s_mov_b32 s10, 0x7f800000
	v_mov_b32_e32 v7, 0x7e
	v_mov_b32_e32 v11, 0x7f
	v_cmp_lt_u32_e32 vcc, s10, v3
	v_cndmask_b32_e32 v7, v7, v11, vcc
; %bb.1676:
	s_or_b64 exec, exec, s[6:7]
	global_store_byte v[5:6], v7, off
.LBB15_1677:
	s_mov_b64 s[6:7], 0
.LBB15_1678:
	s_andn2_b64 vcc, exec, s[6:7]
	s_cbranch_vccnz .LBB15_1688
; %bb.1679:
	v_cvt_f32_ubyte0_e32 v3, v1
	s_mov_b32 s6, 0x47800000
	v_cmp_gt_u32_e32 vcc, s6, v3
                                        ; implicit-def: $vgpr7
	s_and_saveexec_b64 s[6:7], vcc
	s_xor_b64 s[6:7], exec, s[6:7]
	s_cbranch_execz .LBB15_1685
; %bb.1680:
	s_mov_b32 s10, 0x387fffff
	v_cmp_lt_u32_e32 vcc, s10, v3
                                        ; implicit-def: $vgpr7
	s_and_saveexec_b64 s[10:11], vcc
	s_xor_b64 s[10:11], exec, s[10:11]
; %bb.1681:
	v_bfe_u32 v7, v3, 21, 1
	s_mov_b32 s12, 0x80fffff
	v_add3_u32 v3, v3, v7, s12
	v_lshrrev_b32_e32 v7, 21, v3
                                        ; implicit-def: $vgpr3
; %bb.1682:
	s_andn2_saveexec_b64 s[10:11], s[10:11]
; %bb.1683:
	v_add_f32_e32 v7, 0x43000000, v3
; %bb.1684:
	s_or_b64 exec, exec, s[10:11]
                                        ; implicit-def: $vgpr3
.LBB15_1685:
	s_andn2_saveexec_b64 s[6:7], s[6:7]
; %bb.1686:
	s_mov_b32 s10, 0x7f800000
	v_mov_b32_e32 v7, 0x7c
	v_mov_b32_e32 v11, 0x7f
	v_cmp_lt_u32_e32 vcc, s10, v3
	v_cndmask_b32_e32 v7, v7, v11, vcc
; %bb.1687:
	s_or_b64 exec, exec, s[6:7]
	global_store_byte v[5:6], v7, off
.LBB15_1688:
	s_mov_b64 s[6:7], 0
	s_mov_b64 s[10:11], -1
.LBB15_1689:
	s_andn2_b64 vcc, exec, s[6:7]
	s_mov_b64 s[6:7], 0
	s_cbranch_vccnz .LBB15_1696
; %bb.1690:
	s_cmp_gt_i32 s19, 14
	s_mov_b64 s[12:13], -1
	s_cbranch_scc0 .LBB15_1694
; %bb.1691:
	s_cmp_eq_u32 s19, 15
	s_mov_b64 s[0:1], -1
	s_cbranch_scc0 .LBB15_1693
; %bb.1692:
	v_cvt_f32_ubyte0_e32 v3, v1
	v_bfe_u32 v7, v3, 16, 1
	s_movk_i32 s0, 0x7fff
	v_add3_u32 v3, v3, v7, s0
	global_store_short_d16_hi v[5:6], v3, off
	s_mov_b64 s[0:1], 0
	s_mov_b64 s[10:11], -1
.LBB15_1693:
	s_mov_b64 s[12:13], 0
.LBB15_1694:
	s_and_b64 vcc, exec, s[12:13]
	s_cbranch_vccz .LBB15_1696
; %bb.1695:
	s_cmp_lg_u32 s19, 11
	s_mov_b64 s[6:7], -1
	s_cselect_b64 s[0:1], -1, 0
.LBB15_1696:
	s_and_b64 vcc, exec, s[0:1]
	s_cbranch_vccnz .LBB15_2104
; %bb.1697:
	s_andn2_b64 vcc, exec, s[6:7]
	s_cbranch_vccnz .LBB15_1699
.LBB15_1698:
	v_mov_b32_e32 v3, 0
	v_cmp_ne_u16_sdwa s[0:1], v1, v3 src0_sel:BYTE_0 src1_sel:DWORD
	v_cndmask_b32_e64 v3, 0, 1, s[0:1]
	s_mov_b64 s[10:11], -1
	global_store_byte v[5:6], v3, off
.LBB15_1699:
	s_mov_b64 s[0:1], 0
	s_branch .LBB15_1701
.LBB15_1700:
	s_mov_b64 s[0:1], -1
	s_mov_b64 s[10:11], 0
.LBB15_1701:
	s_and_b64 vcc, exec, s[0:1]
	s_cbranch_vccz .LBB15_1740
; %bb.1702:
	s_and_b32 s6, 0xffff, s18
	s_cmp_lt_i32 s6, 5
	s_mov_b64 s[0:1], -1
	s_cbranch_scc1 .LBB15_1723
; %bb.1703:
	s_cmp_lt_i32 s6, 8
	s_cbranch_scc1 .LBB15_1713
; %bb.1704:
	s_cmp_lt_i32 s6, 9
	s_cbranch_scc1 .LBB15_1710
; %bb.1705:
	s_cmp_gt_i32 s6, 9
	s_cbranch_scc0 .LBB15_1707
; %bb.1706:
	s_mov_b32 s0, 0xffff
	v_and_b32_sdwa v3, s0, v1 dst_sel:DWORD dst_unused:UNUSED_PAD src0_sel:DWORD src1_sel:BYTE_0
	v_cvt_f64_u32_e32 v[11:12], v3
	v_mov_b32_e32 v13, 0
	v_mov_b32_e32 v14, v13
	s_mov_b64 s[0:1], 0
	global_store_dwordx4 v[5:6], v[11:14], off
.LBB15_1707:
	s_andn2_b64 vcc, exec, s[0:1]
	s_cbranch_vccnz .LBB15_1709
; %bb.1708:
	v_cvt_f32_ubyte0_e32 v11, v1
	v_mov_b32_e32 v12, 0
	global_store_dwordx2 v[5:6], v[11:12], off
.LBB15_1709:
	s_mov_b64 s[0:1], 0
.LBB15_1710:
	s_andn2_b64 vcc, exec, s[0:1]
	s_cbranch_vccnz .LBB15_1712
; %bb.1711:
	v_cvt_f16_u16_sdwa v3, v1 dst_sel:DWORD dst_unused:UNUSED_PAD src0_sel:BYTE_0
	global_store_dword v[5:6], v3, off
.LBB15_1712:
	s_mov_b64 s[0:1], 0
.LBB15_1713:
	s_andn2_b64 vcc, exec, s[0:1]
	s_cbranch_vccnz .LBB15_1722
; %bb.1714:
	s_cmp_lt_i32 s6, 6
	s_mov_b64 s[0:1], -1
	s_cbranch_scc1 .LBB15_1720
; %bb.1715:
	s_cmp_gt_i32 s6, 6
	s_cbranch_scc0 .LBB15_1717
; %bb.1716:
	s_mov_b32 s0, 0xffff
	v_and_b32_sdwa v3, s0, v1 dst_sel:DWORD dst_unused:UNUSED_PAD src0_sel:DWORD src1_sel:BYTE_0
	v_cvt_f64_u32_e32 v[11:12], v3
	s_mov_b64 s[0:1], 0
	global_store_dwordx2 v[5:6], v[11:12], off
.LBB15_1717:
	s_andn2_b64 vcc, exec, s[0:1]
	s_cbranch_vccnz .LBB15_1719
; %bb.1718:
	v_cvt_f32_ubyte0_e32 v3, v1
	global_store_dword v[5:6], v3, off
.LBB15_1719:
	s_mov_b64 s[0:1], 0
.LBB15_1720:
	s_andn2_b64 vcc, exec, s[0:1]
	s_cbranch_vccnz .LBB15_1722
; %bb.1721:
	v_cvt_f16_u16_sdwa v3, v1 dst_sel:DWORD dst_unused:UNUSED_PAD src0_sel:BYTE_0
	global_store_short v[5:6], v3, off
.LBB15_1722:
	s_mov_b64 s[0:1], 0
.LBB15_1723:
	s_andn2_b64 vcc, exec, s[0:1]
	s_cbranch_vccnz .LBB15_1739
; %bb.1724:
	s_cmp_lt_i32 s6, 2
	s_mov_b64 s[0:1], -1
	s_cbranch_scc1 .LBB15_1734
; %bb.1725:
	s_cmp_lt_i32 s6, 3
	s_cbranch_scc1 .LBB15_1731
; %bb.1726:
	s_cmp_gt_i32 s6, 3
	s_cbranch_scc0 .LBB15_1728
; %bb.1727:
	v_and_b32_e32 v11, 0xff, v1
	v_mov_b32_e32 v12, 0
	global_store_dwordx2 v[5:6], v[11:12], off
	s_mov_b64 s[0:1], 0
.LBB15_1728:
	s_andn2_b64 vcc, exec, s[0:1]
	s_cbranch_vccnz .LBB15_1730
; %bb.1729:
	v_and_b32_e32 v3, 0xff, v1
	global_store_dword v[5:6], v3, off
.LBB15_1730:
	s_mov_b64 s[0:1], 0
.LBB15_1731:
	s_andn2_b64 vcc, exec, s[0:1]
	s_cbranch_vccnz .LBB15_1733
; %bb.1732:
	v_and_b32_e32 v3, 0xff, v1
	global_store_short v[5:6], v3, off
.LBB15_1733:
	s_mov_b64 s[0:1], 0
.LBB15_1734:
	s_andn2_b64 vcc, exec, s[0:1]
	s_cbranch_vccnz .LBB15_1739
; %bb.1735:
	s_cmp_gt_i32 s6, 0
	s_mov_b64 s[0:1], -1
	s_cbranch_scc0 .LBB15_1737
; %bb.1736:
	global_store_byte v[5:6], v1, off
	s_mov_b64 s[0:1], 0
.LBB15_1737:
	s_andn2_b64 vcc, exec, s[0:1]
	s_cbranch_vccnz .LBB15_1739
; %bb.1738:
	global_store_byte v[5:6], v1, off
.LBB15_1739:
	s_mov_b64 s[10:11], -1
.LBB15_1740:
	s_andn2_b64 vcc, exec, s[10:11]
	s_cbranch_vccnz .LBB15_2055
; %bb.1741:
	s_lshr_b32 s0, s16, 16
	s_and_b32 s16, s0, 0xff
	v_lshlrev_b32_e32 v1, s17, v8
	v_mov_b32_e32 v5, s9
	v_add_co_u32_e32 v3, vcc, s8, v4
	v_cndmask_b32_e64 v1, v1, 0, s[4:5]
	s_cmp_lt_i32 s16, 11
	v_addc_co_u32_e32 v4, vcc, 0, v5, vcc
	s_cbranch_scc1 .LBB15_1819
; %bb.1742:
	s_and_b32 s18, 0xffff, s16
	s_mov_b64 s[12:13], -1
	s_mov_b64 s[6:7], 0
	s_cmp_gt_i32 s18, 25
	s_mov_b64 s[10:11], 0
	s_mov_b64 s[0:1], 0
	s_cbranch_scc0 .LBB15_1775
; %bb.1743:
	s_cmp_gt_i32 s18, 28
	s_cbranch_scc0 .LBB15_1758
; %bb.1744:
	s_cmp_gt_i32 s18, 43
	;; [unrolled: 3-line block ×3, first 2 shown]
	s_cbranch_scc0 .LBB15_1748
; %bb.1746:
	s_mov_b64 s[0:1], -1
	s_mov_b64 s[12:13], 0
	s_cmp_eq_u32 s18, 46
	s_cbranch_scc0 .LBB15_1748
; %bb.1747:
	v_cvt_f32_ubyte0_e32 v5, v1
	v_bfe_u32 v6, v5, 16, 1
	s_movk_i32 s0, 0x7fff
	v_add3_u32 v5, v5, v6, s0
	v_lshrrev_b32_e32 v5, 16, v5
	global_store_dword v[3:4], v5, off
	s_mov_b64 s[0:1], 0
	s_mov_b64 s[10:11], -1
.LBB15_1748:
	s_and_b64 vcc, exec, s[12:13]
	s_cbranch_vccz .LBB15_1753
; %bb.1749:
	s_cmp_eq_u32 s18, 44
	s_mov_b64 s[0:1], -1
	s_cbranch_scc0 .LBB15_1753
; %bb.1750:
	v_cvt_f32_ubyte0_e32 v6, v1
	v_lshrrev_b32_e32 v5, 23, v6
	s_movk_i32 s0, 0xff
	v_cmp_ne_u32_e32 vcc, s0, v5
	v_mov_b32_e32 v7, 0xff
	s_and_saveexec_b64 s[10:11], vcc
; %bb.1751:
	s_mov_b32 s0, 0x3fffff
	v_and_b32_e32 v7, 0x400000, v6
	v_and_or_b32 v6, v6, s0, v5
	v_cmp_ne_u32_e32 vcc, 0, v7
	v_cmp_ne_u32_e64 s[0:1], 0, v6
	s_and_b64 s[0:1], vcc, s[0:1]
	v_cndmask_b32_e64 v6, 0, 1, s[0:1]
	v_add_u32_e32 v7, v5, v6
; %bb.1752:
	s_or_b64 exec, exec, s[10:11]
	s_mov_b64 s[0:1], 0
	s_mov_b64 s[10:11], -1
	global_store_byte v[3:4], v7, off
.LBB15_1753:
	s_mov_b64 s[12:13], 0
.LBB15_1754:
	s_and_b64 vcc, exec, s[12:13]
	s_cbranch_vccz .LBB15_1757
; %bb.1755:
	s_cmp_eq_u32 s18, 29
	s_mov_b64 s[0:1], -1
	s_cbranch_scc0 .LBB15_1757
; %bb.1756:
	v_and_b32_e32 v5, 0xff, v1
	v_mov_b32_e32 v6, 0
	global_store_dwordx2 v[3:4], v[5:6], off
	s_mov_b64 s[0:1], 0
	s_mov_b64 s[10:11], -1
.LBB15_1757:
	s_mov_b64 s[12:13], 0
.LBB15_1758:
	s_and_b64 vcc, exec, s[12:13]
	s_cbranch_vccz .LBB15_1774
; %bb.1759:
	s_cmp_lt_i32 s18, 27
	s_mov_b64 s[10:11], -1
	s_cbranch_scc1 .LBB15_1765
; %bb.1760:
	s_cmp_gt_i32 s18, 27
	s_cbranch_scc0 .LBB15_1762
; %bb.1761:
	v_and_b32_e32 v5, 0xff, v1
	s_mov_b64 s[10:11], 0
	global_store_dword v[3:4], v5, off
.LBB15_1762:
	s_andn2_b64 vcc, exec, s[10:11]
	s_cbranch_vccnz .LBB15_1764
; %bb.1763:
	v_and_b32_e32 v5, 0xff, v1
	global_store_short v[3:4], v5, off
.LBB15_1764:
	s_mov_b64 s[10:11], 0
.LBB15_1765:
	s_andn2_b64 vcc, exec, s[10:11]
	s_cbranch_vccnz .LBB15_1773
; %bb.1766:
	v_cvt_f32_ubyte0_e32 v6, v1
	s_mov_b32 s10, 0x43800000
	v_cmp_gt_u32_e32 vcc, s10, v6
	v_mov_b32_e32 v7, 0x80
	s_and_saveexec_b64 s[10:11], vcc
	s_cbranch_execz .LBB15_1772
; %bb.1767:
	s_mov_b32 s12, 0x3bffffff
	v_cmp_lt_u32_e32 vcc, s12, v6
	s_mov_b64 s[12:13], 0
                                        ; implicit-def: $vgpr5
	s_and_saveexec_b64 s[14:15], vcc
	s_xor_b64 s[14:15], exec, s[14:15]
	s_cbranch_execz .LBB15_2107
; %bb.1768:
	v_bfe_u32 v5, v6, 20, 1
	s_mov_b32 s19, 0x487ffff
	v_add3_u32 v5, v6, v5, s19
	s_mov_b64 s[12:13], exec
	v_lshrrev_b32_e32 v5, 20, v5
                                        ; implicit-def: $vgpr6
	s_andn2_saveexec_b64 s[14:15], s[14:15]
	s_cbranch_execnz .LBB15_2108
.LBB15_1769:
	s_or_b64 exec, exec, s[14:15]
	v_mov_b32_e32 v7, 0
	s_and_saveexec_b64 s[14:15], s[12:13]
.LBB15_1770:
	v_mov_b32_e32 v7, v5
.LBB15_1771:
	s_or_b64 exec, exec, s[14:15]
.LBB15_1772:
	s_or_b64 exec, exec, s[10:11]
	global_store_byte v[3:4], v7, off
.LBB15_1773:
	s_mov_b64 s[10:11], -1
.LBB15_1774:
	s_mov_b64 s[12:13], 0
.LBB15_1775:
	s_and_b64 vcc, exec, s[12:13]
	s_cbranch_vccz .LBB15_1815
; %bb.1776:
	s_cmp_gt_i32 s18, 22
	s_mov_b64 s[6:7], -1
	s_cbranch_scc0 .LBB15_1808
; %bb.1777:
	s_cmp_lt_i32 s18, 24
	s_cbranch_scc1 .LBB15_1797
; %bb.1778:
	s_cmp_gt_i32 s18, 24
	s_cbranch_scc0 .LBB15_1786
; %bb.1779:
	v_cvt_f32_ubyte0_e32 v6, v1
	s_mov_b32 s6, 0x47800000
	v_cmp_gt_u32_e32 vcc, s6, v6
	v_mov_b32_e32 v7, 0x80
	s_and_saveexec_b64 s[6:7], vcc
	s_cbranch_execz .LBB15_1785
; %bb.1780:
	s_mov_b32 s10, 0x37ffffff
	v_cmp_lt_u32_e32 vcc, s10, v6
	s_mov_b64 s[10:11], 0
                                        ; implicit-def: $vgpr5
	s_and_saveexec_b64 s[12:13], vcc
	s_xor_b64 s[12:13], exec, s[12:13]
	s_cbranch_execz .LBB15_2110
; %bb.1781:
	v_bfe_u32 v5, v6, 21, 1
	s_mov_b32 s14, 0x88fffff
	v_add3_u32 v5, v6, v5, s14
	s_mov_b64 s[10:11], exec
	v_lshrrev_b32_e32 v5, 21, v5
                                        ; implicit-def: $vgpr6
	s_andn2_saveexec_b64 s[12:13], s[12:13]
	s_cbranch_execnz .LBB15_2111
.LBB15_1782:
	s_or_b64 exec, exec, s[12:13]
	v_mov_b32_e32 v7, 0
	s_and_saveexec_b64 s[12:13], s[10:11]
.LBB15_1783:
	v_mov_b32_e32 v7, v5
.LBB15_1784:
	s_or_b64 exec, exec, s[12:13]
.LBB15_1785:
	s_or_b64 exec, exec, s[6:7]
	s_mov_b64 s[6:7], 0
	global_store_byte v[3:4], v7, off
.LBB15_1786:
	s_and_b64 vcc, exec, s[6:7]
	s_cbranch_vccz .LBB15_1796
; %bb.1787:
	v_cvt_f32_ubyte0_e32 v5, v1
	s_mov_b32 s6, 0x43f00000
	v_cmp_gt_u32_e32 vcc, s6, v5
                                        ; implicit-def: $vgpr6
	s_and_saveexec_b64 s[6:7], vcc
	s_xor_b64 s[6:7], exec, s[6:7]
	s_cbranch_execz .LBB15_1793
; %bb.1788:
	s_mov_b32 s10, 0x3c7fffff
	v_cmp_lt_u32_e32 vcc, s10, v5
                                        ; implicit-def: $vgpr6
	s_and_saveexec_b64 s[10:11], vcc
	s_xor_b64 s[10:11], exec, s[10:11]
; %bb.1789:
	v_bfe_u32 v6, v5, 20, 1
	s_mov_b32 s12, 0x407ffff
	v_add3_u32 v5, v5, v6, s12
	v_lshrrev_b32_e32 v6, 20, v5
	v_and_b32_e32 v5, 0xff00000, v5
	s_mov_b32 s12, 0x7f00000
	v_mov_b32_e32 v7, 0x7e
	v_cmp_ne_u32_e32 vcc, s12, v5
	v_cndmask_b32_e32 v6, v7, v6, vcc
                                        ; implicit-def: $vgpr5
; %bb.1790:
	s_andn2_saveexec_b64 s[10:11], s[10:11]
; %bb.1791:
	v_add_f32_e32 v6, 0x46800000, v5
; %bb.1792:
	s_or_b64 exec, exec, s[10:11]
                                        ; implicit-def: $vgpr5
.LBB15_1793:
	s_andn2_saveexec_b64 s[6:7], s[6:7]
; %bb.1794:
	s_mov_b32 s10, 0x7f800000
	v_mov_b32_e32 v6, 0x7e
	v_mov_b32_e32 v7, 0x7f
	v_cmp_lt_u32_e32 vcc, s10, v5
	v_cndmask_b32_e32 v6, v6, v7, vcc
; %bb.1795:
	s_or_b64 exec, exec, s[6:7]
	global_store_byte v[3:4], v6, off
.LBB15_1796:
	s_mov_b64 s[6:7], 0
.LBB15_1797:
	s_andn2_b64 vcc, exec, s[6:7]
	s_cbranch_vccnz .LBB15_1807
; %bb.1798:
	v_cvt_f32_ubyte0_e32 v5, v1
	s_mov_b32 s6, 0x47800000
	v_cmp_gt_u32_e32 vcc, s6, v5
                                        ; implicit-def: $vgpr6
	s_and_saveexec_b64 s[6:7], vcc
	s_xor_b64 s[6:7], exec, s[6:7]
	s_cbranch_execz .LBB15_1804
; %bb.1799:
	s_mov_b32 s10, 0x387fffff
	v_cmp_lt_u32_e32 vcc, s10, v5
                                        ; implicit-def: $vgpr6
	s_and_saveexec_b64 s[10:11], vcc
	s_xor_b64 s[10:11], exec, s[10:11]
; %bb.1800:
	v_bfe_u32 v6, v5, 21, 1
	s_mov_b32 s12, 0x80fffff
	v_add3_u32 v5, v5, v6, s12
	v_lshrrev_b32_e32 v6, 21, v5
                                        ; implicit-def: $vgpr5
; %bb.1801:
	s_andn2_saveexec_b64 s[10:11], s[10:11]
; %bb.1802:
	v_add_f32_e32 v6, 0x43000000, v5
; %bb.1803:
	s_or_b64 exec, exec, s[10:11]
                                        ; implicit-def: $vgpr5
.LBB15_1804:
	s_andn2_saveexec_b64 s[6:7], s[6:7]
; %bb.1805:
	s_mov_b32 s10, 0x7f800000
	v_mov_b32_e32 v6, 0x7c
	v_mov_b32_e32 v7, 0x7f
	v_cmp_lt_u32_e32 vcc, s10, v5
	v_cndmask_b32_e32 v6, v6, v7, vcc
; %bb.1806:
	s_or_b64 exec, exec, s[6:7]
	global_store_byte v[3:4], v6, off
.LBB15_1807:
	s_mov_b64 s[6:7], 0
	s_mov_b64 s[10:11], -1
.LBB15_1808:
	s_andn2_b64 vcc, exec, s[6:7]
	s_mov_b64 s[6:7], 0
	s_cbranch_vccnz .LBB15_1815
; %bb.1809:
	s_cmp_gt_i32 s18, 14
	s_mov_b64 s[12:13], -1
	s_cbranch_scc0 .LBB15_1813
; %bb.1810:
	s_cmp_eq_u32 s18, 15
	s_mov_b64 s[0:1], -1
	s_cbranch_scc0 .LBB15_1812
; %bb.1811:
	v_cvt_f32_ubyte0_e32 v5, v1
	v_bfe_u32 v6, v5, 16, 1
	s_movk_i32 s0, 0x7fff
	v_add3_u32 v5, v5, v6, s0
	global_store_short_d16_hi v[3:4], v5, off
	s_mov_b64 s[0:1], 0
	s_mov_b64 s[10:11], -1
.LBB15_1812:
	s_mov_b64 s[12:13], 0
.LBB15_1813:
	s_and_b64 vcc, exec, s[12:13]
	s_cbranch_vccz .LBB15_1815
; %bb.1814:
	s_cmp_lg_u32 s18, 11
	s_mov_b64 s[6:7], -1
	s_cselect_b64 s[0:1], -1, 0
.LBB15_1815:
	s_and_b64 vcc, exec, s[0:1]
	s_cbranch_vccnz .LBB15_2109
; %bb.1816:
	s_andn2_b64 vcc, exec, s[6:7]
	s_cbranch_vccnz .LBB15_1818
.LBB15_1817:
	v_mov_b32_e32 v5, 0
	v_cmp_ne_u16_sdwa s[0:1], v1, v5 src0_sel:BYTE_0 src1_sel:DWORD
	v_cndmask_b32_e64 v5, 0, 1, s[0:1]
	s_mov_b64 s[10:11], -1
	global_store_byte v[3:4], v5, off
.LBB15_1818:
	s_mov_b64 s[0:1], 0
	s_branch .LBB15_1820
.LBB15_1819:
	s_mov_b64 s[0:1], -1
	s_mov_b64 s[10:11], 0
.LBB15_1820:
	s_and_b64 vcc, exec, s[0:1]
	s_cbranch_vccz .LBB15_1859
; %bb.1821:
	s_and_b32 s6, 0xffff, s16
	s_cmp_lt_i32 s6, 5
	s_mov_b64 s[0:1], -1
	s_cbranch_scc1 .LBB15_1842
; %bb.1822:
	s_cmp_lt_i32 s6, 8
	s_cbranch_scc1 .LBB15_1832
; %bb.1823:
	s_cmp_lt_i32 s6, 9
	s_cbranch_scc1 .LBB15_1829
; %bb.1824:
	s_cmp_gt_i32 s6, 9
	s_cbranch_scc0 .LBB15_1826
; %bb.1825:
	s_mov_b32 s0, 0xffff
	v_and_b32_sdwa v5, s0, v1 dst_sel:DWORD dst_unused:UNUSED_PAD src0_sel:DWORD src1_sel:BYTE_0
	v_cvt_f64_u32_e32 v[5:6], v5
	v_mov_b32_e32 v7, 0
	v_mov_b32_e32 v8, v7
	s_mov_b64 s[0:1], 0
	global_store_dwordx4 v[3:4], v[5:8], off
.LBB15_1826:
	s_andn2_b64 vcc, exec, s[0:1]
	s_cbranch_vccnz .LBB15_1828
; %bb.1827:
	v_cvt_f32_ubyte0_e32 v5, v1
	v_mov_b32_e32 v6, 0
	global_store_dwordx2 v[3:4], v[5:6], off
.LBB15_1828:
	s_mov_b64 s[0:1], 0
.LBB15_1829:
	s_andn2_b64 vcc, exec, s[0:1]
	s_cbranch_vccnz .LBB15_1831
; %bb.1830:
	v_cvt_f16_u16_sdwa v5, v1 dst_sel:DWORD dst_unused:UNUSED_PAD src0_sel:BYTE_0
	global_store_dword v[3:4], v5, off
.LBB15_1831:
	s_mov_b64 s[0:1], 0
.LBB15_1832:
	s_andn2_b64 vcc, exec, s[0:1]
	s_cbranch_vccnz .LBB15_1841
; %bb.1833:
	s_cmp_lt_i32 s6, 6
	s_mov_b64 s[0:1], -1
	s_cbranch_scc1 .LBB15_1839
; %bb.1834:
	s_cmp_gt_i32 s6, 6
	s_cbranch_scc0 .LBB15_1836
; %bb.1835:
	s_mov_b32 s0, 0xffff
	v_and_b32_sdwa v5, s0, v1 dst_sel:DWORD dst_unused:UNUSED_PAD src0_sel:DWORD src1_sel:BYTE_0
	v_cvt_f64_u32_e32 v[5:6], v5
	s_mov_b64 s[0:1], 0
	global_store_dwordx2 v[3:4], v[5:6], off
.LBB15_1836:
	s_andn2_b64 vcc, exec, s[0:1]
	s_cbranch_vccnz .LBB15_1838
; %bb.1837:
	v_cvt_f32_ubyte0_e32 v5, v1
	global_store_dword v[3:4], v5, off
.LBB15_1838:
	s_mov_b64 s[0:1], 0
.LBB15_1839:
	s_andn2_b64 vcc, exec, s[0:1]
	s_cbranch_vccnz .LBB15_1841
; %bb.1840:
	v_cvt_f16_u16_sdwa v5, v1 dst_sel:DWORD dst_unused:UNUSED_PAD src0_sel:BYTE_0
	global_store_short v[3:4], v5, off
.LBB15_1841:
	s_mov_b64 s[0:1], 0
.LBB15_1842:
	s_andn2_b64 vcc, exec, s[0:1]
	s_cbranch_vccnz .LBB15_1858
; %bb.1843:
	s_cmp_lt_i32 s6, 2
	s_mov_b64 s[0:1], -1
	s_cbranch_scc1 .LBB15_1853
; %bb.1844:
	s_cmp_lt_i32 s6, 3
	s_cbranch_scc1 .LBB15_1850
; %bb.1845:
	s_cmp_gt_i32 s6, 3
	s_cbranch_scc0 .LBB15_1847
; %bb.1846:
	v_and_b32_e32 v5, 0xff, v1
	v_mov_b32_e32 v6, 0
	global_store_dwordx2 v[3:4], v[5:6], off
	s_mov_b64 s[0:1], 0
.LBB15_1847:
	s_andn2_b64 vcc, exec, s[0:1]
	s_cbranch_vccnz .LBB15_1849
; %bb.1848:
	v_and_b32_e32 v5, 0xff, v1
	global_store_dword v[3:4], v5, off
.LBB15_1849:
	s_mov_b64 s[0:1], 0
.LBB15_1850:
	s_andn2_b64 vcc, exec, s[0:1]
	s_cbranch_vccnz .LBB15_1852
; %bb.1851:
	v_and_b32_e32 v5, 0xff, v1
	global_store_short v[3:4], v5, off
.LBB15_1852:
	s_mov_b64 s[0:1], 0
.LBB15_1853:
	s_andn2_b64 vcc, exec, s[0:1]
	s_cbranch_vccnz .LBB15_1858
; %bb.1854:
	s_cmp_gt_i32 s6, 0
	s_mov_b64 s[0:1], -1
	s_cbranch_scc0 .LBB15_1856
; %bb.1855:
	global_store_byte v[3:4], v1, off
	s_mov_b64 s[0:1], 0
.LBB15_1856:
	s_andn2_b64 vcc, exec, s[0:1]
	s_cbranch_vccnz .LBB15_1858
; %bb.1857:
	global_store_byte v[3:4], v1, off
.LBB15_1858:
	s_mov_b64 s[10:11], -1
.LBB15_1859:
	s_andn2_b64 vcc, exec, s[10:11]
	s_cbranch_vccnz .LBB15_2055
; %bb.1860:
	v_lshlrev_b32_e32 v1, s17, v9
	v_cndmask_b32_e64 v3, v1, 0, s[4:5]
	v_mov_b32_e32 v4, s9
	v_add_co_u32_e32 v1, vcc, s8, v2
	s_cmp_lt_i32 s16, 11
	v_addc_co_u32_e32 v2, vcc, 0, v4, vcc
	s_cbranch_scc1 .LBB15_1938
; %bb.1861:
	s_and_b32 s18, 0xffff, s16
	s_mov_b64 s[12:13], -1
	s_mov_b64 s[6:7], 0
	s_cmp_gt_i32 s18, 25
	s_mov_b64 s[10:11], 0
	s_mov_b64 s[0:1], 0
	s_cbranch_scc0 .LBB15_1894
; %bb.1862:
	s_cmp_gt_i32 s18, 28
	s_cbranch_scc0 .LBB15_1877
; %bb.1863:
	s_cmp_gt_i32 s18, 43
	;; [unrolled: 3-line block ×3, first 2 shown]
	s_cbranch_scc0 .LBB15_1867
; %bb.1865:
	s_mov_b64 s[0:1], -1
	s_mov_b64 s[12:13], 0
	s_cmp_eq_u32 s18, 46
	s_cbranch_scc0 .LBB15_1867
; %bb.1866:
	v_cvt_f32_ubyte0_e32 v4, v3
	v_bfe_u32 v5, v4, 16, 1
	s_movk_i32 s0, 0x7fff
	v_add3_u32 v4, v4, v5, s0
	v_lshrrev_b32_e32 v4, 16, v4
	global_store_dword v[1:2], v4, off
	s_mov_b64 s[0:1], 0
	s_mov_b64 s[10:11], -1
.LBB15_1867:
	s_and_b64 vcc, exec, s[12:13]
	s_cbranch_vccz .LBB15_1872
; %bb.1868:
	s_cmp_eq_u32 s18, 44
	s_mov_b64 s[0:1], -1
	s_cbranch_scc0 .LBB15_1872
; %bb.1869:
	v_cvt_f32_ubyte0_e32 v5, v3
	v_lshrrev_b32_e32 v4, 23, v5
	s_movk_i32 s0, 0xff
	v_cmp_ne_u32_e32 vcc, s0, v4
	v_mov_b32_e32 v6, 0xff
	s_and_saveexec_b64 s[10:11], vcc
; %bb.1870:
	s_mov_b32 s0, 0x3fffff
	v_and_b32_e32 v6, 0x400000, v5
	v_and_or_b32 v5, v5, s0, v4
	v_cmp_ne_u32_e32 vcc, 0, v6
	v_cmp_ne_u32_e64 s[0:1], 0, v5
	s_and_b64 s[0:1], vcc, s[0:1]
	v_cndmask_b32_e64 v5, 0, 1, s[0:1]
	v_add_u32_e32 v6, v4, v5
; %bb.1871:
	s_or_b64 exec, exec, s[10:11]
	s_mov_b64 s[0:1], 0
	s_mov_b64 s[10:11], -1
	global_store_byte v[1:2], v6, off
.LBB15_1872:
	s_mov_b64 s[12:13], 0
.LBB15_1873:
	s_and_b64 vcc, exec, s[12:13]
	s_cbranch_vccz .LBB15_1876
; %bb.1874:
	s_cmp_eq_u32 s18, 29
	s_mov_b64 s[0:1], -1
	s_cbranch_scc0 .LBB15_1876
; %bb.1875:
	v_and_b32_e32 v4, 0xff, v3
	v_mov_b32_e32 v5, 0
	global_store_dwordx2 v[1:2], v[4:5], off
	s_mov_b64 s[0:1], 0
	s_mov_b64 s[10:11], -1
.LBB15_1876:
	s_mov_b64 s[12:13], 0
.LBB15_1877:
	s_and_b64 vcc, exec, s[12:13]
	s_cbranch_vccz .LBB15_1893
; %bb.1878:
	s_cmp_lt_i32 s18, 27
	s_mov_b64 s[10:11], -1
	s_cbranch_scc1 .LBB15_1884
; %bb.1879:
	s_cmp_gt_i32 s18, 27
	s_cbranch_scc0 .LBB15_1881
; %bb.1880:
	v_and_b32_e32 v4, 0xff, v3
	s_mov_b64 s[10:11], 0
	global_store_dword v[1:2], v4, off
.LBB15_1881:
	s_andn2_b64 vcc, exec, s[10:11]
	s_cbranch_vccnz .LBB15_1883
; %bb.1882:
	v_and_b32_e32 v4, 0xff, v3
	global_store_short v[1:2], v4, off
.LBB15_1883:
	s_mov_b64 s[10:11], 0
.LBB15_1884:
	s_andn2_b64 vcc, exec, s[10:11]
	s_cbranch_vccnz .LBB15_1892
; %bb.1885:
	v_cvt_f32_ubyte0_e32 v5, v3
	s_mov_b32 s10, 0x43800000
	v_cmp_gt_u32_e32 vcc, s10, v5
	v_mov_b32_e32 v6, 0x80
	s_and_saveexec_b64 s[10:11], vcc
	s_cbranch_execz .LBB15_1891
; %bb.1886:
	s_mov_b32 s12, 0x3bffffff
	v_cmp_lt_u32_e32 vcc, s12, v5
	s_mov_b64 s[12:13], 0
                                        ; implicit-def: $vgpr4
	s_and_saveexec_b64 s[14:15], vcc
	s_xor_b64 s[14:15], exec, s[14:15]
	s_cbranch_execz .LBB15_2112
; %bb.1887:
	v_bfe_u32 v4, v5, 20, 1
	s_mov_b32 s19, 0x487ffff
	v_add3_u32 v4, v5, v4, s19
	s_mov_b64 s[12:13], exec
	v_lshrrev_b32_e32 v4, 20, v4
                                        ; implicit-def: $vgpr5
	s_andn2_saveexec_b64 s[14:15], s[14:15]
	s_cbranch_execnz .LBB15_2113
.LBB15_1888:
	s_or_b64 exec, exec, s[14:15]
	v_mov_b32_e32 v6, 0
	s_and_saveexec_b64 s[14:15], s[12:13]
.LBB15_1889:
	v_mov_b32_e32 v6, v4
.LBB15_1890:
	s_or_b64 exec, exec, s[14:15]
.LBB15_1891:
	s_or_b64 exec, exec, s[10:11]
	global_store_byte v[1:2], v6, off
.LBB15_1892:
	s_mov_b64 s[10:11], -1
.LBB15_1893:
	s_mov_b64 s[12:13], 0
.LBB15_1894:
	s_and_b64 vcc, exec, s[12:13]
	s_cbranch_vccz .LBB15_1934
; %bb.1895:
	s_cmp_gt_i32 s18, 22
	s_mov_b64 s[6:7], -1
	s_cbranch_scc0 .LBB15_1927
; %bb.1896:
	s_cmp_lt_i32 s18, 24
	s_cbranch_scc1 .LBB15_1916
; %bb.1897:
	s_cmp_gt_i32 s18, 24
	s_cbranch_scc0 .LBB15_1905
; %bb.1898:
	v_cvt_f32_ubyte0_e32 v5, v3
	s_mov_b32 s6, 0x47800000
	v_cmp_gt_u32_e32 vcc, s6, v5
	v_mov_b32_e32 v6, 0x80
	s_and_saveexec_b64 s[6:7], vcc
	s_cbranch_execz .LBB15_1904
; %bb.1899:
	s_mov_b32 s10, 0x37ffffff
	v_cmp_lt_u32_e32 vcc, s10, v5
	s_mov_b64 s[10:11], 0
                                        ; implicit-def: $vgpr4
	s_and_saveexec_b64 s[12:13], vcc
	s_xor_b64 s[12:13], exec, s[12:13]
	s_cbranch_execz .LBB15_2115
; %bb.1900:
	v_bfe_u32 v4, v5, 21, 1
	s_mov_b32 s14, 0x88fffff
	v_add3_u32 v4, v5, v4, s14
	s_mov_b64 s[10:11], exec
	v_lshrrev_b32_e32 v4, 21, v4
                                        ; implicit-def: $vgpr5
	s_andn2_saveexec_b64 s[12:13], s[12:13]
	s_cbranch_execnz .LBB15_2116
.LBB15_1901:
	s_or_b64 exec, exec, s[12:13]
	v_mov_b32_e32 v6, 0
	s_and_saveexec_b64 s[12:13], s[10:11]
.LBB15_1902:
	v_mov_b32_e32 v6, v4
.LBB15_1903:
	s_or_b64 exec, exec, s[12:13]
.LBB15_1904:
	s_or_b64 exec, exec, s[6:7]
	s_mov_b64 s[6:7], 0
	global_store_byte v[1:2], v6, off
.LBB15_1905:
	s_and_b64 vcc, exec, s[6:7]
	s_cbranch_vccz .LBB15_1915
; %bb.1906:
	v_cvt_f32_ubyte0_e32 v4, v3
	s_mov_b32 s6, 0x43f00000
	v_cmp_gt_u32_e32 vcc, s6, v4
                                        ; implicit-def: $vgpr5
	s_and_saveexec_b64 s[6:7], vcc
	s_xor_b64 s[6:7], exec, s[6:7]
	s_cbranch_execz .LBB15_1912
; %bb.1907:
	s_mov_b32 s10, 0x3c7fffff
	v_cmp_lt_u32_e32 vcc, s10, v4
                                        ; implicit-def: $vgpr5
	s_and_saveexec_b64 s[10:11], vcc
	s_xor_b64 s[10:11], exec, s[10:11]
; %bb.1908:
	v_bfe_u32 v5, v4, 20, 1
	s_mov_b32 s12, 0x407ffff
	v_add3_u32 v4, v4, v5, s12
	v_lshrrev_b32_e32 v5, 20, v4
	v_and_b32_e32 v4, 0xff00000, v4
	s_mov_b32 s12, 0x7f00000
	v_mov_b32_e32 v6, 0x7e
	v_cmp_ne_u32_e32 vcc, s12, v4
	v_cndmask_b32_e32 v5, v6, v5, vcc
                                        ; implicit-def: $vgpr4
; %bb.1909:
	s_andn2_saveexec_b64 s[10:11], s[10:11]
; %bb.1910:
	v_add_f32_e32 v5, 0x46800000, v4
; %bb.1911:
	s_or_b64 exec, exec, s[10:11]
                                        ; implicit-def: $vgpr4
.LBB15_1912:
	s_andn2_saveexec_b64 s[6:7], s[6:7]
; %bb.1913:
	s_mov_b32 s10, 0x7f800000
	v_mov_b32_e32 v5, 0x7e
	v_mov_b32_e32 v6, 0x7f
	v_cmp_lt_u32_e32 vcc, s10, v4
	v_cndmask_b32_e32 v5, v5, v6, vcc
; %bb.1914:
	s_or_b64 exec, exec, s[6:7]
	global_store_byte v[1:2], v5, off
.LBB15_1915:
	s_mov_b64 s[6:7], 0
.LBB15_1916:
	s_andn2_b64 vcc, exec, s[6:7]
	s_cbranch_vccnz .LBB15_1926
; %bb.1917:
	v_cvt_f32_ubyte0_e32 v4, v3
	s_mov_b32 s6, 0x47800000
	v_cmp_gt_u32_e32 vcc, s6, v4
                                        ; implicit-def: $vgpr5
	s_and_saveexec_b64 s[6:7], vcc
	s_xor_b64 s[6:7], exec, s[6:7]
	s_cbranch_execz .LBB15_1923
; %bb.1918:
	s_mov_b32 s10, 0x387fffff
	v_cmp_lt_u32_e32 vcc, s10, v4
                                        ; implicit-def: $vgpr5
	s_and_saveexec_b64 s[10:11], vcc
	s_xor_b64 s[10:11], exec, s[10:11]
; %bb.1919:
	v_bfe_u32 v5, v4, 21, 1
	s_mov_b32 s12, 0x80fffff
	v_add3_u32 v4, v4, v5, s12
	v_lshrrev_b32_e32 v5, 21, v4
                                        ; implicit-def: $vgpr4
; %bb.1920:
	s_andn2_saveexec_b64 s[10:11], s[10:11]
; %bb.1921:
	v_add_f32_e32 v5, 0x43000000, v4
; %bb.1922:
	s_or_b64 exec, exec, s[10:11]
                                        ; implicit-def: $vgpr4
.LBB15_1923:
	s_andn2_saveexec_b64 s[6:7], s[6:7]
; %bb.1924:
	s_mov_b32 s10, 0x7f800000
	v_mov_b32_e32 v5, 0x7c
	v_mov_b32_e32 v6, 0x7f
	v_cmp_lt_u32_e32 vcc, s10, v4
	v_cndmask_b32_e32 v5, v5, v6, vcc
; %bb.1925:
	s_or_b64 exec, exec, s[6:7]
	global_store_byte v[1:2], v5, off
.LBB15_1926:
	s_mov_b64 s[6:7], 0
	s_mov_b64 s[10:11], -1
.LBB15_1927:
	s_andn2_b64 vcc, exec, s[6:7]
	s_mov_b64 s[6:7], 0
	s_cbranch_vccnz .LBB15_1934
; %bb.1928:
	s_cmp_gt_i32 s18, 14
	s_mov_b64 s[12:13], -1
	s_cbranch_scc0 .LBB15_1932
; %bb.1929:
	s_cmp_eq_u32 s18, 15
	s_mov_b64 s[0:1], -1
	s_cbranch_scc0 .LBB15_1931
; %bb.1930:
	v_cvt_f32_ubyte0_e32 v4, v3
	v_bfe_u32 v5, v4, 16, 1
	s_movk_i32 s0, 0x7fff
	v_add3_u32 v4, v4, v5, s0
	global_store_short_d16_hi v[1:2], v4, off
	s_mov_b64 s[0:1], 0
	s_mov_b64 s[10:11], -1
.LBB15_1931:
	s_mov_b64 s[12:13], 0
.LBB15_1932:
	s_and_b64 vcc, exec, s[12:13]
	s_cbranch_vccz .LBB15_1934
; %bb.1933:
	s_cmp_lg_u32 s18, 11
	s_mov_b64 s[6:7], -1
	s_cselect_b64 s[0:1], -1, 0
.LBB15_1934:
	s_and_b64 vcc, exec, s[0:1]
	s_cbranch_vccnz .LBB15_2114
; %bb.1935:
	s_andn2_b64 vcc, exec, s[6:7]
	s_cbranch_vccnz .LBB15_1937
.LBB15_1936:
	v_mov_b32_e32 v4, 0
	v_cmp_ne_u16_sdwa s[0:1], v3, v4 src0_sel:BYTE_0 src1_sel:DWORD
	v_cndmask_b32_e64 v4, 0, 1, s[0:1]
	s_mov_b64 s[10:11], -1
	global_store_byte v[1:2], v4, off
.LBB15_1937:
	s_mov_b64 s[0:1], 0
	s_branch .LBB15_1939
.LBB15_1938:
	s_mov_b64 s[0:1], -1
	s_mov_b64 s[10:11], 0
.LBB15_1939:
	s_and_b64 vcc, exec, s[0:1]
	s_cbranch_vccz .LBB15_1978
; %bb.1940:
	s_and_b32 s6, 0xffff, s16
	s_cmp_lt_i32 s6, 5
	s_mov_b64 s[0:1], -1
	s_cbranch_scc1 .LBB15_1961
; %bb.1941:
	s_cmp_lt_i32 s6, 8
	s_cbranch_scc1 .LBB15_1951
; %bb.1942:
	s_cmp_lt_i32 s6, 9
	s_cbranch_scc1 .LBB15_1948
; %bb.1943:
	s_cmp_gt_i32 s6, 9
	s_cbranch_scc0 .LBB15_1945
; %bb.1944:
	s_mov_b32 s0, 0xffff
	v_and_b32_sdwa v4, s0, v3 dst_sel:DWORD dst_unused:UNUSED_PAD src0_sel:DWORD src1_sel:BYTE_0
	v_cvt_f64_u32_e32 v[4:5], v4
	v_mov_b32_e32 v6, 0
	v_mov_b32_e32 v7, v6
	s_mov_b64 s[0:1], 0
	global_store_dwordx4 v[1:2], v[4:7], off
.LBB15_1945:
	s_andn2_b64 vcc, exec, s[0:1]
	s_cbranch_vccnz .LBB15_1947
; %bb.1946:
	v_cvt_f32_ubyte0_e32 v4, v3
	v_mov_b32_e32 v5, 0
	global_store_dwordx2 v[1:2], v[4:5], off
.LBB15_1947:
	s_mov_b64 s[0:1], 0
.LBB15_1948:
	s_andn2_b64 vcc, exec, s[0:1]
	s_cbranch_vccnz .LBB15_1950
; %bb.1949:
	v_cvt_f16_u16_sdwa v4, v3 dst_sel:DWORD dst_unused:UNUSED_PAD src0_sel:BYTE_0
	global_store_dword v[1:2], v4, off
.LBB15_1950:
	s_mov_b64 s[0:1], 0
.LBB15_1951:
	s_andn2_b64 vcc, exec, s[0:1]
	s_cbranch_vccnz .LBB15_1960
; %bb.1952:
	s_cmp_lt_i32 s6, 6
	s_mov_b64 s[0:1], -1
	s_cbranch_scc1 .LBB15_1958
; %bb.1953:
	s_cmp_gt_i32 s6, 6
	s_cbranch_scc0 .LBB15_1955
; %bb.1954:
	s_mov_b32 s0, 0xffff
	v_and_b32_sdwa v4, s0, v3 dst_sel:DWORD dst_unused:UNUSED_PAD src0_sel:DWORD src1_sel:BYTE_0
	v_cvt_f64_u32_e32 v[4:5], v4
	s_mov_b64 s[0:1], 0
	global_store_dwordx2 v[1:2], v[4:5], off
.LBB15_1955:
	s_andn2_b64 vcc, exec, s[0:1]
	s_cbranch_vccnz .LBB15_1957
; %bb.1956:
	v_cvt_f32_ubyte0_e32 v4, v3
	global_store_dword v[1:2], v4, off
.LBB15_1957:
	s_mov_b64 s[0:1], 0
.LBB15_1958:
	s_andn2_b64 vcc, exec, s[0:1]
	s_cbranch_vccnz .LBB15_1960
; %bb.1959:
	v_cvt_f16_u16_sdwa v4, v3 dst_sel:DWORD dst_unused:UNUSED_PAD src0_sel:BYTE_0
	global_store_short v[1:2], v4, off
.LBB15_1960:
	s_mov_b64 s[0:1], 0
.LBB15_1961:
	s_andn2_b64 vcc, exec, s[0:1]
	s_cbranch_vccnz .LBB15_1977
; %bb.1962:
	s_cmp_lt_i32 s6, 2
	s_mov_b64 s[0:1], -1
	s_cbranch_scc1 .LBB15_1972
; %bb.1963:
	s_cmp_lt_i32 s6, 3
	s_cbranch_scc1 .LBB15_1969
; %bb.1964:
	s_cmp_gt_i32 s6, 3
	s_cbranch_scc0 .LBB15_1966
; %bb.1965:
	v_and_b32_e32 v4, 0xff, v3
	v_mov_b32_e32 v5, 0
	global_store_dwordx2 v[1:2], v[4:5], off
	s_mov_b64 s[0:1], 0
.LBB15_1966:
	s_andn2_b64 vcc, exec, s[0:1]
	s_cbranch_vccnz .LBB15_1968
; %bb.1967:
	v_and_b32_e32 v4, 0xff, v3
	global_store_dword v[1:2], v4, off
.LBB15_1968:
	s_mov_b64 s[0:1], 0
.LBB15_1969:
	s_andn2_b64 vcc, exec, s[0:1]
	s_cbranch_vccnz .LBB15_1971
; %bb.1970:
	v_and_b32_e32 v4, 0xff, v3
	global_store_short v[1:2], v4, off
.LBB15_1971:
	s_mov_b64 s[0:1], 0
.LBB15_1972:
	s_andn2_b64 vcc, exec, s[0:1]
	s_cbranch_vccnz .LBB15_1977
; %bb.1973:
	s_cmp_gt_i32 s6, 0
	s_mov_b64 s[0:1], -1
	s_cbranch_scc0 .LBB15_1975
; %bb.1974:
	global_store_byte v[1:2], v3, off
	s_mov_b64 s[0:1], 0
.LBB15_1975:
	s_andn2_b64 vcc, exec, s[0:1]
	s_cbranch_vccnz .LBB15_1977
; %bb.1976:
	global_store_byte v[1:2], v3, off
.LBB15_1977:
	s_mov_b64 s[10:11], -1
.LBB15_1978:
	s_andn2_b64 vcc, exec, s[10:11]
	s_cbranch_vccnz .LBB15_2055
; %bb.1979:
	v_lshlrev_b32_e32 v1, s17, v10
	v_cndmask_b32_e64 v2, v1, 0, s[4:5]
	v_mov_b32_e32 v1, s9
	v_add_co_u32_e32 v0, vcc, s8, v0
	s_cmp_lt_i32 s16, 11
	v_addc_co_u32_e32 v1, vcc, 0, v1, vcc
	s_cbranch_scc1 .LBB15_2100
; %bb.1980:
	s_and_b32 s12, 0xffff, s16
	s_mov_b64 s[6:7], -1
	s_mov_b64 s[4:5], 0
	s_cmp_gt_i32 s12, 25
	s_mov_b64 s[0:1], 0
	s_cbranch_scc0 .LBB15_2013
; %bb.1981:
	s_cmp_gt_i32 s12, 28
	s_cbranch_scc0 .LBB15_1997
; %bb.1982:
	s_cmp_gt_i32 s12, 43
	;; [unrolled: 3-line block ×3, first 2 shown]
	s_cbranch_scc0 .LBB15_1987
; %bb.1984:
	s_cmp_eq_u32 s12, 46
	s_mov_b64 s[0:1], -1
	s_cbranch_scc0 .LBB15_1986
; %bb.1985:
	v_cvt_f32_ubyte0_e32 v3, v2
	v_bfe_u32 v4, v3, 16, 1
	s_movk_i32 s0, 0x7fff
	v_add3_u32 v3, v3, v4, s0
	v_lshrrev_b32_e32 v3, 16, v3
	global_store_dword v[0:1], v3, off
	s_mov_b64 s[0:1], 0
.LBB15_1986:
	s_mov_b64 s[6:7], 0
.LBB15_1987:
	s_and_b64 vcc, exec, s[6:7]
	s_cbranch_vccz .LBB15_1992
; %bb.1988:
	s_cmp_eq_u32 s12, 44
	s_mov_b64 s[0:1], -1
	s_cbranch_scc0 .LBB15_1992
; %bb.1989:
	v_cvt_f32_ubyte0_e32 v4, v2
	v_lshrrev_b32_e32 v3, 23, v4
	s_movk_i32 s0, 0xff
	v_cmp_ne_u32_e32 vcc, s0, v3
	v_mov_b32_e32 v5, 0xff
	s_and_saveexec_b64 s[6:7], vcc
; %bb.1990:
	s_mov_b32 s0, 0x3fffff
	v_and_b32_e32 v5, 0x400000, v4
	v_and_or_b32 v4, v4, s0, v3
	v_cmp_ne_u32_e32 vcc, 0, v5
	v_cmp_ne_u32_e64 s[0:1], 0, v4
	s_and_b64 s[0:1], vcc, s[0:1]
	v_cndmask_b32_e64 v4, 0, 1, s[0:1]
	v_add_u32_e32 v5, v3, v4
; %bb.1991:
	s_or_b64 exec, exec, s[6:7]
	s_mov_b64 s[0:1], 0
	global_store_byte v[0:1], v5, off
.LBB15_1992:
	s_mov_b64 s[6:7], 0
.LBB15_1993:
	s_and_b64 vcc, exec, s[6:7]
	s_cbranch_vccz .LBB15_1996
; %bb.1994:
	s_cmp_eq_u32 s12, 29
	s_mov_b64 s[0:1], -1
	s_cbranch_scc0 .LBB15_1996
; %bb.1995:
	v_and_b32_e32 v3, 0xff, v2
	v_mov_b32_e32 v4, 0
	global_store_dwordx2 v[0:1], v[3:4], off
	s_mov_b64 s[0:1], 0
.LBB15_1996:
	s_mov_b64 s[6:7], 0
.LBB15_1997:
	s_and_b64 vcc, exec, s[6:7]
	s_cbranch_vccz .LBB15_2012
; %bb.1998:
	s_cmp_lt_i32 s12, 27
	s_mov_b64 s[6:7], -1
	s_cbranch_scc1 .LBB15_2004
; %bb.1999:
	s_cmp_gt_i32 s12, 27
	s_cbranch_scc0 .LBB15_2001
; %bb.2000:
	v_and_b32_e32 v3, 0xff, v2
	global_store_dword v[0:1], v3, off
	s_mov_b64 s[6:7], 0
.LBB15_2001:
	s_andn2_b64 vcc, exec, s[6:7]
	s_cbranch_vccnz .LBB15_2003
; %bb.2002:
	v_and_b32_e32 v3, 0xff, v2
	global_store_short v[0:1], v3, off
.LBB15_2003:
	s_mov_b64 s[6:7], 0
.LBB15_2004:
	s_andn2_b64 vcc, exec, s[6:7]
	s_cbranch_vccnz .LBB15_2012
; %bb.2005:
	v_cvt_f32_ubyte0_e32 v4, v2
	s_mov_b32 s6, 0x43800000
	v_cmp_gt_u32_e32 vcc, s6, v4
	v_mov_b32_e32 v5, 0x80
	s_and_saveexec_b64 s[6:7], vcc
	s_cbranch_execz .LBB15_2011
; %bb.2006:
	s_mov_b32 s8, 0x3bffffff
	v_cmp_lt_u32_e32 vcc, s8, v4
	s_mov_b64 s[8:9], 0
                                        ; implicit-def: $vgpr3
	s_and_saveexec_b64 s[10:11], vcc
	s_xor_b64 s[10:11], exec, s[10:11]
	s_cbranch_execz .LBB15_2117
; %bb.2007:
	v_bfe_u32 v3, v4, 20, 1
	s_mov_b32 s13, 0x487ffff
	v_add3_u32 v3, v4, v3, s13
	s_mov_b64 s[8:9], exec
	v_lshrrev_b32_e32 v3, 20, v3
                                        ; implicit-def: $vgpr4
	s_andn2_saveexec_b64 s[10:11], s[10:11]
	s_cbranch_execnz .LBB15_2118
.LBB15_2008:
	s_or_b64 exec, exec, s[10:11]
	v_mov_b32_e32 v5, 0
	s_and_saveexec_b64 s[10:11], s[8:9]
.LBB15_2009:
	v_mov_b32_e32 v5, v3
.LBB15_2010:
	s_or_b64 exec, exec, s[10:11]
.LBB15_2011:
	s_or_b64 exec, exec, s[6:7]
	global_store_byte v[0:1], v5, off
.LBB15_2012:
	s_mov_b64 s[6:7], 0
.LBB15_2013:
	s_and_b64 vcc, exec, s[6:7]
	s_cbranch_vccz .LBB15_2053
; %bb.2014:
	s_cmp_gt_i32 s12, 22
	s_mov_b64 s[4:5], -1
	s_cbranch_scc0 .LBB15_2046
; %bb.2015:
	s_cmp_lt_i32 s12, 24
	s_cbranch_scc1 .LBB15_2035
; %bb.2016:
	s_cmp_gt_i32 s12, 24
	s_cbranch_scc0 .LBB15_2024
; %bb.2017:
	v_cvt_f32_ubyte0_e32 v4, v2
	s_mov_b32 s4, 0x47800000
	v_cmp_gt_u32_e32 vcc, s4, v4
	v_mov_b32_e32 v5, 0x80
	s_and_saveexec_b64 s[4:5], vcc
	s_cbranch_execz .LBB15_2023
; %bb.2018:
	s_mov_b32 s6, 0x37ffffff
	v_cmp_lt_u32_e32 vcc, s6, v4
	s_mov_b64 s[6:7], 0
                                        ; implicit-def: $vgpr3
	s_and_saveexec_b64 s[8:9], vcc
	s_xor_b64 s[8:9], exec, s[8:9]
	s_cbranch_execz .LBB15_2120
; %bb.2019:
	v_bfe_u32 v3, v4, 21, 1
	s_mov_b32 s10, 0x88fffff
	v_add3_u32 v3, v4, v3, s10
	s_mov_b64 s[6:7], exec
	v_lshrrev_b32_e32 v3, 21, v3
                                        ; implicit-def: $vgpr4
	s_andn2_saveexec_b64 s[8:9], s[8:9]
	s_cbranch_execnz .LBB15_2121
.LBB15_2020:
	s_or_b64 exec, exec, s[8:9]
	v_mov_b32_e32 v5, 0
	s_and_saveexec_b64 s[8:9], s[6:7]
.LBB15_2021:
	v_mov_b32_e32 v5, v3
.LBB15_2022:
	s_or_b64 exec, exec, s[8:9]
.LBB15_2023:
	s_or_b64 exec, exec, s[4:5]
	s_mov_b64 s[4:5], 0
	global_store_byte v[0:1], v5, off
.LBB15_2024:
	s_and_b64 vcc, exec, s[4:5]
	s_cbranch_vccz .LBB15_2034
; %bb.2025:
	v_cvt_f32_ubyte0_e32 v3, v2
	s_mov_b32 s4, 0x43f00000
	v_cmp_gt_u32_e32 vcc, s4, v3
                                        ; implicit-def: $vgpr4
	s_and_saveexec_b64 s[4:5], vcc
	s_xor_b64 s[4:5], exec, s[4:5]
	s_cbranch_execz .LBB15_2031
; %bb.2026:
	s_mov_b32 s6, 0x3c7fffff
	v_cmp_lt_u32_e32 vcc, s6, v3
                                        ; implicit-def: $vgpr4
	s_and_saveexec_b64 s[6:7], vcc
	s_xor_b64 s[6:7], exec, s[6:7]
; %bb.2027:
	v_bfe_u32 v4, v3, 20, 1
	s_mov_b32 s8, 0x407ffff
	v_add3_u32 v3, v3, v4, s8
	v_lshrrev_b32_e32 v4, 20, v3
	v_and_b32_e32 v3, 0xff00000, v3
	s_mov_b32 s8, 0x7f00000
	v_mov_b32_e32 v5, 0x7e
	v_cmp_ne_u32_e32 vcc, s8, v3
	v_cndmask_b32_e32 v4, v5, v4, vcc
                                        ; implicit-def: $vgpr3
; %bb.2028:
	s_andn2_saveexec_b64 s[6:7], s[6:7]
; %bb.2029:
	v_add_f32_e32 v4, 0x46800000, v3
; %bb.2030:
	s_or_b64 exec, exec, s[6:7]
                                        ; implicit-def: $vgpr3
.LBB15_2031:
	s_andn2_saveexec_b64 s[4:5], s[4:5]
; %bb.2032:
	s_mov_b32 s6, 0x7f800000
	v_mov_b32_e32 v4, 0x7e
	v_mov_b32_e32 v5, 0x7f
	v_cmp_lt_u32_e32 vcc, s6, v3
	v_cndmask_b32_e32 v4, v4, v5, vcc
; %bb.2033:
	s_or_b64 exec, exec, s[4:5]
	global_store_byte v[0:1], v4, off
.LBB15_2034:
	s_mov_b64 s[4:5], 0
.LBB15_2035:
	s_andn2_b64 vcc, exec, s[4:5]
	s_cbranch_vccnz .LBB15_2045
; %bb.2036:
	v_cvt_f32_ubyte0_e32 v3, v2
	s_mov_b32 s4, 0x47800000
	v_cmp_gt_u32_e32 vcc, s4, v3
                                        ; implicit-def: $vgpr4
	s_and_saveexec_b64 s[4:5], vcc
	s_xor_b64 s[4:5], exec, s[4:5]
	s_cbranch_execz .LBB15_2042
; %bb.2037:
	s_mov_b32 s6, 0x387fffff
	v_cmp_lt_u32_e32 vcc, s6, v3
                                        ; implicit-def: $vgpr4
	s_and_saveexec_b64 s[6:7], vcc
	s_xor_b64 s[6:7], exec, s[6:7]
; %bb.2038:
	v_bfe_u32 v4, v3, 21, 1
	s_mov_b32 s8, 0x80fffff
	v_add3_u32 v3, v3, v4, s8
	v_lshrrev_b32_e32 v4, 21, v3
                                        ; implicit-def: $vgpr3
; %bb.2039:
	s_andn2_saveexec_b64 s[6:7], s[6:7]
; %bb.2040:
	v_add_f32_e32 v4, 0x43000000, v3
; %bb.2041:
	s_or_b64 exec, exec, s[6:7]
                                        ; implicit-def: $vgpr3
.LBB15_2042:
	s_andn2_saveexec_b64 s[4:5], s[4:5]
; %bb.2043:
	s_mov_b32 s6, 0x7f800000
	v_mov_b32_e32 v4, 0x7c
	v_mov_b32_e32 v5, 0x7f
	v_cmp_lt_u32_e32 vcc, s6, v3
	v_cndmask_b32_e32 v4, v4, v5, vcc
; %bb.2044:
	s_or_b64 exec, exec, s[4:5]
	global_store_byte v[0:1], v4, off
.LBB15_2045:
	s_mov_b64 s[4:5], 0
.LBB15_2046:
	s_andn2_b64 vcc, exec, s[4:5]
	s_mov_b64 s[4:5], 0
	s_cbranch_vccnz .LBB15_2053
; %bb.2047:
	s_cmp_gt_i32 s12, 14
	s_mov_b64 s[6:7], -1
	s_cbranch_scc0 .LBB15_2051
; %bb.2048:
	s_cmp_eq_u32 s12, 15
	s_mov_b64 s[0:1], -1
	s_cbranch_scc0 .LBB15_2050
; %bb.2049:
	v_cvt_f32_ubyte0_e32 v3, v2
	v_bfe_u32 v4, v3, 16, 1
	s_movk_i32 s0, 0x7fff
	v_add3_u32 v3, v3, v4, s0
	global_store_short_d16_hi v[0:1], v3, off
	s_mov_b64 s[0:1], 0
.LBB15_2050:
	s_mov_b64 s[6:7], 0
.LBB15_2051:
	s_and_b64 vcc, exec, s[6:7]
	s_cbranch_vccz .LBB15_2053
; %bb.2052:
	s_cmp_lg_u32 s12, 11
	s_mov_b64 s[4:5], -1
	s_cselect_b64 s[0:1], -1, 0
.LBB15_2053:
	s_and_b64 vcc, exec, s[0:1]
	s_cbranch_vccnz .LBB15_2119
.LBB15_2054:
	s_mov_b64 s[0:1], 0
	s_branch .LBB15_2056
.LBB15_2055:
	s_mov_b64 s[0:1], 0
	s_mov_b64 s[4:5], 0
                                        ; implicit-def: $vgpr0_vgpr1
                                        ; implicit-def: $sgpr16
                                        ; implicit-def: $vgpr2
.LBB15_2056:
	s_and_b64 s[6:7], s[4:5], exec
	s_andn2_b64 s[4:5], s[28:29], exec
	s_and_b64 s[2:3], s[2:3], exec
	s_and_b64 s[0:1], s[0:1], exec
	s_or_b64 s[28:29], s[4:5], s[2:3]
.LBB15_2057:
	s_or_b64 exec, exec, s[30:31]
	s_and_saveexec_b64 s[2:3], s[28:29]
	s_cbranch_execz .LBB15_2060
; %bb.2058:
	; divergent unreachable
	s_or_b64 exec, exec, s[2:3]
	s_and_saveexec_b64 s[2:3], s[6:7]
	s_xor_b64 s[2:3], exec, s[2:3]
	s_cbranch_execnz .LBB15_2061
.LBB15_2059:
	s_or_b64 exec, exec, s[2:3]
	s_and_saveexec_b64 s[2:3], s[0:1]
	s_cbranch_execnz .LBB15_2062
	s_branch .LBB15_2099
.LBB15_2060:
	s_or_b64 exec, exec, s[2:3]
	s_and_saveexec_b64 s[2:3], s[6:7]
	s_xor_b64 s[2:3], exec, s[2:3]
	s_cbranch_execz .LBB15_2059
.LBB15_2061:
	s_waitcnt vmcnt(0)
	v_mov_b32_e32 v3, 0
	v_cmp_ne_u16_sdwa s[4:5], v2, v3 src0_sel:BYTE_0 src1_sel:DWORD
	v_cndmask_b32_e64 v3, 0, 1, s[4:5]
	global_store_byte v[0:1], v3, off
	s_or_b64 exec, exec, s[2:3]
	s_and_saveexec_b64 s[2:3], s[0:1]
	s_cbranch_execz .LBB15_2099
.LBB15_2062:
	s_sext_i32_i16 s2, s16
	s_cmp_lt_i32 s2, 5
	s_mov_b64 s[0:1], -1
	s_cbranch_scc1 .LBB15_2083
; %bb.2063:
	s_cmp_lt_i32 s2, 8
	s_cbranch_scc1 .LBB15_2073
; %bb.2064:
	s_cmp_lt_i32 s2, 9
	s_cbranch_scc1 .LBB15_2070
; %bb.2065:
	s_cmp_gt_i32 s2, 9
	s_cbranch_scc0 .LBB15_2067
; %bb.2066:
	s_mov_b32 s0, 0xffff
	s_waitcnt vmcnt(0)
	v_and_b32_sdwa v3, s0, v2 dst_sel:DWORD dst_unused:UNUSED_PAD src0_sel:DWORD src1_sel:BYTE_0
	v_cvt_f64_u32_e32 v[3:4], v3
	v_mov_b32_e32 v5, 0
	v_mov_b32_e32 v6, v5
	s_mov_b64 s[0:1], 0
	global_store_dwordx4 v[0:1], v[3:6], off
.LBB15_2067:
	s_andn2_b64 vcc, exec, s[0:1]
	s_cbranch_vccnz .LBB15_2069
; %bb.2068:
	s_waitcnt vmcnt(0)
	v_cvt_f32_ubyte0_e32 v3, v2
	v_mov_b32_e32 v4, 0
	global_store_dwordx2 v[0:1], v[3:4], off
.LBB15_2069:
	s_mov_b64 s[0:1], 0
.LBB15_2070:
	s_andn2_b64 vcc, exec, s[0:1]
	s_cbranch_vccnz .LBB15_2072
; %bb.2071:
	s_waitcnt vmcnt(0)
	v_cvt_f16_u16_sdwa v3, v2 dst_sel:DWORD dst_unused:UNUSED_PAD src0_sel:BYTE_0
	global_store_dword v[0:1], v3, off
.LBB15_2072:
	s_mov_b64 s[0:1], 0
.LBB15_2073:
	s_andn2_b64 vcc, exec, s[0:1]
	s_cbranch_vccnz .LBB15_2082
; %bb.2074:
	s_sext_i32_i16 s2, s16
	s_cmp_lt_i32 s2, 6
	s_mov_b64 s[0:1], -1
	s_cbranch_scc1 .LBB15_2080
; %bb.2075:
	s_cmp_gt_i32 s2, 6
	s_cbranch_scc0 .LBB15_2077
; %bb.2076:
	s_mov_b32 s0, 0xffff
	s_waitcnt vmcnt(0)
	v_and_b32_sdwa v3, s0, v2 dst_sel:DWORD dst_unused:UNUSED_PAD src0_sel:DWORD src1_sel:BYTE_0
	v_cvt_f64_u32_e32 v[3:4], v3
	s_mov_b64 s[0:1], 0
	global_store_dwordx2 v[0:1], v[3:4], off
.LBB15_2077:
	s_andn2_b64 vcc, exec, s[0:1]
	s_cbranch_vccnz .LBB15_2079
; %bb.2078:
	s_waitcnt vmcnt(0)
	v_cvt_f32_ubyte0_e32 v3, v2
	global_store_dword v[0:1], v3, off
.LBB15_2079:
	s_mov_b64 s[0:1], 0
.LBB15_2080:
	s_andn2_b64 vcc, exec, s[0:1]
	s_cbranch_vccnz .LBB15_2082
; %bb.2081:
	s_waitcnt vmcnt(0)
	v_cvt_f16_u16_sdwa v3, v2 dst_sel:DWORD dst_unused:UNUSED_PAD src0_sel:BYTE_0
	global_store_short v[0:1], v3, off
.LBB15_2082:
	s_mov_b64 s[0:1], 0
.LBB15_2083:
	s_andn2_b64 vcc, exec, s[0:1]
	s_cbranch_vccnz .LBB15_2099
; %bb.2084:
	s_sext_i32_i16 s2, s16
	s_cmp_lt_i32 s2, 2
	s_mov_b64 s[0:1], -1
	s_cbranch_scc1 .LBB15_2094
; %bb.2085:
	s_cmp_lt_i32 s2, 3
	s_cbranch_scc1 .LBB15_2091
; %bb.2086:
	s_cmp_gt_i32 s2, 3
	s_cbranch_scc0 .LBB15_2088
; %bb.2087:
	s_waitcnt vmcnt(0)
	v_and_b32_e32 v3, 0xff, v2
	v_mov_b32_e32 v4, 0
	global_store_dwordx2 v[0:1], v[3:4], off
	s_mov_b64 s[0:1], 0
.LBB15_2088:
	s_andn2_b64 vcc, exec, s[0:1]
	s_cbranch_vccnz .LBB15_2090
; %bb.2089:
	s_waitcnt vmcnt(0)
	v_and_b32_e32 v3, 0xff, v2
	global_store_dword v[0:1], v3, off
.LBB15_2090:
	s_mov_b64 s[0:1], 0
.LBB15_2091:
	s_andn2_b64 vcc, exec, s[0:1]
	s_cbranch_vccnz .LBB15_2093
; %bb.2092:
	s_waitcnt vmcnt(0)
	v_and_b32_e32 v3, 0xff, v2
	global_store_short v[0:1], v3, off
.LBB15_2093:
	s_mov_b64 s[0:1], 0
.LBB15_2094:
	s_andn2_b64 vcc, exec, s[0:1]
	s_cbranch_vccnz .LBB15_2099
; %bb.2095:
	s_sext_i32_i16 s0, s16
	s_cmp_gt_i32 s0, 0
	s_mov_b64 s[0:1], -1
	s_cbranch_scc0 .LBB15_2097
; %bb.2096:
	global_store_byte v[0:1], v2, off
	s_mov_b64 s[0:1], 0
.LBB15_2097:
	s_andn2_b64 vcc, exec, s[0:1]
	s_cbranch_vccnz .LBB15_2099
; %bb.2098:
	global_store_byte v[0:1], v2, off
	s_endpgm
.LBB15_2099:
	s_endpgm
.LBB15_2100:
	s_mov_b64 s[4:5], 0
	s_mov_b64 s[0:1], -1
	s_branch .LBB15_2056
.LBB15_2101:
	s_trap 2
	s_or_b64 s[2:3], s[2:3], exec
	s_cbranch_execz .LBB15_1570
	s_branch .LBB15_1571
.LBB15_2102:
	s_andn2_saveexec_b64 s[14:15], s[14:15]
	s_cbranch_execz .LBB15_1650
.LBB15_2103:
	v_add_f32_e32 v3, 0x46000000, v7
	v_and_b32_e32 v3, 0xff, v3
	v_cmp_ne_u32_e32 vcc, 0, v3
	s_andn2_b64 s[12:13], s[12:13], exec
	s_and_b64 s[20:21], vcc, exec
	s_or_b64 s[12:13], s[12:13], s[20:21]
	s_or_b64 exec, exec, s[14:15]
	v_mov_b32_e32 v11, 0
	s_and_saveexec_b64 s[14:15], s[12:13]
	s_cbranch_execnz .LBB15_1651
	s_branch .LBB15_1652
.LBB15_2104:
	s_trap 2
	s_or_b64 s[2:3], s[2:3], exec
	s_cbranch_execz .LBB15_1698
	s_branch .LBB15_1699
.LBB15_2105:
	s_andn2_saveexec_b64 s[12:13], s[12:13]
	s_cbranch_execz .LBB15_1663
.LBB15_2106:
	v_add_f32_e32 v3, 0x42800000, v7
	v_and_b32_e32 v3, 0xff, v3
	v_cmp_ne_u32_e32 vcc, 0, v3
	s_andn2_b64 s[10:11], s[10:11], exec
	s_and_b64 s[14:15], vcc, exec
	s_or_b64 s[10:11], s[10:11], s[14:15]
	s_or_b64 exec, exec, s[12:13]
	v_mov_b32_e32 v11, 0
	s_and_saveexec_b64 s[12:13], s[10:11]
	s_cbranch_execnz .LBB15_1664
	s_branch .LBB15_1665
.LBB15_2107:
	s_andn2_saveexec_b64 s[14:15], s[14:15]
	s_cbranch_execz .LBB15_1769
.LBB15_2108:
	v_add_f32_e32 v5, 0x46000000, v6
	v_and_b32_e32 v5, 0xff, v5
	v_cmp_ne_u32_e32 vcc, 0, v5
	s_andn2_b64 s[12:13], s[12:13], exec
	s_and_b64 s[20:21], vcc, exec
	s_or_b64 s[12:13], s[12:13], s[20:21]
	s_or_b64 exec, exec, s[14:15]
	v_mov_b32_e32 v7, 0
	s_and_saveexec_b64 s[14:15], s[12:13]
	s_cbranch_execnz .LBB15_1770
	s_branch .LBB15_1771
.LBB15_2109:
	s_trap 2
	s_or_b64 s[2:3], s[2:3], exec
	s_cbranch_execz .LBB15_1817
	s_branch .LBB15_1818
.LBB15_2110:
	s_andn2_saveexec_b64 s[12:13], s[12:13]
	s_cbranch_execz .LBB15_1782
.LBB15_2111:
	v_add_f32_e32 v5, 0x42800000, v6
	v_and_b32_e32 v5, 0xff, v5
	v_cmp_ne_u32_e32 vcc, 0, v5
	s_andn2_b64 s[10:11], s[10:11], exec
	s_and_b64 s[14:15], vcc, exec
	s_or_b64 s[10:11], s[10:11], s[14:15]
	s_or_b64 exec, exec, s[12:13]
	v_mov_b32_e32 v7, 0
	s_and_saveexec_b64 s[12:13], s[10:11]
	s_cbranch_execnz .LBB15_1783
	s_branch .LBB15_1784
.LBB15_2112:
	s_andn2_saveexec_b64 s[14:15], s[14:15]
	s_cbranch_execz .LBB15_1888
.LBB15_2113:
	v_add_f32_e32 v4, 0x46000000, v5
	v_and_b32_e32 v4, 0xff, v4
	v_cmp_ne_u32_e32 vcc, 0, v4
	s_andn2_b64 s[12:13], s[12:13], exec
	s_and_b64 s[20:21], vcc, exec
	s_or_b64 s[12:13], s[12:13], s[20:21]
	s_or_b64 exec, exec, s[14:15]
	v_mov_b32_e32 v6, 0
	s_and_saveexec_b64 s[14:15], s[12:13]
	s_cbranch_execnz .LBB15_1889
	s_branch .LBB15_1890
.LBB15_2114:
	s_trap 2
	s_or_b64 s[2:3], s[2:3], exec
	s_cbranch_execz .LBB15_1936
	s_branch .LBB15_1937
.LBB15_2115:
	s_andn2_saveexec_b64 s[12:13], s[12:13]
	s_cbranch_execz .LBB15_1901
.LBB15_2116:
	v_add_f32_e32 v4, 0x42800000, v5
	v_and_b32_e32 v4, 0xff, v4
	v_cmp_ne_u32_e32 vcc, 0, v4
	s_andn2_b64 s[10:11], s[10:11], exec
	s_and_b64 s[14:15], vcc, exec
	s_or_b64 s[10:11], s[10:11], s[14:15]
	s_or_b64 exec, exec, s[12:13]
	v_mov_b32_e32 v6, 0
	s_and_saveexec_b64 s[12:13], s[10:11]
	s_cbranch_execnz .LBB15_1902
	s_branch .LBB15_1903
.LBB15_2117:
	s_andn2_saveexec_b64 s[10:11], s[10:11]
	s_cbranch_execz .LBB15_2008
.LBB15_2118:
	v_add_f32_e32 v3, 0x46000000, v4
	v_and_b32_e32 v3, 0xff, v3
	v_cmp_ne_u32_e32 vcc, 0, v3
	s_andn2_b64 s[8:9], s[8:9], exec
	s_and_b64 s[14:15], vcc, exec
	s_or_b64 s[8:9], s[8:9], s[14:15]
	s_or_b64 exec, exec, s[10:11]
	v_mov_b32_e32 v5, 0
	s_and_saveexec_b64 s[10:11], s[8:9]
	s_cbranch_execnz .LBB15_2009
	s_branch .LBB15_2010
.LBB15_2119:
	s_mov_b64 s[4:5], 0
	s_or_b64 s[2:3], s[2:3], exec
	s_trap 2
	s_branch .LBB15_2054
.LBB15_2120:
	s_andn2_saveexec_b64 s[8:9], s[8:9]
	s_cbranch_execz .LBB15_2020
.LBB15_2121:
	v_add_f32_e32 v3, 0x42800000, v4
	v_and_b32_e32 v3, 0xff, v3
	v_cmp_ne_u32_e32 vcc, 0, v3
	s_andn2_b64 s[6:7], s[6:7], exec
	s_and_b64 s[10:11], vcc, exec
	s_or_b64 s[6:7], s[6:7], s[10:11]
	s_or_b64 exec, exec, s[8:9]
	v_mov_b32_e32 v5, 0
	s_and_saveexec_b64 s[8:9], s[6:7]
	s_cbranch_execnz .LBB15_2021
	s_branch .LBB15_2022
	.section	.rodata,"a",@progbits
	.p2align	6, 0x0
	.amdhsa_kernel _ZN2at6native32elementwise_kernel_manual_unrollILi128ELi4EZNS0_15gpu_kernel_implINS0_13BUnaryFunctorIhhhZZZNS0_18lshift_kernel_cudaERNS_18TensorIteratorBaseEENKUlvE_clEvENKUlvE_clEvEUlhhE_EEEEvS5_RKT_EUlibE0_EEviT1_
		.amdhsa_group_segment_fixed_size 0
		.amdhsa_private_segment_fixed_size 0
		.amdhsa_kernarg_size 360
		.amdhsa_user_sgpr_count 6
		.amdhsa_user_sgpr_private_segment_buffer 1
		.amdhsa_user_sgpr_dispatch_ptr 0
		.amdhsa_user_sgpr_queue_ptr 0
		.amdhsa_user_sgpr_kernarg_segment_ptr 1
		.amdhsa_user_sgpr_dispatch_id 0
		.amdhsa_user_sgpr_flat_scratch_init 0
		.amdhsa_user_sgpr_private_segment_size 0
		.amdhsa_uses_dynamic_stack 0
		.amdhsa_system_sgpr_private_segment_wavefront_offset 0
		.amdhsa_system_sgpr_workgroup_id_x 1
		.amdhsa_system_sgpr_workgroup_id_y 0
		.amdhsa_system_sgpr_workgroup_id_z 0
		.amdhsa_system_sgpr_workgroup_info 0
		.amdhsa_system_vgpr_workitem_id 0
		.amdhsa_next_free_vgpr 18
		.amdhsa_next_free_sgpr 81
		.amdhsa_reserve_vcc 1
		.amdhsa_reserve_flat_scratch 0
		.amdhsa_float_round_mode_32 0
		.amdhsa_float_round_mode_16_64 0
		.amdhsa_float_denorm_mode_32 3
		.amdhsa_float_denorm_mode_16_64 3
		.amdhsa_dx10_clamp 1
		.amdhsa_ieee_mode 1
		.amdhsa_fp16_overflow 0
		.amdhsa_exception_fp_ieee_invalid_op 0
		.amdhsa_exception_fp_denorm_src 0
		.amdhsa_exception_fp_ieee_div_zero 0
		.amdhsa_exception_fp_ieee_overflow 0
		.amdhsa_exception_fp_ieee_underflow 0
		.amdhsa_exception_fp_ieee_inexact 0
		.amdhsa_exception_int_div_zero 0
	.end_amdhsa_kernel
	.section	.text._ZN2at6native32elementwise_kernel_manual_unrollILi128ELi4EZNS0_15gpu_kernel_implINS0_13BUnaryFunctorIhhhZZZNS0_18lshift_kernel_cudaERNS_18TensorIteratorBaseEENKUlvE_clEvENKUlvE_clEvEUlhhE_EEEEvS5_RKT_EUlibE0_EEviT1_,"axG",@progbits,_ZN2at6native32elementwise_kernel_manual_unrollILi128ELi4EZNS0_15gpu_kernel_implINS0_13BUnaryFunctorIhhhZZZNS0_18lshift_kernel_cudaERNS_18TensorIteratorBaseEENKUlvE_clEvENKUlvE_clEvEUlhhE_EEEEvS5_RKT_EUlibE0_EEviT1_,comdat
.Lfunc_end15:
	.size	_ZN2at6native32elementwise_kernel_manual_unrollILi128ELi4EZNS0_15gpu_kernel_implINS0_13BUnaryFunctorIhhhZZZNS0_18lshift_kernel_cudaERNS_18TensorIteratorBaseEENKUlvE_clEvENKUlvE_clEvEUlhhE_EEEEvS5_RKT_EUlibE0_EEviT1_, .Lfunc_end15-_ZN2at6native32elementwise_kernel_manual_unrollILi128ELi4EZNS0_15gpu_kernel_implINS0_13BUnaryFunctorIhhhZZZNS0_18lshift_kernel_cudaERNS_18TensorIteratorBaseEENKUlvE_clEvENKUlvE_clEvEUlhhE_EEEEvS5_RKT_EUlibE0_EEviT1_
                                        ; -- End function
	.set _ZN2at6native32elementwise_kernel_manual_unrollILi128ELi4EZNS0_15gpu_kernel_implINS0_13BUnaryFunctorIhhhZZZNS0_18lshift_kernel_cudaERNS_18TensorIteratorBaseEENKUlvE_clEvENKUlvE_clEvEUlhhE_EEEEvS5_RKT_EUlibE0_EEviT1_.num_vgpr, 18
	.set _ZN2at6native32elementwise_kernel_manual_unrollILi128ELi4EZNS0_15gpu_kernel_implINS0_13BUnaryFunctorIhhhZZZNS0_18lshift_kernel_cudaERNS_18TensorIteratorBaseEENKUlvE_clEvENKUlvE_clEvEUlhhE_EEEEvS5_RKT_EUlibE0_EEviT1_.num_agpr, 0
	.set _ZN2at6native32elementwise_kernel_manual_unrollILi128ELi4EZNS0_15gpu_kernel_implINS0_13BUnaryFunctorIhhhZZZNS0_18lshift_kernel_cudaERNS_18TensorIteratorBaseEENKUlvE_clEvENKUlvE_clEvEUlhhE_EEEEvS5_RKT_EUlibE0_EEviT1_.numbered_sgpr, 81
	.set _ZN2at6native32elementwise_kernel_manual_unrollILi128ELi4EZNS0_15gpu_kernel_implINS0_13BUnaryFunctorIhhhZZZNS0_18lshift_kernel_cudaERNS_18TensorIteratorBaseEENKUlvE_clEvENKUlvE_clEvEUlhhE_EEEEvS5_RKT_EUlibE0_EEviT1_.num_named_barrier, 0
	.set _ZN2at6native32elementwise_kernel_manual_unrollILi128ELi4EZNS0_15gpu_kernel_implINS0_13BUnaryFunctorIhhhZZZNS0_18lshift_kernel_cudaERNS_18TensorIteratorBaseEENKUlvE_clEvENKUlvE_clEvEUlhhE_EEEEvS5_RKT_EUlibE0_EEviT1_.private_seg_size, 0
	.set _ZN2at6native32elementwise_kernel_manual_unrollILi128ELi4EZNS0_15gpu_kernel_implINS0_13BUnaryFunctorIhhhZZZNS0_18lshift_kernel_cudaERNS_18TensorIteratorBaseEENKUlvE_clEvENKUlvE_clEvEUlhhE_EEEEvS5_RKT_EUlibE0_EEviT1_.uses_vcc, 1
	.set _ZN2at6native32elementwise_kernel_manual_unrollILi128ELi4EZNS0_15gpu_kernel_implINS0_13BUnaryFunctorIhhhZZZNS0_18lshift_kernel_cudaERNS_18TensorIteratorBaseEENKUlvE_clEvENKUlvE_clEvEUlhhE_EEEEvS5_RKT_EUlibE0_EEviT1_.uses_flat_scratch, 0
	.set _ZN2at6native32elementwise_kernel_manual_unrollILi128ELi4EZNS0_15gpu_kernel_implINS0_13BUnaryFunctorIhhhZZZNS0_18lshift_kernel_cudaERNS_18TensorIteratorBaseEENKUlvE_clEvENKUlvE_clEvEUlhhE_EEEEvS5_RKT_EUlibE0_EEviT1_.has_dyn_sized_stack, 0
	.set _ZN2at6native32elementwise_kernel_manual_unrollILi128ELi4EZNS0_15gpu_kernel_implINS0_13BUnaryFunctorIhhhZZZNS0_18lshift_kernel_cudaERNS_18TensorIteratorBaseEENKUlvE_clEvENKUlvE_clEvEUlhhE_EEEEvS5_RKT_EUlibE0_EEviT1_.has_recursion, 0
	.set _ZN2at6native32elementwise_kernel_manual_unrollILi128ELi4EZNS0_15gpu_kernel_implINS0_13BUnaryFunctorIhhhZZZNS0_18lshift_kernel_cudaERNS_18TensorIteratorBaseEENKUlvE_clEvENKUlvE_clEvEUlhhE_EEEEvS5_RKT_EUlibE0_EEviT1_.has_indirect_call, 0
	.section	.AMDGPU.csdata,"",@progbits
; Kernel info:
; codeLenInByte = 38800
; TotalNumSgprs: 85
; NumVgprs: 18
; ScratchSize: 0
; MemoryBound: 1
; FloatMode: 240
; IeeeMode: 1
; LDSByteSize: 0 bytes/workgroup (compile time only)
; SGPRBlocks: 10
; VGPRBlocks: 4
; NumSGPRsForWavesPerEU: 85
; NumVGPRsForWavesPerEU: 18
; Occupancy: 9
; WaveLimiterHint : 1
; COMPUTE_PGM_RSRC2:SCRATCH_EN: 0
; COMPUTE_PGM_RSRC2:USER_SGPR: 6
; COMPUTE_PGM_RSRC2:TRAP_HANDLER: 0
; COMPUTE_PGM_RSRC2:TGID_X_EN: 1
; COMPUTE_PGM_RSRC2:TGID_Y_EN: 0
; COMPUTE_PGM_RSRC2:TGID_Z_EN: 0
; COMPUTE_PGM_RSRC2:TIDIG_COMP_CNT: 0
	.section	.text._ZN2at6native29vectorized_elementwise_kernelILi16ENS0_13BinaryFunctorIhhhZZZNS0_18lshift_kernel_cudaERNS_18TensorIteratorBaseEENKUlvE_clEvENKUlvE_clEvEUlhhE_EESt5arrayIPcLm3EEEEviT0_T1_,"axG",@progbits,_ZN2at6native29vectorized_elementwise_kernelILi16ENS0_13BinaryFunctorIhhhZZZNS0_18lshift_kernel_cudaERNS_18TensorIteratorBaseEENKUlvE_clEvENKUlvE_clEvEUlhhE_EESt5arrayIPcLm3EEEEviT0_T1_,comdat
	.globl	_ZN2at6native29vectorized_elementwise_kernelILi16ENS0_13BinaryFunctorIhhhZZZNS0_18lshift_kernel_cudaERNS_18TensorIteratorBaseEENKUlvE_clEvENKUlvE_clEvEUlhhE_EESt5arrayIPcLm3EEEEviT0_T1_ ; -- Begin function _ZN2at6native29vectorized_elementwise_kernelILi16ENS0_13BinaryFunctorIhhhZZZNS0_18lshift_kernel_cudaERNS_18TensorIteratorBaseEENKUlvE_clEvENKUlvE_clEvEUlhhE_EESt5arrayIPcLm3EEEEviT0_T1_
	.p2align	8
	.type	_ZN2at6native29vectorized_elementwise_kernelILi16ENS0_13BinaryFunctorIhhhZZZNS0_18lshift_kernel_cudaERNS_18TensorIteratorBaseEENKUlvE_clEvENKUlvE_clEvEUlhhE_EESt5arrayIPcLm3EEEEviT0_T1_,@function
_ZN2at6native29vectorized_elementwise_kernelILi16ENS0_13BinaryFunctorIhhhZZZNS0_18lshift_kernel_cudaERNS_18TensorIteratorBaseEENKUlvE_clEvENKUlvE_clEvEUlhhE_EESt5arrayIPcLm3EEEEviT0_T1_: ; @_ZN2at6native29vectorized_elementwise_kernelILi16ENS0_13BinaryFunctorIhhhZZZNS0_18lshift_kernel_cudaERNS_18TensorIteratorBaseEENKUlvE_clEvENKUlvE_clEvEUlhhE_EESt5arrayIPcLm3EEEEviT0_T1_
; %bb.0:
	s_load_dword s0, s[4:5], 0x0
	s_load_dwordx4 s[56:59], s[4:5], 0x8
	s_load_dwordx2 s[8:9], s[4:5], 0x18
	s_lshl_b32 s54, s6, 12
	s_waitcnt lgkmcnt(0)
	s_sub_i32 s33, s0, s54
	s_cmpk_gt_i32 s33, 0xfff
	s_mov_b64 s[0:1], -1
	s_cbranch_scc0 .LBB16_2
; %bb.1:
	s_ashr_i32 s4, s54, 31
	s_add_u32 s0, s58, s54
	s_addc_u32 s1, s59, s4
	s_add_u32 s2, s8, s54
	v_lshlrev_b32_e32 v9, 4, v0
	s_addc_u32 s3, s9, s4
	global_load_dwordx4 v[1:4], v9, s[2:3]
	global_load_dwordx4 v[5:8], v9, s[0:1]
	v_mov_b32_e32 v10, 8
	s_movk_i32 s2, 0xff
	s_add_u32 s0, s56, s54
	s_addc_u32 s1, s57, s4
	s_waitcnt vmcnt(1)
	v_cmp_lt_u16_sdwa vcc, v1, v10 src0_sel:BYTE_0 src1_sel:DWORD
	s_waitcnt vmcnt(0)
	v_lshlrev_b32_e32 v15, v1, v5
	v_lshlrev_b32_sdwa v16, v1, v5 dst_sel:DWORD dst_unused:UNUSED_PAD src0_sel:BYTE_1 src1_sel:BYTE_1
	v_cndmask_b32_e32 v15, 0, v15, vcc
	v_cmp_lt_u16_sdwa vcc, v1, v10 src0_sel:BYTE_1 src1_sel:DWORD
	v_and_b32_sdwa v11, v1, s2 dst_sel:DWORD dst_unused:UNUSED_PAD src0_sel:WORD_1 src1_sel:DWORD
	v_lshlrev_b32_sdwa v17, v1, v5 dst_sel:DWORD dst_unused:UNUSED_PAD src0_sel:BYTE_3 src1_sel:BYTE_3
	v_cndmask_b32_e32 v16, 0, v16, vcc
	v_cmp_lt_u16_sdwa vcc, v1, v10 src0_sel:BYTE_3 src1_sel:DWORD
	v_lshlrev_b32_sdwa v5, v1, v5 dst_sel:DWORD dst_unused:UNUSED_PAD src0_sel:WORD_1 src1_sel:WORD_1
	v_cndmask_b32_e32 v1, 0, v17, vcc
	v_cmp_gt_u16_e32 vcc, 8, v11
	v_lshlrev_b32_e32 v18, v2, v6
	v_cndmask_b32_e32 v5, 0, v5, vcc
	v_cmp_lt_u16_sdwa vcc, v2, v10 src0_sel:BYTE_0 src1_sel:DWORD
	v_lshlrev_b32_sdwa v19, v2, v6 dst_sel:DWORD dst_unused:UNUSED_PAD src0_sel:BYTE_1 src1_sel:BYTE_1
	v_cndmask_b32_e32 v11, 0, v18, vcc
	v_cmp_lt_u16_sdwa vcc, v2, v10 src0_sel:BYTE_1 src1_sel:DWORD
	v_and_b32_sdwa v12, v2, s2 dst_sel:DWORD dst_unused:UNUSED_PAD src0_sel:WORD_1 src1_sel:DWORD
	v_lshlrev_b32_sdwa v20, v2, v6 dst_sel:DWORD dst_unused:UNUSED_PAD src0_sel:BYTE_3 src1_sel:BYTE_3
	v_cndmask_b32_e32 v17, 0, v19, vcc
	v_cmp_lt_u16_sdwa vcc, v2, v10 src0_sel:BYTE_3 src1_sel:DWORD
	v_lshlrev_b32_sdwa v6, v2, v6 dst_sel:DWORD dst_unused:UNUSED_PAD src0_sel:WORD_1 src1_sel:WORD_1
	v_cndmask_b32_e32 v2, 0, v20, vcc
	v_cmp_gt_u16_e32 vcc, 8, v12
	v_lshlrev_b32_e32 v21, v3, v7
	v_cndmask_b32_e32 v6, 0, v6, vcc
	v_cmp_lt_u16_sdwa vcc, v3, v10 src0_sel:BYTE_0 src1_sel:DWORD
	;; [unrolled: 13-line block ×3, first 2 shown]
	v_lshlrev_b32_sdwa v25, v4, v8 dst_sel:DWORD dst_unused:UNUSED_PAD src0_sel:BYTE_1 src1_sel:BYTE_1
	v_cndmask_b32_e32 v13, 0, v24, vcc
	v_cmp_lt_u16_sdwa vcc, v4, v10 src0_sel:BYTE_1 src1_sel:DWORD
	v_and_b32_sdwa v14, v4, s2 dst_sel:DWORD dst_unused:UNUSED_PAD src0_sel:WORD_1 src1_sel:DWORD
	v_lshlrev_b32_sdwa v26, v4, v8 dst_sel:DWORD dst_unused:UNUSED_PAD src0_sel:BYTE_3 src1_sel:BYTE_3
	v_cndmask_b32_e32 v19, 0, v25, vcc
	v_cmp_lt_u16_sdwa vcc, v4, v10 src0_sel:BYTE_3 src1_sel:DWORD
	v_lshlrev_b32_sdwa v8, v4, v8 dst_sel:DWORD dst_unused:UNUSED_PAD src0_sel:WORD_1 src1_sel:WORD_1
	v_cndmask_b32_e32 v4, 0, v26, vcc
	v_cmp_gt_u16_e32 vcc, 8, v14
	v_cndmask_b32_e32 v8, 0, v8, vcc
	v_lshlrev_b16_e32 v10, 8, v16
	v_lshlrev_b16_e32 v1, 8, v1
	;; [unrolled: 1-line block ×8, first 2 shown]
	v_or_b32_sdwa v10, v15, v10 dst_sel:DWORD dst_unused:UNUSED_PAD src0_sel:BYTE_0 src1_sel:DWORD
	v_or_b32_sdwa v1, v5, v1 dst_sel:WORD_1 dst_unused:UNUSED_PAD src0_sel:BYTE_0 src1_sel:DWORD
	v_or_b32_sdwa v5, v11, v14 dst_sel:DWORD dst_unused:UNUSED_PAD src0_sel:BYTE_0 src1_sel:DWORD
	v_or_b32_sdwa v2, v6, v2 dst_sel:WORD_1 dst_unused:UNUSED_PAD src0_sel:BYTE_0 src1_sel:DWORD
	;; [unrolled: 2-line block ×4, first 2 shown]
	v_or_b32_sdwa v1, v10, v1 dst_sel:DWORD dst_unused:UNUSED_PAD src0_sel:WORD_0 src1_sel:DWORD
	v_or_b32_sdwa v2, v5, v2 dst_sel:DWORD dst_unused:UNUSED_PAD src0_sel:WORD_0 src1_sel:DWORD
	;; [unrolled: 1-line block ×4, first 2 shown]
	global_store_dwordx4 v9, v[1:4], s[0:1]
	s_mov_b64 s[0:1], 0
.LBB16_2:
	s_andn2_b64 vcc, exec, s[0:1]
	s_cbranch_vccnz .LBB16_54
; %bb.3:
	v_cmp_gt_i32_e32 vcc, s33, v0
	v_cmp_le_i32_e64 s[0:1], s33, v0
                                        ; implicit-def: $vgpr5
	s_and_saveexec_b64 s[2:3], s[0:1]
	s_xor_b64 s[0:1], exec, s[2:3]
; %bb.4:
	v_or_b32_e32 v5, 0x100, v0
; %bb.5:
	s_or_saveexec_b64 s[2:3], s[0:1]
	v_mov_b32_e32 v38, 0
	v_mov_b32_e32 v7, 0
	v_or_b32_e32 v6, s54, v0
	v_mov_b32_e32 v37, 0
	v_mov_b32_e32 v36, 0
	;; [unrolled: 1-line block ×30, first 2 shown]
	s_xor_b64 exec, exec, s[2:3]
	s_cbranch_execz .LBB16_37
; %bb.6:
	global_load_ubyte v19, v6, s[58:59]
	global_load_ubyte v20, v6, s[8:9]
	v_or_b32_e32 v5, 0x100, v0
	v_cmp_gt_u32_e64 s[0:1], s33, v5
	v_mov_b32_e32 v7, 0
	v_mov_b32_e32 v18, 0
	;; [unrolled: 1-line block ×30, first 2 shown]
	s_and_saveexec_b64 s[4:5], s[0:1]
	s_cbranch_execz .LBB16_36
; %bb.7:
	v_add_u32_e32 v3, s54, v0
	global_load_ubyte v21, v3, s[58:59] offset:256
	global_load_ubyte v18, v3, s[8:9] offset:256
	v_or_b32_e32 v1, 0x200, v0
	v_mov_b32_e32 v22, 0
	v_cmp_gt_u32_e64 s[0:1], s33, v1
	v_mov_b32_e32 v26, 0
	v_mov_b32_e32 v23, 0
	;; [unrolled: 1-line block ×27, first 2 shown]
	s_and_saveexec_b64 s[6:7], s[0:1]
	s_cbranch_execz .LBB16_35
; %bb.8:
	v_mov_b32_e32 v2, s59
	v_add_co_u32_e64 v1, s[0:1], s58, v3
	v_addc_co_u32_e64 v2, s[0:1], 0, v2, s[0:1]
	v_mov_b32_e32 v4, s9
	v_add_co_u32_e64 v3, s[0:1], s8, v3
	v_addc_co_u32_e64 v4, s[0:1], 0, v4, s[0:1]
	global_load_ubyte v26, v[1:2], off offset:512
	global_load_ubyte v22, v[3:4], off offset:512
	v_or_b32_e32 v7, 0x300, v0
	v_cmp_gt_u32_e64 s[0:1], s33, v7
	v_mov_b32_e32 v7, 0
	v_mov_b32_e32 v23, 0
	;; [unrolled: 1-line block ×26, first 2 shown]
	s_and_saveexec_b64 s[8:9], s[0:1]
	s_cbranch_execz .LBB16_34
; %bb.9:
	global_load_ubyte v25, v[1:2], off offset:768
	global_load_ubyte v23, v[3:4], off offset:768
	v_or_b32_e32 v7, 0x400, v0
	v_cmp_gt_u32_e64 s[0:1], s33, v7
	v_mov_b32_e32 v7, 0
	v_mov_b32_e32 v8, 0
	;; [unrolled: 1-line block ×24, first 2 shown]
	s_and_saveexec_b64 s[10:11], s[0:1]
	s_cbranch_execz .LBB16_33
; %bb.10:
	global_load_ubyte v9, v[1:2], off offset:1024
	global_load_ubyte v8, v[3:4], off offset:1024
	v_or_b32_e32 v7, 0x500, v0
	v_cmp_gt_u32_e64 s[0:1], s33, v7
	v_mov_b32_e32 v7, 0
	v_mov_b32_e32 v10, 0
	;; [unrolled: 1-line block ×22, first 2 shown]
	s_and_saveexec_b64 s[12:13], s[0:1]
	s_cbranch_execz .LBB16_32
; %bb.11:
	global_load_ubyte v12, v[1:2], off offset:1280
	global_load_ubyte v10, v[3:4], off offset:1280
	v_or_b32_e32 v7, 0x600, v0
	v_cmp_gt_u32_e64 s[0:1], s33, v7
	v_mov_b32_e32 v7, 0
	v_mov_b32_e32 v13, 0
	;; [unrolled: 1-line block ×20, first 2 shown]
	s_and_saveexec_b64 s[14:15], s[0:1]
	s_cbranch_execz .LBB16_31
; %bb.12:
	global_load_ubyte v15, v[1:2], off offset:1536
	global_load_ubyte v13, v[3:4], off offset:1536
	v_or_b32_e32 v7, 0x700, v0
	v_cmp_gt_u32_e64 s[0:1], s33, v7
	v_mov_b32_e32 v7, 0
	v_mov_b32_e32 v11, 0
	;; [unrolled: 1-line block ×18, first 2 shown]
	s_and_saveexec_b64 s[16:17], s[0:1]
	s_cbranch_execz .LBB16_30
; %bb.13:
	global_load_ubyte v14, v[1:2], off offset:1792
	global_load_ubyte v11, v[3:4], off offset:1792
	v_or_b32_e32 v7, 0x800, v0
	v_cmp_gt_u32_e64 s[0:1], s33, v7
	v_mov_b32_e32 v7, 0
	v_mov_b32_e32 v16, 0
	;; [unrolled: 1-line block ×16, first 2 shown]
	s_and_saveexec_b64 s[18:19], s[0:1]
	s_cbranch_execz .LBB16_29
; %bb.14:
	global_load_ubyte v17, v[1:2], off offset:2048
	global_load_ubyte v16, v[3:4], off offset:2048
	v_or_b32_e32 v7, 0x900, v0
	v_cmp_gt_u32_e64 s[0:1], s33, v7
	v_mov_b32_e32 v7, 0
	v_mov_b32_e32 v24, 0
	;; [unrolled: 1-line block ×14, first 2 shown]
	s_and_saveexec_b64 s[20:21], s[0:1]
	s_cbranch_execz .LBB16_28
; %bb.15:
	global_load_ubyte v27, v[1:2], off offset:2304
	global_load_ubyte v24, v[3:4], off offset:2304
	v_or_b32_e32 v7, 0xa00, v0
	v_cmp_gt_u32_e64 s[0:1], s33, v7
	v_mov_b32_e32 v7, 0
	v_mov_b32_e32 v28, 0
	;; [unrolled: 1-line block ×12, first 2 shown]
	s_and_saveexec_b64 s[22:23], s[0:1]
	s_cbranch_execz .LBB16_27
; %bb.16:
	global_load_ubyte v29, v[1:2], off offset:2560
	global_load_ubyte v28, v[3:4], off offset:2560
	v_or_b32_e32 v7, 0xb00, v0
	v_cmp_gt_u32_e64 s[0:1], s33, v7
	v_mov_b32_e32 v7, 0
	v_mov_b32_e32 v30, 0
	;; [unrolled: 1-line block ×10, first 2 shown]
	s_and_saveexec_b64 s[24:25], s[0:1]
	s_cbranch_execz .LBB16_26
; %bb.17:
	global_load_ubyte v31, v[1:2], off offset:2816
	global_load_ubyte v30, v[3:4], off offset:2816
	v_or_b32_e32 v7, 0xc00, v0
	v_cmp_gt_u32_e64 s[0:1], s33, v7
	v_mov_b32_e32 v7, 0
	v_mov_b32_e32 v32, 0
	;; [unrolled: 1-line block ×8, first 2 shown]
	s_and_saveexec_b64 s[26:27], s[0:1]
	s_cbranch_execz .LBB16_25
; %bb.18:
	global_load_ubyte v33, v[1:2], off offset:3072
	global_load_ubyte v32, v[3:4], off offset:3072
	v_or_b32_e32 v7, 0xd00, v0
	v_cmp_gt_u32_e64 s[0:1], s33, v7
	v_mov_b32_e32 v7, 0
	v_mov_b32_e32 v34, 0
	;; [unrolled: 1-line block ×6, first 2 shown]
	s_and_saveexec_b64 s[28:29], s[0:1]
	s_cbranch_execz .LBB16_24
; %bb.19:
	global_load_ubyte v35, v[1:2], off offset:3328
	global_load_ubyte v34, v[3:4], off offset:3328
	v_or_b32_e32 v7, 0xe00, v0
	v_cmp_gt_u32_e64 s[0:1], s33, v7
	v_mov_b32_e32 v7, 0
	v_mov_b32_e32 v36, 0
	;; [unrolled: 1-line block ×4, first 2 shown]
	s_and_saveexec_b64 s[30:31], s[0:1]
	s_cbranch_execz .LBB16_23
; %bb.20:
	global_load_ubyte v37, v[1:2], off offset:3584
	global_load_ubyte v36, v[3:4], off offset:3584
	v_or_b32_e32 v7, 0xf00, v0
	v_cmp_gt_u32_e64 s[0:1], s33, v7
	v_mov_b32_e32 v7, 0
	v_mov_b32_e32 v38, 0
	s_and_saveexec_b64 s[34:35], s[0:1]
	s_cbranch_execz .LBB16_22
; %bb.21:
	global_load_ubyte v7, v[1:2], off offset:3840
	global_load_ubyte v38, v[3:4], off offset:3840
.LBB16_22:
	s_or_b64 exec, exec, s[34:35]
.LBB16_23:
	s_or_b64 exec, exec, s[30:31]
.LBB16_24:
	s_or_b64 exec, exec, s[28:29]
.LBB16_25:
	s_or_b64 exec, exec, s[26:27]
.LBB16_26:
	s_or_b64 exec, exec, s[24:25]
.LBB16_27:
	s_or_b64 exec, exec, s[22:23]
.LBB16_28:
	s_or_b64 exec, exec, s[20:21]
.LBB16_29:
	s_or_b64 exec, exec, s[18:19]
.LBB16_30:
	s_or_b64 exec, exec, s[16:17]
.LBB16_31:
	s_or_b64 exec, exec, s[14:15]
.LBB16_32:
	s_or_b64 exec, exec, s[12:13]
.LBB16_33:
	s_or_b64 exec, exec, s[10:11]
.LBB16_34:
	s_or_b64 exec, exec, s[8:9]
.LBB16_35:
	s_or_b64 exec, exec, s[6:7]
.LBB16_36:
	s_or_b64 exec, exec, s[4:5]
.LBB16_37:
	s_or_b64 exec, exec, s[2:3]
	s_and_saveexec_b64 s[0:1], vcc
	s_cbranch_execz .LBB16_54
; %bb.38:
	s_waitcnt vmcnt(0)
	v_lshlrev_b32_e32 v1, v20, v19
	v_mov_b32_e32 v19, 8
	v_cmp_lt_u16_sdwa s[0:1], v20, v19 src0_sel:BYTE_0 src1_sel:DWORD
	v_cndmask_b32_e64 v1, 0, v1, s[0:1]
	s_mov_b32 s58, 0xffff
	v_and_b32_sdwa v1, s58, v1 dst_sel:DWORD dst_unused:UNUSED_PAD src0_sel:DWORD src1_sel:BYTE_0
	v_cndmask_b32_e32 v1, 0, v1, vcc
	v_lshlrev_b32_e32 v2, v18, v21
	v_cmp_lt_u16_sdwa vcc, v18, v19 src0_sel:BYTE_0 src1_sel:DWORD
	v_cndmask_b32_e32 v2, 0, v2, vcc
	v_lshlrev_b16_e32 v2, 8, v2
	v_or_b32_e32 v2, v1, v2
	v_and_b32_e32 v2, 0xffff, v2
	v_cmp_gt_i32_e64 s[52:53], s33, v5
	v_lshlrev_b32_e32 v3, v22, v26
	v_cmp_lt_u16_sdwa vcc, v22, v19 src0_sel:BYTE_0 src1_sel:DWORD
	v_cndmask_b32_e64 v1, v1, v2, s[52:53]
	v_cndmask_b32_e32 v3, 0, v3, vcc
	s_mov_b32 s59, 0xc0c0304
	v_or_b32_e32 v2, 0x200, v0
	v_perm_b32 v3, v3, v1, s59
	v_lshl_or_b32 v3, v3, 16, v1
	v_cmp_gt_i32_e64 s[18:19], s33, v2
	v_lshlrev_b32_e32 v4, v23, v25
	v_cmp_lt_u16_sdwa vcc, v23, v19 src0_sel:BYTE_0 src1_sel:DWORD
	s_movk_i32 s55, 0xff
	v_cndmask_b32_e64 v1, v1, v3, s[18:19]
	v_cndmask_b32_e32 v4, 0, v4, vcc
	v_and_b32_sdwa v2, v1, s55 dst_sel:DWORD dst_unused:UNUSED_PAD src0_sel:WORD_1 src1_sel:DWORD
	v_lshlrev_b16_e32 v4, 8, v4
	v_or_b32_e32 v3, 0x300, v0
	v_or_b32_sdwa v2, v2, v4 dst_sel:WORD_1 dst_unused:UNUSED_PAD src0_sel:DWORD src1_sel:DWORD
	v_and_or_b32 v2, v1, s58, v2
	v_cmp_gt_i32_e64 s[20:21], s33, v3
	v_cndmask_b32_e64 v18, v1, v2, s[20:21]
	v_or_b32_e32 v1, 0x500, v0
	v_cmp_gt_i32_e64 s[16:17], s33, v1
	v_or_b32_e32 v1, 0x600, v0
	v_cmp_gt_i32_e64 s[14:15], s33, v1
	;; [unrolled: 2-line block ×7, first 2 shown]
	v_or_b32_e32 v1, 0xe00, v0
	v_or_b32_e32 v4, 0x400, v0
	;; [unrolled: 1-line block ×4, first 2 shown]
	v_cmp_gt_i32_e64 s[2:3], s33, v1
	v_or_b32_e32 v1, 0xf00, v0
	v_cmp_lt_u16_sdwa s[50:51], v8, v19 src0_sel:BYTE_0 src1_sel:DWORD
	v_cmp_gt_i32_e64 s[48:49], s33, v4
	v_cmp_lt_u16_sdwa vcc, v10, v19 src0_sel:BYTE_0 src1_sel:DWORD
	v_cmp_lt_u16_sdwa s[46:47], v13, v19 src0_sel:BYTE_0 src1_sel:DWORD
	v_cmp_lt_u16_sdwa s[44:45], v11, v19 src0_sel:BYTE_0 src1_sel:DWORD
	v_cmp_gt_i32_e64 s[38:39], s33, v3
	v_cmp_lt_u16_sdwa s[42:43], v16, v19 src0_sel:BYTE_0 src1_sel:DWORD
	v_cmp_lt_u16_sdwa s[40:41], v24, v19 src0_sel:BYTE_0 src1_sel:DWORD
	;; [unrolled: 1-line block ×5, first 2 shown]
	v_cmp_gt_i32_e64 s[30:31], s33, v2
	v_cmp_lt_u16_sdwa s[26:27], v34, v19 src0_sel:BYTE_0 src1_sel:DWORD
	v_cmp_lt_u16_sdwa s[24:25], v36, v19 src0_sel:BYTE_0 src1_sel:DWORD
	v_cmp_gt_i32_e64 s[0:1], s33, v1
	v_cmp_lt_u16_sdwa s[22:23], v38, v19 src0_sel:BYTE_0 src1_sel:DWORD
	global_store_byte v6, v18, s[56:57]
	s_and_b64 exec, exec, s[52:53]
	s_cbranch_execz .LBB16_54
; %bb.39:
	v_lshlrev_b32_e32 v1, v8, v9
	v_cndmask_b32_e64 v1, 0, v1, s[50:51]
	s_mov_b32 s50, 0x3020104
	v_perm_b32 v1, v1, 0, s50
	v_lshlrev_b32_e32 v6, v10, v12
	v_mov_b32_e32 v10, 0
	v_cndmask_b32_e64 v1, 0, v1, s[48:49]
	v_cndmask_b32_sdwa v6, v10, v6, vcc dst_sel:BYTE_1 dst_unused:UNUSED_PAD src0_sel:DWORD src1_sel:DWORD
	v_or_b32_sdwa v6, v1, v6 dst_sel:DWORD dst_unused:UNUSED_PAD src0_sel:BYTE_0 src1_sel:DWORD
	v_and_b32_e32 v6, 0xffff, v6
	s_mov_b32 s48, 0xffff0000
	v_and_or_b32 v6, v1, s48, v6
	v_cndmask_b32_e64 v1, v1, v6, s[16:17]
	v_lshlrev_b32_e32 v6, v13, v15
	v_cndmask_b32_e64 v6, 0, v6, s[46:47]
	s_mov_b32 s46, 0x7000504
	v_perm_b32 v6, v1, v6, s46
	v_lshlrev_b32_e32 v8, v11, v14
	v_cndmask_b32_e64 v1, v1, v6, s[14:15]
	v_cndmask_b32_e64 v8, 0, v8, s[44:45]
	v_and_b32_sdwa v6, v1, s55 dst_sel:DWORD dst_unused:UNUSED_PAD src0_sel:WORD_1 src1_sel:DWORD
	v_lshlrev_b16_e32 v8, 8, v8
	v_or_b32_sdwa v6, v6, v8 dst_sel:WORD_1 dst_unused:UNUSED_PAD src0_sel:DWORD src1_sel:DWORD
	v_and_or_b32 v6, v1, s58, v6
	v_cndmask_b32_e64 v9, v1, v6, s[12:13]
	v_lshlrev_b32_e32 v1, v16, v17
	v_cndmask_b32_e64 v1, 0, v1, s[42:43]
	v_lshlrev_b32_e32 v6, v24, v27
	v_and_b32_sdwa v1, s58, v1 dst_sel:DWORD dst_unused:UNUSED_PAD src0_sel:DWORD src1_sel:BYTE_0
	v_cndmask_b32_e64 v6, 0, v6, s[40:41]
	v_cndmask_b32_e64 v1, 0, v1, s[38:39]
	v_lshlrev_b16_e32 v6, 8, v6
	v_or_b32_e32 v6, v1, v6
	v_and_b32_e32 v6, 0xffff, v6
	v_cndmask_b32_e64 v1, v1, v6, s[10:11]
	v_lshlrev_b32_e32 v6, v28, v29
	v_cndmask_b32_e64 v6, 0, v6, s[36:37]
	v_perm_b32 v6, v6, v1, s59
	v_lshl_or_b32 v6, v6, 16, v1
	v_lshlrev_b32_e32 v8, v30, v31
	v_cndmask_b32_e64 v1, v1, v6, s[8:9]
	v_cndmask_b32_e64 v8, 0, v8, s[34:35]
	v_and_b32_sdwa v6, v1, s55 dst_sel:DWORD dst_unused:UNUSED_PAD src0_sel:WORD_1 src1_sel:DWORD
	v_lshlrev_b16_e32 v8, 8, v8
	v_or_b32_sdwa v6, v6, v8 dst_sel:WORD_1 dst_unused:UNUSED_PAD src0_sel:DWORD src1_sel:DWORD
	v_and_or_b32 v6, v1, s58, v6
	v_cndmask_b32_e64 v8, v1, v6, s[6:7]
	v_lshlrev_b32_e32 v1, v32, v33
	v_cndmask_b32_e64 v1, 0, v1, s[28:29]
	v_lshlrev_b32_e32 v6, v34, v35
	v_perm_b32 v1, v1, 0, s50
	v_cndmask_b32_e64 v6, 0, v6, s[26:27]
	v_cndmask_b32_e64 v1, 0, v1, s[30:31]
	v_lshlrev_b16_e32 v6, 8, v6
	v_or_b32_sdwa v6, v1, v6 dst_sel:DWORD dst_unused:UNUSED_PAD src0_sel:BYTE_0 src1_sel:DWORD
	v_and_b32_e32 v6, 0xffff, v6
	v_and_or_b32 v6, v1, s48, v6
	v_cndmask_b32_e64 v1, v1, v6, s[4:5]
	v_lshlrev_b32_e32 v6, v36, v37
	v_cndmask_b32_e64 v6, 0, v6, s[24:25]
	v_perm_b32 v6, v1, v6, s46
	v_cndmask_b32_e64 v1, v1, v6, s[2:3]
	v_lshlrev_b32_e32 v7, v38, v7
	s_mov_b64 vcc, s[22:23]
	v_and_b32_sdwa v6, v1, s55 dst_sel:DWORD dst_unused:UNUSED_PAD src0_sel:WORD_1 src1_sel:DWORD
	v_cndmask_b32_sdwa v7, v10, v7, vcc dst_sel:BYTE_1 dst_unused:UNUSED_PAD src0_sel:DWORD src1_sel:DWORD
	v_or_b32_sdwa v6, v6, v7 dst_sel:WORD_1 dst_unused:UNUSED_PAD src0_sel:DWORD src1_sel:DWORD
	v_and_or_b32 v6, v1, s58, v6
	v_cndmask_b32_e64 v6, v1, v6, s[0:1]
	v_or_b32_e32 v1, s54, v5
	v_lshrrev_b32_e32 v5, 8, v18
	global_store_byte v1, v5, s[56:57]
	s_and_b64 exec, exec, s[18:19]
	s_cbranch_execz .LBB16_54
; %bb.40:
	v_add_u32_e32 v0, s54, v0
	global_store_byte_d16_hi v0, v18, s[56:57] offset:512
	s_and_b64 exec, exec, s[20:21]
	s_cbranch_execz .LBB16_54
; %bb.41:
	v_mov_b32_e32 v1, s57
	v_add_co_u32_e32 v0, vcc, s56, v0
	v_addc_co_u32_e32 v1, vcc, 0, v1, vcc
	v_lshrrev_b32_e32 v5, 24, v18
	v_cmp_gt_u32_e32 vcc, s33, v4
	global_store_byte v[0:1], v5, off offset:768
	s_and_b64 exec, exec, vcc
	s_cbranch_execz .LBB16_54
; %bb.42:
	global_store_byte v[0:1], v9, off offset:1024
	s_and_b64 exec, exec, s[16:17]
	s_cbranch_execz .LBB16_54
; %bb.43:
	v_lshrrev_b32_e32 v4, 8, v9
	global_store_byte v[0:1], v4, off offset:1280
	s_and_b64 exec, exec, s[14:15]
	s_cbranch_execz .LBB16_54
; %bb.44:
	global_store_byte_d16_hi v[0:1], v9, off offset:1536
	s_and_b64 exec, exec, s[12:13]
	s_cbranch_execz .LBB16_54
; %bb.45:
	v_lshrrev_b32_e32 v4, 24, v9
	v_cmp_gt_u32_e32 vcc, s33, v3
	global_store_byte v[0:1], v4, off offset:1792
	s_and_b64 exec, exec, vcc
	s_cbranch_execz .LBB16_54
; %bb.46:
	global_store_byte v[0:1], v8, off offset:2048
	s_and_b64 exec, exec, s[10:11]
	s_cbranch_execz .LBB16_54
; %bb.47:
	v_lshrrev_b32_e32 v3, 8, v8
	global_store_byte v[0:1], v3, off offset:2304
	s_and_b64 exec, exec, s[8:9]
	s_cbranch_execz .LBB16_54
; %bb.48:
	global_store_byte_d16_hi v[0:1], v8, off offset:2560
	s_and_b64 exec, exec, s[6:7]
	s_cbranch_execz .LBB16_54
; %bb.49:
	;; [unrolled: 19-line block ×3, first 2 shown]
	v_lshrrev_b32_e32 v2, 24, v6
	global_store_byte v[0:1], v2, off offset:3840
.LBB16_54:
	s_endpgm
	.section	.rodata,"a",@progbits
	.p2align	6, 0x0
	.amdhsa_kernel _ZN2at6native29vectorized_elementwise_kernelILi16ENS0_13BinaryFunctorIhhhZZZNS0_18lshift_kernel_cudaERNS_18TensorIteratorBaseEENKUlvE_clEvENKUlvE_clEvEUlhhE_EESt5arrayIPcLm3EEEEviT0_T1_
		.amdhsa_group_segment_fixed_size 0
		.amdhsa_private_segment_fixed_size 0
		.amdhsa_kernarg_size 32
		.amdhsa_user_sgpr_count 6
		.amdhsa_user_sgpr_private_segment_buffer 1
		.amdhsa_user_sgpr_dispatch_ptr 0
		.amdhsa_user_sgpr_queue_ptr 0
		.amdhsa_user_sgpr_kernarg_segment_ptr 1
		.amdhsa_user_sgpr_dispatch_id 0
		.amdhsa_user_sgpr_flat_scratch_init 0
		.amdhsa_user_sgpr_private_segment_size 0
		.amdhsa_uses_dynamic_stack 0
		.amdhsa_system_sgpr_private_segment_wavefront_offset 0
		.amdhsa_system_sgpr_workgroup_id_x 1
		.amdhsa_system_sgpr_workgroup_id_y 0
		.amdhsa_system_sgpr_workgroup_id_z 0
		.amdhsa_system_sgpr_workgroup_info 0
		.amdhsa_system_vgpr_workitem_id 0
		.amdhsa_next_free_vgpr 39
		.amdhsa_next_free_sgpr 60
		.amdhsa_reserve_vcc 1
		.amdhsa_reserve_flat_scratch 0
		.amdhsa_float_round_mode_32 0
		.amdhsa_float_round_mode_16_64 0
		.amdhsa_float_denorm_mode_32 3
		.amdhsa_float_denorm_mode_16_64 3
		.amdhsa_dx10_clamp 1
		.amdhsa_ieee_mode 1
		.amdhsa_fp16_overflow 0
		.amdhsa_exception_fp_ieee_invalid_op 0
		.amdhsa_exception_fp_denorm_src 0
		.amdhsa_exception_fp_ieee_div_zero 0
		.amdhsa_exception_fp_ieee_overflow 0
		.amdhsa_exception_fp_ieee_underflow 0
		.amdhsa_exception_fp_ieee_inexact 0
		.amdhsa_exception_int_div_zero 0
	.end_amdhsa_kernel
	.section	.text._ZN2at6native29vectorized_elementwise_kernelILi16ENS0_13BinaryFunctorIhhhZZZNS0_18lshift_kernel_cudaERNS_18TensorIteratorBaseEENKUlvE_clEvENKUlvE_clEvEUlhhE_EESt5arrayIPcLm3EEEEviT0_T1_,"axG",@progbits,_ZN2at6native29vectorized_elementwise_kernelILi16ENS0_13BinaryFunctorIhhhZZZNS0_18lshift_kernel_cudaERNS_18TensorIteratorBaseEENKUlvE_clEvENKUlvE_clEvEUlhhE_EESt5arrayIPcLm3EEEEviT0_T1_,comdat
.Lfunc_end16:
	.size	_ZN2at6native29vectorized_elementwise_kernelILi16ENS0_13BinaryFunctorIhhhZZZNS0_18lshift_kernel_cudaERNS_18TensorIteratorBaseEENKUlvE_clEvENKUlvE_clEvEUlhhE_EESt5arrayIPcLm3EEEEviT0_T1_, .Lfunc_end16-_ZN2at6native29vectorized_elementwise_kernelILi16ENS0_13BinaryFunctorIhhhZZZNS0_18lshift_kernel_cudaERNS_18TensorIteratorBaseEENKUlvE_clEvENKUlvE_clEvEUlhhE_EESt5arrayIPcLm3EEEEviT0_T1_
                                        ; -- End function
	.set _ZN2at6native29vectorized_elementwise_kernelILi16ENS0_13BinaryFunctorIhhhZZZNS0_18lshift_kernel_cudaERNS_18TensorIteratorBaseEENKUlvE_clEvENKUlvE_clEvEUlhhE_EESt5arrayIPcLm3EEEEviT0_T1_.num_vgpr, 39
	.set _ZN2at6native29vectorized_elementwise_kernelILi16ENS0_13BinaryFunctorIhhhZZZNS0_18lshift_kernel_cudaERNS_18TensorIteratorBaseEENKUlvE_clEvENKUlvE_clEvEUlhhE_EESt5arrayIPcLm3EEEEviT0_T1_.num_agpr, 0
	.set _ZN2at6native29vectorized_elementwise_kernelILi16ENS0_13BinaryFunctorIhhhZZZNS0_18lshift_kernel_cudaERNS_18TensorIteratorBaseEENKUlvE_clEvENKUlvE_clEvEUlhhE_EESt5arrayIPcLm3EEEEviT0_T1_.numbered_sgpr, 60
	.set _ZN2at6native29vectorized_elementwise_kernelILi16ENS0_13BinaryFunctorIhhhZZZNS0_18lshift_kernel_cudaERNS_18TensorIteratorBaseEENKUlvE_clEvENKUlvE_clEvEUlhhE_EESt5arrayIPcLm3EEEEviT0_T1_.num_named_barrier, 0
	.set _ZN2at6native29vectorized_elementwise_kernelILi16ENS0_13BinaryFunctorIhhhZZZNS0_18lshift_kernel_cudaERNS_18TensorIteratorBaseEENKUlvE_clEvENKUlvE_clEvEUlhhE_EESt5arrayIPcLm3EEEEviT0_T1_.private_seg_size, 0
	.set _ZN2at6native29vectorized_elementwise_kernelILi16ENS0_13BinaryFunctorIhhhZZZNS0_18lshift_kernel_cudaERNS_18TensorIteratorBaseEENKUlvE_clEvENKUlvE_clEvEUlhhE_EESt5arrayIPcLm3EEEEviT0_T1_.uses_vcc, 1
	.set _ZN2at6native29vectorized_elementwise_kernelILi16ENS0_13BinaryFunctorIhhhZZZNS0_18lshift_kernel_cudaERNS_18TensorIteratorBaseEENKUlvE_clEvENKUlvE_clEvEUlhhE_EESt5arrayIPcLm3EEEEviT0_T1_.uses_flat_scratch, 0
	.set _ZN2at6native29vectorized_elementwise_kernelILi16ENS0_13BinaryFunctorIhhhZZZNS0_18lshift_kernel_cudaERNS_18TensorIteratorBaseEENKUlvE_clEvENKUlvE_clEvEUlhhE_EESt5arrayIPcLm3EEEEviT0_T1_.has_dyn_sized_stack, 0
	.set _ZN2at6native29vectorized_elementwise_kernelILi16ENS0_13BinaryFunctorIhhhZZZNS0_18lshift_kernel_cudaERNS_18TensorIteratorBaseEENKUlvE_clEvENKUlvE_clEvEUlhhE_EESt5arrayIPcLm3EEEEviT0_T1_.has_recursion, 0
	.set _ZN2at6native29vectorized_elementwise_kernelILi16ENS0_13BinaryFunctorIhhhZZZNS0_18lshift_kernel_cudaERNS_18TensorIteratorBaseEENKUlvE_clEvENKUlvE_clEvEUlhhE_EESt5arrayIPcLm3EEEEviT0_T1_.has_indirect_call, 0
	.section	.AMDGPU.csdata,"",@progbits
; Kernel info:
; codeLenInByte = 3756
; TotalNumSgprs: 64
; NumVgprs: 39
; ScratchSize: 0
; MemoryBound: 0
; FloatMode: 240
; IeeeMode: 1
; LDSByteSize: 0 bytes/workgroup (compile time only)
; SGPRBlocks: 7
; VGPRBlocks: 9
; NumSGPRsForWavesPerEU: 64
; NumVGPRsForWavesPerEU: 39
; Occupancy: 6
; WaveLimiterHint : 0
; COMPUTE_PGM_RSRC2:SCRATCH_EN: 0
; COMPUTE_PGM_RSRC2:USER_SGPR: 6
; COMPUTE_PGM_RSRC2:TRAP_HANDLER: 0
; COMPUTE_PGM_RSRC2:TGID_X_EN: 1
; COMPUTE_PGM_RSRC2:TGID_Y_EN: 0
; COMPUTE_PGM_RSRC2:TGID_Z_EN: 0
; COMPUTE_PGM_RSRC2:TIDIG_COMP_CNT: 0
	.section	.text._ZN2at6native29vectorized_elementwise_kernelILi8ENS0_13BinaryFunctorIhhhZZZNS0_18lshift_kernel_cudaERNS_18TensorIteratorBaseEENKUlvE_clEvENKUlvE_clEvEUlhhE_EESt5arrayIPcLm3EEEEviT0_T1_,"axG",@progbits,_ZN2at6native29vectorized_elementwise_kernelILi8ENS0_13BinaryFunctorIhhhZZZNS0_18lshift_kernel_cudaERNS_18TensorIteratorBaseEENKUlvE_clEvENKUlvE_clEvEUlhhE_EESt5arrayIPcLm3EEEEviT0_T1_,comdat
	.globl	_ZN2at6native29vectorized_elementwise_kernelILi8ENS0_13BinaryFunctorIhhhZZZNS0_18lshift_kernel_cudaERNS_18TensorIteratorBaseEENKUlvE_clEvENKUlvE_clEvEUlhhE_EESt5arrayIPcLm3EEEEviT0_T1_ ; -- Begin function _ZN2at6native29vectorized_elementwise_kernelILi8ENS0_13BinaryFunctorIhhhZZZNS0_18lshift_kernel_cudaERNS_18TensorIteratorBaseEENKUlvE_clEvENKUlvE_clEvEUlhhE_EESt5arrayIPcLm3EEEEviT0_T1_
	.p2align	8
	.type	_ZN2at6native29vectorized_elementwise_kernelILi8ENS0_13BinaryFunctorIhhhZZZNS0_18lshift_kernel_cudaERNS_18TensorIteratorBaseEENKUlvE_clEvENKUlvE_clEvEUlhhE_EESt5arrayIPcLm3EEEEviT0_T1_,@function
_ZN2at6native29vectorized_elementwise_kernelILi8ENS0_13BinaryFunctorIhhhZZZNS0_18lshift_kernel_cudaERNS_18TensorIteratorBaseEENKUlvE_clEvENKUlvE_clEvEUlhhE_EESt5arrayIPcLm3EEEEviT0_T1_: ; @_ZN2at6native29vectorized_elementwise_kernelILi8ENS0_13BinaryFunctorIhhhZZZNS0_18lshift_kernel_cudaERNS_18TensorIteratorBaseEENKUlvE_clEvENKUlvE_clEvEUlhhE_EESt5arrayIPcLm3EEEEviT0_T1_
; %bb.0:
	s_load_dword s0, s[4:5], 0x0
	s_load_dwordx4 s[56:59], s[4:5], 0x8
	s_load_dwordx2 s[8:9], s[4:5], 0x18
	s_lshl_b32 s54, s6, 12
	s_waitcnt lgkmcnt(0)
	s_sub_i32 s33, s0, s54
	s_cmpk_gt_i32 s33, 0xfff
	s_mov_b64 s[0:1], -1
	s_cbranch_scc0 .LBB17_2
; %bb.1:
	s_ashr_i32 s2, s54, 31
	s_add_u32 s0, s58, s54
	s_addc_u32 s1, s59, s2
	v_lshlrev_b32_e32 v9, 3, v0
	global_load_dwordx2 v[1:2], v9, s[0:1]
	global_load_dwordx2 v[3:4], v9, s[0:1] offset:2048
	s_add_u32 s0, s8, s54
	s_addc_u32 s1, s9, s2
	global_load_dwordx2 v[5:6], v9, s[0:1]
	global_load_dwordx2 v[7:8], v9, s[0:1] offset:2048
	s_brev_b32 s0, 16
	s_waitcnt vmcnt(3)
	v_lshrrev_b32_e32 v10, 8, v1
	v_lshrrev_b32_e32 v11, 8, v2
	s_waitcnt vmcnt(2)
	v_lshrrev_b32_e32 v12, 8, v3
	s_waitcnt vmcnt(1)
	v_and_b32_e32 v18, 0xf8, v5
	v_lshlrev_b32_e32 v19, v5, v1
	v_and_b32_e32 v21, 0xf80000, v5
	v_cmp_eq_u32_e32 vcc, 0, v18
	v_lshlrev_b32_sdwa v22, v5, v1 dst_sel:DWORD dst_unused:UNUSED_PAD src0_sel:WORD_1 src1_sel:WORD_1
	v_cndmask_b32_e32 v19, 0, v19, vcc
	v_cmp_eq_u32_e32 vcc, 0, v21
	v_lshlrev_b32_sdwa v1, v5, v1 dst_sel:DWORD dst_unused:UNUSED_PAD src0_sel:BYTE_3 src1_sel:BYTE_3
	v_and_b32_e32 v23, 0xf8, v6
	v_cndmask_b32_e32 v21, 0, v22, vcc
	v_cmp_gt_u32_e32 vcc, s0, v5
	v_lshrrev_b32_e32 v14, 8, v5
	v_and_b32_e32 v20, 0xf800, v5
	v_lshlrev_b32_e32 v24, v6, v2
	v_and_b32_e32 v26, 0xf80000, v6
	v_cndmask_b32_e32 v5, 0, v1, vcc
	v_cmp_eq_u32_e32 vcc, 0, v23
	v_lshrrev_b32_e32 v15, 8, v6
	v_lshlrev_b32_sdwa v27, v6, v2 dst_sel:DWORD dst_unused:UNUSED_PAD src0_sel:WORD_1 src1_sel:WORD_1
	v_cndmask_b32_e32 v1, 0, v24, vcc
	v_cmp_eq_u32_e32 vcc, 0, v26
	v_lshlrev_b32_sdwa v2, v6, v2 dst_sel:DWORD dst_unused:UNUSED_PAD src0_sel:BYTE_3 src1_sel:BYTE_3
	s_waitcnt vmcnt(0)
	v_and_b32_e32 v28, 0xf8, v7
	v_lshlrev_b32_e32 v11, v15, v11
	v_cndmask_b32_e32 v15, 0, v27, vcc
	v_cmp_gt_u32_e32 vcc, s0, v6
	v_and_b32_e32 v25, 0xf800, v6
	v_lshlrev_b32_e32 v29, v7, v3
	v_and_b32_e32 v31, 0xf80000, v7
	v_cndmask_b32_e32 v6, 0, v2, vcc
	v_cmp_eq_u32_e32 vcc, 0, v28
	v_lshrrev_b32_e32 v16, 8, v7
	v_lshlrev_b32_sdwa v32, v7, v3 dst_sel:DWORD dst_unused:UNUSED_PAD src0_sel:WORD_1 src1_sel:WORD_1
	v_cndmask_b32_e32 v2, 0, v29, vcc
	v_cmp_eq_u32_e32 vcc, 0, v31
	v_lshlrev_b32_sdwa v3, v7, v3 dst_sel:DWORD dst_unused:UNUSED_PAD src0_sel:BYTE_3 src1_sel:BYTE_3
	v_and_b32_e32 v35, 0xf8, v8
	v_lshlrev_b32_e32 v12, v16, v12
	v_cndmask_b32_e32 v16, 0, v32, vcc
	v_cmp_gt_u32_e32 vcc, s0, v7
	v_lshlrev_b32_e32 v33, v8, v4
	v_lshlrev_b32_e32 v10, v14, v10
	v_and_b32_e32 v14, 0xf80000, v8
	v_cndmask_b32_e32 v3, 0, v3, vcc
	v_cmp_eq_u32_e32 vcc, 0, v35
	v_and_b32_e32 v30, 0xf800, v7
	v_lshlrev_b32_sdwa v34, v8, v4 dst_sel:DWORD dst_unused:UNUSED_PAD src0_sel:WORD_1 src1_sel:WORD_1
	v_cndmask_b32_e32 v7, 0, v33, vcc
	v_cmp_eq_u32_e32 vcc, 0, v14
	v_lshrrev_b32_e32 v13, 8, v4
	v_lshlrev_b32_sdwa v4, v8, v4 dst_sel:DWORD dst_unused:UNUSED_PAD src0_sel:BYTE_3 src1_sel:BYTE_3
	v_cndmask_b32_e32 v14, 0, v34, vcc
	v_cmp_gt_u32_e32 vcc, s0, v8
	v_cndmask_b32_e32 v4, 0, v4, vcc
	v_cmp_eq_u32_e32 vcc, 0, v20
	v_lshrrev_b32_e32 v17, 8, v8
	v_and_b32_e32 v18, 0xf800, v8
	v_cndmask_b32_e32 v8, 0, v10, vcc
	v_cmp_eq_u32_e32 vcc, 0, v25
	v_cndmask_b32_e32 v10, 0, v11, vcc
	v_cmp_eq_u32_e32 vcc, 0, v30
	v_cndmask_b32_e32 v11, 0, v12, vcc
	v_lshlrev_b32_e32 v13, v17, v13
	v_cmp_eq_u32_e32 vcc, 0, v18
	v_lshlrev_b16_e32 v3, 8, v3
	v_lshlrev_b16_e32 v11, 8, v11
	v_cndmask_b32_e32 v12, 0, v13, vcc
	v_or_b32_sdwa v3, v16, v3 dst_sel:WORD_1 dst_unused:UNUSED_PAD src0_sel:BYTE_0 src1_sel:DWORD
	v_lshlrev_b16_e32 v10, 8, v10
	v_or_b32_sdwa v11, v2, v11 dst_sel:DWORD dst_unused:UNUSED_PAD src0_sel:BYTE_0 src1_sel:DWORD
	v_lshlrev_b16_e32 v4, 8, v4
	v_lshlrev_b16_e32 v12, 8, v12
	v_or_b32_sdwa v10, v1, v10 dst_sel:DWORD dst_unused:UNUSED_PAD src0_sel:BYTE_0 src1_sel:DWORD
	v_or_b32_sdwa v1, v11, v3 dst_sel:DWORD dst_unused:UNUSED_PAD src0_sel:WORD_0 src1_sel:DWORD
	v_lshlrev_b16_e32 v3, 8, v6
	v_or_b32_sdwa v4, v14, v4 dst_sel:WORD_1 dst_unused:UNUSED_PAD src0_sel:BYTE_0 src1_sel:DWORD
	v_or_b32_sdwa v7, v7, v12 dst_sel:DWORD dst_unused:UNUSED_PAD src0_sel:BYTE_0 src1_sel:DWORD
	v_or_b32_sdwa v3, v15, v3 dst_sel:WORD_1 dst_unused:UNUSED_PAD src0_sel:BYTE_0 src1_sel:DWORD
	v_or_b32_sdwa v2, v7, v4 dst_sel:DWORD dst_unused:UNUSED_PAD src0_sel:WORD_0 src1_sel:DWORD
	v_or_b32_sdwa v4, v10, v3 dst_sel:DWORD dst_unused:UNUSED_PAD src0_sel:WORD_0 src1_sel:DWORD
	v_lshlrev_b16_e32 v3, 8, v8
	v_lshlrev_b16_e32 v5, 8, v5
	v_or_b32_sdwa v3, v19, v3 dst_sel:DWORD dst_unused:UNUSED_PAD src0_sel:BYTE_0 src1_sel:DWORD
	v_or_b32_sdwa v5, v21, v5 dst_sel:WORD_1 dst_unused:UNUSED_PAD src0_sel:BYTE_0 src1_sel:DWORD
	s_add_u32 s0, s56, s54
	v_or_b32_sdwa v3, v3, v5 dst_sel:DWORD dst_unused:UNUSED_PAD src0_sel:WORD_0 src1_sel:DWORD
	s_addc_u32 s1, s57, s2
	global_store_dwordx2 v9, v[3:4], s[0:1]
	global_store_dwordx2 v9, v[1:2], s[0:1] offset:2048
	s_mov_b64 s[0:1], 0
.LBB17_2:
	s_andn2_b64 vcc, exec, s[0:1]
	s_cbranch_vccnz .LBB17_54
; %bb.3:
	v_cmp_gt_i32_e32 vcc, s33, v0
	v_cmp_le_i32_e64 s[0:1], s33, v0
                                        ; implicit-def: $vgpr5
	s_and_saveexec_b64 s[2:3], s[0:1]
	s_xor_b64 s[0:1], exec, s[2:3]
; %bb.4:
	v_or_b32_e32 v5, 0x100, v0
; %bb.5:
	s_or_saveexec_b64 s[2:3], s[0:1]
	v_mov_b32_e32 v38, 0
	v_mov_b32_e32 v7, 0
	v_or_b32_e32 v6, s54, v0
	v_mov_b32_e32 v37, 0
	v_mov_b32_e32 v36, 0
	;; [unrolled: 1-line block ×30, first 2 shown]
	s_xor_b64 exec, exec, s[2:3]
	s_cbranch_execz .LBB17_37
; %bb.6:
	global_load_ubyte v19, v6, s[58:59]
	global_load_ubyte v20, v6, s[8:9]
	v_or_b32_e32 v5, 0x100, v0
	v_cmp_gt_u32_e64 s[0:1], s33, v5
	v_mov_b32_e32 v7, 0
	v_mov_b32_e32 v18, 0
	;; [unrolled: 1-line block ×30, first 2 shown]
	s_and_saveexec_b64 s[4:5], s[0:1]
	s_cbranch_execz .LBB17_36
; %bb.7:
	v_add_u32_e32 v3, s54, v0
	global_load_ubyte v21, v3, s[58:59] offset:256
	global_load_ubyte v18, v3, s[8:9] offset:256
	v_or_b32_e32 v1, 0x200, v0
	v_mov_b32_e32 v22, 0
	v_cmp_gt_u32_e64 s[0:1], s33, v1
	v_mov_b32_e32 v26, 0
	v_mov_b32_e32 v23, 0
	;; [unrolled: 1-line block ×27, first 2 shown]
	s_and_saveexec_b64 s[6:7], s[0:1]
	s_cbranch_execz .LBB17_35
; %bb.8:
	v_mov_b32_e32 v2, s59
	v_add_co_u32_e64 v1, s[0:1], s58, v3
	v_addc_co_u32_e64 v2, s[0:1], 0, v2, s[0:1]
	v_mov_b32_e32 v4, s9
	v_add_co_u32_e64 v3, s[0:1], s8, v3
	v_addc_co_u32_e64 v4, s[0:1], 0, v4, s[0:1]
	global_load_ubyte v26, v[1:2], off offset:512
	global_load_ubyte v22, v[3:4], off offset:512
	v_or_b32_e32 v7, 0x300, v0
	v_cmp_gt_u32_e64 s[0:1], s33, v7
	v_mov_b32_e32 v7, 0
	v_mov_b32_e32 v23, 0
	;; [unrolled: 1-line block ×26, first 2 shown]
	s_and_saveexec_b64 s[8:9], s[0:1]
	s_cbranch_execz .LBB17_34
; %bb.9:
	global_load_ubyte v25, v[1:2], off offset:768
	global_load_ubyte v23, v[3:4], off offset:768
	v_or_b32_e32 v7, 0x400, v0
	v_cmp_gt_u32_e64 s[0:1], s33, v7
	v_mov_b32_e32 v7, 0
	v_mov_b32_e32 v8, 0
	;; [unrolled: 1-line block ×24, first 2 shown]
	s_and_saveexec_b64 s[10:11], s[0:1]
	s_cbranch_execz .LBB17_33
; %bb.10:
	global_load_ubyte v9, v[1:2], off offset:1024
	global_load_ubyte v8, v[3:4], off offset:1024
	v_or_b32_e32 v7, 0x500, v0
	v_cmp_gt_u32_e64 s[0:1], s33, v7
	v_mov_b32_e32 v7, 0
	v_mov_b32_e32 v10, 0
	;; [unrolled: 1-line block ×22, first 2 shown]
	s_and_saveexec_b64 s[12:13], s[0:1]
	s_cbranch_execz .LBB17_32
; %bb.11:
	global_load_ubyte v12, v[1:2], off offset:1280
	global_load_ubyte v10, v[3:4], off offset:1280
	v_or_b32_e32 v7, 0x600, v0
	v_cmp_gt_u32_e64 s[0:1], s33, v7
	v_mov_b32_e32 v7, 0
	v_mov_b32_e32 v13, 0
	;; [unrolled: 1-line block ×20, first 2 shown]
	s_and_saveexec_b64 s[14:15], s[0:1]
	s_cbranch_execz .LBB17_31
; %bb.12:
	global_load_ubyte v15, v[1:2], off offset:1536
	global_load_ubyte v13, v[3:4], off offset:1536
	v_or_b32_e32 v7, 0x700, v0
	v_cmp_gt_u32_e64 s[0:1], s33, v7
	v_mov_b32_e32 v7, 0
	v_mov_b32_e32 v11, 0
	;; [unrolled: 1-line block ×18, first 2 shown]
	s_and_saveexec_b64 s[16:17], s[0:1]
	s_cbranch_execz .LBB17_30
; %bb.13:
	global_load_ubyte v14, v[1:2], off offset:1792
	global_load_ubyte v11, v[3:4], off offset:1792
	v_or_b32_e32 v7, 0x800, v0
	v_cmp_gt_u32_e64 s[0:1], s33, v7
	v_mov_b32_e32 v7, 0
	v_mov_b32_e32 v16, 0
	;; [unrolled: 1-line block ×16, first 2 shown]
	s_and_saveexec_b64 s[18:19], s[0:1]
	s_cbranch_execz .LBB17_29
; %bb.14:
	global_load_ubyte v17, v[1:2], off offset:2048
	global_load_ubyte v16, v[3:4], off offset:2048
	v_or_b32_e32 v7, 0x900, v0
	v_cmp_gt_u32_e64 s[0:1], s33, v7
	v_mov_b32_e32 v7, 0
	v_mov_b32_e32 v24, 0
	v_mov_b32_e32 v27, 0
	v_mov_b32_e32 v28, 0
	v_mov_b32_e32 v29, 0
	v_mov_b32_e32 v30, 0
	v_mov_b32_e32 v31, 0
	v_mov_b32_e32 v32, 0
	v_mov_b32_e32 v33, 0
	v_mov_b32_e32 v34, 0
	v_mov_b32_e32 v35, 0
	v_mov_b32_e32 v36, 0
	v_mov_b32_e32 v37, 0
	v_mov_b32_e32 v38, 0
	s_and_saveexec_b64 s[20:21], s[0:1]
	s_cbranch_execz .LBB17_28
; %bb.15:
	global_load_ubyte v27, v[1:2], off offset:2304
	global_load_ubyte v24, v[3:4], off offset:2304
	v_or_b32_e32 v7, 0xa00, v0
	v_cmp_gt_u32_e64 s[0:1], s33, v7
	v_mov_b32_e32 v7, 0
	v_mov_b32_e32 v28, 0
	;; [unrolled: 1-line block ×12, first 2 shown]
	s_and_saveexec_b64 s[22:23], s[0:1]
	s_cbranch_execz .LBB17_27
; %bb.16:
	global_load_ubyte v29, v[1:2], off offset:2560
	global_load_ubyte v28, v[3:4], off offset:2560
	v_or_b32_e32 v7, 0xb00, v0
	v_cmp_gt_u32_e64 s[0:1], s33, v7
	v_mov_b32_e32 v7, 0
	v_mov_b32_e32 v30, 0
	;; [unrolled: 1-line block ×10, first 2 shown]
	s_and_saveexec_b64 s[24:25], s[0:1]
	s_cbranch_execz .LBB17_26
; %bb.17:
	global_load_ubyte v31, v[1:2], off offset:2816
	global_load_ubyte v30, v[3:4], off offset:2816
	v_or_b32_e32 v7, 0xc00, v0
	v_cmp_gt_u32_e64 s[0:1], s33, v7
	v_mov_b32_e32 v7, 0
	v_mov_b32_e32 v32, 0
	;; [unrolled: 1-line block ×8, first 2 shown]
	s_and_saveexec_b64 s[26:27], s[0:1]
	s_cbranch_execz .LBB17_25
; %bb.18:
	global_load_ubyte v33, v[1:2], off offset:3072
	global_load_ubyte v32, v[3:4], off offset:3072
	v_or_b32_e32 v7, 0xd00, v0
	v_cmp_gt_u32_e64 s[0:1], s33, v7
	v_mov_b32_e32 v7, 0
	v_mov_b32_e32 v34, 0
	;; [unrolled: 1-line block ×6, first 2 shown]
	s_and_saveexec_b64 s[28:29], s[0:1]
	s_cbranch_execz .LBB17_24
; %bb.19:
	global_load_ubyte v35, v[1:2], off offset:3328
	global_load_ubyte v34, v[3:4], off offset:3328
	v_or_b32_e32 v7, 0xe00, v0
	v_cmp_gt_u32_e64 s[0:1], s33, v7
	v_mov_b32_e32 v7, 0
	v_mov_b32_e32 v36, 0
	;; [unrolled: 1-line block ×4, first 2 shown]
	s_and_saveexec_b64 s[30:31], s[0:1]
	s_cbranch_execz .LBB17_23
; %bb.20:
	global_load_ubyte v37, v[1:2], off offset:3584
	global_load_ubyte v36, v[3:4], off offset:3584
	v_or_b32_e32 v7, 0xf00, v0
	v_cmp_gt_u32_e64 s[0:1], s33, v7
	v_mov_b32_e32 v7, 0
	v_mov_b32_e32 v38, 0
	s_and_saveexec_b64 s[34:35], s[0:1]
	s_cbranch_execz .LBB17_22
; %bb.21:
	global_load_ubyte v7, v[1:2], off offset:3840
	global_load_ubyte v38, v[3:4], off offset:3840
.LBB17_22:
	s_or_b64 exec, exec, s[34:35]
.LBB17_23:
	s_or_b64 exec, exec, s[30:31]
.LBB17_24:
	s_or_b64 exec, exec, s[28:29]
.LBB17_25:
	s_or_b64 exec, exec, s[26:27]
.LBB17_26:
	s_or_b64 exec, exec, s[24:25]
.LBB17_27:
	s_or_b64 exec, exec, s[22:23]
.LBB17_28:
	s_or_b64 exec, exec, s[20:21]
.LBB17_29:
	s_or_b64 exec, exec, s[18:19]
.LBB17_30:
	s_or_b64 exec, exec, s[16:17]
.LBB17_31:
	s_or_b64 exec, exec, s[14:15]
.LBB17_32:
	s_or_b64 exec, exec, s[12:13]
.LBB17_33:
	s_or_b64 exec, exec, s[10:11]
.LBB17_34:
	s_or_b64 exec, exec, s[8:9]
.LBB17_35:
	s_or_b64 exec, exec, s[6:7]
.LBB17_36:
	s_or_b64 exec, exec, s[4:5]
.LBB17_37:
	s_or_b64 exec, exec, s[2:3]
	s_and_saveexec_b64 s[0:1], vcc
	s_cbranch_execz .LBB17_54
; %bb.38:
	s_waitcnt vmcnt(0)
	v_lshlrev_b32_e32 v1, v20, v19
	v_mov_b32_e32 v19, 8
	v_cmp_lt_u16_sdwa s[0:1], v20, v19 src0_sel:BYTE_0 src1_sel:DWORD
	v_cndmask_b32_e64 v1, 0, v1, s[0:1]
	s_mov_b32 s58, 0xffff
	v_and_b32_sdwa v1, s58, v1 dst_sel:DWORD dst_unused:UNUSED_PAD src0_sel:DWORD src1_sel:BYTE_0
	v_cndmask_b32_e32 v1, 0, v1, vcc
	v_lshlrev_b32_e32 v2, v18, v21
	v_cmp_lt_u16_sdwa vcc, v18, v19 src0_sel:BYTE_0 src1_sel:DWORD
	v_cndmask_b32_e32 v2, 0, v2, vcc
	v_lshlrev_b16_e32 v2, 8, v2
	v_or_b32_e32 v2, v1, v2
	v_and_b32_e32 v2, 0xffff, v2
	v_cmp_gt_i32_e64 s[52:53], s33, v5
	v_lshlrev_b32_e32 v3, v22, v26
	v_cmp_lt_u16_sdwa vcc, v22, v19 src0_sel:BYTE_0 src1_sel:DWORD
	v_cndmask_b32_e64 v1, v1, v2, s[52:53]
	v_cndmask_b32_e32 v3, 0, v3, vcc
	s_mov_b32 s59, 0xc0c0304
	v_or_b32_e32 v2, 0x200, v0
	v_perm_b32 v3, v3, v1, s59
	v_lshl_or_b32 v3, v3, 16, v1
	v_cmp_gt_i32_e64 s[18:19], s33, v2
	v_lshlrev_b32_e32 v4, v23, v25
	v_cmp_lt_u16_sdwa vcc, v23, v19 src0_sel:BYTE_0 src1_sel:DWORD
	s_movk_i32 s55, 0xff
	v_cndmask_b32_e64 v1, v1, v3, s[18:19]
	v_cndmask_b32_e32 v4, 0, v4, vcc
	v_and_b32_sdwa v2, v1, s55 dst_sel:DWORD dst_unused:UNUSED_PAD src0_sel:WORD_1 src1_sel:DWORD
	v_lshlrev_b16_e32 v4, 8, v4
	v_or_b32_e32 v3, 0x300, v0
	v_or_b32_sdwa v2, v2, v4 dst_sel:WORD_1 dst_unused:UNUSED_PAD src0_sel:DWORD src1_sel:DWORD
	v_and_or_b32 v2, v1, s58, v2
	v_cmp_gt_i32_e64 s[20:21], s33, v3
	v_cndmask_b32_e64 v18, v1, v2, s[20:21]
	v_or_b32_e32 v1, 0x500, v0
	v_cmp_gt_i32_e64 s[16:17], s33, v1
	v_or_b32_e32 v1, 0x600, v0
	v_cmp_gt_i32_e64 s[14:15], s33, v1
	;; [unrolled: 2-line block ×7, first 2 shown]
	v_or_b32_e32 v1, 0xe00, v0
	v_or_b32_e32 v4, 0x400, v0
	;; [unrolled: 1-line block ×4, first 2 shown]
	v_cmp_gt_i32_e64 s[2:3], s33, v1
	v_or_b32_e32 v1, 0xf00, v0
	v_cmp_lt_u16_sdwa s[50:51], v8, v19 src0_sel:BYTE_0 src1_sel:DWORD
	v_cmp_gt_i32_e64 s[48:49], s33, v4
	v_cmp_lt_u16_sdwa vcc, v10, v19 src0_sel:BYTE_0 src1_sel:DWORD
	v_cmp_lt_u16_sdwa s[46:47], v13, v19 src0_sel:BYTE_0 src1_sel:DWORD
	v_cmp_lt_u16_sdwa s[44:45], v11, v19 src0_sel:BYTE_0 src1_sel:DWORD
	v_cmp_gt_i32_e64 s[38:39], s33, v3
	v_cmp_lt_u16_sdwa s[42:43], v16, v19 src0_sel:BYTE_0 src1_sel:DWORD
	v_cmp_lt_u16_sdwa s[40:41], v24, v19 src0_sel:BYTE_0 src1_sel:DWORD
	;; [unrolled: 1-line block ×5, first 2 shown]
	v_cmp_gt_i32_e64 s[30:31], s33, v2
	v_cmp_lt_u16_sdwa s[26:27], v34, v19 src0_sel:BYTE_0 src1_sel:DWORD
	v_cmp_lt_u16_sdwa s[24:25], v36, v19 src0_sel:BYTE_0 src1_sel:DWORD
	v_cmp_gt_i32_e64 s[0:1], s33, v1
	v_cmp_lt_u16_sdwa s[22:23], v38, v19 src0_sel:BYTE_0 src1_sel:DWORD
	global_store_byte v6, v18, s[56:57]
	s_and_b64 exec, exec, s[52:53]
	s_cbranch_execz .LBB17_54
; %bb.39:
	v_lshlrev_b32_e32 v1, v8, v9
	v_cndmask_b32_e64 v1, 0, v1, s[50:51]
	s_mov_b32 s50, 0x3020104
	v_perm_b32 v1, v1, 0, s50
	v_lshlrev_b32_e32 v6, v10, v12
	v_mov_b32_e32 v10, 0
	v_cndmask_b32_e64 v1, 0, v1, s[48:49]
	v_cndmask_b32_sdwa v6, v10, v6, vcc dst_sel:BYTE_1 dst_unused:UNUSED_PAD src0_sel:DWORD src1_sel:DWORD
	v_or_b32_sdwa v6, v1, v6 dst_sel:DWORD dst_unused:UNUSED_PAD src0_sel:BYTE_0 src1_sel:DWORD
	v_and_b32_e32 v6, 0xffff, v6
	s_mov_b32 s48, 0xffff0000
	v_and_or_b32 v6, v1, s48, v6
	v_cndmask_b32_e64 v1, v1, v6, s[16:17]
	v_lshlrev_b32_e32 v6, v13, v15
	v_cndmask_b32_e64 v6, 0, v6, s[46:47]
	s_mov_b32 s46, 0x7000504
	v_perm_b32 v6, v1, v6, s46
	v_lshlrev_b32_e32 v8, v11, v14
	v_cndmask_b32_e64 v1, v1, v6, s[14:15]
	v_cndmask_b32_e64 v8, 0, v8, s[44:45]
	v_and_b32_sdwa v6, v1, s55 dst_sel:DWORD dst_unused:UNUSED_PAD src0_sel:WORD_1 src1_sel:DWORD
	v_lshlrev_b16_e32 v8, 8, v8
	v_or_b32_sdwa v6, v6, v8 dst_sel:WORD_1 dst_unused:UNUSED_PAD src0_sel:DWORD src1_sel:DWORD
	v_and_or_b32 v6, v1, s58, v6
	v_cndmask_b32_e64 v9, v1, v6, s[12:13]
	v_lshlrev_b32_e32 v1, v16, v17
	v_cndmask_b32_e64 v1, 0, v1, s[42:43]
	v_lshlrev_b32_e32 v6, v24, v27
	v_and_b32_sdwa v1, s58, v1 dst_sel:DWORD dst_unused:UNUSED_PAD src0_sel:DWORD src1_sel:BYTE_0
	v_cndmask_b32_e64 v6, 0, v6, s[40:41]
	v_cndmask_b32_e64 v1, 0, v1, s[38:39]
	v_lshlrev_b16_e32 v6, 8, v6
	v_or_b32_e32 v6, v1, v6
	v_and_b32_e32 v6, 0xffff, v6
	v_cndmask_b32_e64 v1, v1, v6, s[10:11]
	v_lshlrev_b32_e32 v6, v28, v29
	v_cndmask_b32_e64 v6, 0, v6, s[36:37]
	v_perm_b32 v6, v6, v1, s59
	v_lshl_or_b32 v6, v6, 16, v1
	v_lshlrev_b32_e32 v8, v30, v31
	v_cndmask_b32_e64 v1, v1, v6, s[8:9]
	v_cndmask_b32_e64 v8, 0, v8, s[34:35]
	v_and_b32_sdwa v6, v1, s55 dst_sel:DWORD dst_unused:UNUSED_PAD src0_sel:WORD_1 src1_sel:DWORD
	v_lshlrev_b16_e32 v8, 8, v8
	v_or_b32_sdwa v6, v6, v8 dst_sel:WORD_1 dst_unused:UNUSED_PAD src0_sel:DWORD src1_sel:DWORD
	v_and_or_b32 v6, v1, s58, v6
	v_cndmask_b32_e64 v8, v1, v6, s[6:7]
	v_lshlrev_b32_e32 v1, v32, v33
	v_cndmask_b32_e64 v1, 0, v1, s[28:29]
	v_lshlrev_b32_e32 v6, v34, v35
	v_perm_b32 v1, v1, 0, s50
	v_cndmask_b32_e64 v6, 0, v6, s[26:27]
	v_cndmask_b32_e64 v1, 0, v1, s[30:31]
	v_lshlrev_b16_e32 v6, 8, v6
	v_or_b32_sdwa v6, v1, v6 dst_sel:DWORD dst_unused:UNUSED_PAD src0_sel:BYTE_0 src1_sel:DWORD
	v_and_b32_e32 v6, 0xffff, v6
	v_and_or_b32 v6, v1, s48, v6
	v_cndmask_b32_e64 v1, v1, v6, s[4:5]
	v_lshlrev_b32_e32 v6, v36, v37
	v_cndmask_b32_e64 v6, 0, v6, s[24:25]
	v_perm_b32 v6, v1, v6, s46
	v_cndmask_b32_e64 v1, v1, v6, s[2:3]
	v_lshlrev_b32_e32 v7, v38, v7
	s_mov_b64 vcc, s[22:23]
	v_and_b32_sdwa v6, v1, s55 dst_sel:DWORD dst_unused:UNUSED_PAD src0_sel:WORD_1 src1_sel:DWORD
	v_cndmask_b32_sdwa v7, v10, v7, vcc dst_sel:BYTE_1 dst_unused:UNUSED_PAD src0_sel:DWORD src1_sel:DWORD
	v_or_b32_sdwa v6, v6, v7 dst_sel:WORD_1 dst_unused:UNUSED_PAD src0_sel:DWORD src1_sel:DWORD
	v_and_or_b32 v6, v1, s58, v6
	v_cndmask_b32_e64 v6, v1, v6, s[0:1]
	v_or_b32_e32 v1, s54, v5
	v_lshrrev_b32_e32 v5, 8, v18
	global_store_byte v1, v5, s[56:57]
	s_and_b64 exec, exec, s[18:19]
	s_cbranch_execz .LBB17_54
; %bb.40:
	v_add_u32_e32 v0, s54, v0
	global_store_byte_d16_hi v0, v18, s[56:57] offset:512
	s_and_b64 exec, exec, s[20:21]
	s_cbranch_execz .LBB17_54
; %bb.41:
	v_mov_b32_e32 v1, s57
	v_add_co_u32_e32 v0, vcc, s56, v0
	v_addc_co_u32_e32 v1, vcc, 0, v1, vcc
	v_lshrrev_b32_e32 v5, 24, v18
	v_cmp_gt_u32_e32 vcc, s33, v4
	global_store_byte v[0:1], v5, off offset:768
	s_and_b64 exec, exec, vcc
	s_cbranch_execz .LBB17_54
; %bb.42:
	global_store_byte v[0:1], v9, off offset:1024
	s_and_b64 exec, exec, s[16:17]
	s_cbranch_execz .LBB17_54
; %bb.43:
	v_lshrrev_b32_e32 v4, 8, v9
	global_store_byte v[0:1], v4, off offset:1280
	s_and_b64 exec, exec, s[14:15]
	s_cbranch_execz .LBB17_54
; %bb.44:
	global_store_byte_d16_hi v[0:1], v9, off offset:1536
	s_and_b64 exec, exec, s[12:13]
	s_cbranch_execz .LBB17_54
; %bb.45:
	v_lshrrev_b32_e32 v4, 24, v9
	v_cmp_gt_u32_e32 vcc, s33, v3
	global_store_byte v[0:1], v4, off offset:1792
	s_and_b64 exec, exec, vcc
	s_cbranch_execz .LBB17_54
; %bb.46:
	global_store_byte v[0:1], v8, off offset:2048
	s_and_b64 exec, exec, s[10:11]
	s_cbranch_execz .LBB17_54
; %bb.47:
	v_lshrrev_b32_e32 v3, 8, v8
	global_store_byte v[0:1], v3, off offset:2304
	s_and_b64 exec, exec, s[8:9]
	s_cbranch_execz .LBB17_54
; %bb.48:
	global_store_byte_d16_hi v[0:1], v8, off offset:2560
	s_and_b64 exec, exec, s[6:7]
	s_cbranch_execz .LBB17_54
; %bb.49:
	v_lshrrev_b32_e32 v3, 24, v8
	v_cmp_gt_u32_e32 vcc, s33, v2
	global_store_byte v[0:1], v3, off offset:2816
	s_and_b64 exec, exec, vcc
	s_cbranch_execz .LBB17_54
; %bb.50:
	global_store_byte v[0:1], v6, off offset:3072
	s_and_b64 exec, exec, s[4:5]
	s_cbranch_execz .LBB17_54
; %bb.51:
	v_lshrrev_b32_e32 v2, 8, v6
	global_store_byte v[0:1], v2, off offset:3328
	s_and_b64 exec, exec, s[2:3]
	s_cbranch_execz .LBB17_54
; %bb.52:
	global_store_byte_d16_hi v[0:1], v6, off offset:3584
	s_and_b64 exec, exec, s[0:1]
	s_cbranch_execz .LBB17_54
; %bb.53:
	v_lshrrev_b32_e32 v2, 24, v6
	global_store_byte v[0:1], v2, off offset:3840
.LBB17_54:
	s_endpgm
	.section	.rodata,"a",@progbits
	.p2align	6, 0x0
	.amdhsa_kernel _ZN2at6native29vectorized_elementwise_kernelILi8ENS0_13BinaryFunctorIhhhZZZNS0_18lshift_kernel_cudaERNS_18TensorIteratorBaseEENKUlvE_clEvENKUlvE_clEvEUlhhE_EESt5arrayIPcLm3EEEEviT0_T1_
		.amdhsa_group_segment_fixed_size 0
		.amdhsa_private_segment_fixed_size 0
		.amdhsa_kernarg_size 32
		.amdhsa_user_sgpr_count 6
		.amdhsa_user_sgpr_private_segment_buffer 1
		.amdhsa_user_sgpr_dispatch_ptr 0
		.amdhsa_user_sgpr_queue_ptr 0
		.amdhsa_user_sgpr_kernarg_segment_ptr 1
		.amdhsa_user_sgpr_dispatch_id 0
		.amdhsa_user_sgpr_flat_scratch_init 0
		.amdhsa_user_sgpr_private_segment_size 0
		.amdhsa_uses_dynamic_stack 0
		.amdhsa_system_sgpr_private_segment_wavefront_offset 0
		.amdhsa_system_sgpr_workgroup_id_x 1
		.amdhsa_system_sgpr_workgroup_id_y 0
		.amdhsa_system_sgpr_workgroup_id_z 0
		.amdhsa_system_sgpr_workgroup_info 0
		.amdhsa_system_vgpr_workitem_id 0
		.amdhsa_next_free_vgpr 39
		.amdhsa_next_free_sgpr 60
		.amdhsa_reserve_vcc 1
		.amdhsa_reserve_flat_scratch 0
		.amdhsa_float_round_mode_32 0
		.amdhsa_float_round_mode_16_64 0
		.amdhsa_float_denorm_mode_32 3
		.amdhsa_float_denorm_mode_16_64 3
		.amdhsa_dx10_clamp 1
		.amdhsa_ieee_mode 1
		.amdhsa_fp16_overflow 0
		.amdhsa_exception_fp_ieee_invalid_op 0
		.amdhsa_exception_fp_denorm_src 0
		.amdhsa_exception_fp_ieee_div_zero 0
		.amdhsa_exception_fp_ieee_overflow 0
		.amdhsa_exception_fp_ieee_underflow 0
		.amdhsa_exception_fp_ieee_inexact 0
		.amdhsa_exception_int_div_zero 0
	.end_amdhsa_kernel
	.section	.text._ZN2at6native29vectorized_elementwise_kernelILi8ENS0_13BinaryFunctorIhhhZZZNS0_18lshift_kernel_cudaERNS_18TensorIteratorBaseEENKUlvE_clEvENKUlvE_clEvEUlhhE_EESt5arrayIPcLm3EEEEviT0_T1_,"axG",@progbits,_ZN2at6native29vectorized_elementwise_kernelILi8ENS0_13BinaryFunctorIhhhZZZNS0_18lshift_kernel_cudaERNS_18TensorIteratorBaseEENKUlvE_clEvENKUlvE_clEvEUlhhE_EESt5arrayIPcLm3EEEEviT0_T1_,comdat
.Lfunc_end17:
	.size	_ZN2at6native29vectorized_elementwise_kernelILi8ENS0_13BinaryFunctorIhhhZZZNS0_18lshift_kernel_cudaERNS_18TensorIteratorBaseEENKUlvE_clEvENKUlvE_clEvEUlhhE_EESt5arrayIPcLm3EEEEviT0_T1_, .Lfunc_end17-_ZN2at6native29vectorized_elementwise_kernelILi8ENS0_13BinaryFunctorIhhhZZZNS0_18lshift_kernel_cudaERNS_18TensorIteratorBaseEENKUlvE_clEvENKUlvE_clEvEUlhhE_EESt5arrayIPcLm3EEEEviT0_T1_
                                        ; -- End function
	.set _ZN2at6native29vectorized_elementwise_kernelILi8ENS0_13BinaryFunctorIhhhZZZNS0_18lshift_kernel_cudaERNS_18TensorIteratorBaseEENKUlvE_clEvENKUlvE_clEvEUlhhE_EESt5arrayIPcLm3EEEEviT0_T1_.num_vgpr, 39
	.set _ZN2at6native29vectorized_elementwise_kernelILi8ENS0_13BinaryFunctorIhhhZZZNS0_18lshift_kernel_cudaERNS_18TensorIteratorBaseEENKUlvE_clEvENKUlvE_clEvEUlhhE_EESt5arrayIPcLm3EEEEviT0_T1_.num_agpr, 0
	.set _ZN2at6native29vectorized_elementwise_kernelILi8ENS0_13BinaryFunctorIhhhZZZNS0_18lshift_kernel_cudaERNS_18TensorIteratorBaseEENKUlvE_clEvENKUlvE_clEvEUlhhE_EESt5arrayIPcLm3EEEEviT0_T1_.numbered_sgpr, 60
	.set _ZN2at6native29vectorized_elementwise_kernelILi8ENS0_13BinaryFunctorIhhhZZZNS0_18lshift_kernel_cudaERNS_18TensorIteratorBaseEENKUlvE_clEvENKUlvE_clEvEUlhhE_EESt5arrayIPcLm3EEEEviT0_T1_.num_named_barrier, 0
	.set _ZN2at6native29vectorized_elementwise_kernelILi8ENS0_13BinaryFunctorIhhhZZZNS0_18lshift_kernel_cudaERNS_18TensorIteratorBaseEENKUlvE_clEvENKUlvE_clEvEUlhhE_EESt5arrayIPcLm3EEEEviT0_T1_.private_seg_size, 0
	.set _ZN2at6native29vectorized_elementwise_kernelILi8ENS0_13BinaryFunctorIhhhZZZNS0_18lshift_kernel_cudaERNS_18TensorIteratorBaseEENKUlvE_clEvENKUlvE_clEvEUlhhE_EESt5arrayIPcLm3EEEEviT0_T1_.uses_vcc, 1
	.set _ZN2at6native29vectorized_elementwise_kernelILi8ENS0_13BinaryFunctorIhhhZZZNS0_18lshift_kernel_cudaERNS_18TensorIteratorBaseEENKUlvE_clEvENKUlvE_clEvEUlhhE_EESt5arrayIPcLm3EEEEviT0_T1_.uses_flat_scratch, 0
	.set _ZN2at6native29vectorized_elementwise_kernelILi8ENS0_13BinaryFunctorIhhhZZZNS0_18lshift_kernel_cudaERNS_18TensorIteratorBaseEENKUlvE_clEvENKUlvE_clEvEUlhhE_EESt5arrayIPcLm3EEEEviT0_T1_.has_dyn_sized_stack, 0
	.set _ZN2at6native29vectorized_elementwise_kernelILi8ENS0_13BinaryFunctorIhhhZZZNS0_18lshift_kernel_cudaERNS_18TensorIteratorBaseEENKUlvE_clEvENKUlvE_clEvEUlhhE_EESt5arrayIPcLm3EEEEviT0_T1_.has_recursion, 0
	.set _ZN2at6native29vectorized_elementwise_kernelILi8ENS0_13BinaryFunctorIhhhZZZNS0_18lshift_kernel_cudaERNS_18TensorIteratorBaseEENKUlvE_clEvENKUlvE_clEvEUlhhE_EESt5arrayIPcLm3EEEEviT0_T1_.has_indirect_call, 0
	.section	.AMDGPU.csdata,"",@progbits
; Kernel info:
; codeLenInByte = 3816
; TotalNumSgprs: 64
; NumVgprs: 39
; ScratchSize: 0
; MemoryBound: 0
; FloatMode: 240
; IeeeMode: 1
; LDSByteSize: 0 bytes/workgroup (compile time only)
; SGPRBlocks: 7
; VGPRBlocks: 9
; NumSGPRsForWavesPerEU: 64
; NumVGPRsForWavesPerEU: 39
; Occupancy: 6
; WaveLimiterHint : 1
; COMPUTE_PGM_RSRC2:SCRATCH_EN: 0
; COMPUTE_PGM_RSRC2:USER_SGPR: 6
; COMPUTE_PGM_RSRC2:TRAP_HANDLER: 0
; COMPUTE_PGM_RSRC2:TGID_X_EN: 1
; COMPUTE_PGM_RSRC2:TGID_Y_EN: 0
; COMPUTE_PGM_RSRC2:TGID_Z_EN: 0
; COMPUTE_PGM_RSRC2:TIDIG_COMP_CNT: 0
	.section	.text._ZN2at6native29vectorized_elementwise_kernelILi4ENS0_13BinaryFunctorIhhhZZZNS0_18lshift_kernel_cudaERNS_18TensorIteratorBaseEENKUlvE_clEvENKUlvE_clEvEUlhhE_EESt5arrayIPcLm3EEEEviT0_T1_,"axG",@progbits,_ZN2at6native29vectorized_elementwise_kernelILi4ENS0_13BinaryFunctorIhhhZZZNS0_18lshift_kernel_cudaERNS_18TensorIteratorBaseEENKUlvE_clEvENKUlvE_clEvEUlhhE_EESt5arrayIPcLm3EEEEviT0_T1_,comdat
	.globl	_ZN2at6native29vectorized_elementwise_kernelILi4ENS0_13BinaryFunctorIhhhZZZNS0_18lshift_kernel_cudaERNS_18TensorIteratorBaseEENKUlvE_clEvENKUlvE_clEvEUlhhE_EESt5arrayIPcLm3EEEEviT0_T1_ ; -- Begin function _ZN2at6native29vectorized_elementwise_kernelILi4ENS0_13BinaryFunctorIhhhZZZNS0_18lshift_kernel_cudaERNS_18TensorIteratorBaseEENKUlvE_clEvENKUlvE_clEvEUlhhE_EESt5arrayIPcLm3EEEEviT0_T1_
	.p2align	8
	.type	_ZN2at6native29vectorized_elementwise_kernelILi4ENS0_13BinaryFunctorIhhhZZZNS0_18lshift_kernel_cudaERNS_18TensorIteratorBaseEENKUlvE_clEvENKUlvE_clEvEUlhhE_EESt5arrayIPcLm3EEEEviT0_T1_,@function
_ZN2at6native29vectorized_elementwise_kernelILi4ENS0_13BinaryFunctorIhhhZZZNS0_18lshift_kernel_cudaERNS_18TensorIteratorBaseEENKUlvE_clEvENKUlvE_clEvEUlhhE_EESt5arrayIPcLm3EEEEviT0_T1_: ; @_ZN2at6native29vectorized_elementwise_kernelILi4ENS0_13BinaryFunctorIhhhZZZNS0_18lshift_kernel_cudaERNS_18TensorIteratorBaseEENKUlvE_clEvENKUlvE_clEvEUlhhE_EESt5arrayIPcLm3EEEEviT0_T1_
; %bb.0:
	s_load_dword s0, s[4:5], 0x0
	s_load_dwordx4 s[56:59], s[4:5], 0x8
	s_load_dwordx2 s[8:9], s[4:5], 0x18
	s_lshl_b32 s54, s6, 12
	s_waitcnt lgkmcnt(0)
	s_sub_i32 s33, s0, s54
	s_cmpk_gt_i32 s33, 0xfff
	s_mov_b64 s[0:1], -1
	s_cbranch_scc0 .LBB18_2
; %bb.1:
	s_ashr_i32 s4, s54, 31
	s_add_u32 s0, s58, s54
	s_addc_u32 s1, s59, s4
	v_lshlrev_b32_e32 v1, 2, v0
	s_add_u32 s2, s8, s54
	s_addc_u32 s3, s9, s4
	global_load_dword v2, v1, s[0:1]
	global_load_dword v3, v1, s[0:1] offset:1024
	global_load_dword v4, v1, s[0:1] offset:2048
	global_load_dword v5, v1, s[0:1] offset:3072
	global_load_dword v6, v1, s[2:3]
	global_load_dword v7, v1, s[2:3] offset:1024
	global_load_dword v8, v1, s[2:3] offset:2048
	;; [unrolled: 1-line block ×3, first 2 shown]
	s_brev_b32 s0, 16
	s_waitcnt vmcnt(7)
	v_lshrrev_b32_e32 v10, 8, v2
	s_waitcnt vmcnt(6)
	v_lshrrev_b32_e32 v11, 8, v3
	;; [unrolled: 2-line block ×4, first 2 shown]
	s_waitcnt vmcnt(3)
	v_and_b32_e32 v18, 0xf8, v6
	v_lshlrev_b32_e32 v19, v6, v2
	v_and_b32_e32 v21, 0xf80000, v6
	v_cmp_eq_u32_e32 vcc, 0, v18
	v_lshlrev_b32_sdwa v22, v6, v2 dst_sel:DWORD dst_unused:UNUSED_PAD src0_sel:WORD_1 src1_sel:WORD_1
	v_cndmask_b32_e32 v19, 0, v19, vcc
	v_cmp_eq_u32_e32 vcc, 0, v21
	v_lshlrev_b32_sdwa v2, v6, v2 dst_sel:DWORD dst_unused:UNUSED_PAD src0_sel:BYTE_3 src1_sel:BYTE_3
	s_waitcnt vmcnt(2)
	v_and_b32_e32 v23, 0xf8, v7
	v_cndmask_b32_e32 v21, 0, v22, vcc
	v_cmp_gt_u32_e32 vcc, s0, v6
	v_lshlrev_b32_e32 v24, v7, v3
	v_and_b32_e32 v26, 0xf80000, v7
	v_cndmask_b32_e32 v2, 0, v2, vcc
	v_cmp_eq_u32_e32 vcc, 0, v23
	v_lshrrev_b32_e32 v14, 8, v6
	v_lshrrev_b32_e32 v15, 8, v7
	v_and_b32_e32 v20, 0xf800, v6
	v_lshlrev_b32_sdwa v27, v7, v3 dst_sel:DWORD dst_unused:UNUSED_PAD src0_sel:WORD_1 src1_sel:WORD_1
	v_cndmask_b32_e32 v6, 0, v24, vcc
	v_cmp_eq_u32_e32 vcc, 0, v26
	v_lshlrev_b32_sdwa v3, v7, v3 dst_sel:DWORD dst_unused:UNUSED_PAD src0_sel:BYTE_3 src1_sel:BYTE_3
	s_waitcnt vmcnt(1)
	v_and_b32_e32 v28, 0xf8, v8
	v_lshlrev_b32_e32 v11, v15, v11
	v_cndmask_b32_e32 v15, 0, v27, vcc
	v_cmp_gt_u32_e32 vcc, s0, v7
	v_lshlrev_b32_e32 v29, v8, v4
	v_and_b32_e32 v31, 0xf80000, v8
	v_cndmask_b32_e32 v3, 0, v3, vcc
	v_cmp_eq_u32_e32 vcc, 0, v28
	v_lshrrev_b32_e32 v16, 8, v8
	v_and_b32_e32 v25, 0xf800, v7
	v_lshlrev_b32_sdwa v32, v8, v4 dst_sel:DWORD dst_unused:UNUSED_PAD src0_sel:WORD_1 src1_sel:WORD_1
	v_cndmask_b32_e32 v7, 0, v29, vcc
	v_cmp_eq_u32_e32 vcc, 0, v31
	v_lshlrev_b32_sdwa v4, v8, v4 dst_sel:DWORD dst_unused:UNUSED_PAD src0_sel:BYTE_3 src1_sel:BYTE_3
	s_waitcnt vmcnt(0)
	v_and_b32_e32 v33, 0xf8, v9
	v_lshlrev_b32_e32 v12, v16, v12
	v_cndmask_b32_e32 v16, 0, v32, vcc
	v_cmp_gt_u32_e32 vcc, s0, v8
	v_lshlrev_b32_e32 v34, v9, v5
	v_and_b32_e32 v18, 0xf80000, v9
	v_cndmask_b32_e32 v4, 0, v4, vcc
	v_cmp_eq_u32_e32 vcc, 0, v33
	v_and_b32_e32 v30, 0xf800, v8
	v_lshlrev_b32_e32 v10, v14, v10
	v_lshlrev_b32_sdwa v14, v9, v5 dst_sel:DWORD dst_unused:UNUSED_PAD src0_sel:WORD_1 src1_sel:WORD_1
	v_cndmask_b32_e32 v8, 0, v34, vcc
	v_cmp_eq_u32_e32 vcc, 0, v18
	v_lshlrev_b32_sdwa v5, v9, v5 dst_sel:DWORD dst_unused:UNUSED_PAD src0_sel:BYTE_3 src1_sel:BYTE_3
	v_cndmask_b32_e32 v14, 0, v14, vcc
	v_cmp_gt_u32_e32 vcc, s0, v9
	v_cndmask_b32_e32 v5, 0, v5, vcc
	v_cmp_eq_u32_e32 vcc, 0, v20
	v_lshrrev_b32_e32 v17, 8, v9
	v_and_b32_e32 v35, 0xf800, v9
	v_cndmask_b32_e32 v9, 0, v10, vcc
	v_cmp_eq_u32_e32 vcc, 0, v25
	v_cndmask_b32_e32 v10, 0, v11, vcc
	v_cmp_eq_u32_e32 vcc, 0, v30
	v_cndmask_b32_e32 v11, 0, v12, vcc
	v_lshlrev_b16_e32 v4, 8, v4
	v_lshlrev_b16_e32 v11, 8, v11
	v_or_b32_sdwa v7, v7, v11 dst_sel:DWORD dst_unused:UNUSED_PAD src0_sel:BYTE_0 src1_sel:DWORD
	v_or_b32_sdwa v4, v16, v4 dst_sel:WORD_1 dst_unused:UNUSED_PAD src0_sel:BYTE_0 src1_sel:DWORD
	v_or_b32_sdwa v4, v7, v4 dst_sel:DWORD dst_unused:UNUSED_PAD src0_sel:WORD_0 src1_sel:DWORD
	v_lshlrev_b16_e32 v7, 8, v10
	v_lshlrev_b16_e32 v3, 8, v3
	v_lshlrev_b32_e32 v13, v17, v13
	v_cmp_eq_u32_e32 vcc, 0, v35
	v_or_b32_sdwa v6, v6, v7 dst_sel:DWORD dst_unused:UNUSED_PAD src0_sel:BYTE_0 src1_sel:DWORD
	v_or_b32_sdwa v3, v15, v3 dst_sel:WORD_1 dst_unused:UNUSED_PAD src0_sel:BYTE_0 src1_sel:DWORD
	v_cndmask_b32_e32 v12, 0, v13, vcc
	v_or_b32_sdwa v3, v6, v3 dst_sel:DWORD dst_unused:UNUSED_PAD src0_sel:WORD_0 src1_sel:DWORD
	v_lshlrev_b16_e32 v6, 8, v9
	v_lshlrev_b16_e32 v2, 8, v2
	;; [unrolled: 1-line block ×4, first 2 shown]
	v_or_b32_sdwa v6, v19, v6 dst_sel:DWORD dst_unused:UNUSED_PAD src0_sel:BYTE_0 src1_sel:DWORD
	v_or_b32_sdwa v2, v21, v2 dst_sel:WORD_1 dst_unused:UNUSED_PAD src0_sel:BYTE_0 src1_sel:DWORD
	s_add_u32 s0, s56, s54
	v_or_b32_sdwa v5, v14, v5 dst_sel:WORD_1 dst_unused:UNUSED_PAD src0_sel:BYTE_0 src1_sel:DWORD
	v_or_b32_sdwa v8, v8, v12 dst_sel:DWORD dst_unused:UNUSED_PAD src0_sel:BYTE_0 src1_sel:DWORD
	v_or_b32_sdwa v2, v6, v2 dst_sel:DWORD dst_unused:UNUSED_PAD src0_sel:WORD_0 src1_sel:DWORD
	s_addc_u32 s1, s57, s4
	v_or_b32_sdwa v5, v8, v5 dst_sel:DWORD dst_unused:UNUSED_PAD src0_sel:WORD_0 src1_sel:DWORD
	global_store_dword v1, v2, s[0:1]
	global_store_dword v1, v3, s[0:1] offset:1024
	global_store_dword v1, v4, s[0:1] offset:2048
	global_store_dword v1, v5, s[0:1] offset:3072
	s_mov_b64 s[0:1], 0
.LBB18_2:
	s_andn2_b64 vcc, exec, s[0:1]
	s_cbranch_vccnz .LBB18_54
; %bb.3:
	v_cmp_gt_i32_e32 vcc, s33, v0
	v_cmp_le_i32_e64 s[0:1], s33, v0
                                        ; implicit-def: $vgpr5
	s_and_saveexec_b64 s[2:3], s[0:1]
	s_xor_b64 s[0:1], exec, s[2:3]
; %bb.4:
	v_or_b32_e32 v5, 0x100, v0
; %bb.5:
	s_or_saveexec_b64 s[2:3], s[0:1]
	v_mov_b32_e32 v38, 0
	v_mov_b32_e32 v7, 0
	v_or_b32_e32 v6, s54, v0
	v_mov_b32_e32 v37, 0
	v_mov_b32_e32 v36, 0
	;; [unrolled: 1-line block ×30, first 2 shown]
	s_xor_b64 exec, exec, s[2:3]
	s_cbranch_execz .LBB18_37
; %bb.6:
	global_load_ubyte v19, v6, s[58:59]
	global_load_ubyte v20, v6, s[8:9]
	v_or_b32_e32 v5, 0x100, v0
	v_cmp_gt_u32_e64 s[0:1], s33, v5
	v_mov_b32_e32 v7, 0
	v_mov_b32_e32 v18, 0
	;; [unrolled: 1-line block ×30, first 2 shown]
	s_and_saveexec_b64 s[4:5], s[0:1]
	s_cbranch_execz .LBB18_36
; %bb.7:
	v_add_u32_e32 v3, s54, v0
	global_load_ubyte v21, v3, s[58:59] offset:256
	global_load_ubyte v18, v3, s[8:9] offset:256
	v_or_b32_e32 v1, 0x200, v0
	v_mov_b32_e32 v22, 0
	v_cmp_gt_u32_e64 s[0:1], s33, v1
	v_mov_b32_e32 v26, 0
	v_mov_b32_e32 v23, 0
	;; [unrolled: 1-line block ×27, first 2 shown]
	s_and_saveexec_b64 s[6:7], s[0:1]
	s_cbranch_execz .LBB18_35
; %bb.8:
	v_mov_b32_e32 v2, s59
	v_add_co_u32_e64 v1, s[0:1], s58, v3
	v_addc_co_u32_e64 v2, s[0:1], 0, v2, s[0:1]
	v_mov_b32_e32 v4, s9
	v_add_co_u32_e64 v3, s[0:1], s8, v3
	v_addc_co_u32_e64 v4, s[0:1], 0, v4, s[0:1]
	global_load_ubyte v26, v[1:2], off offset:512
	global_load_ubyte v22, v[3:4], off offset:512
	v_or_b32_e32 v7, 0x300, v0
	v_cmp_gt_u32_e64 s[0:1], s33, v7
	v_mov_b32_e32 v7, 0
	v_mov_b32_e32 v23, 0
	;; [unrolled: 1-line block ×26, first 2 shown]
	s_and_saveexec_b64 s[8:9], s[0:1]
	s_cbranch_execz .LBB18_34
; %bb.9:
	global_load_ubyte v25, v[1:2], off offset:768
	global_load_ubyte v23, v[3:4], off offset:768
	v_or_b32_e32 v7, 0x400, v0
	v_cmp_gt_u32_e64 s[0:1], s33, v7
	v_mov_b32_e32 v7, 0
	v_mov_b32_e32 v8, 0
	;; [unrolled: 1-line block ×24, first 2 shown]
	s_and_saveexec_b64 s[10:11], s[0:1]
	s_cbranch_execz .LBB18_33
; %bb.10:
	global_load_ubyte v9, v[1:2], off offset:1024
	global_load_ubyte v8, v[3:4], off offset:1024
	v_or_b32_e32 v7, 0x500, v0
	v_cmp_gt_u32_e64 s[0:1], s33, v7
	v_mov_b32_e32 v7, 0
	v_mov_b32_e32 v10, 0
	;; [unrolled: 1-line block ×22, first 2 shown]
	s_and_saveexec_b64 s[12:13], s[0:1]
	s_cbranch_execz .LBB18_32
; %bb.11:
	global_load_ubyte v12, v[1:2], off offset:1280
	global_load_ubyte v10, v[3:4], off offset:1280
	v_or_b32_e32 v7, 0x600, v0
	v_cmp_gt_u32_e64 s[0:1], s33, v7
	v_mov_b32_e32 v7, 0
	v_mov_b32_e32 v13, 0
	;; [unrolled: 1-line block ×20, first 2 shown]
	s_and_saveexec_b64 s[14:15], s[0:1]
	s_cbranch_execz .LBB18_31
; %bb.12:
	global_load_ubyte v15, v[1:2], off offset:1536
	global_load_ubyte v13, v[3:4], off offset:1536
	v_or_b32_e32 v7, 0x700, v0
	v_cmp_gt_u32_e64 s[0:1], s33, v7
	v_mov_b32_e32 v7, 0
	v_mov_b32_e32 v11, 0
	;; [unrolled: 1-line block ×18, first 2 shown]
	s_and_saveexec_b64 s[16:17], s[0:1]
	s_cbranch_execz .LBB18_30
; %bb.13:
	global_load_ubyte v14, v[1:2], off offset:1792
	global_load_ubyte v11, v[3:4], off offset:1792
	v_or_b32_e32 v7, 0x800, v0
	v_cmp_gt_u32_e64 s[0:1], s33, v7
	v_mov_b32_e32 v7, 0
	v_mov_b32_e32 v16, 0
	;; [unrolled: 1-line block ×16, first 2 shown]
	s_and_saveexec_b64 s[18:19], s[0:1]
	s_cbranch_execz .LBB18_29
; %bb.14:
	global_load_ubyte v17, v[1:2], off offset:2048
	global_load_ubyte v16, v[3:4], off offset:2048
	v_or_b32_e32 v7, 0x900, v0
	v_cmp_gt_u32_e64 s[0:1], s33, v7
	v_mov_b32_e32 v7, 0
	v_mov_b32_e32 v24, 0
	;; [unrolled: 1-line block ×14, first 2 shown]
	s_and_saveexec_b64 s[20:21], s[0:1]
	s_cbranch_execz .LBB18_28
; %bb.15:
	global_load_ubyte v27, v[1:2], off offset:2304
	global_load_ubyte v24, v[3:4], off offset:2304
	v_or_b32_e32 v7, 0xa00, v0
	v_cmp_gt_u32_e64 s[0:1], s33, v7
	v_mov_b32_e32 v7, 0
	v_mov_b32_e32 v28, 0
	;; [unrolled: 1-line block ×12, first 2 shown]
	s_and_saveexec_b64 s[22:23], s[0:1]
	s_cbranch_execz .LBB18_27
; %bb.16:
	global_load_ubyte v29, v[1:2], off offset:2560
	global_load_ubyte v28, v[3:4], off offset:2560
	v_or_b32_e32 v7, 0xb00, v0
	v_cmp_gt_u32_e64 s[0:1], s33, v7
	v_mov_b32_e32 v7, 0
	v_mov_b32_e32 v30, 0
	;; [unrolled: 1-line block ×10, first 2 shown]
	s_and_saveexec_b64 s[24:25], s[0:1]
	s_cbranch_execz .LBB18_26
; %bb.17:
	global_load_ubyte v31, v[1:2], off offset:2816
	global_load_ubyte v30, v[3:4], off offset:2816
	v_or_b32_e32 v7, 0xc00, v0
	v_cmp_gt_u32_e64 s[0:1], s33, v7
	v_mov_b32_e32 v7, 0
	v_mov_b32_e32 v32, 0
	;; [unrolled: 1-line block ×8, first 2 shown]
	s_and_saveexec_b64 s[26:27], s[0:1]
	s_cbranch_execz .LBB18_25
; %bb.18:
	global_load_ubyte v33, v[1:2], off offset:3072
	global_load_ubyte v32, v[3:4], off offset:3072
	v_or_b32_e32 v7, 0xd00, v0
	v_cmp_gt_u32_e64 s[0:1], s33, v7
	v_mov_b32_e32 v7, 0
	v_mov_b32_e32 v34, 0
	;; [unrolled: 1-line block ×6, first 2 shown]
	s_and_saveexec_b64 s[28:29], s[0:1]
	s_cbranch_execz .LBB18_24
; %bb.19:
	global_load_ubyte v35, v[1:2], off offset:3328
	global_load_ubyte v34, v[3:4], off offset:3328
	v_or_b32_e32 v7, 0xe00, v0
	v_cmp_gt_u32_e64 s[0:1], s33, v7
	v_mov_b32_e32 v7, 0
	v_mov_b32_e32 v36, 0
	v_mov_b32_e32 v37, 0
	v_mov_b32_e32 v38, 0
	s_and_saveexec_b64 s[30:31], s[0:1]
	s_cbranch_execz .LBB18_23
; %bb.20:
	global_load_ubyte v37, v[1:2], off offset:3584
	global_load_ubyte v36, v[3:4], off offset:3584
	v_or_b32_e32 v7, 0xf00, v0
	v_cmp_gt_u32_e64 s[0:1], s33, v7
	v_mov_b32_e32 v7, 0
	v_mov_b32_e32 v38, 0
	s_and_saveexec_b64 s[34:35], s[0:1]
	s_cbranch_execz .LBB18_22
; %bb.21:
	global_load_ubyte v7, v[1:2], off offset:3840
	global_load_ubyte v38, v[3:4], off offset:3840
.LBB18_22:
	s_or_b64 exec, exec, s[34:35]
.LBB18_23:
	s_or_b64 exec, exec, s[30:31]
.LBB18_24:
	s_or_b64 exec, exec, s[28:29]
.LBB18_25:
	s_or_b64 exec, exec, s[26:27]
.LBB18_26:
	s_or_b64 exec, exec, s[24:25]
.LBB18_27:
	s_or_b64 exec, exec, s[22:23]
.LBB18_28:
	s_or_b64 exec, exec, s[20:21]
.LBB18_29:
	s_or_b64 exec, exec, s[18:19]
.LBB18_30:
	s_or_b64 exec, exec, s[16:17]
.LBB18_31:
	s_or_b64 exec, exec, s[14:15]
.LBB18_32:
	s_or_b64 exec, exec, s[12:13]
.LBB18_33:
	s_or_b64 exec, exec, s[10:11]
.LBB18_34:
	s_or_b64 exec, exec, s[8:9]
.LBB18_35:
	s_or_b64 exec, exec, s[6:7]
.LBB18_36:
	s_or_b64 exec, exec, s[4:5]
.LBB18_37:
	s_or_b64 exec, exec, s[2:3]
	s_and_saveexec_b64 s[0:1], vcc
	s_cbranch_execz .LBB18_54
; %bb.38:
	s_waitcnt vmcnt(0)
	v_lshlrev_b32_e32 v1, v20, v19
	v_mov_b32_e32 v19, 8
	v_cmp_lt_u16_sdwa s[0:1], v20, v19 src0_sel:BYTE_0 src1_sel:DWORD
	v_cndmask_b32_e64 v1, 0, v1, s[0:1]
	s_mov_b32 s58, 0xffff
	v_and_b32_sdwa v1, s58, v1 dst_sel:DWORD dst_unused:UNUSED_PAD src0_sel:DWORD src1_sel:BYTE_0
	v_cndmask_b32_e32 v1, 0, v1, vcc
	v_lshlrev_b32_e32 v2, v18, v21
	v_cmp_lt_u16_sdwa vcc, v18, v19 src0_sel:BYTE_0 src1_sel:DWORD
	v_cndmask_b32_e32 v2, 0, v2, vcc
	v_lshlrev_b16_e32 v2, 8, v2
	v_or_b32_e32 v2, v1, v2
	v_and_b32_e32 v2, 0xffff, v2
	v_cmp_gt_i32_e64 s[52:53], s33, v5
	v_lshlrev_b32_e32 v3, v22, v26
	v_cmp_lt_u16_sdwa vcc, v22, v19 src0_sel:BYTE_0 src1_sel:DWORD
	v_cndmask_b32_e64 v1, v1, v2, s[52:53]
	v_cndmask_b32_e32 v3, 0, v3, vcc
	s_mov_b32 s59, 0xc0c0304
	v_or_b32_e32 v2, 0x200, v0
	v_perm_b32 v3, v3, v1, s59
	v_lshl_or_b32 v3, v3, 16, v1
	v_cmp_gt_i32_e64 s[18:19], s33, v2
	v_lshlrev_b32_e32 v4, v23, v25
	v_cmp_lt_u16_sdwa vcc, v23, v19 src0_sel:BYTE_0 src1_sel:DWORD
	s_movk_i32 s55, 0xff
	v_cndmask_b32_e64 v1, v1, v3, s[18:19]
	v_cndmask_b32_e32 v4, 0, v4, vcc
	v_and_b32_sdwa v2, v1, s55 dst_sel:DWORD dst_unused:UNUSED_PAD src0_sel:WORD_1 src1_sel:DWORD
	v_lshlrev_b16_e32 v4, 8, v4
	v_or_b32_e32 v3, 0x300, v0
	v_or_b32_sdwa v2, v2, v4 dst_sel:WORD_1 dst_unused:UNUSED_PAD src0_sel:DWORD src1_sel:DWORD
	v_and_or_b32 v2, v1, s58, v2
	v_cmp_gt_i32_e64 s[20:21], s33, v3
	v_cndmask_b32_e64 v18, v1, v2, s[20:21]
	v_or_b32_e32 v1, 0x500, v0
	v_cmp_gt_i32_e64 s[16:17], s33, v1
	v_or_b32_e32 v1, 0x600, v0
	v_cmp_gt_i32_e64 s[14:15], s33, v1
	;; [unrolled: 2-line block ×7, first 2 shown]
	v_or_b32_e32 v1, 0xe00, v0
	v_or_b32_e32 v4, 0x400, v0
	;; [unrolled: 1-line block ×4, first 2 shown]
	v_cmp_gt_i32_e64 s[2:3], s33, v1
	v_or_b32_e32 v1, 0xf00, v0
	v_cmp_lt_u16_sdwa s[50:51], v8, v19 src0_sel:BYTE_0 src1_sel:DWORD
	v_cmp_gt_i32_e64 s[48:49], s33, v4
	v_cmp_lt_u16_sdwa vcc, v10, v19 src0_sel:BYTE_0 src1_sel:DWORD
	v_cmp_lt_u16_sdwa s[46:47], v13, v19 src0_sel:BYTE_0 src1_sel:DWORD
	v_cmp_lt_u16_sdwa s[44:45], v11, v19 src0_sel:BYTE_0 src1_sel:DWORD
	v_cmp_gt_i32_e64 s[38:39], s33, v3
	v_cmp_lt_u16_sdwa s[42:43], v16, v19 src0_sel:BYTE_0 src1_sel:DWORD
	v_cmp_lt_u16_sdwa s[40:41], v24, v19 src0_sel:BYTE_0 src1_sel:DWORD
	;; [unrolled: 1-line block ×5, first 2 shown]
	v_cmp_gt_i32_e64 s[30:31], s33, v2
	v_cmp_lt_u16_sdwa s[26:27], v34, v19 src0_sel:BYTE_0 src1_sel:DWORD
	v_cmp_lt_u16_sdwa s[24:25], v36, v19 src0_sel:BYTE_0 src1_sel:DWORD
	v_cmp_gt_i32_e64 s[0:1], s33, v1
	v_cmp_lt_u16_sdwa s[22:23], v38, v19 src0_sel:BYTE_0 src1_sel:DWORD
	global_store_byte v6, v18, s[56:57]
	s_and_b64 exec, exec, s[52:53]
	s_cbranch_execz .LBB18_54
; %bb.39:
	v_lshlrev_b32_e32 v1, v8, v9
	v_cndmask_b32_e64 v1, 0, v1, s[50:51]
	s_mov_b32 s50, 0x3020104
	v_perm_b32 v1, v1, 0, s50
	v_lshlrev_b32_e32 v6, v10, v12
	v_mov_b32_e32 v10, 0
	v_cndmask_b32_e64 v1, 0, v1, s[48:49]
	v_cndmask_b32_sdwa v6, v10, v6, vcc dst_sel:BYTE_1 dst_unused:UNUSED_PAD src0_sel:DWORD src1_sel:DWORD
	v_or_b32_sdwa v6, v1, v6 dst_sel:DWORD dst_unused:UNUSED_PAD src0_sel:BYTE_0 src1_sel:DWORD
	v_and_b32_e32 v6, 0xffff, v6
	s_mov_b32 s48, 0xffff0000
	v_and_or_b32 v6, v1, s48, v6
	v_cndmask_b32_e64 v1, v1, v6, s[16:17]
	v_lshlrev_b32_e32 v6, v13, v15
	v_cndmask_b32_e64 v6, 0, v6, s[46:47]
	s_mov_b32 s46, 0x7000504
	v_perm_b32 v6, v1, v6, s46
	v_lshlrev_b32_e32 v8, v11, v14
	v_cndmask_b32_e64 v1, v1, v6, s[14:15]
	v_cndmask_b32_e64 v8, 0, v8, s[44:45]
	v_and_b32_sdwa v6, v1, s55 dst_sel:DWORD dst_unused:UNUSED_PAD src0_sel:WORD_1 src1_sel:DWORD
	v_lshlrev_b16_e32 v8, 8, v8
	v_or_b32_sdwa v6, v6, v8 dst_sel:WORD_1 dst_unused:UNUSED_PAD src0_sel:DWORD src1_sel:DWORD
	v_and_or_b32 v6, v1, s58, v6
	v_cndmask_b32_e64 v9, v1, v6, s[12:13]
	v_lshlrev_b32_e32 v1, v16, v17
	v_cndmask_b32_e64 v1, 0, v1, s[42:43]
	v_lshlrev_b32_e32 v6, v24, v27
	v_and_b32_sdwa v1, s58, v1 dst_sel:DWORD dst_unused:UNUSED_PAD src0_sel:DWORD src1_sel:BYTE_0
	v_cndmask_b32_e64 v6, 0, v6, s[40:41]
	v_cndmask_b32_e64 v1, 0, v1, s[38:39]
	v_lshlrev_b16_e32 v6, 8, v6
	v_or_b32_e32 v6, v1, v6
	v_and_b32_e32 v6, 0xffff, v6
	v_cndmask_b32_e64 v1, v1, v6, s[10:11]
	v_lshlrev_b32_e32 v6, v28, v29
	v_cndmask_b32_e64 v6, 0, v6, s[36:37]
	v_perm_b32 v6, v6, v1, s59
	v_lshl_or_b32 v6, v6, 16, v1
	v_lshlrev_b32_e32 v8, v30, v31
	v_cndmask_b32_e64 v1, v1, v6, s[8:9]
	v_cndmask_b32_e64 v8, 0, v8, s[34:35]
	v_and_b32_sdwa v6, v1, s55 dst_sel:DWORD dst_unused:UNUSED_PAD src0_sel:WORD_1 src1_sel:DWORD
	v_lshlrev_b16_e32 v8, 8, v8
	v_or_b32_sdwa v6, v6, v8 dst_sel:WORD_1 dst_unused:UNUSED_PAD src0_sel:DWORD src1_sel:DWORD
	v_and_or_b32 v6, v1, s58, v6
	v_cndmask_b32_e64 v8, v1, v6, s[6:7]
	v_lshlrev_b32_e32 v1, v32, v33
	v_cndmask_b32_e64 v1, 0, v1, s[28:29]
	v_lshlrev_b32_e32 v6, v34, v35
	v_perm_b32 v1, v1, 0, s50
	v_cndmask_b32_e64 v6, 0, v6, s[26:27]
	v_cndmask_b32_e64 v1, 0, v1, s[30:31]
	v_lshlrev_b16_e32 v6, 8, v6
	v_or_b32_sdwa v6, v1, v6 dst_sel:DWORD dst_unused:UNUSED_PAD src0_sel:BYTE_0 src1_sel:DWORD
	v_and_b32_e32 v6, 0xffff, v6
	v_and_or_b32 v6, v1, s48, v6
	v_cndmask_b32_e64 v1, v1, v6, s[4:5]
	v_lshlrev_b32_e32 v6, v36, v37
	v_cndmask_b32_e64 v6, 0, v6, s[24:25]
	v_perm_b32 v6, v1, v6, s46
	v_cndmask_b32_e64 v1, v1, v6, s[2:3]
	v_lshlrev_b32_e32 v7, v38, v7
	s_mov_b64 vcc, s[22:23]
	v_and_b32_sdwa v6, v1, s55 dst_sel:DWORD dst_unused:UNUSED_PAD src0_sel:WORD_1 src1_sel:DWORD
	v_cndmask_b32_sdwa v7, v10, v7, vcc dst_sel:BYTE_1 dst_unused:UNUSED_PAD src0_sel:DWORD src1_sel:DWORD
	v_or_b32_sdwa v6, v6, v7 dst_sel:WORD_1 dst_unused:UNUSED_PAD src0_sel:DWORD src1_sel:DWORD
	v_and_or_b32 v6, v1, s58, v6
	v_cndmask_b32_e64 v6, v1, v6, s[0:1]
	v_or_b32_e32 v1, s54, v5
	v_lshrrev_b32_e32 v5, 8, v18
	global_store_byte v1, v5, s[56:57]
	s_and_b64 exec, exec, s[18:19]
	s_cbranch_execz .LBB18_54
; %bb.40:
	v_add_u32_e32 v0, s54, v0
	global_store_byte_d16_hi v0, v18, s[56:57] offset:512
	s_and_b64 exec, exec, s[20:21]
	s_cbranch_execz .LBB18_54
; %bb.41:
	v_mov_b32_e32 v1, s57
	v_add_co_u32_e32 v0, vcc, s56, v0
	v_addc_co_u32_e32 v1, vcc, 0, v1, vcc
	v_lshrrev_b32_e32 v5, 24, v18
	v_cmp_gt_u32_e32 vcc, s33, v4
	global_store_byte v[0:1], v5, off offset:768
	s_and_b64 exec, exec, vcc
	s_cbranch_execz .LBB18_54
; %bb.42:
	global_store_byte v[0:1], v9, off offset:1024
	s_and_b64 exec, exec, s[16:17]
	s_cbranch_execz .LBB18_54
; %bb.43:
	v_lshrrev_b32_e32 v4, 8, v9
	global_store_byte v[0:1], v4, off offset:1280
	s_and_b64 exec, exec, s[14:15]
	s_cbranch_execz .LBB18_54
; %bb.44:
	global_store_byte_d16_hi v[0:1], v9, off offset:1536
	s_and_b64 exec, exec, s[12:13]
	s_cbranch_execz .LBB18_54
; %bb.45:
	v_lshrrev_b32_e32 v4, 24, v9
	v_cmp_gt_u32_e32 vcc, s33, v3
	global_store_byte v[0:1], v4, off offset:1792
	s_and_b64 exec, exec, vcc
	s_cbranch_execz .LBB18_54
; %bb.46:
	global_store_byte v[0:1], v8, off offset:2048
	s_and_b64 exec, exec, s[10:11]
	s_cbranch_execz .LBB18_54
; %bb.47:
	v_lshrrev_b32_e32 v3, 8, v8
	global_store_byte v[0:1], v3, off offset:2304
	s_and_b64 exec, exec, s[8:9]
	s_cbranch_execz .LBB18_54
; %bb.48:
	global_store_byte_d16_hi v[0:1], v8, off offset:2560
	s_and_b64 exec, exec, s[6:7]
	s_cbranch_execz .LBB18_54
; %bb.49:
	;; [unrolled: 19-line block ×3, first 2 shown]
	v_lshrrev_b32_e32 v2, 24, v6
	global_store_byte v[0:1], v2, off offset:3840
.LBB18_54:
	s_endpgm
	.section	.rodata,"a",@progbits
	.p2align	6, 0x0
	.amdhsa_kernel _ZN2at6native29vectorized_elementwise_kernelILi4ENS0_13BinaryFunctorIhhhZZZNS0_18lshift_kernel_cudaERNS_18TensorIteratorBaseEENKUlvE_clEvENKUlvE_clEvEUlhhE_EESt5arrayIPcLm3EEEEviT0_T1_
		.amdhsa_group_segment_fixed_size 0
		.amdhsa_private_segment_fixed_size 0
		.amdhsa_kernarg_size 32
		.amdhsa_user_sgpr_count 6
		.amdhsa_user_sgpr_private_segment_buffer 1
		.amdhsa_user_sgpr_dispatch_ptr 0
		.amdhsa_user_sgpr_queue_ptr 0
		.amdhsa_user_sgpr_kernarg_segment_ptr 1
		.amdhsa_user_sgpr_dispatch_id 0
		.amdhsa_user_sgpr_flat_scratch_init 0
		.amdhsa_user_sgpr_private_segment_size 0
		.amdhsa_uses_dynamic_stack 0
		.amdhsa_system_sgpr_private_segment_wavefront_offset 0
		.amdhsa_system_sgpr_workgroup_id_x 1
		.amdhsa_system_sgpr_workgroup_id_y 0
		.amdhsa_system_sgpr_workgroup_id_z 0
		.amdhsa_system_sgpr_workgroup_info 0
		.amdhsa_system_vgpr_workitem_id 0
		.amdhsa_next_free_vgpr 39
		.amdhsa_next_free_sgpr 60
		.amdhsa_reserve_vcc 1
		.amdhsa_reserve_flat_scratch 0
		.amdhsa_float_round_mode_32 0
		.amdhsa_float_round_mode_16_64 0
		.amdhsa_float_denorm_mode_32 3
		.amdhsa_float_denorm_mode_16_64 3
		.amdhsa_dx10_clamp 1
		.amdhsa_ieee_mode 1
		.amdhsa_fp16_overflow 0
		.amdhsa_exception_fp_ieee_invalid_op 0
		.amdhsa_exception_fp_denorm_src 0
		.amdhsa_exception_fp_ieee_div_zero 0
		.amdhsa_exception_fp_ieee_overflow 0
		.amdhsa_exception_fp_ieee_underflow 0
		.amdhsa_exception_fp_ieee_inexact 0
		.amdhsa_exception_int_div_zero 0
	.end_amdhsa_kernel
	.section	.text._ZN2at6native29vectorized_elementwise_kernelILi4ENS0_13BinaryFunctorIhhhZZZNS0_18lshift_kernel_cudaERNS_18TensorIteratorBaseEENKUlvE_clEvENKUlvE_clEvEUlhhE_EESt5arrayIPcLm3EEEEviT0_T1_,"axG",@progbits,_ZN2at6native29vectorized_elementwise_kernelILi4ENS0_13BinaryFunctorIhhhZZZNS0_18lshift_kernel_cudaERNS_18TensorIteratorBaseEENKUlvE_clEvENKUlvE_clEvEUlhhE_EESt5arrayIPcLm3EEEEviT0_T1_,comdat
.Lfunc_end18:
	.size	_ZN2at6native29vectorized_elementwise_kernelILi4ENS0_13BinaryFunctorIhhhZZZNS0_18lshift_kernel_cudaERNS_18TensorIteratorBaseEENKUlvE_clEvENKUlvE_clEvEUlhhE_EESt5arrayIPcLm3EEEEviT0_T1_, .Lfunc_end18-_ZN2at6native29vectorized_elementwise_kernelILi4ENS0_13BinaryFunctorIhhhZZZNS0_18lshift_kernel_cudaERNS_18TensorIteratorBaseEENKUlvE_clEvENKUlvE_clEvEUlhhE_EESt5arrayIPcLm3EEEEviT0_T1_
                                        ; -- End function
	.set _ZN2at6native29vectorized_elementwise_kernelILi4ENS0_13BinaryFunctorIhhhZZZNS0_18lshift_kernel_cudaERNS_18TensorIteratorBaseEENKUlvE_clEvENKUlvE_clEvEUlhhE_EESt5arrayIPcLm3EEEEviT0_T1_.num_vgpr, 39
	.set _ZN2at6native29vectorized_elementwise_kernelILi4ENS0_13BinaryFunctorIhhhZZZNS0_18lshift_kernel_cudaERNS_18TensorIteratorBaseEENKUlvE_clEvENKUlvE_clEvEUlhhE_EESt5arrayIPcLm3EEEEviT0_T1_.num_agpr, 0
	.set _ZN2at6native29vectorized_elementwise_kernelILi4ENS0_13BinaryFunctorIhhhZZZNS0_18lshift_kernel_cudaERNS_18TensorIteratorBaseEENKUlvE_clEvENKUlvE_clEvEUlhhE_EESt5arrayIPcLm3EEEEviT0_T1_.numbered_sgpr, 60
	.set _ZN2at6native29vectorized_elementwise_kernelILi4ENS0_13BinaryFunctorIhhhZZZNS0_18lshift_kernel_cudaERNS_18TensorIteratorBaseEENKUlvE_clEvENKUlvE_clEvEUlhhE_EESt5arrayIPcLm3EEEEviT0_T1_.num_named_barrier, 0
	.set _ZN2at6native29vectorized_elementwise_kernelILi4ENS0_13BinaryFunctorIhhhZZZNS0_18lshift_kernel_cudaERNS_18TensorIteratorBaseEENKUlvE_clEvENKUlvE_clEvEUlhhE_EESt5arrayIPcLm3EEEEviT0_T1_.private_seg_size, 0
	.set _ZN2at6native29vectorized_elementwise_kernelILi4ENS0_13BinaryFunctorIhhhZZZNS0_18lshift_kernel_cudaERNS_18TensorIteratorBaseEENKUlvE_clEvENKUlvE_clEvEUlhhE_EESt5arrayIPcLm3EEEEviT0_T1_.uses_vcc, 1
	.set _ZN2at6native29vectorized_elementwise_kernelILi4ENS0_13BinaryFunctorIhhhZZZNS0_18lshift_kernel_cudaERNS_18TensorIteratorBaseEENKUlvE_clEvENKUlvE_clEvEUlhhE_EESt5arrayIPcLm3EEEEviT0_T1_.uses_flat_scratch, 0
	.set _ZN2at6native29vectorized_elementwise_kernelILi4ENS0_13BinaryFunctorIhhhZZZNS0_18lshift_kernel_cudaERNS_18TensorIteratorBaseEENKUlvE_clEvENKUlvE_clEvEUlhhE_EESt5arrayIPcLm3EEEEviT0_T1_.has_dyn_sized_stack, 0
	.set _ZN2at6native29vectorized_elementwise_kernelILi4ENS0_13BinaryFunctorIhhhZZZNS0_18lshift_kernel_cudaERNS_18TensorIteratorBaseEENKUlvE_clEvENKUlvE_clEvEUlhhE_EESt5arrayIPcLm3EEEEviT0_T1_.has_recursion, 0
	.set _ZN2at6native29vectorized_elementwise_kernelILi4ENS0_13BinaryFunctorIhhhZZZNS0_18lshift_kernel_cudaERNS_18TensorIteratorBaseEENKUlvE_clEvENKUlvE_clEvEUlhhE_EESt5arrayIPcLm3EEEEviT0_T1_.has_indirect_call, 0
	.section	.AMDGPU.csdata,"",@progbits
; Kernel info:
; codeLenInByte = 3880
; TotalNumSgprs: 64
; NumVgprs: 39
; ScratchSize: 0
; MemoryBound: 0
; FloatMode: 240
; IeeeMode: 1
; LDSByteSize: 0 bytes/workgroup (compile time only)
; SGPRBlocks: 7
; VGPRBlocks: 9
; NumSGPRsForWavesPerEU: 64
; NumVGPRsForWavesPerEU: 39
; Occupancy: 6
; WaveLimiterHint : 1
; COMPUTE_PGM_RSRC2:SCRATCH_EN: 0
; COMPUTE_PGM_RSRC2:USER_SGPR: 6
; COMPUTE_PGM_RSRC2:TRAP_HANDLER: 0
; COMPUTE_PGM_RSRC2:TGID_X_EN: 1
; COMPUTE_PGM_RSRC2:TGID_Y_EN: 0
; COMPUTE_PGM_RSRC2:TGID_Z_EN: 0
; COMPUTE_PGM_RSRC2:TIDIG_COMP_CNT: 0
	.section	.text._ZN2at6native29vectorized_elementwise_kernelILi2ENS0_13BinaryFunctorIhhhZZZNS0_18lshift_kernel_cudaERNS_18TensorIteratorBaseEENKUlvE_clEvENKUlvE_clEvEUlhhE_EESt5arrayIPcLm3EEEEviT0_T1_,"axG",@progbits,_ZN2at6native29vectorized_elementwise_kernelILi2ENS0_13BinaryFunctorIhhhZZZNS0_18lshift_kernel_cudaERNS_18TensorIteratorBaseEENKUlvE_clEvENKUlvE_clEvEUlhhE_EESt5arrayIPcLm3EEEEviT0_T1_,comdat
	.globl	_ZN2at6native29vectorized_elementwise_kernelILi2ENS0_13BinaryFunctorIhhhZZZNS0_18lshift_kernel_cudaERNS_18TensorIteratorBaseEENKUlvE_clEvENKUlvE_clEvEUlhhE_EESt5arrayIPcLm3EEEEviT0_T1_ ; -- Begin function _ZN2at6native29vectorized_elementwise_kernelILi2ENS0_13BinaryFunctorIhhhZZZNS0_18lshift_kernel_cudaERNS_18TensorIteratorBaseEENKUlvE_clEvENKUlvE_clEvEUlhhE_EESt5arrayIPcLm3EEEEviT0_T1_
	.p2align	8
	.type	_ZN2at6native29vectorized_elementwise_kernelILi2ENS0_13BinaryFunctorIhhhZZZNS0_18lshift_kernel_cudaERNS_18TensorIteratorBaseEENKUlvE_clEvENKUlvE_clEvEUlhhE_EESt5arrayIPcLm3EEEEviT0_T1_,@function
_ZN2at6native29vectorized_elementwise_kernelILi2ENS0_13BinaryFunctorIhhhZZZNS0_18lshift_kernel_cudaERNS_18TensorIteratorBaseEENKUlvE_clEvENKUlvE_clEvEUlhhE_EESt5arrayIPcLm3EEEEviT0_T1_: ; @_ZN2at6native29vectorized_elementwise_kernelILi2ENS0_13BinaryFunctorIhhhZZZNS0_18lshift_kernel_cudaERNS_18TensorIteratorBaseEENKUlvE_clEvENKUlvE_clEvEUlhhE_EESt5arrayIPcLm3EEEEviT0_T1_
; %bb.0:
	s_load_dword s0, s[4:5], 0x0
	s_load_dwordx4 s[56:59], s[4:5], 0x8
	s_load_dwordx2 s[8:9], s[4:5], 0x18
	s_lshl_b32 s54, s6, 12
	s_waitcnt lgkmcnt(0)
	s_sub_i32 s33, s0, s54
	s_cmpk_gt_i32 s33, 0xfff
	s_mov_b64 s[0:1], -1
	s_cbranch_scc0 .LBB19_2
; %bb.1:
	s_ashr_i32 s4, s54, 31
	s_add_u32 s0, s58, s54
	s_addc_u32 s1, s59, s4
	s_add_u32 s2, s8, s54
	v_lshlrev_b32_e32 v1, 1, v0
	s_addc_u32 s3, s9, s4
	global_load_ushort v2, v1, s[2:3]
	global_load_ushort v3, v1, s[0:1]
	global_load_ushort v4, v1, s[2:3] offset:512
	global_load_ushort v5, v1, s[0:1] offset:512
	;; [unrolled: 1-line block ×13, first 2 shown]
                                        ; kill: killed $sgpr2 killed $sgpr3
	global_load_ushort v17, v1, s[0:1] offset:3584
	s_movk_i32 s6, 0x800
	s_mov_b32 s5, 0xffff
	s_waitcnt vmcnt(15)
	v_cmp_gt_u16_e32 vcc, s6, v2
	s_waitcnt vmcnt(14)
	v_lshlrev_b32_sdwa v20, v2, v3 dst_sel:DWORD dst_unused:UNUSED_PAD src0_sel:BYTE_1 src1_sel:BYTE_1
	v_cndmask_b32_e32 v20, 0, v20, vcc
	v_and_b32_e32 v18, 0xf8, v2
	v_and_b32_sdwa v19, s5, v2 dst_sel:DWORD dst_unused:UNUSED_PAD src0_sel:DWORD src1_sel:BYTE_0
	s_waitcnt vmcnt(13)
	v_and_b32_e32 v2, 0xf8, v4
	s_waitcnt vmcnt(9)
	v_cmp_gt_u16_e32 vcc, s6, v8
	s_waitcnt vmcnt(8)
	v_lshlrev_b32_sdwa v26, v8, v9 dst_sel:DWORD dst_unused:UNUSED_PAD src0_sel:BYTE_1 src1_sel:BYTE_1
	v_and_b32_sdwa v21, s5, v4 dst_sel:DWORD dst_unused:UNUSED_PAD src0_sel:DWORD src1_sel:BYTE_0
	v_lshlrev_b32_sdwa v22, v4, v5 dst_sel:DWORD dst_unused:UNUSED_PAD src0_sel:BYTE_1 src1_sel:BYTE_1
	v_cmp_gt_u16_e64 s[0:1], s6, v4
	v_and_b32_e32 v4, 0xf8, v6
	v_and_b32_sdwa v23, s5, v6 dst_sel:DWORD dst_unused:UNUSED_PAD src0_sel:DWORD src1_sel:BYTE_0
	v_lshlrev_b32_sdwa v24, v6, v7 dst_sel:DWORD dst_unused:UNUSED_PAD src0_sel:BYTE_1 src1_sel:BYTE_1
	v_cmp_gt_u16_e64 s[2:3], s6, v6
	v_and_b32_e32 v6, 0xf8, v8
	v_and_b32_sdwa v25, s5, v8 dst_sel:DWORD dst_unused:UNUSED_PAD src0_sel:DWORD src1_sel:BYTE_0
	s_waitcnt vmcnt(6)
	v_lshlrev_b32_sdwa v29, v10, v11 dst_sel:DWORD dst_unused:UNUSED_PAD src0_sel:BYTE_1 src1_sel:BYTE_1
	v_cndmask_b32_e32 v8, 0, v26, vcc
	v_cmp_gt_u16_e32 vcc, s6, v10
	v_and_b32_e32 v27, 0xf8, v10
	v_and_b32_sdwa v28, s5, v10 dst_sel:DWORD dst_unused:UNUSED_PAD src0_sel:DWORD src1_sel:BYTE_0
	s_waitcnt vmcnt(4)
	v_lshlrev_b32_sdwa v32, v12, v13 dst_sel:DWORD dst_unused:UNUSED_PAD src0_sel:BYTE_1 src1_sel:BYTE_1
	v_cndmask_b32_e32 v10, 0, v29, vcc
	v_cmp_gt_u16_e32 vcc, s6, v12
	;; [unrolled: 6-line block ×3, first 2 shown]
	v_and_b32_e32 v33, 0xf8, v14
	v_and_b32_sdwa v34, s5, v14 dst_sel:DWORD dst_unused:UNUSED_PAD src0_sel:DWORD src1_sel:BYTE_0
	v_lshlrev_b32_e32 v7, v23, v7
	s_waitcnt vmcnt(0)
	v_lshlrev_b32_sdwa v23, v16, v17 dst_sel:DWORD dst_unused:UNUSED_PAD src0_sel:BYTE_1 src1_sel:BYTE_1
	v_cndmask_b32_e32 v14, 0, v35, vcc
	v_cmp_gt_u16_e32 vcc, s6, v16
	v_lshlrev_b32_e32 v3, v19, v3
	v_and_b32_e32 v19, 0xf8, v16
	v_lshlrev_b32_e32 v5, v21, v5
	v_and_b32_sdwa v21, s5, v16 dst_sel:DWORD dst_unused:UNUSED_PAD src0_sel:DWORD src1_sel:BYTE_0
	v_cndmask_b32_e32 v16, 0, v23, vcc
	v_cmp_eq_u16_e32 vcc, 0, v18
	v_cndmask_b32_e32 v3, 0, v3, vcc
	v_cmp_eq_u16_e32 vcc, 0, v2
	;; [unrolled: 2-line block ×3, first 2 shown]
	v_lshlrev_b32_e32 v9, v25, v9
	v_cndmask_b32_e32 v4, 0, v7, vcc
	v_cmp_eq_u16_e32 vcc, 0, v6
	v_lshlrev_b32_e32 v11, v28, v11
	v_cndmask_b32_e32 v5, 0, v9, vcc
	v_cmp_eq_u16_e32 vcc, 0, v27
	v_cndmask_b32_e64 v24, 0, v24, s[2:3]
	v_lshlrev_b32_e32 v13, v31, v13
	v_cndmask_b32_e32 v6, 0, v11, vcc
	v_cmp_eq_u16_e32 vcc, 0, v30
	v_lshlrev_b16_e32 v8, 8, v8
	v_cndmask_b32_e64 v22, 0, v22, s[0:1]
	v_lshlrev_b32_e32 v15, v34, v15
	v_cndmask_b32_e32 v7, 0, v13, vcc
	v_cmp_eq_u16_e32 vcc, 0, v33
	v_or_b32_sdwa v5, v5, v8 dst_sel:DWORD dst_unused:UNUSED_PAD src0_sel:BYTE_0 src1_sel:DWORD
	v_lshlrev_b16_e32 v8, 8, v24
	v_lshlrev_b32_e32 v17, v21, v17
	v_cndmask_b32_e32 v9, 0, v15, vcc
	v_cmp_eq_u16_e32 vcc, 0, v19
	v_or_b32_sdwa v4, v4, v8 dst_sel:DWORD dst_unused:UNUSED_PAD src0_sel:BYTE_0 src1_sel:DWORD
	v_lshlrev_b16_e32 v8, 8, v22
	v_cndmask_b32_e32 v11, 0, v17, vcc
	v_lshlrev_b16_e32 v13, 8, v16
	v_or_b32_sdwa v2, v2, v8 dst_sel:DWORD dst_unused:UNUSED_PAD src0_sel:BYTE_0 src1_sel:DWORD
	v_lshlrev_b16_e32 v8, 8, v20
	s_add_u32 s0, s56, s54
	v_or_b32_sdwa v11, v11, v13 dst_sel:DWORD dst_unused:UNUSED_PAD src0_sel:BYTE_0 src1_sel:DWORD
	v_lshlrev_b16_e32 v13, 8, v14
	v_lshlrev_b16_e32 v12, 8, v12
	;; [unrolled: 1-line block ×3, first 2 shown]
	v_or_b32_sdwa v3, v3, v8 dst_sel:DWORD dst_unused:UNUSED_PAD src0_sel:BYTE_0 src1_sel:DWORD
	s_addc_u32 s1, s57, s4
	v_or_b32_sdwa v9, v9, v13 dst_sel:DWORD dst_unused:UNUSED_PAD src0_sel:BYTE_0 src1_sel:DWORD
	v_or_b32_sdwa v7, v7, v12 dst_sel:DWORD dst_unused:UNUSED_PAD src0_sel:BYTE_0 src1_sel:DWORD
	;; [unrolled: 1-line block ×3, first 2 shown]
	global_store_short v1, v3, s[0:1]
	global_store_short v1, v2, s[0:1] offset:512
	global_store_short v1, v4, s[0:1] offset:1024
	;; [unrolled: 1-line block ×7, first 2 shown]
	s_mov_b64 s[0:1], 0
.LBB19_2:
	s_andn2_b64 vcc, exec, s[0:1]
	s_cbranch_vccnz .LBB19_54
; %bb.3:
	v_cmp_gt_i32_e32 vcc, s33, v0
	v_cmp_le_i32_e64 s[0:1], s33, v0
                                        ; implicit-def: $vgpr5
	s_and_saveexec_b64 s[2:3], s[0:1]
	s_xor_b64 s[0:1], exec, s[2:3]
; %bb.4:
	v_or_b32_e32 v5, 0x100, v0
; %bb.5:
	s_or_saveexec_b64 s[2:3], s[0:1]
	v_mov_b32_e32 v38, 0
	v_mov_b32_e32 v7, 0
	v_or_b32_e32 v6, s54, v0
	v_mov_b32_e32 v37, 0
	v_mov_b32_e32 v36, 0
	;; [unrolled: 1-line block ×30, first 2 shown]
	s_xor_b64 exec, exec, s[2:3]
	s_cbranch_execz .LBB19_37
; %bb.6:
	global_load_ubyte v19, v6, s[58:59]
	global_load_ubyte v20, v6, s[8:9]
	v_or_b32_e32 v5, 0x100, v0
	v_cmp_gt_u32_e64 s[0:1], s33, v5
	v_mov_b32_e32 v7, 0
	v_mov_b32_e32 v18, 0
	;; [unrolled: 1-line block ×30, first 2 shown]
	s_and_saveexec_b64 s[4:5], s[0:1]
	s_cbranch_execz .LBB19_36
; %bb.7:
	v_add_u32_e32 v3, s54, v0
	global_load_ubyte v21, v3, s[58:59] offset:256
	global_load_ubyte v18, v3, s[8:9] offset:256
	v_or_b32_e32 v1, 0x200, v0
	v_mov_b32_e32 v22, 0
	v_cmp_gt_u32_e64 s[0:1], s33, v1
	v_mov_b32_e32 v26, 0
	v_mov_b32_e32 v23, 0
	;; [unrolled: 1-line block ×27, first 2 shown]
	s_and_saveexec_b64 s[6:7], s[0:1]
	s_cbranch_execz .LBB19_35
; %bb.8:
	v_mov_b32_e32 v2, s59
	v_add_co_u32_e64 v1, s[0:1], s58, v3
	v_addc_co_u32_e64 v2, s[0:1], 0, v2, s[0:1]
	v_mov_b32_e32 v4, s9
	v_add_co_u32_e64 v3, s[0:1], s8, v3
	v_addc_co_u32_e64 v4, s[0:1], 0, v4, s[0:1]
	global_load_ubyte v26, v[1:2], off offset:512
	global_load_ubyte v22, v[3:4], off offset:512
	v_or_b32_e32 v7, 0x300, v0
	v_cmp_gt_u32_e64 s[0:1], s33, v7
	v_mov_b32_e32 v7, 0
	v_mov_b32_e32 v23, 0
	;; [unrolled: 1-line block ×26, first 2 shown]
	s_and_saveexec_b64 s[8:9], s[0:1]
	s_cbranch_execz .LBB19_34
; %bb.9:
	global_load_ubyte v25, v[1:2], off offset:768
	global_load_ubyte v23, v[3:4], off offset:768
	v_or_b32_e32 v7, 0x400, v0
	v_cmp_gt_u32_e64 s[0:1], s33, v7
	v_mov_b32_e32 v7, 0
	v_mov_b32_e32 v8, 0
	;; [unrolled: 1-line block ×24, first 2 shown]
	s_and_saveexec_b64 s[10:11], s[0:1]
	s_cbranch_execz .LBB19_33
; %bb.10:
	global_load_ubyte v9, v[1:2], off offset:1024
	global_load_ubyte v8, v[3:4], off offset:1024
	v_or_b32_e32 v7, 0x500, v0
	v_cmp_gt_u32_e64 s[0:1], s33, v7
	v_mov_b32_e32 v7, 0
	v_mov_b32_e32 v10, 0
	;; [unrolled: 1-line block ×22, first 2 shown]
	s_and_saveexec_b64 s[12:13], s[0:1]
	s_cbranch_execz .LBB19_32
; %bb.11:
	global_load_ubyte v12, v[1:2], off offset:1280
	global_load_ubyte v10, v[3:4], off offset:1280
	v_or_b32_e32 v7, 0x600, v0
	v_cmp_gt_u32_e64 s[0:1], s33, v7
	v_mov_b32_e32 v7, 0
	v_mov_b32_e32 v13, 0
	;; [unrolled: 1-line block ×20, first 2 shown]
	s_and_saveexec_b64 s[14:15], s[0:1]
	s_cbranch_execz .LBB19_31
; %bb.12:
	global_load_ubyte v15, v[1:2], off offset:1536
	global_load_ubyte v13, v[3:4], off offset:1536
	v_or_b32_e32 v7, 0x700, v0
	v_cmp_gt_u32_e64 s[0:1], s33, v7
	v_mov_b32_e32 v7, 0
	v_mov_b32_e32 v11, 0
	;; [unrolled: 1-line block ×18, first 2 shown]
	s_and_saveexec_b64 s[16:17], s[0:1]
	s_cbranch_execz .LBB19_30
; %bb.13:
	global_load_ubyte v14, v[1:2], off offset:1792
	global_load_ubyte v11, v[3:4], off offset:1792
	v_or_b32_e32 v7, 0x800, v0
	v_cmp_gt_u32_e64 s[0:1], s33, v7
	v_mov_b32_e32 v7, 0
	v_mov_b32_e32 v16, 0
	v_mov_b32_e32 v17, 0
	v_mov_b32_e32 v24, 0
	v_mov_b32_e32 v27, 0
	v_mov_b32_e32 v28, 0
	v_mov_b32_e32 v29, 0
	v_mov_b32_e32 v30, 0
	v_mov_b32_e32 v31, 0
	v_mov_b32_e32 v32, 0
	v_mov_b32_e32 v33, 0
	v_mov_b32_e32 v34, 0
	v_mov_b32_e32 v35, 0
	v_mov_b32_e32 v36, 0
	v_mov_b32_e32 v37, 0
	v_mov_b32_e32 v38, 0
	s_and_saveexec_b64 s[18:19], s[0:1]
	s_cbranch_execz .LBB19_29
; %bb.14:
	global_load_ubyte v17, v[1:2], off offset:2048
	global_load_ubyte v16, v[3:4], off offset:2048
	v_or_b32_e32 v7, 0x900, v0
	v_cmp_gt_u32_e64 s[0:1], s33, v7
	v_mov_b32_e32 v7, 0
	v_mov_b32_e32 v24, 0
	v_mov_b32_e32 v27, 0
	v_mov_b32_e32 v28, 0
	v_mov_b32_e32 v29, 0
	v_mov_b32_e32 v30, 0
	v_mov_b32_e32 v31, 0
	v_mov_b32_e32 v32, 0
	v_mov_b32_e32 v33, 0
	v_mov_b32_e32 v34, 0
	v_mov_b32_e32 v35, 0
	v_mov_b32_e32 v36, 0
	v_mov_b32_e32 v37, 0
	v_mov_b32_e32 v38, 0
	s_and_saveexec_b64 s[20:21], s[0:1]
	s_cbranch_execz .LBB19_28
; %bb.15:
	global_load_ubyte v27, v[1:2], off offset:2304
	global_load_ubyte v24, v[3:4], off offset:2304
	v_or_b32_e32 v7, 0xa00, v0
	v_cmp_gt_u32_e64 s[0:1], s33, v7
	v_mov_b32_e32 v7, 0
	v_mov_b32_e32 v28, 0
	;; [unrolled: 1-line block ×12, first 2 shown]
	s_and_saveexec_b64 s[22:23], s[0:1]
	s_cbranch_execz .LBB19_27
; %bb.16:
	global_load_ubyte v29, v[1:2], off offset:2560
	global_load_ubyte v28, v[3:4], off offset:2560
	v_or_b32_e32 v7, 0xb00, v0
	v_cmp_gt_u32_e64 s[0:1], s33, v7
	v_mov_b32_e32 v7, 0
	v_mov_b32_e32 v30, 0
	;; [unrolled: 1-line block ×10, first 2 shown]
	s_and_saveexec_b64 s[24:25], s[0:1]
	s_cbranch_execz .LBB19_26
; %bb.17:
	global_load_ubyte v31, v[1:2], off offset:2816
	global_load_ubyte v30, v[3:4], off offset:2816
	v_or_b32_e32 v7, 0xc00, v0
	v_cmp_gt_u32_e64 s[0:1], s33, v7
	v_mov_b32_e32 v7, 0
	v_mov_b32_e32 v32, 0
	;; [unrolled: 1-line block ×8, first 2 shown]
	s_and_saveexec_b64 s[26:27], s[0:1]
	s_cbranch_execz .LBB19_25
; %bb.18:
	global_load_ubyte v33, v[1:2], off offset:3072
	global_load_ubyte v32, v[3:4], off offset:3072
	v_or_b32_e32 v7, 0xd00, v0
	v_cmp_gt_u32_e64 s[0:1], s33, v7
	v_mov_b32_e32 v7, 0
	v_mov_b32_e32 v34, 0
	;; [unrolled: 1-line block ×6, first 2 shown]
	s_and_saveexec_b64 s[28:29], s[0:1]
	s_cbranch_execz .LBB19_24
; %bb.19:
	global_load_ubyte v35, v[1:2], off offset:3328
	global_load_ubyte v34, v[3:4], off offset:3328
	v_or_b32_e32 v7, 0xe00, v0
	v_cmp_gt_u32_e64 s[0:1], s33, v7
	v_mov_b32_e32 v7, 0
	v_mov_b32_e32 v36, 0
	;; [unrolled: 1-line block ×4, first 2 shown]
	s_and_saveexec_b64 s[30:31], s[0:1]
	s_cbranch_execz .LBB19_23
; %bb.20:
	global_load_ubyte v37, v[1:2], off offset:3584
	global_load_ubyte v36, v[3:4], off offset:3584
	v_or_b32_e32 v7, 0xf00, v0
	v_cmp_gt_u32_e64 s[0:1], s33, v7
	v_mov_b32_e32 v7, 0
	v_mov_b32_e32 v38, 0
	s_and_saveexec_b64 s[34:35], s[0:1]
	s_cbranch_execz .LBB19_22
; %bb.21:
	global_load_ubyte v7, v[1:2], off offset:3840
	global_load_ubyte v38, v[3:4], off offset:3840
.LBB19_22:
	s_or_b64 exec, exec, s[34:35]
.LBB19_23:
	s_or_b64 exec, exec, s[30:31]
.LBB19_24:
	s_or_b64 exec, exec, s[28:29]
.LBB19_25:
	s_or_b64 exec, exec, s[26:27]
.LBB19_26:
	s_or_b64 exec, exec, s[24:25]
.LBB19_27:
	s_or_b64 exec, exec, s[22:23]
.LBB19_28:
	s_or_b64 exec, exec, s[20:21]
.LBB19_29:
	s_or_b64 exec, exec, s[18:19]
.LBB19_30:
	s_or_b64 exec, exec, s[16:17]
.LBB19_31:
	s_or_b64 exec, exec, s[14:15]
.LBB19_32:
	s_or_b64 exec, exec, s[12:13]
.LBB19_33:
	s_or_b64 exec, exec, s[10:11]
.LBB19_34:
	s_or_b64 exec, exec, s[8:9]
.LBB19_35:
	s_or_b64 exec, exec, s[6:7]
.LBB19_36:
	s_or_b64 exec, exec, s[4:5]
.LBB19_37:
	s_or_b64 exec, exec, s[2:3]
	s_and_saveexec_b64 s[0:1], vcc
	s_cbranch_execz .LBB19_54
; %bb.38:
	s_waitcnt vmcnt(0)
	v_lshlrev_b32_e32 v1, v20, v19
	v_mov_b32_e32 v19, 8
	v_cmp_lt_u16_sdwa s[0:1], v20, v19 src0_sel:BYTE_0 src1_sel:DWORD
	v_cndmask_b32_e64 v1, 0, v1, s[0:1]
	s_mov_b32 s58, 0xffff
	v_and_b32_sdwa v1, s58, v1 dst_sel:DWORD dst_unused:UNUSED_PAD src0_sel:DWORD src1_sel:BYTE_0
	v_cndmask_b32_e32 v1, 0, v1, vcc
	v_lshlrev_b32_e32 v2, v18, v21
	v_cmp_lt_u16_sdwa vcc, v18, v19 src0_sel:BYTE_0 src1_sel:DWORD
	v_cndmask_b32_e32 v2, 0, v2, vcc
	v_lshlrev_b16_e32 v2, 8, v2
	v_or_b32_e32 v2, v1, v2
	v_and_b32_e32 v2, 0xffff, v2
	v_cmp_gt_i32_e64 s[52:53], s33, v5
	v_lshlrev_b32_e32 v3, v22, v26
	v_cmp_lt_u16_sdwa vcc, v22, v19 src0_sel:BYTE_0 src1_sel:DWORD
	v_cndmask_b32_e64 v1, v1, v2, s[52:53]
	v_cndmask_b32_e32 v3, 0, v3, vcc
	s_mov_b32 s59, 0xc0c0304
	v_or_b32_e32 v2, 0x200, v0
	v_perm_b32 v3, v3, v1, s59
	v_lshl_or_b32 v3, v3, 16, v1
	v_cmp_gt_i32_e64 s[18:19], s33, v2
	v_lshlrev_b32_e32 v4, v23, v25
	v_cmp_lt_u16_sdwa vcc, v23, v19 src0_sel:BYTE_0 src1_sel:DWORD
	s_movk_i32 s55, 0xff
	v_cndmask_b32_e64 v1, v1, v3, s[18:19]
	v_cndmask_b32_e32 v4, 0, v4, vcc
	v_and_b32_sdwa v2, v1, s55 dst_sel:DWORD dst_unused:UNUSED_PAD src0_sel:WORD_1 src1_sel:DWORD
	v_lshlrev_b16_e32 v4, 8, v4
	v_or_b32_e32 v3, 0x300, v0
	v_or_b32_sdwa v2, v2, v4 dst_sel:WORD_1 dst_unused:UNUSED_PAD src0_sel:DWORD src1_sel:DWORD
	v_and_or_b32 v2, v1, s58, v2
	v_cmp_gt_i32_e64 s[20:21], s33, v3
	v_cndmask_b32_e64 v18, v1, v2, s[20:21]
	v_or_b32_e32 v1, 0x500, v0
	v_cmp_gt_i32_e64 s[16:17], s33, v1
	v_or_b32_e32 v1, 0x600, v0
	v_cmp_gt_i32_e64 s[14:15], s33, v1
	;; [unrolled: 2-line block ×7, first 2 shown]
	v_or_b32_e32 v1, 0xe00, v0
	v_or_b32_e32 v4, 0x400, v0
	;; [unrolled: 1-line block ×4, first 2 shown]
	v_cmp_gt_i32_e64 s[2:3], s33, v1
	v_or_b32_e32 v1, 0xf00, v0
	v_cmp_lt_u16_sdwa s[50:51], v8, v19 src0_sel:BYTE_0 src1_sel:DWORD
	v_cmp_gt_i32_e64 s[48:49], s33, v4
	v_cmp_lt_u16_sdwa vcc, v10, v19 src0_sel:BYTE_0 src1_sel:DWORD
	v_cmp_lt_u16_sdwa s[46:47], v13, v19 src0_sel:BYTE_0 src1_sel:DWORD
	v_cmp_lt_u16_sdwa s[44:45], v11, v19 src0_sel:BYTE_0 src1_sel:DWORD
	v_cmp_gt_i32_e64 s[38:39], s33, v3
	v_cmp_lt_u16_sdwa s[42:43], v16, v19 src0_sel:BYTE_0 src1_sel:DWORD
	v_cmp_lt_u16_sdwa s[40:41], v24, v19 src0_sel:BYTE_0 src1_sel:DWORD
	;; [unrolled: 1-line block ×5, first 2 shown]
	v_cmp_gt_i32_e64 s[30:31], s33, v2
	v_cmp_lt_u16_sdwa s[26:27], v34, v19 src0_sel:BYTE_0 src1_sel:DWORD
	v_cmp_lt_u16_sdwa s[24:25], v36, v19 src0_sel:BYTE_0 src1_sel:DWORD
	v_cmp_gt_i32_e64 s[0:1], s33, v1
	v_cmp_lt_u16_sdwa s[22:23], v38, v19 src0_sel:BYTE_0 src1_sel:DWORD
	global_store_byte v6, v18, s[56:57]
	s_and_b64 exec, exec, s[52:53]
	s_cbranch_execz .LBB19_54
; %bb.39:
	v_lshlrev_b32_e32 v1, v8, v9
	v_cndmask_b32_e64 v1, 0, v1, s[50:51]
	s_mov_b32 s50, 0x3020104
	v_perm_b32 v1, v1, 0, s50
	v_lshlrev_b32_e32 v6, v10, v12
	v_mov_b32_e32 v10, 0
	v_cndmask_b32_e64 v1, 0, v1, s[48:49]
	v_cndmask_b32_sdwa v6, v10, v6, vcc dst_sel:BYTE_1 dst_unused:UNUSED_PAD src0_sel:DWORD src1_sel:DWORD
	v_or_b32_sdwa v6, v1, v6 dst_sel:DWORD dst_unused:UNUSED_PAD src0_sel:BYTE_0 src1_sel:DWORD
	v_and_b32_e32 v6, 0xffff, v6
	s_mov_b32 s48, 0xffff0000
	v_and_or_b32 v6, v1, s48, v6
	v_cndmask_b32_e64 v1, v1, v6, s[16:17]
	v_lshlrev_b32_e32 v6, v13, v15
	v_cndmask_b32_e64 v6, 0, v6, s[46:47]
	s_mov_b32 s46, 0x7000504
	v_perm_b32 v6, v1, v6, s46
	v_lshlrev_b32_e32 v8, v11, v14
	v_cndmask_b32_e64 v1, v1, v6, s[14:15]
	v_cndmask_b32_e64 v8, 0, v8, s[44:45]
	v_and_b32_sdwa v6, v1, s55 dst_sel:DWORD dst_unused:UNUSED_PAD src0_sel:WORD_1 src1_sel:DWORD
	v_lshlrev_b16_e32 v8, 8, v8
	v_or_b32_sdwa v6, v6, v8 dst_sel:WORD_1 dst_unused:UNUSED_PAD src0_sel:DWORD src1_sel:DWORD
	v_and_or_b32 v6, v1, s58, v6
	v_cndmask_b32_e64 v9, v1, v6, s[12:13]
	v_lshlrev_b32_e32 v1, v16, v17
	v_cndmask_b32_e64 v1, 0, v1, s[42:43]
	v_lshlrev_b32_e32 v6, v24, v27
	v_and_b32_sdwa v1, s58, v1 dst_sel:DWORD dst_unused:UNUSED_PAD src0_sel:DWORD src1_sel:BYTE_0
	v_cndmask_b32_e64 v6, 0, v6, s[40:41]
	v_cndmask_b32_e64 v1, 0, v1, s[38:39]
	v_lshlrev_b16_e32 v6, 8, v6
	v_or_b32_e32 v6, v1, v6
	v_and_b32_e32 v6, 0xffff, v6
	v_cndmask_b32_e64 v1, v1, v6, s[10:11]
	v_lshlrev_b32_e32 v6, v28, v29
	v_cndmask_b32_e64 v6, 0, v6, s[36:37]
	v_perm_b32 v6, v6, v1, s59
	v_lshl_or_b32 v6, v6, 16, v1
	v_lshlrev_b32_e32 v8, v30, v31
	v_cndmask_b32_e64 v1, v1, v6, s[8:9]
	v_cndmask_b32_e64 v8, 0, v8, s[34:35]
	v_and_b32_sdwa v6, v1, s55 dst_sel:DWORD dst_unused:UNUSED_PAD src0_sel:WORD_1 src1_sel:DWORD
	v_lshlrev_b16_e32 v8, 8, v8
	v_or_b32_sdwa v6, v6, v8 dst_sel:WORD_1 dst_unused:UNUSED_PAD src0_sel:DWORD src1_sel:DWORD
	v_and_or_b32 v6, v1, s58, v6
	v_cndmask_b32_e64 v8, v1, v6, s[6:7]
	v_lshlrev_b32_e32 v1, v32, v33
	v_cndmask_b32_e64 v1, 0, v1, s[28:29]
	v_lshlrev_b32_e32 v6, v34, v35
	v_perm_b32 v1, v1, 0, s50
	v_cndmask_b32_e64 v6, 0, v6, s[26:27]
	v_cndmask_b32_e64 v1, 0, v1, s[30:31]
	v_lshlrev_b16_e32 v6, 8, v6
	v_or_b32_sdwa v6, v1, v6 dst_sel:DWORD dst_unused:UNUSED_PAD src0_sel:BYTE_0 src1_sel:DWORD
	v_and_b32_e32 v6, 0xffff, v6
	v_and_or_b32 v6, v1, s48, v6
	v_cndmask_b32_e64 v1, v1, v6, s[4:5]
	v_lshlrev_b32_e32 v6, v36, v37
	v_cndmask_b32_e64 v6, 0, v6, s[24:25]
	v_perm_b32 v6, v1, v6, s46
	v_cndmask_b32_e64 v1, v1, v6, s[2:3]
	v_lshlrev_b32_e32 v7, v38, v7
	s_mov_b64 vcc, s[22:23]
	v_and_b32_sdwa v6, v1, s55 dst_sel:DWORD dst_unused:UNUSED_PAD src0_sel:WORD_1 src1_sel:DWORD
	v_cndmask_b32_sdwa v7, v10, v7, vcc dst_sel:BYTE_1 dst_unused:UNUSED_PAD src0_sel:DWORD src1_sel:DWORD
	v_or_b32_sdwa v6, v6, v7 dst_sel:WORD_1 dst_unused:UNUSED_PAD src0_sel:DWORD src1_sel:DWORD
	v_and_or_b32 v6, v1, s58, v6
	v_cndmask_b32_e64 v6, v1, v6, s[0:1]
	v_or_b32_e32 v1, s54, v5
	v_lshrrev_b32_e32 v5, 8, v18
	global_store_byte v1, v5, s[56:57]
	s_and_b64 exec, exec, s[18:19]
	s_cbranch_execz .LBB19_54
; %bb.40:
	v_add_u32_e32 v0, s54, v0
	global_store_byte_d16_hi v0, v18, s[56:57] offset:512
	s_and_b64 exec, exec, s[20:21]
	s_cbranch_execz .LBB19_54
; %bb.41:
	v_mov_b32_e32 v1, s57
	v_add_co_u32_e32 v0, vcc, s56, v0
	v_addc_co_u32_e32 v1, vcc, 0, v1, vcc
	v_lshrrev_b32_e32 v5, 24, v18
	v_cmp_gt_u32_e32 vcc, s33, v4
	global_store_byte v[0:1], v5, off offset:768
	s_and_b64 exec, exec, vcc
	s_cbranch_execz .LBB19_54
; %bb.42:
	global_store_byte v[0:1], v9, off offset:1024
	s_and_b64 exec, exec, s[16:17]
	s_cbranch_execz .LBB19_54
; %bb.43:
	v_lshrrev_b32_e32 v4, 8, v9
	global_store_byte v[0:1], v4, off offset:1280
	s_and_b64 exec, exec, s[14:15]
	s_cbranch_execz .LBB19_54
; %bb.44:
	global_store_byte_d16_hi v[0:1], v9, off offset:1536
	s_and_b64 exec, exec, s[12:13]
	s_cbranch_execz .LBB19_54
; %bb.45:
	v_lshrrev_b32_e32 v4, 24, v9
	v_cmp_gt_u32_e32 vcc, s33, v3
	global_store_byte v[0:1], v4, off offset:1792
	s_and_b64 exec, exec, vcc
	s_cbranch_execz .LBB19_54
; %bb.46:
	global_store_byte v[0:1], v8, off offset:2048
	s_and_b64 exec, exec, s[10:11]
	s_cbranch_execz .LBB19_54
; %bb.47:
	v_lshrrev_b32_e32 v3, 8, v8
	global_store_byte v[0:1], v3, off offset:2304
	s_and_b64 exec, exec, s[8:9]
	s_cbranch_execz .LBB19_54
; %bb.48:
	global_store_byte_d16_hi v[0:1], v8, off offset:2560
	s_and_b64 exec, exec, s[6:7]
	s_cbranch_execz .LBB19_54
; %bb.49:
	;; [unrolled: 19-line block ×3, first 2 shown]
	v_lshrrev_b32_e32 v2, 24, v6
	global_store_byte v[0:1], v2, off offset:3840
.LBB19_54:
	s_endpgm
	.section	.rodata,"a",@progbits
	.p2align	6, 0x0
	.amdhsa_kernel _ZN2at6native29vectorized_elementwise_kernelILi2ENS0_13BinaryFunctorIhhhZZZNS0_18lshift_kernel_cudaERNS_18TensorIteratorBaseEENKUlvE_clEvENKUlvE_clEvEUlhhE_EESt5arrayIPcLm3EEEEviT0_T1_
		.amdhsa_group_segment_fixed_size 0
		.amdhsa_private_segment_fixed_size 0
		.amdhsa_kernarg_size 32
		.amdhsa_user_sgpr_count 6
		.amdhsa_user_sgpr_private_segment_buffer 1
		.amdhsa_user_sgpr_dispatch_ptr 0
		.amdhsa_user_sgpr_queue_ptr 0
		.amdhsa_user_sgpr_kernarg_segment_ptr 1
		.amdhsa_user_sgpr_dispatch_id 0
		.amdhsa_user_sgpr_flat_scratch_init 0
		.amdhsa_user_sgpr_private_segment_size 0
		.amdhsa_uses_dynamic_stack 0
		.amdhsa_system_sgpr_private_segment_wavefront_offset 0
		.amdhsa_system_sgpr_workgroup_id_x 1
		.amdhsa_system_sgpr_workgroup_id_y 0
		.amdhsa_system_sgpr_workgroup_id_z 0
		.amdhsa_system_sgpr_workgroup_info 0
		.amdhsa_system_vgpr_workitem_id 0
		.amdhsa_next_free_vgpr 39
		.amdhsa_next_free_sgpr 60
		.amdhsa_reserve_vcc 1
		.amdhsa_reserve_flat_scratch 0
		.amdhsa_float_round_mode_32 0
		.amdhsa_float_round_mode_16_64 0
		.amdhsa_float_denorm_mode_32 3
		.amdhsa_float_denorm_mode_16_64 3
		.amdhsa_dx10_clamp 1
		.amdhsa_ieee_mode 1
		.amdhsa_fp16_overflow 0
		.amdhsa_exception_fp_ieee_invalid_op 0
		.amdhsa_exception_fp_denorm_src 0
		.amdhsa_exception_fp_ieee_div_zero 0
		.amdhsa_exception_fp_ieee_overflow 0
		.amdhsa_exception_fp_ieee_underflow 0
		.amdhsa_exception_fp_ieee_inexact 0
		.amdhsa_exception_int_div_zero 0
	.end_amdhsa_kernel
	.section	.text._ZN2at6native29vectorized_elementwise_kernelILi2ENS0_13BinaryFunctorIhhhZZZNS0_18lshift_kernel_cudaERNS_18TensorIteratorBaseEENKUlvE_clEvENKUlvE_clEvEUlhhE_EESt5arrayIPcLm3EEEEviT0_T1_,"axG",@progbits,_ZN2at6native29vectorized_elementwise_kernelILi2ENS0_13BinaryFunctorIhhhZZZNS0_18lshift_kernel_cudaERNS_18TensorIteratorBaseEENKUlvE_clEvENKUlvE_clEvEUlhhE_EESt5arrayIPcLm3EEEEviT0_T1_,comdat
.Lfunc_end19:
	.size	_ZN2at6native29vectorized_elementwise_kernelILi2ENS0_13BinaryFunctorIhhhZZZNS0_18lshift_kernel_cudaERNS_18TensorIteratorBaseEENKUlvE_clEvENKUlvE_clEvEUlhhE_EESt5arrayIPcLm3EEEEviT0_T1_, .Lfunc_end19-_ZN2at6native29vectorized_elementwise_kernelILi2ENS0_13BinaryFunctorIhhhZZZNS0_18lshift_kernel_cudaERNS_18TensorIteratorBaseEENKUlvE_clEvENKUlvE_clEvEUlhhE_EESt5arrayIPcLm3EEEEviT0_T1_
                                        ; -- End function
	.set _ZN2at6native29vectorized_elementwise_kernelILi2ENS0_13BinaryFunctorIhhhZZZNS0_18lshift_kernel_cudaERNS_18TensorIteratorBaseEENKUlvE_clEvENKUlvE_clEvEUlhhE_EESt5arrayIPcLm3EEEEviT0_T1_.num_vgpr, 39
	.set _ZN2at6native29vectorized_elementwise_kernelILi2ENS0_13BinaryFunctorIhhhZZZNS0_18lshift_kernel_cudaERNS_18TensorIteratorBaseEENKUlvE_clEvENKUlvE_clEvEUlhhE_EESt5arrayIPcLm3EEEEviT0_T1_.num_agpr, 0
	.set _ZN2at6native29vectorized_elementwise_kernelILi2ENS0_13BinaryFunctorIhhhZZZNS0_18lshift_kernel_cudaERNS_18TensorIteratorBaseEENKUlvE_clEvENKUlvE_clEvEUlhhE_EESt5arrayIPcLm3EEEEviT0_T1_.numbered_sgpr, 60
	.set _ZN2at6native29vectorized_elementwise_kernelILi2ENS0_13BinaryFunctorIhhhZZZNS0_18lshift_kernel_cudaERNS_18TensorIteratorBaseEENKUlvE_clEvENKUlvE_clEvEUlhhE_EESt5arrayIPcLm3EEEEviT0_T1_.num_named_barrier, 0
	.set _ZN2at6native29vectorized_elementwise_kernelILi2ENS0_13BinaryFunctorIhhhZZZNS0_18lshift_kernel_cudaERNS_18TensorIteratorBaseEENKUlvE_clEvENKUlvE_clEvEUlhhE_EESt5arrayIPcLm3EEEEviT0_T1_.private_seg_size, 0
	.set _ZN2at6native29vectorized_elementwise_kernelILi2ENS0_13BinaryFunctorIhhhZZZNS0_18lshift_kernel_cudaERNS_18TensorIteratorBaseEENKUlvE_clEvENKUlvE_clEvEUlhhE_EESt5arrayIPcLm3EEEEviT0_T1_.uses_vcc, 1
	.set _ZN2at6native29vectorized_elementwise_kernelILi2ENS0_13BinaryFunctorIhhhZZZNS0_18lshift_kernel_cudaERNS_18TensorIteratorBaseEENKUlvE_clEvENKUlvE_clEvEUlhhE_EESt5arrayIPcLm3EEEEviT0_T1_.uses_flat_scratch, 0
	.set _ZN2at6native29vectorized_elementwise_kernelILi2ENS0_13BinaryFunctorIhhhZZZNS0_18lshift_kernel_cudaERNS_18TensorIteratorBaseEENKUlvE_clEvENKUlvE_clEvEUlhhE_EESt5arrayIPcLm3EEEEviT0_T1_.has_dyn_sized_stack, 0
	.set _ZN2at6native29vectorized_elementwise_kernelILi2ENS0_13BinaryFunctorIhhhZZZNS0_18lshift_kernel_cudaERNS_18TensorIteratorBaseEENKUlvE_clEvENKUlvE_clEvEUlhhE_EESt5arrayIPcLm3EEEEviT0_T1_.has_recursion, 0
	.set _ZN2at6native29vectorized_elementwise_kernelILi2ENS0_13BinaryFunctorIhhhZZZNS0_18lshift_kernel_cudaERNS_18TensorIteratorBaseEENKUlvE_clEvENKUlvE_clEvEUlhhE_EESt5arrayIPcLm3EEEEviT0_T1_.has_indirect_call, 0
	.section	.AMDGPU.csdata,"",@progbits
; Kernel info:
; codeLenInByte = 3972
; TotalNumSgprs: 64
; NumVgprs: 39
; ScratchSize: 0
; MemoryBound: 0
; FloatMode: 240
; IeeeMode: 1
; LDSByteSize: 0 bytes/workgroup (compile time only)
; SGPRBlocks: 7
; VGPRBlocks: 9
; NumSGPRsForWavesPerEU: 64
; NumVGPRsForWavesPerEU: 39
; Occupancy: 6
; WaveLimiterHint : 1
; COMPUTE_PGM_RSRC2:SCRATCH_EN: 0
; COMPUTE_PGM_RSRC2:USER_SGPR: 6
; COMPUTE_PGM_RSRC2:TRAP_HANDLER: 0
; COMPUTE_PGM_RSRC2:TGID_X_EN: 1
; COMPUTE_PGM_RSRC2:TGID_Y_EN: 0
; COMPUTE_PGM_RSRC2:TGID_Z_EN: 0
; COMPUTE_PGM_RSRC2:TIDIG_COMP_CNT: 0
	.section	.text._ZN2at6native27unrolled_elementwise_kernelINS0_13BinaryFunctorIhhhZZZNS0_18lshift_kernel_cudaERNS_18TensorIteratorBaseEENKUlvE_clEvENKUlvE_clEvEUlhhE_EESt5arrayIPcLm3EELi4E23TrivialOffsetCalculatorILi2EjESC_ILi1EjENS0_6memory15LoadWithoutCastENSF_16StoreWithoutCastEEEviT_T0_T2_T3_T4_T5_,"axG",@progbits,_ZN2at6native27unrolled_elementwise_kernelINS0_13BinaryFunctorIhhhZZZNS0_18lshift_kernel_cudaERNS_18TensorIteratorBaseEENKUlvE_clEvENKUlvE_clEvEUlhhE_EESt5arrayIPcLm3EELi4E23TrivialOffsetCalculatorILi2EjESC_ILi1EjENS0_6memory15LoadWithoutCastENSF_16StoreWithoutCastEEEviT_T0_T2_T3_T4_T5_,comdat
	.globl	_ZN2at6native27unrolled_elementwise_kernelINS0_13BinaryFunctorIhhhZZZNS0_18lshift_kernel_cudaERNS_18TensorIteratorBaseEENKUlvE_clEvENKUlvE_clEvEUlhhE_EESt5arrayIPcLm3EELi4E23TrivialOffsetCalculatorILi2EjESC_ILi1EjENS0_6memory15LoadWithoutCastENSF_16StoreWithoutCastEEEviT_T0_T2_T3_T4_T5_ ; -- Begin function _ZN2at6native27unrolled_elementwise_kernelINS0_13BinaryFunctorIhhhZZZNS0_18lshift_kernel_cudaERNS_18TensorIteratorBaseEENKUlvE_clEvENKUlvE_clEvEUlhhE_EESt5arrayIPcLm3EELi4E23TrivialOffsetCalculatorILi2EjESC_ILi1EjENS0_6memory15LoadWithoutCastENSF_16StoreWithoutCastEEEviT_T0_T2_T3_T4_T5_
	.p2align	8
	.type	_ZN2at6native27unrolled_elementwise_kernelINS0_13BinaryFunctorIhhhZZZNS0_18lshift_kernel_cudaERNS_18TensorIteratorBaseEENKUlvE_clEvENKUlvE_clEvEUlhhE_EESt5arrayIPcLm3EELi4E23TrivialOffsetCalculatorILi2EjESC_ILi1EjENS0_6memory15LoadWithoutCastENSF_16StoreWithoutCastEEEviT_T0_T2_T3_T4_T5_,@function
_ZN2at6native27unrolled_elementwise_kernelINS0_13BinaryFunctorIhhhZZZNS0_18lshift_kernel_cudaERNS_18TensorIteratorBaseEENKUlvE_clEvENKUlvE_clEvEUlhhE_EESt5arrayIPcLm3EELi4E23TrivialOffsetCalculatorILi2EjESC_ILi1EjENS0_6memory15LoadWithoutCastENSF_16StoreWithoutCastEEEviT_T0_T2_T3_T4_T5_: ; @_ZN2at6native27unrolled_elementwise_kernelINS0_13BinaryFunctorIhhhZZZNS0_18lshift_kernel_cudaERNS_18TensorIteratorBaseEENKUlvE_clEvENKUlvE_clEvEUlhhE_EESt5arrayIPcLm3EELi4E23TrivialOffsetCalculatorILi2EjESC_ILi1EjENS0_6memory15LoadWithoutCastENSF_16StoreWithoutCastEEEviT_T0_T2_T3_T4_T5_
; %bb.0:
	s_load_dword s0, s[4:5], 0x0
	s_load_dwordx4 s[8:11], s[4:5], 0x8
	s_load_dwordx2 s[12:13], s[4:5], 0x18
	s_lshl_b32 s16, s6, 10
                                        ; implicit-def: $vgpr1
	s_waitcnt lgkmcnt(0)
	s_sub_i32 s17, s0, s16
	v_cmp_gt_i32_e32 vcc, s17, v0
	v_cmp_le_i32_e64 s[0:1], s17, v0
	s_and_saveexec_b64 s[2:3], s[0:1]
	s_xor_b64 s[0:1], exec, s[2:3]
; %bb.1:
	v_or_b32_e32 v1, 0x100, v0
; %bb.2:
	s_or_saveexec_b64 s[2:3], s[0:1]
	v_mov_b32_e32 v4, 0
	v_mov_b32_e32 v3, 0
	v_or_b32_e32 v2, s16, v0
	v_mov_b32_e32 v8, 0
	v_mov_b32_e32 v5, 0
	;; [unrolled: 1-line block ×6, first 2 shown]
	s_xor_b64 exec, exec, s[2:3]
	s_cbranch_execz .LBB20_10
; %bb.3:
	global_load_ubyte v9, v2, s[10:11]
	global_load_ubyte v10, v2, s[12:13]
	v_or_b32_e32 v1, 0x100, v0
	v_cmp_gt_u32_e64 s[0:1], s17, v1
	v_mov_b32_e32 v3, 0
	v_mov_b32_e32 v6, 0
	;; [unrolled: 1-line block ×6, first 2 shown]
	s_and_saveexec_b64 s[4:5], s[0:1]
	s_cbranch_execz .LBB20_9
; %bb.4:
	v_add_u32_e32 v3, s16, v1
	global_load_ubyte v7, v3, s[10:11]
	global_load_ubyte v6, v3, s[12:13]
	v_or_b32_e32 v11, 0x200, v0
	v_cmp_gt_u32_e64 s[0:1], s17, v11
	v_mov_b32_e32 v3, 0
	v_mov_b32_e32 v5, 0
	;; [unrolled: 1-line block ×4, first 2 shown]
	s_and_saveexec_b64 s[6:7], s[0:1]
	s_cbranch_execz .LBB20_8
; %bb.5:
	v_add_u32_e32 v3, s16, v11
	global_load_ubyte v8, v3, s[10:11]
	global_load_ubyte v5, v3, s[12:13]
	v_or_b32_e32 v11, 0x300, v0
	v_cmp_gt_u32_e64 s[0:1], s17, v11
	v_mov_b32_e32 v3, 0
	v_mov_b32_e32 v4, 0
	s_and_saveexec_b64 s[14:15], s[0:1]
	s_cbranch_execz .LBB20_7
; %bb.6:
	v_add_u32_e32 v11, s16, v11
	global_load_ubyte v3, v11, s[10:11]
	global_load_ubyte v4, v11, s[12:13]
.LBB20_7:
	s_or_b64 exec, exec, s[14:15]
.LBB20_8:
	s_or_b64 exec, exec, s[6:7]
.LBB20_9:
	s_or_b64 exec, exec, s[4:5]
.LBB20_10:
	s_or_b64 exec, exec, s[2:3]
	s_and_saveexec_b64 s[0:1], vcc
	s_cbranch_execz .LBB20_15
; %bb.11:
	v_mov_b32_e32 v11, 8
	s_waitcnt vmcnt(0)
	v_lshlrev_b32_e32 v9, v10, v9
	v_cmp_lt_u16_sdwa s[0:1], v10, v11 src0_sel:BYTE_0 src1_sel:DWORD
	v_cndmask_b32_e64 v9, 0, v9, s[0:1]
	s_mov_b32 s5, 0xffff
	v_and_b32_sdwa v9, s5, v9 dst_sel:DWORD dst_unused:UNUSED_PAD src0_sel:DWORD src1_sel:BYTE_0
	v_cndmask_b32_e32 v9, 0, v9, vcc
	v_lshlrev_b32_e32 v7, v6, v7
	v_cmp_lt_u16_sdwa vcc, v6, v11 src0_sel:BYTE_0 src1_sel:DWORD
	v_cndmask_b32_e32 v6, 0, v7, vcc
	v_lshlrev_b16_e32 v6, 8, v6
	v_or_b32_e32 v6, v9, v6
	v_and_b32_e32 v6, 0xffff, v6
	v_cmp_gt_i32_e64 s[2:3], s17, v1
	v_lshlrev_b32_e32 v8, v5, v8
	v_cmp_lt_u16_sdwa vcc, v5, v11 src0_sel:BYTE_0 src1_sel:DWORD
	v_cndmask_b32_e64 v7, v9, v6, s[2:3]
	v_cndmask_b32_e32 v5, 0, v8, vcc
	s_mov_b32 s0, 0xc0c0304
	v_or_b32_e32 v6, 0x200, v0
	v_perm_b32 v5, v5, v7, s0
	v_lshl_or_b32 v5, v5, 16, v7
	v_cmp_gt_i32_e64 s[0:1], s17, v6
	s_movk_i32 s4, 0xff
	v_cndmask_b32_e64 v5, v7, v5, s[0:1]
	v_lshlrev_b32_e32 v3, v4, v3
	v_cmp_lt_u16_sdwa vcc, v4, v11 src0_sel:BYTE_0 src1_sel:DWORD
	v_mov_b32_e32 v4, 0
	v_and_b32_sdwa v7, v5, s4 dst_sel:DWORD dst_unused:UNUSED_PAD src0_sel:WORD_1 src1_sel:DWORD
	v_cndmask_b32_sdwa v3, v4, v3, vcc dst_sel:BYTE_1 dst_unused:UNUSED_PAD src0_sel:DWORD src1_sel:DWORD
	v_or_b32_e32 v0, 0x300, v0
	v_or_b32_sdwa v3, v7, v3 dst_sel:WORD_1 dst_unused:UNUSED_PAD src0_sel:DWORD src1_sel:DWORD
	v_and_or_b32 v3, v5, s5, v3
	v_cmp_gt_i32_e32 vcc, s17, v0
	v_cndmask_b32_e32 v3, v5, v3, vcc
	global_store_byte v2, v3, s[8:9]
	s_and_b64 exec, exec, s[2:3]
	s_cbranch_execz .LBB20_15
; %bb.12:
	v_add_u32_e32 v1, s16, v1
	v_lshrrev_b32_e32 v2, 8, v3
	global_store_byte v1, v2, s[8:9]
	s_and_b64 exec, exec, s[0:1]
	s_cbranch_execz .LBB20_15
; %bb.13:
	v_add_u32_e32 v1, s16, v6
	global_store_byte_d16_hi v1, v3, s[8:9]
	s_and_b64 exec, exec, vcc
	s_cbranch_execz .LBB20_15
; %bb.14:
	v_lshrrev_b32_e32 v1, 24, v3
	v_add_u32_e32 v0, s16, v0
	global_store_byte v0, v1, s[8:9]
.LBB20_15:
	s_endpgm
	.section	.rodata,"a",@progbits
	.p2align	6, 0x0
	.amdhsa_kernel _ZN2at6native27unrolled_elementwise_kernelINS0_13BinaryFunctorIhhhZZZNS0_18lshift_kernel_cudaERNS_18TensorIteratorBaseEENKUlvE_clEvENKUlvE_clEvEUlhhE_EESt5arrayIPcLm3EELi4E23TrivialOffsetCalculatorILi2EjESC_ILi1EjENS0_6memory15LoadWithoutCastENSF_16StoreWithoutCastEEEviT_T0_T2_T3_T4_T5_
		.amdhsa_group_segment_fixed_size 0
		.amdhsa_private_segment_fixed_size 0
		.amdhsa_kernarg_size 36
		.amdhsa_user_sgpr_count 6
		.amdhsa_user_sgpr_private_segment_buffer 1
		.amdhsa_user_sgpr_dispatch_ptr 0
		.amdhsa_user_sgpr_queue_ptr 0
		.amdhsa_user_sgpr_kernarg_segment_ptr 1
		.amdhsa_user_sgpr_dispatch_id 0
		.amdhsa_user_sgpr_flat_scratch_init 0
		.amdhsa_user_sgpr_private_segment_size 0
		.amdhsa_uses_dynamic_stack 0
		.amdhsa_system_sgpr_private_segment_wavefront_offset 0
		.amdhsa_system_sgpr_workgroup_id_x 1
		.amdhsa_system_sgpr_workgroup_id_y 0
		.amdhsa_system_sgpr_workgroup_id_z 0
		.amdhsa_system_sgpr_workgroup_info 0
		.amdhsa_system_vgpr_workitem_id 0
		.amdhsa_next_free_vgpr 12
		.amdhsa_next_free_sgpr 18
		.amdhsa_reserve_vcc 1
		.amdhsa_reserve_flat_scratch 0
		.amdhsa_float_round_mode_32 0
		.amdhsa_float_round_mode_16_64 0
		.amdhsa_float_denorm_mode_32 3
		.amdhsa_float_denorm_mode_16_64 3
		.amdhsa_dx10_clamp 1
		.amdhsa_ieee_mode 1
		.amdhsa_fp16_overflow 0
		.amdhsa_exception_fp_ieee_invalid_op 0
		.amdhsa_exception_fp_denorm_src 0
		.amdhsa_exception_fp_ieee_div_zero 0
		.amdhsa_exception_fp_ieee_overflow 0
		.amdhsa_exception_fp_ieee_underflow 0
		.amdhsa_exception_fp_ieee_inexact 0
		.amdhsa_exception_int_div_zero 0
	.end_amdhsa_kernel
	.section	.text._ZN2at6native27unrolled_elementwise_kernelINS0_13BinaryFunctorIhhhZZZNS0_18lshift_kernel_cudaERNS_18TensorIteratorBaseEENKUlvE_clEvENKUlvE_clEvEUlhhE_EESt5arrayIPcLm3EELi4E23TrivialOffsetCalculatorILi2EjESC_ILi1EjENS0_6memory15LoadWithoutCastENSF_16StoreWithoutCastEEEviT_T0_T2_T3_T4_T5_,"axG",@progbits,_ZN2at6native27unrolled_elementwise_kernelINS0_13BinaryFunctorIhhhZZZNS0_18lshift_kernel_cudaERNS_18TensorIteratorBaseEENKUlvE_clEvENKUlvE_clEvEUlhhE_EESt5arrayIPcLm3EELi4E23TrivialOffsetCalculatorILi2EjESC_ILi1EjENS0_6memory15LoadWithoutCastENSF_16StoreWithoutCastEEEviT_T0_T2_T3_T4_T5_,comdat
.Lfunc_end20:
	.size	_ZN2at6native27unrolled_elementwise_kernelINS0_13BinaryFunctorIhhhZZZNS0_18lshift_kernel_cudaERNS_18TensorIteratorBaseEENKUlvE_clEvENKUlvE_clEvEUlhhE_EESt5arrayIPcLm3EELi4E23TrivialOffsetCalculatorILi2EjESC_ILi1EjENS0_6memory15LoadWithoutCastENSF_16StoreWithoutCastEEEviT_T0_T2_T3_T4_T5_, .Lfunc_end20-_ZN2at6native27unrolled_elementwise_kernelINS0_13BinaryFunctorIhhhZZZNS0_18lshift_kernel_cudaERNS_18TensorIteratorBaseEENKUlvE_clEvENKUlvE_clEvEUlhhE_EESt5arrayIPcLm3EELi4E23TrivialOffsetCalculatorILi2EjESC_ILi1EjENS0_6memory15LoadWithoutCastENSF_16StoreWithoutCastEEEviT_T0_T2_T3_T4_T5_
                                        ; -- End function
	.set _ZN2at6native27unrolled_elementwise_kernelINS0_13BinaryFunctorIhhhZZZNS0_18lshift_kernel_cudaERNS_18TensorIteratorBaseEENKUlvE_clEvENKUlvE_clEvEUlhhE_EESt5arrayIPcLm3EELi4E23TrivialOffsetCalculatorILi2EjESC_ILi1EjENS0_6memory15LoadWithoutCastENSF_16StoreWithoutCastEEEviT_T0_T2_T3_T4_T5_.num_vgpr, 12
	.set _ZN2at6native27unrolled_elementwise_kernelINS0_13BinaryFunctorIhhhZZZNS0_18lshift_kernel_cudaERNS_18TensorIteratorBaseEENKUlvE_clEvENKUlvE_clEvEUlhhE_EESt5arrayIPcLm3EELi4E23TrivialOffsetCalculatorILi2EjESC_ILi1EjENS0_6memory15LoadWithoutCastENSF_16StoreWithoutCastEEEviT_T0_T2_T3_T4_T5_.num_agpr, 0
	.set _ZN2at6native27unrolled_elementwise_kernelINS0_13BinaryFunctorIhhhZZZNS0_18lshift_kernel_cudaERNS_18TensorIteratorBaseEENKUlvE_clEvENKUlvE_clEvEUlhhE_EESt5arrayIPcLm3EELi4E23TrivialOffsetCalculatorILi2EjESC_ILi1EjENS0_6memory15LoadWithoutCastENSF_16StoreWithoutCastEEEviT_T0_T2_T3_T4_T5_.numbered_sgpr, 18
	.set _ZN2at6native27unrolled_elementwise_kernelINS0_13BinaryFunctorIhhhZZZNS0_18lshift_kernel_cudaERNS_18TensorIteratorBaseEENKUlvE_clEvENKUlvE_clEvEUlhhE_EESt5arrayIPcLm3EELi4E23TrivialOffsetCalculatorILi2EjESC_ILi1EjENS0_6memory15LoadWithoutCastENSF_16StoreWithoutCastEEEviT_T0_T2_T3_T4_T5_.num_named_barrier, 0
	.set _ZN2at6native27unrolled_elementwise_kernelINS0_13BinaryFunctorIhhhZZZNS0_18lshift_kernel_cudaERNS_18TensorIteratorBaseEENKUlvE_clEvENKUlvE_clEvEUlhhE_EESt5arrayIPcLm3EELi4E23TrivialOffsetCalculatorILi2EjESC_ILi1EjENS0_6memory15LoadWithoutCastENSF_16StoreWithoutCastEEEviT_T0_T2_T3_T4_T5_.private_seg_size, 0
	.set _ZN2at6native27unrolled_elementwise_kernelINS0_13BinaryFunctorIhhhZZZNS0_18lshift_kernel_cudaERNS_18TensorIteratorBaseEENKUlvE_clEvENKUlvE_clEvEUlhhE_EESt5arrayIPcLm3EELi4E23TrivialOffsetCalculatorILi2EjESC_ILi1EjENS0_6memory15LoadWithoutCastENSF_16StoreWithoutCastEEEviT_T0_T2_T3_T4_T5_.uses_vcc, 1
	.set _ZN2at6native27unrolled_elementwise_kernelINS0_13BinaryFunctorIhhhZZZNS0_18lshift_kernel_cudaERNS_18TensorIteratorBaseEENKUlvE_clEvENKUlvE_clEvEUlhhE_EESt5arrayIPcLm3EELi4E23TrivialOffsetCalculatorILi2EjESC_ILi1EjENS0_6memory15LoadWithoutCastENSF_16StoreWithoutCastEEEviT_T0_T2_T3_T4_T5_.uses_flat_scratch, 0
	.set _ZN2at6native27unrolled_elementwise_kernelINS0_13BinaryFunctorIhhhZZZNS0_18lshift_kernel_cudaERNS_18TensorIteratorBaseEENKUlvE_clEvENKUlvE_clEvEUlhhE_EESt5arrayIPcLm3EELi4E23TrivialOffsetCalculatorILi2EjESC_ILi1EjENS0_6memory15LoadWithoutCastENSF_16StoreWithoutCastEEEviT_T0_T2_T3_T4_T5_.has_dyn_sized_stack, 0
	.set _ZN2at6native27unrolled_elementwise_kernelINS0_13BinaryFunctorIhhhZZZNS0_18lshift_kernel_cudaERNS_18TensorIteratorBaseEENKUlvE_clEvENKUlvE_clEvEUlhhE_EESt5arrayIPcLm3EELi4E23TrivialOffsetCalculatorILi2EjESC_ILi1EjENS0_6memory15LoadWithoutCastENSF_16StoreWithoutCastEEEviT_T0_T2_T3_T4_T5_.has_recursion, 0
	.set _ZN2at6native27unrolled_elementwise_kernelINS0_13BinaryFunctorIhhhZZZNS0_18lshift_kernel_cudaERNS_18TensorIteratorBaseEENKUlvE_clEvENKUlvE_clEvEUlhhE_EESt5arrayIPcLm3EELi4E23TrivialOffsetCalculatorILi2EjESC_ILi1EjENS0_6memory15LoadWithoutCastENSF_16StoreWithoutCastEEEviT_T0_T2_T3_T4_T5_.has_indirect_call, 0
	.section	.AMDGPU.csdata,"",@progbits
; Kernel info:
; codeLenInByte = 640
; TotalNumSgprs: 22
; NumVgprs: 12
; ScratchSize: 0
; MemoryBound: 0
; FloatMode: 240
; IeeeMode: 1
; LDSByteSize: 0 bytes/workgroup (compile time only)
; SGPRBlocks: 2
; VGPRBlocks: 2
; NumSGPRsForWavesPerEU: 22
; NumVGPRsForWavesPerEU: 12
; Occupancy: 10
; WaveLimiterHint : 0
; COMPUTE_PGM_RSRC2:SCRATCH_EN: 0
; COMPUTE_PGM_RSRC2:USER_SGPR: 6
; COMPUTE_PGM_RSRC2:TRAP_HANDLER: 0
; COMPUTE_PGM_RSRC2:TGID_X_EN: 1
; COMPUTE_PGM_RSRC2:TGID_Y_EN: 0
; COMPUTE_PGM_RSRC2:TGID_Z_EN: 0
; COMPUTE_PGM_RSRC2:TIDIG_COMP_CNT: 0
	.section	.text._ZN2at6native32elementwise_kernel_manual_unrollILi128ELi8EZNS0_22gpu_kernel_impl_nocastINS0_13BinaryFunctorIhhhZZZNS0_18lshift_kernel_cudaERNS_18TensorIteratorBaseEENKUlvE_clEvENKUlvE_clEvEUlhhE_EEEEvS5_RKT_EUlibE_EEviT1_,"axG",@progbits,_ZN2at6native32elementwise_kernel_manual_unrollILi128ELi8EZNS0_22gpu_kernel_impl_nocastINS0_13BinaryFunctorIhhhZZZNS0_18lshift_kernel_cudaERNS_18TensorIteratorBaseEENKUlvE_clEvENKUlvE_clEvEUlhhE_EEEEvS5_RKT_EUlibE_EEviT1_,comdat
	.globl	_ZN2at6native32elementwise_kernel_manual_unrollILi128ELi8EZNS0_22gpu_kernel_impl_nocastINS0_13BinaryFunctorIhhhZZZNS0_18lshift_kernel_cudaERNS_18TensorIteratorBaseEENKUlvE_clEvENKUlvE_clEvEUlhhE_EEEEvS5_RKT_EUlibE_EEviT1_ ; -- Begin function _ZN2at6native32elementwise_kernel_manual_unrollILi128ELi8EZNS0_22gpu_kernel_impl_nocastINS0_13BinaryFunctorIhhhZZZNS0_18lshift_kernel_cudaERNS_18TensorIteratorBaseEENKUlvE_clEvENKUlvE_clEvEUlhhE_EEEEvS5_RKT_EUlibE_EEviT1_
	.p2align	8
	.type	_ZN2at6native32elementwise_kernel_manual_unrollILi128ELi8EZNS0_22gpu_kernel_impl_nocastINS0_13BinaryFunctorIhhhZZZNS0_18lshift_kernel_cudaERNS_18TensorIteratorBaseEENKUlvE_clEvENKUlvE_clEvEUlhhE_EEEEvS5_RKT_EUlibE_EEviT1_,@function
_ZN2at6native32elementwise_kernel_manual_unrollILi128ELi8EZNS0_22gpu_kernel_impl_nocastINS0_13BinaryFunctorIhhhZZZNS0_18lshift_kernel_cudaERNS_18TensorIteratorBaseEENKUlvE_clEvENKUlvE_clEvEUlhhE_EEEEvS5_RKT_EUlibE_EEviT1_: ; @_ZN2at6native32elementwise_kernel_manual_unrollILi128ELi8EZNS0_22gpu_kernel_impl_nocastINS0_13BinaryFunctorIhhhZZZNS0_18lshift_kernel_cudaERNS_18TensorIteratorBaseEENKUlvE_clEvENKUlvE_clEvEUlhhE_EEEEvS5_RKT_EUlibE_EEviT1_
; %bb.0:
	s_load_dword s36, s[4:5], 0x0
	s_load_dword s33, s[4:5], 0x8
	s_add_u32 s12, s4, 8
	s_addc_u32 s13, s5, 0
	v_lshl_or_b32 v31, s6, 10, v0
	v_or_b32_e32 v41, 0x380, v31
	s_waitcnt lgkmcnt(0)
	s_add_i32 s34, s33, -1
	s_cmp_gt_u32 s34, 1
	v_cmp_le_i32_e32 vcc, s36, v41
	s_cselect_b64 s[14:15], -1, 0
	s_and_saveexec_b64 s[0:1], vcc
	s_xor_b64 s[16:17], exec, s[0:1]
	s_cbranch_execz .LBB21_106
; %bb.1:
	s_load_dwordx4 s[8:11], s[12:13], 0x4
	s_load_dwordx2 s[22:23], s[12:13], 0x14
	s_load_dwordx4 s[4:7], s[12:13], 0xc4
	s_load_dwordx2 s[20:21], s[12:13], 0xd4
	s_load_dwordx2 s[18:19], s[12:13], 0x198
	s_load_dwordx4 s[0:3], s[12:13], 0x188
	s_cmp_lg_u32 s33, 0
	s_cselect_b64 s[26:27], -1, 0
	s_min_u32 s35, s34, 15
	s_cmp_gt_u32 s33, 1
	s_cselect_b64 s[24:25], -1, 0
	v_cmp_gt_i32_e32 vcc, s36, v31
	s_and_saveexec_b64 s[28:29], vcc
	s_cbranch_execnz .LBB21_9
; %bb.2:
	s_or_b64 exec, exec, s[28:29]
	v_cmp_gt_i32_e32 vcc, s36, v31
	s_and_saveexec_b64 s[28:29], vcc
	s_cbranch_execnz .LBB21_21
.LBB21_3:
	s_or_b64 exec, exec, s[28:29]
	v_cmp_gt_i32_e32 vcc, s36, v31
	s_and_saveexec_b64 s[28:29], vcc
	s_cbranch_execnz .LBB21_33
.LBB21_4:
	s_or_b64 exec, exec, s[28:29]
	v_cmp_gt_i32_e32 vcc, s36, v31
	s_and_saveexec_b64 s[28:29], vcc
	s_cbranch_execnz .LBB21_45
.LBB21_5:
	s_or_b64 exec, exec, s[28:29]
	v_cmp_gt_i32_e32 vcc, s36, v31
	s_and_saveexec_b64 s[28:29], vcc
	s_cbranch_execnz .LBB21_57
.LBB21_6:
	s_or_b64 exec, exec, s[28:29]
	v_cmp_gt_i32_e32 vcc, s36, v31
	s_and_saveexec_b64 s[28:29], vcc
	s_cbranch_execnz .LBB21_69
.LBB21_7:
	s_or_b64 exec, exec, s[28:29]
	v_cmp_gt_i32_e32 vcc, s36, v31
	s_and_saveexec_b64 s[28:29], vcc
	s_cbranch_execnz .LBB21_81
.LBB21_8:
	s_or_b64 exec, exec, s[28:29]
	v_cmp_gt_i32_e32 vcc, s36, v31
	s_and_saveexec_b64 s[28:29], vcc
	s_cbranch_execnz .LBB21_93
	s_branch .LBB21_105
.LBB21_9:
	s_andn2_b64 vcc, exec, s[14:15]
	s_cbranch_vccnz .LBB21_15
; %bb.10:
	s_andn2_b64 vcc, exec, s[26:27]
	s_cbranch_vccnz .LBB21_16
; %bb.11:
	s_add_i32 s30, s35, 1
	s_and_b32 s37, s30, 30
	s_add_u32 s30, s12, 0xffffffe8
	s_addc_u32 s31, s13, -1
	v_mov_b32_e32 v2, 0
	v_mov_b32_e32 v4, 0
	;; [unrolled: 1-line block ×4, first 2 shown]
.LBB21_12:                              ; =>This Inner Loop Header: Depth=1
	s_load_dwordx4 s[40:43], s[30:31], 0x1c
	s_load_dwordx2 s[38:39], s[30:31], 0x2c
	s_load_dwordx2 s[48:49], s[30:31], 0xec
	s_load_dwordx4 s[44:47], s[30:31], 0xdc
	s_add_u32 s30, s30, 24
	s_waitcnt lgkmcnt(0)
	v_mul_hi_u32 v3, s41, v1
	s_addc_u32 s31, s31, 0
	s_add_i32 s37, s37, -2
	s_cmp_lg_u32 s37, 0
	v_add_u32_e32 v3, v1, v3
	v_lshrrev_b32_e32 v3, s42, v3
	v_mul_lo_u32 v5, v3, s40
	v_mul_hi_u32 v6, s38, v3
	v_sub_u32_e32 v5, v1, v5
	v_add_u32_e32 v1, v3, v6
	v_lshrrev_b32_e32 v1, s39, v1
	v_mul_lo_u32 v8, v1, s43
	v_mul_lo_u32 v6, v5, s44
	;; [unrolled: 1-line block ×4, first 2 shown]
	v_sub_u32_e32 v3, v3, v8
	v_mul_lo_u32 v8, v3, s47
	v_mul_lo_u32 v9, v3, s48
	;; [unrolled: 1-line block ×3, first 2 shown]
	v_add3_u32 v0, v6, v0, v8
	v_add3_u32 v4, v7, v4, v9
	v_add3_u32 v2, v5, v2, v3
	s_cbranch_scc1 .LBB21_12
; %bb.13:
	s_bitcmp1_b32 s35, 0
	s_cselect_b64 s[38:39], -1, 0
	s_and_b64 vcc, exec, s[38:39]
	s_cbranch_vccnz .LBB21_17
; %bb.14:
	s_load_dwordx2 s[38:39], s[30:31], 0x1c
	s_load_dword s37, s[30:31], 0x24
	s_load_dwordx2 s[40:41], s[30:31], 0xdc
	s_waitcnt lgkmcnt(0)
	v_mul_hi_u32 v3, s39, v1
	v_add_u32_e32 v3, v1, v3
	v_lshrrev_b32_e32 v3, s37, v3
	v_mul_lo_u32 v3, v3, s38
	s_load_dword s37, s[30:31], 0xe4
	v_sub_u32_e32 v3, v1, v3
	v_mad_u64_u32 v[0:1], s[30:31], v3, s40, v[0:1]
	v_mad_u64_u32 v[4:5], s[30:31], v3, s41, v[4:5]
	s_waitcnt lgkmcnt(0)
	v_mad_u64_u32 v[2:3], s[30:31], v3, s37, v[2:3]
	s_cbranch_execz .LBB21_18
	s_branch .LBB21_20
.LBB21_15:
                                        ; implicit-def: $vgpr0
                                        ; implicit-def: $vgpr4
                                        ; implicit-def: $vgpr2
	s_branch .LBB21_18
.LBB21_16:
	v_mov_b32_e32 v0, 0
	v_mov_b32_e32 v4, 0
	;; [unrolled: 1-line block ×3, first 2 shown]
.LBB21_17:
	s_cbranch_execnz .LBB21_20
.LBB21_18:
	s_waitcnt lgkmcnt(0)
	v_mul_hi_u32 v0, s9, v31
	s_andn2_b64 vcc, exec, s[24:25]
	v_add_u32_e32 v0, v31, v0
	v_lshrrev_b32_e32 v1, s10, v0
	v_mul_lo_u32 v0, v1, s8
	v_sub_u32_e32 v2, v31, v0
	v_mul_lo_u32 v0, v2, s4
	v_mul_lo_u32 v4, v2, s5
	v_mul_lo_u32 v2, v2, s6
	s_cbranch_vccnz .LBB21_20
; %bb.19:
	v_mul_hi_u32 v3, s22, v1
	v_add_u32_e32 v3, v1, v3
	v_lshrrev_b32_e32 v3, s23, v3
	v_mul_lo_u32 v3, v3, s11
	v_sub_u32_e32 v3, v1, v3
	v_mad_u64_u32 v[0:1], s[30:31], v3, s7, v[0:1]
	v_mad_u64_u32 v[4:5], s[30:31], v3, s20, v[4:5]
	v_mad_u64_u32 v[2:3], s[30:31], v3, s21, v[2:3]
.LBB21_20:
	s_waitcnt lgkmcnt(0)
	global_load_ubyte v1, v2, s[18:19]
	global_load_ubyte v3, v4, s[2:3]
	v_add_u32_e32 v31, 0x80, v31
	s_waitcnt vmcnt(1)
	v_cmp_gt_u32_e32 vcc, 8, v1
	s_waitcnt vmcnt(0)
	v_lshlrev_b32_e32 v2, v1, v3
	v_cndmask_b32_e32 v1, 0, v2, vcc
	global_store_byte v0, v1, s[0:1]
	s_or_b64 exec, exec, s[28:29]
	v_cmp_gt_i32_e32 vcc, s36, v31
	s_and_saveexec_b64 s[28:29], vcc
	s_cbranch_execz .LBB21_3
.LBB21_21:
	s_andn2_b64 vcc, exec, s[14:15]
	s_cbranch_vccnz .LBB21_27
; %bb.22:
	s_andn2_b64 vcc, exec, s[26:27]
	s_cbranch_vccnz .LBB21_28
; %bb.23:
	s_add_i32 s30, s35, 1
	s_and_b32 s37, s30, 30
	s_add_u32 s30, s12, 0xffffffe8
	s_addc_u32 s31, s13, -1
	v_mov_b32_e32 v2, 0
	v_mov_b32_e32 v4, 0
	;; [unrolled: 1-line block ×4, first 2 shown]
.LBB21_24:                              ; =>This Inner Loop Header: Depth=1
	s_load_dwordx4 s[40:43], s[30:31], 0x1c
	s_load_dwordx2 s[38:39], s[30:31], 0x2c
	s_load_dwordx2 s[48:49], s[30:31], 0xec
	s_load_dwordx4 s[44:47], s[30:31], 0xdc
	s_add_u32 s30, s30, 24
	s_waitcnt lgkmcnt(0)
	v_mul_hi_u32 v3, s41, v1
	s_addc_u32 s31, s31, 0
	s_add_i32 s37, s37, -2
	s_cmp_eq_u32 s37, 0
	v_add_u32_e32 v3, v1, v3
	v_lshrrev_b32_e32 v3, s42, v3
	v_mul_lo_u32 v5, v3, s40
	v_mul_hi_u32 v6, s38, v3
	v_sub_u32_e32 v5, v1, v5
	v_add_u32_e32 v1, v3, v6
	v_lshrrev_b32_e32 v1, s39, v1
	v_mul_lo_u32 v8, v1, s43
	v_mul_lo_u32 v6, v5, s44
	;; [unrolled: 1-line block ×4, first 2 shown]
	v_sub_u32_e32 v3, v3, v8
	v_mul_lo_u32 v8, v3, s47
	v_mul_lo_u32 v9, v3, s48
	;; [unrolled: 1-line block ×3, first 2 shown]
	v_add3_u32 v0, v6, v0, v8
	v_add3_u32 v4, v7, v4, v9
	;; [unrolled: 1-line block ×3, first 2 shown]
	s_cbranch_scc0 .LBB21_24
; %bb.25:
	s_bitcmp1_b32 s35, 0
	s_cselect_b64 s[38:39], -1, 0
	s_and_b64 vcc, exec, s[38:39]
	s_cbranch_vccnz .LBB21_29
; %bb.26:
	s_load_dwordx2 s[38:39], s[30:31], 0x1c
	s_load_dword s37, s[30:31], 0x24
	s_load_dwordx2 s[40:41], s[30:31], 0xdc
	s_waitcnt lgkmcnt(0)
	v_mul_hi_u32 v3, s39, v1
	v_add_u32_e32 v3, v1, v3
	v_lshrrev_b32_e32 v3, s37, v3
	v_mul_lo_u32 v3, v3, s38
	s_load_dword s37, s[30:31], 0xe4
	v_sub_u32_e32 v3, v1, v3
	v_mad_u64_u32 v[0:1], s[30:31], v3, s40, v[0:1]
	v_mad_u64_u32 v[4:5], s[30:31], v3, s41, v[4:5]
	s_waitcnt lgkmcnt(0)
	v_mad_u64_u32 v[2:3], s[30:31], v3, s37, v[2:3]
	s_branch .LBB21_29
.LBB21_27:
                                        ; implicit-def: $vgpr0
                                        ; implicit-def: $vgpr4
                                        ; implicit-def: $vgpr2
	s_branch .LBB21_30
.LBB21_28:
	v_mov_b32_e32 v0, 0
	v_mov_b32_e32 v4, 0
	;; [unrolled: 1-line block ×3, first 2 shown]
.LBB21_29:
	s_cbranch_execnz .LBB21_32
.LBB21_30:
	s_waitcnt lgkmcnt(0)
	v_mul_hi_u32 v0, s9, v31
	s_andn2_b64 vcc, exec, s[24:25]
	v_add_u32_e32 v0, v31, v0
	v_lshrrev_b32_e32 v1, s10, v0
	v_mul_lo_u32 v0, v1, s8
	v_sub_u32_e32 v2, v31, v0
	v_mul_lo_u32 v0, v2, s4
	v_mul_lo_u32 v4, v2, s5
	;; [unrolled: 1-line block ×3, first 2 shown]
	s_cbranch_vccnz .LBB21_32
; %bb.31:
	v_mul_hi_u32 v3, s22, v1
	v_add_u32_e32 v3, v1, v3
	v_lshrrev_b32_e32 v3, s23, v3
	v_mul_lo_u32 v3, v3, s11
	v_sub_u32_e32 v3, v1, v3
	v_mad_u64_u32 v[0:1], s[30:31], v3, s7, v[0:1]
	v_mad_u64_u32 v[4:5], s[30:31], v3, s20, v[4:5]
	;; [unrolled: 1-line block ×3, first 2 shown]
.LBB21_32:
	s_waitcnt lgkmcnt(0)
	global_load_ubyte v1, v2, s[18:19]
	global_load_ubyte v3, v4, s[2:3]
	v_add_u32_e32 v31, 0x80, v31
	s_waitcnt vmcnt(1)
	v_cmp_gt_u32_e32 vcc, 8, v1
	s_waitcnt vmcnt(0)
	v_lshlrev_b32_e32 v2, v1, v3
	v_cndmask_b32_e32 v1, 0, v2, vcc
	global_store_byte v0, v1, s[0:1]
	s_or_b64 exec, exec, s[28:29]
	v_cmp_gt_i32_e32 vcc, s36, v31
	s_and_saveexec_b64 s[28:29], vcc
	s_cbranch_execz .LBB21_4
.LBB21_33:
	s_andn2_b64 vcc, exec, s[14:15]
	s_cbranch_vccnz .LBB21_39
; %bb.34:
	s_andn2_b64 vcc, exec, s[26:27]
	s_cbranch_vccnz .LBB21_40
; %bb.35:
	s_add_i32 s30, s35, 1
	s_and_b32 s37, s30, 30
	s_add_u32 s30, s12, 0xffffffe8
	s_addc_u32 s31, s13, -1
	v_mov_b32_e32 v2, 0
	v_mov_b32_e32 v4, 0
	;; [unrolled: 1-line block ×4, first 2 shown]
.LBB21_36:                              ; =>This Inner Loop Header: Depth=1
	s_load_dwordx4 s[40:43], s[30:31], 0x1c
	s_load_dwordx2 s[38:39], s[30:31], 0x2c
	s_load_dwordx2 s[48:49], s[30:31], 0xec
	s_load_dwordx4 s[44:47], s[30:31], 0xdc
	s_add_u32 s30, s30, 24
	s_waitcnt lgkmcnt(0)
	v_mul_hi_u32 v3, s41, v1
	s_addc_u32 s31, s31, 0
	s_add_i32 s37, s37, -2
	s_cmp_eq_u32 s37, 0
	v_add_u32_e32 v3, v1, v3
	v_lshrrev_b32_e32 v3, s42, v3
	v_mul_lo_u32 v5, v3, s40
	v_mul_hi_u32 v6, s38, v3
	v_sub_u32_e32 v5, v1, v5
	v_add_u32_e32 v1, v3, v6
	v_lshrrev_b32_e32 v1, s39, v1
	v_mul_lo_u32 v8, v1, s43
	v_mul_lo_u32 v6, v5, s44
	;; [unrolled: 1-line block ×4, first 2 shown]
	v_sub_u32_e32 v3, v3, v8
	v_mul_lo_u32 v8, v3, s47
	v_mul_lo_u32 v9, v3, s48
	;; [unrolled: 1-line block ×3, first 2 shown]
	v_add3_u32 v0, v6, v0, v8
	v_add3_u32 v4, v7, v4, v9
	;; [unrolled: 1-line block ×3, first 2 shown]
	s_cbranch_scc0 .LBB21_36
; %bb.37:
	s_bitcmp1_b32 s35, 0
	s_cselect_b64 s[38:39], -1, 0
	s_and_b64 vcc, exec, s[38:39]
	s_cbranch_vccnz .LBB21_41
; %bb.38:
	s_load_dwordx2 s[38:39], s[30:31], 0x1c
	s_load_dword s37, s[30:31], 0x24
	s_load_dwordx2 s[40:41], s[30:31], 0xdc
	s_waitcnt lgkmcnt(0)
	v_mul_hi_u32 v3, s39, v1
	v_add_u32_e32 v3, v1, v3
	v_lshrrev_b32_e32 v3, s37, v3
	v_mul_lo_u32 v3, v3, s38
	s_load_dword s37, s[30:31], 0xe4
	v_sub_u32_e32 v3, v1, v3
	v_mad_u64_u32 v[0:1], s[30:31], v3, s40, v[0:1]
	v_mad_u64_u32 v[4:5], s[30:31], v3, s41, v[4:5]
	s_waitcnt lgkmcnt(0)
	v_mad_u64_u32 v[2:3], s[30:31], v3, s37, v[2:3]
	s_branch .LBB21_41
.LBB21_39:
                                        ; implicit-def: $vgpr0
                                        ; implicit-def: $vgpr4
                                        ; implicit-def: $vgpr2
	s_branch .LBB21_42
.LBB21_40:
	v_mov_b32_e32 v0, 0
	v_mov_b32_e32 v4, 0
	;; [unrolled: 1-line block ×3, first 2 shown]
.LBB21_41:
	s_cbranch_execnz .LBB21_44
.LBB21_42:
	s_waitcnt lgkmcnt(0)
	v_mul_hi_u32 v0, s9, v31
	s_andn2_b64 vcc, exec, s[24:25]
	v_add_u32_e32 v0, v31, v0
	v_lshrrev_b32_e32 v1, s10, v0
	v_mul_lo_u32 v0, v1, s8
	v_sub_u32_e32 v2, v31, v0
	v_mul_lo_u32 v0, v2, s4
	v_mul_lo_u32 v4, v2, s5
	;; [unrolled: 1-line block ×3, first 2 shown]
	s_cbranch_vccnz .LBB21_44
; %bb.43:
	v_mul_hi_u32 v3, s22, v1
	v_add_u32_e32 v3, v1, v3
	v_lshrrev_b32_e32 v3, s23, v3
	v_mul_lo_u32 v3, v3, s11
	v_sub_u32_e32 v3, v1, v3
	v_mad_u64_u32 v[0:1], s[30:31], v3, s7, v[0:1]
	v_mad_u64_u32 v[4:5], s[30:31], v3, s20, v[4:5]
	;; [unrolled: 1-line block ×3, first 2 shown]
.LBB21_44:
	s_waitcnt lgkmcnt(0)
	global_load_ubyte v1, v2, s[18:19]
	global_load_ubyte v3, v4, s[2:3]
	v_add_u32_e32 v31, 0x80, v31
	s_waitcnt vmcnt(1)
	v_cmp_gt_u32_e32 vcc, 8, v1
	s_waitcnt vmcnt(0)
	v_lshlrev_b32_e32 v2, v1, v3
	v_cndmask_b32_e32 v1, 0, v2, vcc
	global_store_byte v0, v1, s[0:1]
	s_or_b64 exec, exec, s[28:29]
	v_cmp_gt_i32_e32 vcc, s36, v31
	s_and_saveexec_b64 s[28:29], vcc
	s_cbranch_execz .LBB21_5
.LBB21_45:
	s_andn2_b64 vcc, exec, s[14:15]
	s_cbranch_vccnz .LBB21_51
; %bb.46:
	s_andn2_b64 vcc, exec, s[26:27]
	s_cbranch_vccnz .LBB21_52
; %bb.47:
	s_add_i32 s30, s35, 1
	s_and_b32 s37, s30, 30
	s_add_u32 s30, s12, 0xffffffe8
	s_addc_u32 s31, s13, -1
	v_mov_b32_e32 v2, 0
	v_mov_b32_e32 v4, 0
	;; [unrolled: 1-line block ×4, first 2 shown]
.LBB21_48:                              ; =>This Inner Loop Header: Depth=1
	s_load_dwordx4 s[40:43], s[30:31], 0x1c
	s_load_dwordx2 s[38:39], s[30:31], 0x2c
	s_load_dwordx2 s[48:49], s[30:31], 0xec
	s_load_dwordx4 s[44:47], s[30:31], 0xdc
	s_add_u32 s30, s30, 24
	s_waitcnt lgkmcnt(0)
	v_mul_hi_u32 v3, s41, v1
	s_addc_u32 s31, s31, 0
	s_add_i32 s37, s37, -2
	s_cmp_eq_u32 s37, 0
	v_add_u32_e32 v3, v1, v3
	v_lshrrev_b32_e32 v3, s42, v3
	v_mul_lo_u32 v5, v3, s40
	v_mul_hi_u32 v6, s38, v3
	v_sub_u32_e32 v5, v1, v5
	v_add_u32_e32 v1, v3, v6
	v_lshrrev_b32_e32 v1, s39, v1
	v_mul_lo_u32 v8, v1, s43
	v_mul_lo_u32 v6, v5, s44
	v_mul_lo_u32 v7, v5, s45
	v_mul_lo_u32 v5, v5, s46
	v_sub_u32_e32 v3, v3, v8
	v_mul_lo_u32 v8, v3, s47
	v_mul_lo_u32 v9, v3, s48
	;; [unrolled: 1-line block ×3, first 2 shown]
	v_add3_u32 v0, v6, v0, v8
	v_add3_u32 v4, v7, v4, v9
	;; [unrolled: 1-line block ×3, first 2 shown]
	s_cbranch_scc0 .LBB21_48
; %bb.49:
	s_bitcmp1_b32 s35, 0
	s_cselect_b64 s[38:39], -1, 0
	s_and_b64 vcc, exec, s[38:39]
	s_cbranch_vccnz .LBB21_53
; %bb.50:
	s_load_dwordx2 s[38:39], s[30:31], 0x1c
	s_load_dword s37, s[30:31], 0x24
	s_load_dwordx2 s[40:41], s[30:31], 0xdc
	s_waitcnt lgkmcnt(0)
	v_mul_hi_u32 v3, s39, v1
	v_add_u32_e32 v3, v1, v3
	v_lshrrev_b32_e32 v3, s37, v3
	v_mul_lo_u32 v3, v3, s38
	s_load_dword s37, s[30:31], 0xe4
	v_sub_u32_e32 v3, v1, v3
	v_mad_u64_u32 v[0:1], s[30:31], v3, s40, v[0:1]
	v_mad_u64_u32 v[4:5], s[30:31], v3, s41, v[4:5]
	s_waitcnt lgkmcnt(0)
	v_mad_u64_u32 v[2:3], s[30:31], v3, s37, v[2:3]
	s_branch .LBB21_53
.LBB21_51:
                                        ; implicit-def: $vgpr0
                                        ; implicit-def: $vgpr4
                                        ; implicit-def: $vgpr2
	s_branch .LBB21_54
.LBB21_52:
	v_mov_b32_e32 v0, 0
	v_mov_b32_e32 v4, 0
	;; [unrolled: 1-line block ×3, first 2 shown]
.LBB21_53:
	s_cbranch_execnz .LBB21_56
.LBB21_54:
	s_waitcnt lgkmcnt(0)
	v_mul_hi_u32 v0, s9, v31
	s_andn2_b64 vcc, exec, s[24:25]
	v_add_u32_e32 v0, v31, v0
	v_lshrrev_b32_e32 v1, s10, v0
	v_mul_lo_u32 v0, v1, s8
	v_sub_u32_e32 v2, v31, v0
	v_mul_lo_u32 v0, v2, s4
	v_mul_lo_u32 v4, v2, s5
	;; [unrolled: 1-line block ×3, first 2 shown]
	s_cbranch_vccnz .LBB21_56
; %bb.55:
	v_mul_hi_u32 v3, s22, v1
	v_add_u32_e32 v3, v1, v3
	v_lshrrev_b32_e32 v3, s23, v3
	v_mul_lo_u32 v3, v3, s11
	v_sub_u32_e32 v3, v1, v3
	v_mad_u64_u32 v[0:1], s[30:31], v3, s7, v[0:1]
	v_mad_u64_u32 v[4:5], s[30:31], v3, s20, v[4:5]
	;; [unrolled: 1-line block ×3, first 2 shown]
.LBB21_56:
	s_waitcnt lgkmcnt(0)
	global_load_ubyte v1, v2, s[18:19]
	global_load_ubyte v3, v4, s[2:3]
	v_add_u32_e32 v31, 0x80, v31
	s_waitcnt vmcnt(1)
	v_cmp_gt_u32_e32 vcc, 8, v1
	s_waitcnt vmcnt(0)
	v_lshlrev_b32_e32 v2, v1, v3
	v_cndmask_b32_e32 v1, 0, v2, vcc
	global_store_byte v0, v1, s[0:1]
	s_or_b64 exec, exec, s[28:29]
	v_cmp_gt_i32_e32 vcc, s36, v31
	s_and_saveexec_b64 s[28:29], vcc
	s_cbranch_execz .LBB21_6
.LBB21_57:
	s_andn2_b64 vcc, exec, s[14:15]
	s_cbranch_vccnz .LBB21_63
; %bb.58:
	s_andn2_b64 vcc, exec, s[26:27]
	s_cbranch_vccnz .LBB21_64
; %bb.59:
	s_add_i32 s30, s35, 1
	s_and_b32 s37, s30, 30
	s_add_u32 s30, s12, 0xffffffe8
	s_addc_u32 s31, s13, -1
	v_mov_b32_e32 v2, 0
	v_mov_b32_e32 v4, 0
	;; [unrolled: 1-line block ×4, first 2 shown]
.LBB21_60:                              ; =>This Inner Loop Header: Depth=1
	s_load_dwordx4 s[40:43], s[30:31], 0x1c
	s_load_dwordx2 s[38:39], s[30:31], 0x2c
	s_load_dwordx2 s[48:49], s[30:31], 0xec
	s_load_dwordx4 s[44:47], s[30:31], 0xdc
	s_add_u32 s30, s30, 24
	s_waitcnt lgkmcnt(0)
	v_mul_hi_u32 v3, s41, v1
	s_addc_u32 s31, s31, 0
	s_add_i32 s37, s37, -2
	s_cmp_eq_u32 s37, 0
	v_add_u32_e32 v3, v1, v3
	v_lshrrev_b32_e32 v3, s42, v3
	v_mul_lo_u32 v5, v3, s40
	v_mul_hi_u32 v6, s38, v3
	v_sub_u32_e32 v5, v1, v5
	v_add_u32_e32 v1, v3, v6
	v_lshrrev_b32_e32 v1, s39, v1
	v_mul_lo_u32 v8, v1, s43
	v_mul_lo_u32 v6, v5, s44
	;; [unrolled: 1-line block ×4, first 2 shown]
	v_sub_u32_e32 v3, v3, v8
	v_mul_lo_u32 v8, v3, s47
	v_mul_lo_u32 v9, v3, s48
	;; [unrolled: 1-line block ×3, first 2 shown]
	v_add3_u32 v0, v6, v0, v8
	v_add3_u32 v4, v7, v4, v9
	;; [unrolled: 1-line block ×3, first 2 shown]
	s_cbranch_scc0 .LBB21_60
; %bb.61:
	s_bitcmp1_b32 s35, 0
	s_cselect_b64 s[38:39], -1, 0
	s_and_b64 vcc, exec, s[38:39]
	s_cbranch_vccnz .LBB21_65
; %bb.62:
	s_load_dwordx2 s[38:39], s[30:31], 0x1c
	s_load_dword s37, s[30:31], 0x24
	s_load_dwordx2 s[40:41], s[30:31], 0xdc
	s_waitcnt lgkmcnt(0)
	v_mul_hi_u32 v3, s39, v1
	v_add_u32_e32 v3, v1, v3
	v_lshrrev_b32_e32 v3, s37, v3
	v_mul_lo_u32 v3, v3, s38
	s_load_dword s37, s[30:31], 0xe4
	v_sub_u32_e32 v3, v1, v3
	v_mad_u64_u32 v[0:1], s[30:31], v3, s40, v[0:1]
	v_mad_u64_u32 v[4:5], s[30:31], v3, s41, v[4:5]
	s_waitcnt lgkmcnt(0)
	v_mad_u64_u32 v[2:3], s[30:31], v3, s37, v[2:3]
	s_branch .LBB21_65
.LBB21_63:
                                        ; implicit-def: $vgpr0
                                        ; implicit-def: $vgpr4
                                        ; implicit-def: $vgpr2
	s_branch .LBB21_66
.LBB21_64:
	v_mov_b32_e32 v0, 0
	v_mov_b32_e32 v4, 0
	;; [unrolled: 1-line block ×3, first 2 shown]
.LBB21_65:
	s_cbranch_execnz .LBB21_68
.LBB21_66:
	s_waitcnt lgkmcnt(0)
	v_mul_hi_u32 v0, s9, v31
	s_andn2_b64 vcc, exec, s[24:25]
	v_add_u32_e32 v0, v31, v0
	v_lshrrev_b32_e32 v1, s10, v0
	v_mul_lo_u32 v0, v1, s8
	v_sub_u32_e32 v2, v31, v0
	v_mul_lo_u32 v0, v2, s4
	v_mul_lo_u32 v4, v2, s5
	;; [unrolled: 1-line block ×3, first 2 shown]
	s_cbranch_vccnz .LBB21_68
; %bb.67:
	v_mul_hi_u32 v3, s22, v1
	v_add_u32_e32 v3, v1, v3
	v_lshrrev_b32_e32 v3, s23, v3
	v_mul_lo_u32 v3, v3, s11
	v_sub_u32_e32 v3, v1, v3
	v_mad_u64_u32 v[0:1], s[30:31], v3, s7, v[0:1]
	v_mad_u64_u32 v[4:5], s[30:31], v3, s20, v[4:5]
	;; [unrolled: 1-line block ×3, first 2 shown]
.LBB21_68:
	s_waitcnt lgkmcnt(0)
	global_load_ubyte v1, v2, s[18:19]
	global_load_ubyte v3, v4, s[2:3]
	v_add_u32_e32 v31, 0x80, v31
	s_waitcnt vmcnt(1)
	v_cmp_gt_u32_e32 vcc, 8, v1
	s_waitcnt vmcnt(0)
	v_lshlrev_b32_e32 v2, v1, v3
	v_cndmask_b32_e32 v1, 0, v2, vcc
	global_store_byte v0, v1, s[0:1]
	s_or_b64 exec, exec, s[28:29]
	v_cmp_gt_i32_e32 vcc, s36, v31
	s_and_saveexec_b64 s[28:29], vcc
	s_cbranch_execz .LBB21_7
.LBB21_69:
	s_andn2_b64 vcc, exec, s[14:15]
	s_cbranch_vccnz .LBB21_75
; %bb.70:
	s_andn2_b64 vcc, exec, s[26:27]
	s_cbranch_vccnz .LBB21_76
; %bb.71:
	s_add_i32 s30, s35, 1
	s_and_b32 s37, s30, 30
	s_add_u32 s30, s12, 0xffffffe8
	s_addc_u32 s31, s13, -1
	v_mov_b32_e32 v2, 0
	v_mov_b32_e32 v4, 0
	;; [unrolled: 1-line block ×4, first 2 shown]
.LBB21_72:                              ; =>This Inner Loop Header: Depth=1
	s_load_dwordx4 s[40:43], s[30:31], 0x1c
	s_load_dwordx2 s[38:39], s[30:31], 0x2c
	s_load_dwordx2 s[48:49], s[30:31], 0xec
	s_load_dwordx4 s[44:47], s[30:31], 0xdc
	s_add_u32 s30, s30, 24
	s_waitcnt lgkmcnt(0)
	v_mul_hi_u32 v3, s41, v1
	s_addc_u32 s31, s31, 0
	s_add_i32 s37, s37, -2
	s_cmp_eq_u32 s37, 0
	v_add_u32_e32 v3, v1, v3
	v_lshrrev_b32_e32 v3, s42, v3
	v_mul_lo_u32 v5, v3, s40
	v_mul_hi_u32 v6, s38, v3
	v_sub_u32_e32 v5, v1, v5
	v_add_u32_e32 v1, v3, v6
	v_lshrrev_b32_e32 v1, s39, v1
	v_mul_lo_u32 v8, v1, s43
	v_mul_lo_u32 v6, v5, s44
	;; [unrolled: 1-line block ×4, first 2 shown]
	v_sub_u32_e32 v3, v3, v8
	v_mul_lo_u32 v8, v3, s47
	v_mul_lo_u32 v9, v3, s48
	;; [unrolled: 1-line block ×3, first 2 shown]
	v_add3_u32 v0, v6, v0, v8
	v_add3_u32 v4, v7, v4, v9
	;; [unrolled: 1-line block ×3, first 2 shown]
	s_cbranch_scc0 .LBB21_72
; %bb.73:
	s_bitcmp1_b32 s35, 0
	s_cselect_b64 s[38:39], -1, 0
	s_and_b64 vcc, exec, s[38:39]
	s_cbranch_vccnz .LBB21_77
; %bb.74:
	s_load_dwordx2 s[38:39], s[30:31], 0x1c
	s_load_dword s37, s[30:31], 0x24
	s_load_dwordx2 s[40:41], s[30:31], 0xdc
	s_waitcnt lgkmcnt(0)
	v_mul_hi_u32 v3, s39, v1
	v_add_u32_e32 v3, v1, v3
	v_lshrrev_b32_e32 v3, s37, v3
	v_mul_lo_u32 v3, v3, s38
	s_load_dword s37, s[30:31], 0xe4
	v_sub_u32_e32 v3, v1, v3
	v_mad_u64_u32 v[0:1], s[30:31], v3, s40, v[0:1]
	v_mad_u64_u32 v[4:5], s[30:31], v3, s41, v[4:5]
	s_waitcnt lgkmcnt(0)
	v_mad_u64_u32 v[2:3], s[30:31], v3, s37, v[2:3]
	s_branch .LBB21_77
.LBB21_75:
                                        ; implicit-def: $vgpr0
                                        ; implicit-def: $vgpr4
                                        ; implicit-def: $vgpr2
	s_branch .LBB21_78
.LBB21_76:
	v_mov_b32_e32 v0, 0
	v_mov_b32_e32 v4, 0
	v_mov_b32_e32 v2, 0
.LBB21_77:
	s_cbranch_execnz .LBB21_80
.LBB21_78:
	s_waitcnt lgkmcnt(0)
	v_mul_hi_u32 v0, s9, v31
	s_andn2_b64 vcc, exec, s[24:25]
	v_add_u32_e32 v0, v31, v0
	v_lshrrev_b32_e32 v1, s10, v0
	v_mul_lo_u32 v0, v1, s8
	v_sub_u32_e32 v2, v31, v0
	v_mul_lo_u32 v0, v2, s4
	v_mul_lo_u32 v4, v2, s5
	v_mul_lo_u32 v2, v2, s6
	s_cbranch_vccnz .LBB21_80
; %bb.79:
	v_mul_hi_u32 v3, s22, v1
	v_add_u32_e32 v3, v1, v3
	v_lshrrev_b32_e32 v3, s23, v3
	v_mul_lo_u32 v3, v3, s11
	v_sub_u32_e32 v3, v1, v3
	v_mad_u64_u32 v[0:1], s[30:31], v3, s7, v[0:1]
	v_mad_u64_u32 v[4:5], s[30:31], v3, s20, v[4:5]
	v_mad_u64_u32 v[2:3], s[30:31], v3, s21, v[2:3]
.LBB21_80:
	s_waitcnt lgkmcnt(0)
	global_load_ubyte v1, v2, s[18:19]
	global_load_ubyte v3, v4, s[2:3]
	v_add_u32_e32 v31, 0x80, v31
	s_waitcnt vmcnt(1)
	v_cmp_gt_u32_e32 vcc, 8, v1
	s_waitcnt vmcnt(0)
	v_lshlrev_b32_e32 v2, v1, v3
	v_cndmask_b32_e32 v1, 0, v2, vcc
	global_store_byte v0, v1, s[0:1]
	s_or_b64 exec, exec, s[28:29]
	v_cmp_gt_i32_e32 vcc, s36, v31
	s_and_saveexec_b64 s[28:29], vcc
	s_cbranch_execz .LBB21_8
.LBB21_81:
	s_andn2_b64 vcc, exec, s[14:15]
	s_cbranch_vccnz .LBB21_87
; %bb.82:
	s_andn2_b64 vcc, exec, s[26:27]
	s_cbranch_vccnz .LBB21_88
; %bb.83:
	s_add_i32 s30, s35, 1
	s_and_b32 s37, s30, 30
	s_add_u32 s30, s12, 0xffffffe8
	s_addc_u32 s31, s13, -1
	v_mov_b32_e32 v2, 0
	v_mov_b32_e32 v4, 0
	;; [unrolled: 1-line block ×4, first 2 shown]
.LBB21_84:                              ; =>This Inner Loop Header: Depth=1
	s_load_dwordx4 s[40:43], s[30:31], 0x1c
	s_load_dwordx2 s[38:39], s[30:31], 0x2c
	s_load_dwordx2 s[48:49], s[30:31], 0xec
	s_load_dwordx4 s[44:47], s[30:31], 0xdc
	s_add_u32 s30, s30, 24
	s_waitcnt lgkmcnt(0)
	v_mul_hi_u32 v3, s41, v1
	s_addc_u32 s31, s31, 0
	s_add_i32 s37, s37, -2
	s_cmp_eq_u32 s37, 0
	v_add_u32_e32 v3, v1, v3
	v_lshrrev_b32_e32 v3, s42, v3
	v_mul_lo_u32 v5, v3, s40
	v_mul_hi_u32 v6, s38, v3
	v_sub_u32_e32 v5, v1, v5
	v_add_u32_e32 v1, v3, v6
	v_lshrrev_b32_e32 v1, s39, v1
	v_mul_lo_u32 v8, v1, s43
	v_mul_lo_u32 v6, v5, s44
	;; [unrolled: 1-line block ×4, first 2 shown]
	v_sub_u32_e32 v3, v3, v8
	v_mul_lo_u32 v8, v3, s47
	v_mul_lo_u32 v9, v3, s48
	;; [unrolled: 1-line block ×3, first 2 shown]
	v_add3_u32 v0, v6, v0, v8
	v_add3_u32 v4, v7, v4, v9
	;; [unrolled: 1-line block ×3, first 2 shown]
	s_cbranch_scc0 .LBB21_84
; %bb.85:
	s_bitcmp1_b32 s35, 0
	s_cselect_b64 s[38:39], -1, 0
	s_and_b64 vcc, exec, s[38:39]
	s_cbranch_vccnz .LBB21_89
; %bb.86:
	s_load_dwordx2 s[38:39], s[30:31], 0x1c
	s_load_dword s37, s[30:31], 0x24
	s_load_dwordx2 s[40:41], s[30:31], 0xdc
	s_waitcnt lgkmcnt(0)
	v_mul_hi_u32 v3, s39, v1
	v_add_u32_e32 v3, v1, v3
	v_lshrrev_b32_e32 v3, s37, v3
	v_mul_lo_u32 v3, v3, s38
	s_load_dword s37, s[30:31], 0xe4
	v_sub_u32_e32 v3, v1, v3
	v_mad_u64_u32 v[0:1], s[30:31], v3, s40, v[0:1]
	v_mad_u64_u32 v[4:5], s[30:31], v3, s41, v[4:5]
	s_waitcnt lgkmcnt(0)
	v_mad_u64_u32 v[2:3], s[30:31], v3, s37, v[2:3]
	s_branch .LBB21_89
.LBB21_87:
                                        ; implicit-def: $vgpr0
                                        ; implicit-def: $vgpr4
                                        ; implicit-def: $vgpr2
	s_branch .LBB21_90
.LBB21_88:
	v_mov_b32_e32 v0, 0
	v_mov_b32_e32 v4, 0
	;; [unrolled: 1-line block ×3, first 2 shown]
.LBB21_89:
	s_cbranch_execnz .LBB21_92
.LBB21_90:
	s_waitcnt lgkmcnt(0)
	v_mul_hi_u32 v0, s9, v31
	s_andn2_b64 vcc, exec, s[24:25]
	v_add_u32_e32 v0, v31, v0
	v_lshrrev_b32_e32 v1, s10, v0
	v_mul_lo_u32 v0, v1, s8
	v_sub_u32_e32 v2, v31, v0
	v_mul_lo_u32 v0, v2, s4
	v_mul_lo_u32 v4, v2, s5
	;; [unrolled: 1-line block ×3, first 2 shown]
	s_cbranch_vccnz .LBB21_92
; %bb.91:
	v_mul_hi_u32 v3, s22, v1
	v_add_u32_e32 v3, v1, v3
	v_lshrrev_b32_e32 v3, s23, v3
	v_mul_lo_u32 v3, v3, s11
	v_sub_u32_e32 v3, v1, v3
	v_mad_u64_u32 v[0:1], s[30:31], v3, s7, v[0:1]
	v_mad_u64_u32 v[4:5], s[30:31], v3, s20, v[4:5]
	;; [unrolled: 1-line block ×3, first 2 shown]
.LBB21_92:
	s_waitcnt lgkmcnt(0)
	global_load_ubyte v1, v2, s[18:19]
	global_load_ubyte v3, v4, s[2:3]
	v_add_u32_e32 v31, 0x80, v31
	s_waitcnt vmcnt(1)
	v_cmp_gt_u32_e32 vcc, 8, v1
	s_waitcnt vmcnt(0)
	v_lshlrev_b32_e32 v2, v1, v3
	v_cndmask_b32_e32 v1, 0, v2, vcc
	global_store_byte v0, v1, s[0:1]
	s_or_b64 exec, exec, s[28:29]
	v_cmp_gt_i32_e32 vcc, s36, v31
	s_and_saveexec_b64 s[28:29], vcc
	s_cbranch_execz .LBB21_105
.LBB21_93:
	s_andn2_b64 vcc, exec, s[14:15]
	s_cbranch_vccnz .LBB21_99
; %bb.94:
	s_andn2_b64 vcc, exec, s[26:27]
	s_cbranch_vccnz .LBB21_100
; %bb.95:
	s_add_i32 s26, s35, 1
	s_and_b32 s30, s26, 30
	s_add_u32 s26, s12, 0xffffffe8
	s_addc_u32 s27, s13, -1
	v_mov_b32_e32 v2, 0
	v_mov_b32_e32 v4, 0
	;; [unrolled: 1-line block ×4, first 2 shown]
.LBB21_96:                              ; =>This Inner Loop Header: Depth=1
	s_load_dwordx4 s[36:39], s[26:27], 0x1c
	s_load_dwordx2 s[44:45], s[26:27], 0x2c
	s_load_dwordx2 s[46:47], s[26:27], 0xec
	s_load_dwordx4 s[40:43], s[26:27], 0xdc
	s_add_u32 s26, s26, 24
	s_waitcnt lgkmcnt(0)
	v_mul_hi_u32 v3, s37, v1
	s_addc_u32 s27, s27, 0
	s_add_i32 s30, s30, -2
	s_cmp_eq_u32 s30, 0
	v_add_u32_e32 v3, v1, v3
	v_lshrrev_b32_e32 v3, s38, v3
	v_mul_lo_u32 v5, v3, s36
	v_mul_hi_u32 v6, s44, v3
	v_sub_u32_e32 v5, v1, v5
	v_add_u32_e32 v1, v3, v6
	v_lshrrev_b32_e32 v1, s45, v1
	v_mul_lo_u32 v8, v1, s39
	v_mul_lo_u32 v6, v5, s40
	;; [unrolled: 1-line block ×4, first 2 shown]
	v_sub_u32_e32 v3, v3, v8
	v_mul_lo_u32 v8, v3, s43
	v_mul_lo_u32 v9, v3, s46
	;; [unrolled: 1-line block ×3, first 2 shown]
	v_add3_u32 v0, v6, v0, v8
	v_add3_u32 v4, v7, v4, v9
	;; [unrolled: 1-line block ×3, first 2 shown]
	s_cbranch_scc0 .LBB21_96
; %bb.97:
	s_bitcmp1_b32 s35, 0
	s_cselect_b64 s[30:31], -1, 0
	s_and_b64 vcc, exec, s[30:31]
	s_cbranch_vccnz .LBB21_101
; %bb.98:
	s_load_dwordx2 s[30:31], s[26:27], 0x1c
	s_load_dword s35, s[26:27], 0x24
	s_load_dwordx2 s[36:37], s[26:27], 0xdc
	s_waitcnt lgkmcnt(0)
	v_mul_hi_u32 v3, s31, v1
	v_add_u32_e32 v3, v1, v3
	v_lshrrev_b32_e32 v3, s35, v3
	v_mul_lo_u32 v3, v3, s30
	s_load_dword s30, s[26:27], 0xe4
	v_sub_u32_e32 v3, v1, v3
	v_mad_u64_u32 v[0:1], s[26:27], v3, s36, v[0:1]
	v_mad_u64_u32 v[4:5], s[26:27], v3, s37, v[4:5]
	s_waitcnt lgkmcnt(0)
	v_mad_u64_u32 v[2:3], s[26:27], v3, s30, v[2:3]
	s_branch .LBB21_101
.LBB21_99:
                                        ; implicit-def: $vgpr0
                                        ; implicit-def: $vgpr4
                                        ; implicit-def: $vgpr2
	s_branch .LBB21_102
.LBB21_100:
	v_mov_b32_e32 v0, 0
	v_mov_b32_e32 v4, 0
	;; [unrolled: 1-line block ×3, first 2 shown]
.LBB21_101:
	s_cbranch_execnz .LBB21_104
.LBB21_102:
	s_waitcnt lgkmcnt(0)
	v_mul_hi_u32 v0, s9, v31
	s_andn2_b64 vcc, exec, s[24:25]
	v_add_u32_e32 v0, v31, v0
	v_lshrrev_b32_e32 v1, s10, v0
	v_mul_lo_u32 v0, v1, s8
	v_sub_u32_e32 v2, v31, v0
	v_mul_lo_u32 v0, v2, s4
	v_mul_lo_u32 v4, v2, s5
	;; [unrolled: 1-line block ×3, first 2 shown]
	s_cbranch_vccnz .LBB21_104
; %bb.103:
	v_mul_hi_u32 v3, s22, v1
	v_add_u32_e32 v3, v1, v3
	v_lshrrev_b32_e32 v3, s23, v3
	v_mul_lo_u32 v3, v3, s11
	v_sub_u32_e32 v3, v1, v3
	v_mad_u64_u32 v[0:1], s[4:5], v3, s7, v[0:1]
	v_mad_u64_u32 v[4:5], s[4:5], v3, s20, v[4:5]
	;; [unrolled: 1-line block ×3, first 2 shown]
.LBB21_104:
	s_waitcnt lgkmcnt(0)
	global_load_ubyte v1, v2, s[18:19]
	global_load_ubyte v3, v4, s[2:3]
	s_waitcnt vmcnt(1)
	v_cmp_gt_u32_e32 vcc, 8, v1
	s_waitcnt vmcnt(0)
	v_lshlrev_b32_e32 v2, v1, v3
	v_cndmask_b32_e32 v1, 0, v2, vcc
	global_store_byte v0, v1, s[0:1]
.LBB21_105:
	s_or_b64 exec, exec, s[28:29]
                                        ; implicit-def: $vgpr41
                                        ; implicit-def: $vgpr31
.LBB21_106:
	s_waitcnt lgkmcnt(0)
	s_andn2_saveexec_b64 s[0:1], s[16:17]
	s_cbranch_execz .LBB21_113
; %bb.107:
	v_cndmask_b32_e64 v0, 0, 1, s[14:15]
	v_cmp_ne_u32_e64 s[0:1], 1, v0
	s_andn2_b64 vcc, exec, s[14:15]
	s_cbranch_vccnz .LBB21_114
; %bb.108:
	s_cmp_lg_u32 s33, 0
	s_cbranch_scc0 .LBB21_115
; %bb.109:
	s_min_u32 s4, s34, 15
	s_add_i32 s2, s4, 1
	s_and_b32 s5, s2, 30
	s_add_u32 s2, s12, 0xffffffe8
	s_addc_u32 s3, s13, -1
	v_mov_b32_e32 v4, 0
	v_mov_b32_e32 v2, 0
	;; [unrolled: 1-line block ×4, first 2 shown]
.LBB21_110:                             ; =>This Inner Loop Header: Depth=1
	s_load_dwordx4 s[8:11], s[2:3], 0x1c
	s_load_dwordx2 s[6:7], s[2:3], 0x2c
	s_load_dwordx2 s[14:15], s[2:3], 0xec
	s_load_dwordx4 s[16:19], s[2:3], 0xdc
	s_add_u32 s2, s2, 24
	s_waitcnt lgkmcnt(0)
	v_mul_hi_u32 v3, s9, v1
	s_addc_u32 s3, s3, 0
	s_add_i32 s5, s5, -2
	s_cmp_lg_u32 s5, 0
	v_add_u32_e32 v3, v1, v3
	v_lshrrev_b32_e32 v3, s10, v3
	v_mul_lo_u32 v5, v3, s8
	v_mul_hi_u32 v6, s6, v3
	v_sub_u32_e32 v5, v1, v5
	v_add_u32_e32 v1, v3, v6
	v_lshrrev_b32_e32 v1, s7, v1
	v_mul_lo_u32 v8, v1, s11
	v_mul_lo_u32 v6, v5, s16
	;; [unrolled: 1-line block ×4, first 2 shown]
	v_sub_u32_e32 v3, v3, v8
	v_mul_lo_u32 v8, v3, s19
	v_mul_lo_u32 v9, v3, s14
	;; [unrolled: 1-line block ×3, first 2 shown]
	v_add3_u32 v0, v6, v0, v8
	v_add3_u32 v2, v7, v2, v9
	;; [unrolled: 1-line block ×3, first 2 shown]
	s_cbranch_scc1 .LBB21_110
; %bb.111:
	s_bitcmp1_b32 s4, 0
	s_cselect_b64 s[4:5], -1, 0
	s_and_b64 vcc, exec, s[4:5]
	s_cbranch_vccnz .LBB21_116
; %bb.112:
	s_load_dwordx2 s[4:5], s[2:3], 0x1c
	s_load_dword s8, s[2:3], 0x24
	s_load_dwordx2 s[6:7], s[2:3], 0xdc
	s_waitcnt lgkmcnt(0)
	v_mul_hi_u32 v3, s5, v1
	v_add_u32_e32 v3, v1, v3
	v_lshrrev_b32_e32 v3, s8, v3
	v_mul_lo_u32 v3, v3, s4
	s_load_dword s4, s[2:3], 0xe4
	v_sub_u32_e32 v5, v1, v3
	v_mad_u64_u32 v[0:1], s[2:3], v5, s6, v[0:1]
	v_mad_u64_u32 v[2:3], s[2:3], v5, s7, v[2:3]
	s_waitcnt lgkmcnt(0)
	v_mad_u64_u32 v[4:5], s[2:3], v5, s4, v[4:5]
	s_cbranch_execz .LBB21_117
	s_branch .LBB21_119
.LBB21_113:
	s_endpgm
.LBB21_114:
                                        ; implicit-def: $vgpr0
                                        ; implicit-def: $vgpr2
                                        ; implicit-def: $vgpr4
	s_branch .LBB21_117
.LBB21_115:
	v_mov_b32_e32 v0, 0
	v_mov_b32_e32 v2, 0
	;; [unrolled: 1-line block ×3, first 2 shown]
.LBB21_116:
	s_cbranch_execnz .LBB21_119
.LBB21_117:
	s_load_dwordx4 s[4:7], s[12:13], 0x4
	s_load_dwordx4 s[8:11], s[12:13], 0xc4
	s_cmp_lt_u32 s33, 2
	s_waitcnt lgkmcnt(0)
	v_mul_hi_u32 v0, s5, v31
	v_add_u32_e32 v0, v31, v0
	v_lshrrev_b32_e32 v1, s6, v0
	v_mul_lo_u32 v0, v1, s4
	v_sub_u32_e32 v3, v31, v0
	v_mul_lo_u32 v0, v3, s8
	v_mul_lo_u32 v2, v3, s9
	;; [unrolled: 1-line block ×3, first 2 shown]
	s_cbranch_scc1 .LBB21_119
; %bb.118:
	s_load_dwordx4 s[4:7], s[12:13], 0x10
	s_load_dwordx4 s[8:11], s[12:13], 0xd0
	s_waitcnt lgkmcnt(0)
	v_mul_hi_u32 v3, s5, v1
	v_add_u32_e32 v3, v1, v3
	v_lshrrev_b32_e32 v3, s6, v3
	v_mul_lo_u32 v3, v3, s4
	v_sub_u32_e32 v5, v1, v3
	v_mad_u64_u32 v[0:1], s[2:3], v5, s8, v[0:1]
	v_mad_u64_u32 v[2:3], s[2:3], v5, s9, v[2:3]
	;; [unrolled: 1-line block ×3, first 2 shown]
.LBB21_119:
	s_and_b64 vcc, exec, s[0:1]
	v_add_u32_e32 v1, 0x80, v31
	s_cbranch_vccnz .LBB21_125
; %bb.120:
	s_cmp_lg_u32 s33, 0
	s_cbranch_scc0 .LBB21_126
; %bb.121:
	s_min_u32 s4, s34, 15
	s_add_i32 s2, s4, 1
	s_and_b32 s5, s2, 30
	s_add_u32 s2, s12, 0xffffffe8
	s_addc_u32 s3, s13, -1
	v_mov_b32_e32 v9, 0
	v_mov_b32_e32 v7, 0
	;; [unrolled: 1-line block ×4, first 2 shown]
.LBB21_122:                             ; =>This Inner Loop Header: Depth=1
	s_load_dwordx4 s[8:11], s[2:3], 0x1c
	s_load_dwordx2 s[6:7], s[2:3], 0x2c
	s_load_dwordx2 s[14:15], s[2:3], 0xec
	s_load_dwordx4 s[16:19], s[2:3], 0xdc
	s_add_u32 s2, s2, 24
	s_waitcnt lgkmcnt(0)
	v_mul_hi_u32 v6, s9, v3
	s_addc_u32 s3, s3, 0
	s_add_i32 s5, s5, -2
	s_cmp_lg_u32 s5, 0
	v_add_u32_e32 v6, v3, v6
	v_lshrrev_b32_e32 v6, s10, v6
	v_mul_lo_u32 v8, v6, s8
	v_mul_hi_u32 v10, s6, v6
	v_sub_u32_e32 v8, v3, v8
	v_add_u32_e32 v3, v6, v10
	v_lshrrev_b32_e32 v3, s7, v3
	v_mul_lo_u32 v12, v3, s11
	v_mul_lo_u32 v10, v8, s16
	;; [unrolled: 1-line block ×4, first 2 shown]
	v_sub_u32_e32 v6, v6, v12
	v_mul_lo_u32 v12, v6, s19
	v_mul_lo_u32 v13, v6, s14
	v_mul_lo_u32 v6, v6, s15
	v_add3_u32 v5, v10, v5, v12
	v_add3_u32 v7, v11, v7, v13
	v_add3_u32 v9, v8, v9, v6
	s_cbranch_scc1 .LBB21_122
; %bb.123:
	s_bitcmp1_b32 s4, 0
	s_cselect_b64 s[4:5], -1, 0
	s_and_b64 vcc, exec, s[4:5]
	s_cbranch_vccnz .LBB21_127
; %bb.124:
	s_load_dwordx2 s[4:5], s[2:3], 0x1c
	s_load_dword s8, s[2:3], 0x24
	s_load_dwordx2 s[6:7], s[2:3], 0xdc
	s_waitcnt lgkmcnt(0)
	v_mul_hi_u32 v6, s5, v3
	v_add_u32_e32 v6, v3, v6
	v_lshrrev_b32_e32 v6, s8, v6
	v_mul_lo_u32 v6, v6, s4
	s_load_dword s4, s[2:3], 0xe4
	v_sub_u32_e32 v3, v3, v6
	v_mad_u64_u32 v[5:6], s[2:3], v3, s6, v[5:6]
	v_mad_u64_u32 v[7:8], s[2:3], v3, s7, v[7:8]
	s_waitcnt lgkmcnt(0)
	v_mad_u64_u32 v[9:10], s[2:3], v3, s4, v[9:10]
	s_cbranch_execz .LBB21_128
	s_branch .LBB21_130
.LBB21_125:
                                        ; implicit-def: $vgpr5
                                        ; implicit-def: $vgpr7
                                        ; implicit-def: $vgpr9
	s_branch .LBB21_128
.LBB21_126:
	v_mov_b32_e32 v5, 0
	v_mov_b32_e32 v7, 0
	;; [unrolled: 1-line block ×3, first 2 shown]
.LBB21_127:
	s_cbranch_execnz .LBB21_130
.LBB21_128:
	s_load_dwordx4 s[4:7], s[12:13], 0x4
	s_load_dwordx4 s[8:11], s[12:13], 0xc4
	s_cmp_lt_u32 s33, 2
	s_waitcnt lgkmcnt(0)
	v_mul_hi_u32 v3, s5, v1
	v_add_u32_e32 v3, v1, v3
	v_lshrrev_b32_e32 v3, s6, v3
	v_mul_lo_u32 v5, v3, s4
	v_sub_u32_e32 v1, v1, v5
	v_mul_lo_u32 v5, v1, s8
	v_mul_lo_u32 v7, v1, s9
	;; [unrolled: 1-line block ×3, first 2 shown]
	s_cbranch_scc1 .LBB21_130
; %bb.129:
	s_load_dwordx4 s[4:7], s[12:13], 0x10
	s_load_dwordx4 s[8:11], s[12:13], 0xd0
	s_waitcnt lgkmcnt(0)
	v_mul_hi_u32 v1, s5, v3
	v_add_u32_e32 v1, v3, v1
	v_lshrrev_b32_e32 v1, s6, v1
	v_mul_lo_u32 v1, v1, s4
	v_sub_u32_e32 v1, v3, v1
	v_mad_u64_u32 v[5:6], s[2:3], v1, s8, v[5:6]
	v_mad_u64_u32 v[7:8], s[2:3], v1, s9, v[7:8]
	;; [unrolled: 1-line block ×3, first 2 shown]
.LBB21_130:
	s_and_b64 vcc, exec, s[0:1]
	v_add_u32_e32 v1, 0x100, v31
	s_cbranch_vccnz .LBB21_136
; %bb.131:
	s_cmp_lg_u32 s33, 0
	s_cbranch_scc0 .LBB21_137
; %bb.132:
	s_min_u32 s4, s34, 15
	s_add_i32 s2, s4, 1
	s_and_b32 s5, s2, 30
	s_add_u32 s2, s12, 0xffffffe8
	s_addc_u32 s3, s13, -1
	v_mov_b32_e32 v12, 0
	v_mov_b32_e32 v14, 0
	;; [unrolled: 1-line block ×4, first 2 shown]
.LBB21_133:                             ; =>This Inner Loop Header: Depth=1
	s_load_dwordx4 s[8:11], s[2:3], 0x1c
	s_load_dwordx2 s[6:7], s[2:3], 0x2c
	s_load_dwordx2 s[14:15], s[2:3], 0xec
	s_load_dwordx4 s[16:19], s[2:3], 0xdc
	s_add_u32 s2, s2, 24
	s_waitcnt lgkmcnt(0)
	v_mul_hi_u32 v6, s9, v3
	s_addc_u32 s3, s3, 0
	s_add_i32 s5, s5, -2
	s_cmp_lg_u32 s5, 0
	v_add_u32_e32 v6, v3, v6
	v_lshrrev_b32_e32 v6, s10, v6
	v_mul_lo_u32 v8, v6, s8
	v_mul_hi_u32 v11, s6, v6
	v_sub_u32_e32 v8, v3, v8
	v_add_u32_e32 v3, v6, v11
	v_lshrrev_b32_e32 v3, s7, v3
	v_mul_lo_u32 v15, v3, s11
	v_mul_lo_u32 v11, v8, s16
	;; [unrolled: 1-line block ×4, first 2 shown]
	v_sub_u32_e32 v6, v6, v15
	v_mul_lo_u32 v15, v6, s19
	v_mul_lo_u32 v16, v6, s14
	;; [unrolled: 1-line block ×3, first 2 shown]
	v_add3_u32 v10, v11, v10, v15
	v_add3_u32 v14, v13, v14, v16
	;; [unrolled: 1-line block ×3, first 2 shown]
	s_cbranch_scc1 .LBB21_133
; %bb.134:
	s_bitcmp1_b32 s4, 0
	s_cselect_b64 s[4:5], -1, 0
	s_and_b64 vcc, exec, s[4:5]
	s_cbranch_vccnz .LBB21_138
; %bb.135:
	s_load_dwordx2 s[4:5], s[2:3], 0x1c
	s_load_dword s8, s[2:3], 0x24
	s_load_dwordx2 s[6:7], s[2:3], 0xdc
	s_waitcnt lgkmcnt(0)
	v_mul_hi_u32 v6, s5, v3
	v_add_u32_e32 v6, v3, v6
	v_lshrrev_b32_e32 v6, s8, v6
	v_mul_lo_u32 v6, v6, s4
	s_load_dword s4, s[2:3], 0xe4
	v_sub_u32_e32 v3, v3, v6
	v_mad_u64_u32 v[10:11], s[2:3], v3, s6, v[10:11]
	v_mad_u64_u32 v[14:15], s[2:3], v3, s7, v[14:15]
	s_waitcnt lgkmcnt(0)
	v_mad_u64_u32 v[12:13], s[2:3], v3, s4, v[12:13]
	s_cbranch_execz .LBB21_139
	s_branch .LBB21_141
.LBB21_136:
                                        ; implicit-def: $vgpr10
                                        ; implicit-def: $vgpr14
                                        ; implicit-def: $vgpr12
	s_branch .LBB21_139
.LBB21_137:
	v_mov_b32_e32 v10, 0
	v_mov_b32_e32 v14, 0
	;; [unrolled: 1-line block ×3, first 2 shown]
.LBB21_138:
	s_cbranch_execnz .LBB21_141
.LBB21_139:
	s_load_dwordx4 s[4:7], s[12:13], 0x4
	s_load_dwordx4 s[8:11], s[12:13], 0xc4
	s_cmp_lt_u32 s33, 2
	s_waitcnt lgkmcnt(0)
	v_mul_hi_u32 v3, s5, v1
	v_add_u32_e32 v3, v1, v3
	v_lshrrev_b32_e32 v3, s6, v3
	v_mul_lo_u32 v6, v3, s4
	v_sub_u32_e32 v1, v1, v6
	v_mul_lo_u32 v10, v1, s8
	v_mul_lo_u32 v14, v1, s9
	;; [unrolled: 1-line block ×3, first 2 shown]
	s_cbranch_scc1 .LBB21_141
; %bb.140:
	s_load_dwordx4 s[4:7], s[12:13], 0x10
	s_load_dwordx4 s[8:11], s[12:13], 0xd0
	s_waitcnt lgkmcnt(0)
	v_mul_hi_u32 v1, s5, v3
	v_add_u32_e32 v1, v3, v1
	v_lshrrev_b32_e32 v1, s6, v1
	v_mul_lo_u32 v1, v1, s4
	v_sub_u32_e32 v1, v3, v1
	v_mad_u64_u32 v[10:11], s[2:3], v1, s8, v[10:11]
	v_mad_u64_u32 v[14:15], s[2:3], v1, s9, v[14:15]
	;; [unrolled: 1-line block ×3, first 2 shown]
.LBB21_141:
	s_and_b64 vcc, exec, s[0:1]
	v_add_u32_e32 v1, 0x180, v31
	s_cbranch_vccnz .LBB21_147
; %bb.142:
	s_cmp_lg_u32 s33, 0
	s_cbranch_scc0 .LBB21_148
; %bb.143:
	s_min_u32 s4, s34, 15
	s_add_i32 s2, s4, 1
	s_and_b32 s5, s2, 30
	s_add_u32 s2, s12, 0xffffffe8
	s_addc_u32 s3, s13, -1
	v_mov_b32_e32 v17, 0
	v_mov_b32_e32 v19, 0
	;; [unrolled: 1-line block ×4, first 2 shown]
.LBB21_144:                             ; =>This Inner Loop Header: Depth=1
	s_load_dwordx4 s[8:11], s[2:3], 0x1c
	s_load_dwordx2 s[6:7], s[2:3], 0x2c
	s_load_dwordx2 s[14:15], s[2:3], 0xec
	s_load_dwordx4 s[16:19], s[2:3], 0xdc
	s_add_u32 s2, s2, 24
	s_waitcnt lgkmcnt(0)
	v_mul_hi_u32 v6, s9, v3
	s_addc_u32 s3, s3, 0
	s_add_i32 s5, s5, -2
	s_cmp_lg_u32 s5, 0
	v_add_u32_e32 v6, v3, v6
	v_lshrrev_b32_e32 v6, s10, v6
	v_mul_lo_u32 v8, v6, s8
	v_mul_hi_u32 v11, s6, v6
	v_sub_u32_e32 v8, v3, v8
	v_add_u32_e32 v3, v6, v11
	v_lshrrev_b32_e32 v3, s7, v3
	v_mul_lo_u32 v16, v3, s11
	v_mul_lo_u32 v11, v8, s16
	;; [unrolled: 1-line block ×4, first 2 shown]
	v_sub_u32_e32 v6, v6, v16
	v_mul_lo_u32 v16, v6, s19
	v_mul_lo_u32 v18, v6, s14
	;; [unrolled: 1-line block ×3, first 2 shown]
	v_add3_u32 v15, v11, v15, v16
	v_add3_u32 v19, v13, v19, v18
	v_add3_u32 v17, v8, v17, v6
	s_cbranch_scc1 .LBB21_144
; %bb.145:
	s_bitcmp1_b32 s4, 0
	s_cselect_b64 s[4:5], -1, 0
	s_and_b64 vcc, exec, s[4:5]
	s_cbranch_vccnz .LBB21_149
; %bb.146:
	s_load_dwordx2 s[4:5], s[2:3], 0x1c
	s_load_dword s8, s[2:3], 0x24
	s_load_dwordx2 s[6:7], s[2:3], 0xdc
	s_waitcnt lgkmcnt(0)
	v_mul_hi_u32 v6, s5, v3
	v_add_u32_e32 v6, v3, v6
	v_lshrrev_b32_e32 v6, s8, v6
	v_mul_lo_u32 v6, v6, s4
	s_load_dword s4, s[2:3], 0xe4
	v_sub_u32_e32 v3, v3, v6
	v_mad_u64_u32 v[15:16], s[2:3], v3, s6, v[15:16]
	v_mad_u64_u32 v[19:20], s[2:3], v3, s7, v[19:20]
	s_waitcnt lgkmcnt(0)
	v_mad_u64_u32 v[17:18], s[2:3], v3, s4, v[17:18]
	s_cbranch_execz .LBB21_150
	s_branch .LBB21_152
.LBB21_147:
                                        ; implicit-def: $vgpr15
                                        ; implicit-def: $vgpr19
                                        ; implicit-def: $vgpr17
	s_branch .LBB21_150
.LBB21_148:
	v_mov_b32_e32 v15, 0
	v_mov_b32_e32 v19, 0
	;; [unrolled: 1-line block ×3, first 2 shown]
.LBB21_149:
	s_cbranch_execnz .LBB21_152
.LBB21_150:
	s_load_dwordx4 s[4:7], s[12:13], 0x4
	s_load_dwordx4 s[8:11], s[12:13], 0xc4
	s_cmp_lt_u32 s33, 2
	s_waitcnt lgkmcnt(0)
	v_mul_hi_u32 v3, s5, v1
	v_add_u32_e32 v3, v1, v3
	v_lshrrev_b32_e32 v3, s6, v3
	v_mul_lo_u32 v6, v3, s4
	v_sub_u32_e32 v1, v1, v6
	v_mul_lo_u32 v15, v1, s8
	v_mul_lo_u32 v19, v1, s9
	v_mul_lo_u32 v17, v1, s10
	s_cbranch_scc1 .LBB21_152
; %bb.151:
	s_load_dwordx4 s[4:7], s[12:13], 0x10
	s_load_dwordx4 s[8:11], s[12:13], 0xd0
	s_waitcnt lgkmcnt(0)
	v_mul_hi_u32 v1, s5, v3
	v_add_u32_e32 v1, v3, v1
	v_lshrrev_b32_e32 v1, s6, v1
	v_mul_lo_u32 v1, v1, s4
	v_sub_u32_e32 v1, v3, v1
	v_mad_u64_u32 v[15:16], s[2:3], v1, s8, v[15:16]
	v_mad_u64_u32 v[19:20], s[2:3], v1, s9, v[19:20]
	;; [unrolled: 1-line block ×3, first 2 shown]
.LBB21_152:
	s_and_b64 vcc, exec, s[0:1]
	v_add_u32_e32 v1, 0x200, v31
	s_cbranch_vccnz .LBB21_158
; %bb.153:
	s_cmp_lg_u32 s33, 0
	s_cbranch_scc0 .LBB21_159
; %bb.154:
	s_min_u32 s4, s34, 15
	s_add_i32 s2, s4, 1
	s_and_b32 s5, s2, 30
	s_add_u32 s2, s12, 0xffffffe8
	s_addc_u32 s3, s13, -1
	v_mov_b32_e32 v22, 0
	v_mov_b32_e32 v24, 0
	;; [unrolled: 1-line block ×4, first 2 shown]
.LBB21_155:                             ; =>This Inner Loop Header: Depth=1
	s_load_dwordx4 s[8:11], s[2:3], 0x1c
	s_load_dwordx2 s[6:7], s[2:3], 0x2c
	s_load_dwordx2 s[14:15], s[2:3], 0xec
	s_load_dwordx4 s[16:19], s[2:3], 0xdc
	s_add_u32 s2, s2, 24
	s_waitcnt lgkmcnt(0)
	v_mul_hi_u32 v6, s9, v3
	s_addc_u32 s3, s3, 0
	s_add_i32 s5, s5, -2
	s_cmp_lg_u32 s5, 0
	v_add_u32_e32 v6, v3, v6
	v_lshrrev_b32_e32 v6, s10, v6
	v_mul_lo_u32 v8, v6, s8
	v_mul_hi_u32 v11, s6, v6
	v_sub_u32_e32 v8, v3, v8
	v_add_u32_e32 v3, v6, v11
	v_lshrrev_b32_e32 v3, s7, v3
	v_mul_lo_u32 v16, v3, s11
	v_mul_lo_u32 v11, v8, s16
	;; [unrolled: 1-line block ×4, first 2 shown]
	v_sub_u32_e32 v6, v6, v16
	v_mul_lo_u32 v16, v6, s19
	v_mul_lo_u32 v18, v6, s14
	;; [unrolled: 1-line block ×3, first 2 shown]
	v_add3_u32 v20, v11, v20, v16
	v_add3_u32 v24, v13, v24, v18
	;; [unrolled: 1-line block ×3, first 2 shown]
	s_cbranch_scc1 .LBB21_155
; %bb.156:
	s_bitcmp1_b32 s4, 0
	s_cselect_b64 s[4:5], -1, 0
	s_and_b64 vcc, exec, s[4:5]
	s_cbranch_vccnz .LBB21_160
; %bb.157:
	s_load_dwordx2 s[4:5], s[2:3], 0x1c
	s_load_dword s8, s[2:3], 0x24
	s_load_dwordx2 s[6:7], s[2:3], 0xdc
	s_waitcnt lgkmcnt(0)
	v_mul_hi_u32 v6, s5, v3
	v_add_u32_e32 v6, v3, v6
	v_lshrrev_b32_e32 v6, s8, v6
	v_mul_lo_u32 v6, v6, s4
	s_load_dword s4, s[2:3], 0xe4
	v_sub_u32_e32 v3, v3, v6
	v_mad_u64_u32 v[20:21], s[2:3], v3, s6, v[20:21]
	v_mad_u64_u32 v[24:25], s[2:3], v3, s7, v[24:25]
	s_waitcnt lgkmcnt(0)
	v_mad_u64_u32 v[22:23], s[2:3], v3, s4, v[22:23]
	s_cbranch_execz .LBB21_161
	s_branch .LBB21_163
.LBB21_158:
                                        ; implicit-def: $vgpr20
                                        ; implicit-def: $vgpr24
                                        ; implicit-def: $vgpr22
	s_branch .LBB21_161
.LBB21_159:
	v_mov_b32_e32 v20, 0
	v_mov_b32_e32 v24, 0
	;; [unrolled: 1-line block ×3, first 2 shown]
.LBB21_160:
	s_cbranch_execnz .LBB21_163
.LBB21_161:
	s_load_dwordx4 s[4:7], s[12:13], 0x4
	s_load_dwordx4 s[8:11], s[12:13], 0xc4
	s_cmp_lt_u32 s33, 2
	s_waitcnt lgkmcnt(0)
	v_mul_hi_u32 v3, s5, v1
	v_add_u32_e32 v3, v1, v3
	v_lshrrev_b32_e32 v3, s6, v3
	v_mul_lo_u32 v6, v3, s4
	v_sub_u32_e32 v1, v1, v6
	v_mul_lo_u32 v20, v1, s8
	v_mul_lo_u32 v24, v1, s9
	;; [unrolled: 1-line block ×3, first 2 shown]
	s_cbranch_scc1 .LBB21_163
; %bb.162:
	s_load_dwordx4 s[4:7], s[12:13], 0x10
	s_load_dwordx4 s[8:11], s[12:13], 0xd0
	s_waitcnt lgkmcnt(0)
	v_mul_hi_u32 v1, s5, v3
	v_add_u32_e32 v1, v3, v1
	v_lshrrev_b32_e32 v1, s6, v1
	v_mul_lo_u32 v1, v1, s4
	v_sub_u32_e32 v1, v3, v1
	v_mad_u64_u32 v[20:21], s[2:3], v1, s8, v[20:21]
	v_mad_u64_u32 v[24:25], s[2:3], v1, s9, v[24:25]
	;; [unrolled: 1-line block ×3, first 2 shown]
.LBB21_163:
	s_and_b64 vcc, exec, s[0:1]
	v_add_u32_e32 v1, 0x280, v31
	s_cbranch_vccnz .LBB21_169
; %bb.164:
	s_cmp_lg_u32 s33, 0
	s_cbranch_scc0 .LBB21_170
; %bb.165:
	s_min_u32 s4, s34, 15
	s_add_i32 s2, s4, 1
	s_and_b32 s5, s2, 30
	s_add_u32 s2, s12, 0xffffffe8
	s_addc_u32 s3, s13, -1
	v_mov_b32_e32 v27, 0
	v_mov_b32_e32 v29, 0
	;; [unrolled: 1-line block ×4, first 2 shown]
.LBB21_166:                             ; =>This Inner Loop Header: Depth=1
	s_load_dwordx4 s[8:11], s[2:3], 0x1c
	s_load_dwordx2 s[6:7], s[2:3], 0x2c
	s_load_dwordx2 s[14:15], s[2:3], 0xec
	s_load_dwordx4 s[16:19], s[2:3], 0xdc
	s_add_u32 s2, s2, 24
	s_waitcnt lgkmcnt(0)
	v_mul_hi_u32 v6, s9, v3
	s_addc_u32 s3, s3, 0
	s_add_i32 s5, s5, -2
	s_cmp_lg_u32 s5, 0
	v_add_u32_e32 v6, v3, v6
	v_lshrrev_b32_e32 v6, s10, v6
	v_mul_lo_u32 v8, v6, s8
	v_mul_hi_u32 v11, s6, v6
	v_sub_u32_e32 v8, v3, v8
	v_add_u32_e32 v3, v6, v11
	v_lshrrev_b32_e32 v3, s7, v3
	v_mul_lo_u32 v16, v3, s11
	v_mul_lo_u32 v11, v8, s16
	;; [unrolled: 1-line block ×4, first 2 shown]
	v_sub_u32_e32 v6, v6, v16
	v_mul_lo_u32 v16, v6, s19
	v_mul_lo_u32 v18, v6, s14
	;; [unrolled: 1-line block ×3, first 2 shown]
	v_add3_u32 v25, v11, v25, v16
	v_add3_u32 v29, v13, v29, v18
	;; [unrolled: 1-line block ×3, first 2 shown]
	s_cbranch_scc1 .LBB21_166
; %bb.167:
	s_bitcmp1_b32 s4, 0
	s_cselect_b64 s[4:5], -1, 0
	s_and_b64 vcc, exec, s[4:5]
	s_cbranch_vccnz .LBB21_171
; %bb.168:
	s_load_dwordx2 s[4:5], s[2:3], 0x1c
	s_load_dword s8, s[2:3], 0x24
	s_load_dwordx2 s[6:7], s[2:3], 0xdc
	s_waitcnt lgkmcnt(0)
	v_mul_hi_u32 v6, s5, v3
	v_add_u32_e32 v6, v3, v6
	v_lshrrev_b32_e32 v6, s8, v6
	v_mul_lo_u32 v6, v6, s4
	s_load_dword s4, s[2:3], 0xe4
	v_sub_u32_e32 v3, v3, v6
	v_mad_u64_u32 v[25:26], s[2:3], v3, s6, v[25:26]
	v_mad_u64_u32 v[29:30], s[2:3], v3, s7, v[29:30]
	s_waitcnt lgkmcnt(0)
	v_mad_u64_u32 v[27:28], s[2:3], v3, s4, v[27:28]
	s_cbranch_execz .LBB21_172
	s_branch .LBB21_174
.LBB21_169:
                                        ; implicit-def: $vgpr25
                                        ; implicit-def: $vgpr29
                                        ; implicit-def: $vgpr27
	s_branch .LBB21_172
.LBB21_170:
	v_mov_b32_e32 v25, 0
	v_mov_b32_e32 v29, 0
	;; [unrolled: 1-line block ×3, first 2 shown]
.LBB21_171:
	s_cbranch_execnz .LBB21_174
.LBB21_172:
	s_load_dwordx4 s[4:7], s[12:13], 0x4
	s_load_dwordx4 s[8:11], s[12:13], 0xc4
	s_cmp_lt_u32 s33, 2
	s_waitcnt lgkmcnt(0)
	v_mul_hi_u32 v3, s5, v1
	v_add_u32_e32 v3, v1, v3
	v_lshrrev_b32_e32 v3, s6, v3
	v_mul_lo_u32 v6, v3, s4
	v_sub_u32_e32 v1, v1, v6
	v_mul_lo_u32 v25, v1, s8
	v_mul_lo_u32 v29, v1, s9
	;; [unrolled: 1-line block ×3, first 2 shown]
	s_cbranch_scc1 .LBB21_174
; %bb.173:
	s_load_dwordx4 s[4:7], s[12:13], 0x10
	s_load_dwordx4 s[8:11], s[12:13], 0xd0
	s_waitcnt lgkmcnt(0)
	v_mul_hi_u32 v1, s5, v3
	v_add_u32_e32 v1, v3, v1
	v_lshrrev_b32_e32 v1, s6, v1
	v_mul_lo_u32 v1, v1, s4
	v_sub_u32_e32 v1, v3, v1
	v_mad_u64_u32 v[25:26], s[2:3], v1, s8, v[25:26]
	v_mad_u64_u32 v[29:30], s[2:3], v1, s9, v[29:30]
	;; [unrolled: 1-line block ×3, first 2 shown]
.LBB21_174:
	s_and_b64 vcc, exec, s[0:1]
	v_add_u32_e32 v1, 0x300, v31
	s_cbranch_vccnz .LBB21_180
; %bb.175:
	s_cmp_lg_u32 s33, 0
	s_cbranch_scc0 .LBB21_181
; %bb.176:
	s_min_u32 s4, s34, 15
	s_add_i32 s2, s4, 1
	s_and_b32 s5, s2, 30
	s_add_u32 s2, s12, 0xffffffe8
	s_addc_u32 s3, s13, -1
	v_mov_b32_e32 v32, 0
	v_mov_b32_e32 v34, 0
	;; [unrolled: 1-line block ×4, first 2 shown]
.LBB21_177:                             ; =>This Inner Loop Header: Depth=1
	s_load_dwordx4 s[8:11], s[2:3], 0x1c
	s_load_dwordx2 s[6:7], s[2:3], 0x2c
	s_load_dwordx2 s[14:15], s[2:3], 0xec
	s_load_dwordx4 s[16:19], s[2:3], 0xdc
	s_add_u32 s2, s2, 24
	s_waitcnt lgkmcnt(0)
	v_mul_hi_u32 v6, s9, v3
	s_addc_u32 s3, s3, 0
	s_add_i32 s5, s5, -2
	s_cmp_lg_u32 s5, 0
	v_add_u32_e32 v6, v3, v6
	v_lshrrev_b32_e32 v6, s10, v6
	v_mul_lo_u32 v8, v6, s8
	v_mul_hi_u32 v11, s6, v6
	v_sub_u32_e32 v8, v3, v8
	v_add_u32_e32 v3, v6, v11
	v_lshrrev_b32_e32 v3, s7, v3
	v_mul_lo_u32 v16, v3, s11
	v_mul_lo_u32 v11, v8, s16
	;; [unrolled: 1-line block ×4, first 2 shown]
	v_sub_u32_e32 v6, v6, v16
	v_mul_lo_u32 v16, v6, s19
	v_mul_lo_u32 v18, v6, s14
	;; [unrolled: 1-line block ×3, first 2 shown]
	v_add3_u32 v30, v11, v30, v16
	v_add3_u32 v34, v13, v34, v18
	;; [unrolled: 1-line block ×3, first 2 shown]
	s_cbranch_scc1 .LBB21_177
; %bb.178:
	s_bitcmp1_b32 s4, 0
	s_cselect_b64 s[4:5], -1, 0
	s_and_b64 vcc, exec, s[4:5]
	s_cbranch_vccnz .LBB21_182
; %bb.179:
	s_load_dwordx2 s[4:5], s[2:3], 0x1c
	s_load_dword s8, s[2:3], 0x24
	s_load_dwordx2 s[6:7], s[2:3], 0xdc
	s_waitcnt lgkmcnt(0)
	v_mul_hi_u32 v6, s5, v3
	v_add_u32_e32 v6, v3, v6
	v_lshrrev_b32_e32 v6, s8, v6
	v_mul_lo_u32 v6, v6, s4
	s_load_dword s4, s[2:3], 0xe4
	v_sub_u32_e32 v3, v3, v6
	v_mad_u64_u32 v[30:31], s[2:3], v3, s6, v[30:31]
	v_mad_u64_u32 v[34:35], s[2:3], v3, s7, v[34:35]
	s_waitcnt lgkmcnt(0)
	v_mad_u64_u32 v[32:33], s[2:3], v3, s4, v[32:33]
	s_cbranch_execz .LBB21_183
	s_branch .LBB21_185
.LBB21_180:
                                        ; implicit-def: $vgpr30
                                        ; implicit-def: $vgpr34
                                        ; implicit-def: $vgpr32
	s_branch .LBB21_183
.LBB21_181:
	v_mov_b32_e32 v30, 0
	v_mov_b32_e32 v34, 0
	v_mov_b32_e32 v32, 0
.LBB21_182:
	s_cbranch_execnz .LBB21_185
.LBB21_183:
	s_load_dwordx4 s[4:7], s[12:13], 0x4
	s_load_dwordx4 s[8:11], s[12:13], 0xc4
	s_cmp_lt_u32 s33, 2
	s_waitcnt lgkmcnt(0)
	v_mul_hi_u32 v3, s5, v1
	v_add_u32_e32 v3, v1, v3
	v_lshrrev_b32_e32 v3, s6, v3
	v_mul_lo_u32 v6, v3, s4
	v_sub_u32_e32 v1, v1, v6
	v_mul_lo_u32 v30, v1, s8
	v_mul_lo_u32 v34, v1, s9
	;; [unrolled: 1-line block ×3, first 2 shown]
	s_cbranch_scc1 .LBB21_185
; %bb.184:
	s_load_dwordx4 s[4:7], s[12:13], 0x10
	s_load_dwordx4 s[8:11], s[12:13], 0xd0
	s_waitcnt lgkmcnt(0)
	v_mul_hi_u32 v1, s5, v3
	v_add_u32_e32 v1, v3, v1
	v_lshrrev_b32_e32 v1, s6, v1
	v_mul_lo_u32 v1, v1, s4
	v_sub_u32_e32 v1, v3, v1
	v_mad_u64_u32 v[30:31], s[2:3], v1, s8, v[30:31]
	v_mad_u64_u32 v[34:35], s[2:3], v1, s9, v[34:35]
	;; [unrolled: 1-line block ×3, first 2 shown]
.LBB21_185:
	s_and_b64 vcc, exec, s[0:1]
	s_cbranch_vccnz .LBB21_191
; %bb.186:
	s_cmp_lg_u32 s33, 0
	s_cbranch_scc0 .LBB21_192
; %bb.187:
	s_min_u32 s2, s34, 15
	s_add_i32 s0, s2, 1
	s_and_b32 s3, s0, 30
	s_add_u32 s0, s12, 0xffffffe8
	s_addc_u32 s1, s13, -1
	v_mov_b32_e32 v37, 0
	v_mov_b32_e32 v39, 0
	;; [unrolled: 1-line block ×4, first 2 shown]
.LBB21_188:                             ; =>This Inner Loop Header: Depth=1
	s_load_dwordx4 s[4:7], s[0:1], 0x1c
	s_load_dwordx2 s[14:15], s[0:1], 0x2c
	s_load_dwordx2 s[16:17], s[0:1], 0xec
	s_load_dwordx4 s[8:11], s[0:1], 0xdc
	s_add_u32 s0, s0, 24
	s_waitcnt lgkmcnt(0)
	v_mul_hi_u32 v3, s5, v1
	s_addc_u32 s1, s1, 0
	s_add_i32 s3, s3, -2
	s_cmp_lg_u32 s3, 0
	v_add_u32_e32 v3, v1, v3
	v_lshrrev_b32_e32 v3, s6, v3
	v_mul_lo_u32 v6, v3, s4
	v_mul_hi_u32 v8, s14, v3
	v_sub_u32_e32 v6, v1, v6
	v_add_u32_e32 v1, v3, v8
	v_lshrrev_b32_e32 v1, s15, v1
	v_mul_lo_u32 v13, v1, s7
	v_mul_lo_u32 v8, v6, s8
	;; [unrolled: 1-line block ×4, first 2 shown]
	v_sub_u32_e32 v3, v3, v13
	v_mul_lo_u32 v13, v3, s11
	v_mul_lo_u32 v16, v3, s16
	;; [unrolled: 1-line block ×3, first 2 shown]
	v_add3_u32 v35, v8, v35, v13
	v_add3_u32 v39, v11, v39, v16
	;; [unrolled: 1-line block ×3, first 2 shown]
	s_cbranch_scc1 .LBB21_188
; %bb.189:
	s_bitcmp1_b32 s2, 0
	s_cselect_b64 s[2:3], -1, 0
	s_and_b64 vcc, exec, s[2:3]
	s_cbranch_vccnz .LBB21_193
; %bb.190:
	s_load_dwordx2 s[2:3], s[0:1], 0x1c
	s_load_dword s6, s[0:1], 0x24
	s_load_dwordx2 s[4:5], s[0:1], 0xdc
	s_waitcnt lgkmcnt(0)
	v_mul_hi_u32 v3, s3, v1
	v_add_u32_e32 v3, v1, v3
	v_lshrrev_b32_e32 v3, s6, v3
	v_mul_lo_u32 v3, v3, s2
	s_load_dword s2, s[0:1], 0xe4
	v_sub_u32_e32 v1, v1, v3
	v_mad_u64_u32 v[35:36], s[0:1], v1, s4, v[35:36]
	v_mad_u64_u32 v[39:40], s[0:1], v1, s5, v[39:40]
	s_waitcnt lgkmcnt(0)
	v_mad_u64_u32 v[37:38], s[0:1], v1, s2, v[37:38]
	s_cbranch_execz .LBB21_194
	s_branch .LBB21_196
.LBB21_191:
                                        ; implicit-def: $vgpr35
                                        ; implicit-def: $vgpr39
                                        ; implicit-def: $vgpr37
	s_branch .LBB21_194
.LBB21_192:
	v_mov_b32_e32 v35, 0
	v_mov_b32_e32 v39, 0
	;; [unrolled: 1-line block ×3, first 2 shown]
.LBB21_193:
	s_cbranch_execnz .LBB21_196
.LBB21_194:
	s_load_dwordx4 s[0:3], s[12:13], 0x4
	s_load_dwordx4 s[4:7], s[12:13], 0xc4
	s_cmp_lt_u32 s33, 2
	s_waitcnt lgkmcnt(0)
	v_mul_hi_u32 v1, s1, v41
	v_add_u32_e32 v1, v41, v1
	v_lshrrev_b32_e32 v1, s2, v1
	v_mul_lo_u32 v3, v1, s0
	v_sub_u32_e32 v3, v41, v3
	v_mul_lo_u32 v35, v3, s4
	v_mul_lo_u32 v39, v3, s5
	;; [unrolled: 1-line block ×3, first 2 shown]
	s_cbranch_scc1 .LBB21_196
; %bb.195:
	s_load_dwordx4 s[0:3], s[12:13], 0x10
	s_load_dwordx4 s[4:7], s[12:13], 0xd0
	s_waitcnt lgkmcnt(0)
	v_mul_hi_u32 v3, s1, v1
	v_add_u32_e32 v3, v1, v3
	v_lshrrev_b32_e32 v3, s2, v3
	v_mul_lo_u32 v3, v3, s0
	v_sub_u32_e32 v1, v1, v3
	v_mad_u64_u32 v[35:36], s[0:1], v1, s4, v[35:36]
	v_mad_u64_u32 v[39:40], s[0:1], v1, s5, v[39:40]
	;; [unrolled: 1-line block ×3, first 2 shown]
.LBB21_196:
	s_load_dwordx2 s[4:5], s[12:13], 0x198
	s_load_dwordx4 s[0:3], s[12:13], 0x188
	s_waitcnt lgkmcnt(0)
	global_load_ubyte v1, v4, s[4:5]
	global_load_ubyte v3, v2, s[2:3]
	;; [unrolled: 1-line block ×8, first 2 shown]
                                        ; kill: killed $vgpr4
                                        ; kill: killed $vgpr14
                                        ; kill: killed $vgpr9
                                        ; kill: killed $vgpr19
                                        ; kill: killed $vgpr12
                                        ; kill: killed $vgpr17
                                        ; kill: killed $vgpr2
                                        ; kill: killed $vgpr7
	global_load_ubyte v2, v22, s[4:5]
	global_load_ubyte v4, v24, s[2:3]
	global_load_ubyte v7, v27, s[4:5]
	global_load_ubyte v9, v29, s[2:3]
	global_load_ubyte v12, v32, s[4:5]
	global_load_ubyte v14, v34, s[2:3]
	global_load_ubyte v17, v37, s[4:5]
	global_load_ubyte v19, v39, s[2:3]
	s_waitcnt vmcnt(15)
	v_cmp_gt_u32_e32 vcc, 8, v1
	s_waitcnt vmcnt(14)
	v_lshlrev_b32_e32 v3, v1, v3
	v_cndmask_b32_e32 v1, 0, v3, vcc
	s_waitcnt vmcnt(12)
	v_lshlrev_b32_e32 v8, v6, v8
	v_cmp_gt_u32_e32 vcc, 8, v6
	s_waitcnt vmcnt(10)
	v_lshlrev_b32_e32 v13, v11, v13
	v_cndmask_b32_e32 v3, 0, v8, vcc
	v_cmp_gt_u32_e32 vcc, 8, v11
	s_waitcnt vmcnt(8)
	v_lshlrev_b32_e32 v18, v16, v18
	v_cndmask_b32_e32 v6, 0, v13, vcc
	v_cmp_gt_u32_e32 vcc, 8, v16
	v_cndmask_b32_e32 v8, 0, v18, vcc
	s_waitcnt vmcnt(7)
	v_cmp_gt_u32_e32 vcc, 8, v2
	s_waitcnt vmcnt(6)
	v_lshlrev_b32_e32 v4, v2, v4
	v_cndmask_b32_e32 v2, 0, v4, vcc
	s_waitcnt vmcnt(4)
	v_lshlrev_b32_e32 v9, v7, v9
	v_cmp_gt_u32_e32 vcc, 8, v7
	s_waitcnt vmcnt(2)
	v_lshlrev_b32_e32 v14, v12, v14
	v_cndmask_b32_e32 v4, 0, v9, vcc
	v_cmp_gt_u32_e32 vcc, 8, v12
	s_waitcnt vmcnt(0)
	v_lshlrev_b32_e32 v19, v17, v19
	v_cndmask_b32_e32 v7, 0, v14, vcc
	v_cmp_gt_u32_e32 vcc, 8, v17
	v_cndmask_b32_e32 v9, 0, v19, vcc
	global_store_byte v0, v1, s[0:1]
	global_store_byte v5, v3, s[0:1]
	;; [unrolled: 1-line block ×8, first 2 shown]
	s_endpgm
	.section	.rodata,"a",@progbits
	.p2align	6, 0x0
	.amdhsa_kernel _ZN2at6native32elementwise_kernel_manual_unrollILi128ELi8EZNS0_22gpu_kernel_impl_nocastINS0_13BinaryFunctorIhhhZZZNS0_18lshift_kernel_cudaERNS_18TensorIteratorBaseEENKUlvE_clEvENKUlvE_clEvEUlhhE_EEEEvS5_RKT_EUlibE_EEviT1_
		.amdhsa_group_segment_fixed_size 0
		.amdhsa_private_segment_fixed_size 0
		.amdhsa_kernarg_size 432
		.amdhsa_user_sgpr_count 6
		.amdhsa_user_sgpr_private_segment_buffer 1
		.amdhsa_user_sgpr_dispatch_ptr 0
		.amdhsa_user_sgpr_queue_ptr 0
		.amdhsa_user_sgpr_kernarg_segment_ptr 1
		.amdhsa_user_sgpr_dispatch_id 0
		.amdhsa_user_sgpr_flat_scratch_init 0
		.amdhsa_user_sgpr_private_segment_size 0
		.amdhsa_uses_dynamic_stack 0
		.amdhsa_system_sgpr_private_segment_wavefront_offset 0
		.amdhsa_system_sgpr_workgroup_id_x 1
		.amdhsa_system_sgpr_workgroup_id_y 0
		.amdhsa_system_sgpr_workgroup_id_z 0
		.amdhsa_system_sgpr_workgroup_info 0
		.amdhsa_system_vgpr_workitem_id 0
		.amdhsa_next_free_vgpr 42
		.amdhsa_next_free_sgpr 50
		.amdhsa_reserve_vcc 1
		.amdhsa_reserve_flat_scratch 0
		.amdhsa_float_round_mode_32 0
		.amdhsa_float_round_mode_16_64 0
		.amdhsa_float_denorm_mode_32 3
		.amdhsa_float_denorm_mode_16_64 3
		.amdhsa_dx10_clamp 1
		.amdhsa_ieee_mode 1
		.amdhsa_fp16_overflow 0
		.amdhsa_exception_fp_ieee_invalid_op 0
		.amdhsa_exception_fp_denorm_src 0
		.amdhsa_exception_fp_ieee_div_zero 0
		.amdhsa_exception_fp_ieee_overflow 0
		.amdhsa_exception_fp_ieee_underflow 0
		.amdhsa_exception_fp_ieee_inexact 0
		.amdhsa_exception_int_div_zero 0
	.end_amdhsa_kernel
	.section	.text._ZN2at6native32elementwise_kernel_manual_unrollILi128ELi8EZNS0_22gpu_kernel_impl_nocastINS0_13BinaryFunctorIhhhZZZNS0_18lshift_kernel_cudaERNS_18TensorIteratorBaseEENKUlvE_clEvENKUlvE_clEvEUlhhE_EEEEvS5_RKT_EUlibE_EEviT1_,"axG",@progbits,_ZN2at6native32elementwise_kernel_manual_unrollILi128ELi8EZNS0_22gpu_kernel_impl_nocastINS0_13BinaryFunctorIhhhZZZNS0_18lshift_kernel_cudaERNS_18TensorIteratorBaseEENKUlvE_clEvENKUlvE_clEvEUlhhE_EEEEvS5_RKT_EUlibE_EEviT1_,comdat
.Lfunc_end21:
	.size	_ZN2at6native32elementwise_kernel_manual_unrollILi128ELi8EZNS0_22gpu_kernel_impl_nocastINS0_13BinaryFunctorIhhhZZZNS0_18lshift_kernel_cudaERNS_18TensorIteratorBaseEENKUlvE_clEvENKUlvE_clEvEUlhhE_EEEEvS5_RKT_EUlibE_EEviT1_, .Lfunc_end21-_ZN2at6native32elementwise_kernel_manual_unrollILi128ELi8EZNS0_22gpu_kernel_impl_nocastINS0_13BinaryFunctorIhhhZZZNS0_18lshift_kernel_cudaERNS_18TensorIteratorBaseEENKUlvE_clEvENKUlvE_clEvEUlhhE_EEEEvS5_RKT_EUlibE_EEviT1_
                                        ; -- End function
	.set _ZN2at6native32elementwise_kernel_manual_unrollILi128ELi8EZNS0_22gpu_kernel_impl_nocastINS0_13BinaryFunctorIhhhZZZNS0_18lshift_kernel_cudaERNS_18TensorIteratorBaseEENKUlvE_clEvENKUlvE_clEvEUlhhE_EEEEvS5_RKT_EUlibE_EEviT1_.num_vgpr, 42
	.set _ZN2at6native32elementwise_kernel_manual_unrollILi128ELi8EZNS0_22gpu_kernel_impl_nocastINS0_13BinaryFunctorIhhhZZZNS0_18lshift_kernel_cudaERNS_18TensorIteratorBaseEENKUlvE_clEvENKUlvE_clEvEUlhhE_EEEEvS5_RKT_EUlibE_EEviT1_.num_agpr, 0
	.set _ZN2at6native32elementwise_kernel_manual_unrollILi128ELi8EZNS0_22gpu_kernel_impl_nocastINS0_13BinaryFunctorIhhhZZZNS0_18lshift_kernel_cudaERNS_18TensorIteratorBaseEENKUlvE_clEvENKUlvE_clEvEUlhhE_EEEEvS5_RKT_EUlibE_EEviT1_.numbered_sgpr, 50
	.set _ZN2at6native32elementwise_kernel_manual_unrollILi128ELi8EZNS0_22gpu_kernel_impl_nocastINS0_13BinaryFunctorIhhhZZZNS0_18lshift_kernel_cudaERNS_18TensorIteratorBaseEENKUlvE_clEvENKUlvE_clEvEUlhhE_EEEEvS5_RKT_EUlibE_EEviT1_.num_named_barrier, 0
	.set _ZN2at6native32elementwise_kernel_manual_unrollILi128ELi8EZNS0_22gpu_kernel_impl_nocastINS0_13BinaryFunctorIhhhZZZNS0_18lshift_kernel_cudaERNS_18TensorIteratorBaseEENKUlvE_clEvENKUlvE_clEvEUlhhE_EEEEvS5_RKT_EUlibE_EEviT1_.private_seg_size, 0
	.set _ZN2at6native32elementwise_kernel_manual_unrollILi128ELi8EZNS0_22gpu_kernel_impl_nocastINS0_13BinaryFunctorIhhhZZZNS0_18lshift_kernel_cudaERNS_18TensorIteratorBaseEENKUlvE_clEvENKUlvE_clEvEUlhhE_EEEEvS5_RKT_EUlibE_EEviT1_.uses_vcc, 1
	.set _ZN2at6native32elementwise_kernel_manual_unrollILi128ELi8EZNS0_22gpu_kernel_impl_nocastINS0_13BinaryFunctorIhhhZZZNS0_18lshift_kernel_cudaERNS_18TensorIteratorBaseEENKUlvE_clEvENKUlvE_clEvEUlhhE_EEEEvS5_RKT_EUlibE_EEviT1_.uses_flat_scratch, 0
	.set _ZN2at6native32elementwise_kernel_manual_unrollILi128ELi8EZNS0_22gpu_kernel_impl_nocastINS0_13BinaryFunctorIhhhZZZNS0_18lshift_kernel_cudaERNS_18TensorIteratorBaseEENKUlvE_clEvENKUlvE_clEvEUlhhE_EEEEvS5_RKT_EUlibE_EEviT1_.has_dyn_sized_stack, 0
	.set _ZN2at6native32elementwise_kernel_manual_unrollILi128ELi8EZNS0_22gpu_kernel_impl_nocastINS0_13BinaryFunctorIhhhZZZNS0_18lshift_kernel_cudaERNS_18TensorIteratorBaseEENKUlvE_clEvENKUlvE_clEvEUlhhE_EEEEvS5_RKT_EUlibE_EEviT1_.has_recursion, 0
	.set _ZN2at6native32elementwise_kernel_manual_unrollILi128ELi8EZNS0_22gpu_kernel_impl_nocastINS0_13BinaryFunctorIhhhZZZNS0_18lshift_kernel_cudaERNS_18TensorIteratorBaseEENKUlvE_clEvENKUlvE_clEvEUlhhE_EEEEvS5_RKT_EUlibE_EEviT1_.has_indirect_call, 0
	.section	.AMDGPU.csdata,"",@progbits
; Kernel info:
; codeLenInByte = 9356
; TotalNumSgprs: 54
; NumVgprs: 42
; ScratchSize: 0
; MemoryBound: 0
; FloatMode: 240
; IeeeMode: 1
; LDSByteSize: 0 bytes/workgroup (compile time only)
; SGPRBlocks: 6
; VGPRBlocks: 10
; NumSGPRsForWavesPerEU: 54
; NumVGPRsForWavesPerEU: 42
; Occupancy: 5
; WaveLimiterHint : 1
; COMPUTE_PGM_RSRC2:SCRATCH_EN: 0
; COMPUTE_PGM_RSRC2:USER_SGPR: 6
; COMPUTE_PGM_RSRC2:TRAP_HANDLER: 0
; COMPUTE_PGM_RSRC2:TGID_X_EN: 1
; COMPUTE_PGM_RSRC2:TGID_Y_EN: 0
; COMPUTE_PGM_RSRC2:TGID_Z_EN: 0
; COMPUTE_PGM_RSRC2:TIDIG_COMP_CNT: 0
	.section	.text._ZN2at6native32elementwise_kernel_manual_unrollILi128ELi4EZNS0_15gpu_kernel_implINS0_13BinaryFunctorIhhhZZZNS0_18lshift_kernel_cudaERNS_18TensorIteratorBaseEENKUlvE_clEvENKUlvE_clEvEUlhhE_EEEEvS5_RKT_EUlibE_EEviT1_,"axG",@progbits,_ZN2at6native32elementwise_kernel_manual_unrollILi128ELi4EZNS0_15gpu_kernel_implINS0_13BinaryFunctorIhhhZZZNS0_18lshift_kernel_cudaERNS_18TensorIteratorBaseEENKUlvE_clEvENKUlvE_clEvEUlhhE_EEEEvS5_RKT_EUlibE_EEviT1_,comdat
	.globl	_ZN2at6native32elementwise_kernel_manual_unrollILi128ELi4EZNS0_15gpu_kernel_implINS0_13BinaryFunctorIhhhZZZNS0_18lshift_kernel_cudaERNS_18TensorIteratorBaseEENKUlvE_clEvENKUlvE_clEvEUlhhE_EEEEvS5_RKT_EUlibE_EEviT1_ ; -- Begin function _ZN2at6native32elementwise_kernel_manual_unrollILi128ELi4EZNS0_15gpu_kernel_implINS0_13BinaryFunctorIhhhZZZNS0_18lshift_kernel_cudaERNS_18TensorIteratorBaseEENKUlvE_clEvENKUlvE_clEvEUlhhE_EEEEvS5_RKT_EUlibE_EEviT1_
	.p2align	8
	.type	_ZN2at6native32elementwise_kernel_manual_unrollILi128ELi4EZNS0_15gpu_kernel_implINS0_13BinaryFunctorIhhhZZZNS0_18lshift_kernel_cudaERNS_18TensorIteratorBaseEENKUlvE_clEvENKUlvE_clEvEUlhhE_EEEEvS5_RKT_EUlibE_EEviT1_,@function
_ZN2at6native32elementwise_kernel_manual_unrollILi128ELi4EZNS0_15gpu_kernel_implINS0_13BinaryFunctorIhhhZZZNS0_18lshift_kernel_cudaERNS_18TensorIteratorBaseEENKUlvE_clEvENKUlvE_clEvEUlhhE_EEEEvS5_RKT_EUlibE_EEviT1_: ; @_ZN2at6native32elementwise_kernel_manual_unrollILi128ELi4EZNS0_15gpu_kernel_implINS0_13BinaryFunctorIhhhZZZNS0_18lshift_kernel_cudaERNS_18TensorIteratorBaseEENKUlvE_clEvENKUlvE_clEvEUlhhE_EEEEvS5_RKT_EUlibE_EEviT1_
; %bb.0:
	v_mov_b32_e32 v1, 0
	global_load_ushort v2, v1, s[4:5] offset:45
	global_load_sbyte v3, v1, s[4:5] offset:47
	s_load_dword s48, s[4:5], 0x0
	s_load_dwordx4 s[8:11], s[4:5], 0x8
	s_load_dwordx2 s[2:3], s[4:5], 0x18
	s_load_dwordx4 s[12:15], s[4:5], 0x20
	v_lshl_or_b32 v11, s6, 9, v0
	v_or_b32_e32 v0, 0x180, v11
	s_mov_b64 s[16:17], 0
	s_waitcnt lgkmcnt(0)
	v_cmp_le_i32_e32 vcc, s48, v0
	s_mov_b64 s[6:7], 0
	s_waitcnt vmcnt(1)
	v_readfirstlane_b32 s33, v2
	s_waitcnt vmcnt(0)
	v_readfirstlane_b32 s15, v3
	s_lshr_b32 s54, s33, 8
	s_and_saveexec_b64 s[0:1], vcc
	s_xor_b64 s[4:5], exec, s[0:1]
	s_cbranch_execz .LBB22_1512
; %bb.1:
	v_cmp_gt_i32_e32 vcc, s48, v11
	s_mov_b64 s[0:1], -1
	s_mov_b64 s[26:27], 0
	s_mov_b64 s[20:21], 0
	;; [unrolled: 1-line block ×3, first 2 shown]
	s_and_saveexec_b64 s[22:23], vcc
	s_cbranch_execz .LBB22_375
; %bb.2:
	v_mul_lo_u32 v0, v11, s13
	v_mov_b32_e32 v1, s11
	s_and_b32 s18, s54, 0xff
	s_cmp_lt_i32 s18, 11
	v_ashrrev_i32_e32 v3, 31, v0
	v_add_co_u32_e32 v2, vcc, s10, v0
	v_addc_co_u32_e32 v3, vcc, v1, v3, vcc
	s_cbranch_scc1 .LBB22_9
; %bb.3:
	s_and_b32 s19, 0xffff, s18
	s_cmp_gt_i32 s19, 25
	s_cbranch_scc0 .LBB22_18
; %bb.4:
	s_cmp_gt_i32 s19, 28
	s_cbranch_scc0 .LBB22_28
; %bb.5:
	;; [unrolled: 3-line block ×4, first 2 shown]
	s_cmp_eq_u32 s19, 46
	s_cbranch_scc0 .LBB22_37
; %bb.8:
	global_load_dword v0, v[2:3], off
	s_mov_b32 s0, 0x2f800000
	s_mov_b32 s1, 0xcf800000
	s_waitcnt vmcnt(0)
	v_lshlrev_b32_e32 v0, 16, v0
	v_trunc_f32_e32 v0, v0
	v_mul_f32_e64 v1, |v0|, s0
	v_floor_f32_e32 v1, v1
	v_fma_f32 v1, v1, s1, |v0|
	v_cvt_u32_f32_e32 v1, v1
	v_ashrrev_i32_e32 v0, 31, v0
	s_mov_b64 s[0:1], -1
	v_xor_b32_e32 v1, v1, v0
	v_sub_u32_e32 v0, v1, v0
	s_branch .LBB22_39
.LBB22_9:
                                        ; implicit-def: $vgpr0
	s_mov_b64 s[0:1], 0
	s_cbranch_execnz .LBB22_101
.LBB22_10:
	s_andn2_b64 vcc, exec, s[0:1]
	s_cbranch_vccnz .LBB22_148
.LBB22_11:
	s_waitcnt vmcnt(0)
	v_mul_lo_u32 v1, v11, s14
	v_mov_b32_e32 v2, s3
	s_and_b32 s24, s15, 0xff
	s_cmp_lt_i32 s24, 11
	v_ashrrev_i32_e32 v3, 31, v1
	v_add_co_u32_e32 v1, vcc, s2, v1
	v_addc_co_u32_e32 v2, vcc, v2, v3, vcc
	s_cbranch_scc1 .LBB22_19
; %bb.12:
	s_and_b32 s25, 0xffff, s24
	s_cmp_gt_i32 s25, 25
	s_cbranch_scc0 .LBB22_29
; %bb.13:
	s_cmp_gt_i32 s25, 28
	s_cbranch_scc0 .LBB22_32
; %bb.14:
	;; [unrolled: 3-line block ×4, first 2 shown]
	s_cmp_eq_u32 s25, 46
	s_mov_b64 s[6:7], 0
	s_cbranch_scc0 .LBB22_149
; %bb.17:
	global_load_dword v3, v[1:2], off
	s_mov_b32 s0, 0x2f800000
	s_mov_b32 s1, 0xcf800000
	s_mov_b64 s[18:19], 0
	s_waitcnt vmcnt(0)
	v_lshlrev_b32_e32 v3, 16, v3
	v_trunc_f32_e32 v3, v3
	v_mul_f32_e64 v4, |v3|, s0
	v_floor_f32_e32 v4, v4
	v_fma_f32 v4, v4, s1, |v3|
	v_cvt_u32_f32_e32 v4, v4
	v_ashrrev_i32_e32 v3, 31, v3
	s_mov_b64 s[0:1], -1
	v_xor_b32_e32 v4, v4, v3
	v_sub_u32_e32 v3, v4, v3
	s_branch .LBB22_151
.LBB22_18:
	s_mov_b64 s[0:1], 0
                                        ; implicit-def: $vgpr0
	s_cbranch_execnz .LBB22_68
	s_branch .LBB22_100
.LBB22_19:
	s_mov_b64 s[18:19], 0
                                        ; implicit-def: $vgpr3
	s_mov_b64 s[0:1], 0
	s_cbranch_execnz .LBB22_324
.LBB22_20:
	s_andn2_b64 vcc, exec, s[0:1]
	s_cbranch_vccnz .LBB22_372
.LBB22_21:
	v_mul_lo_u32 v1, v11, s12
	v_mov_b32_e32 v2, 8
	s_waitcnt vmcnt(0)
	v_lshlrev_b32_e32 v0, v3, v0
	v_cmp_lt_u16_sdwa vcc, v3, v2 src0_sel:BYTE_0 src1_sel:DWORD
	v_cndmask_b32_e32 v2, 0, v0, vcc
	v_ashrrev_i32_e32 v3, 31, v1
	v_mov_b32_e32 v4, s9
	s_and_b32 s30, s33, 0xff
	v_add_co_u32_e32 v0, vcc, s8, v1
	s_cmp_lt_i32 s30, 11
	v_addc_co_u32_e32 v1, vcc, v4, v3, vcc
	s_cbranch_scc1 .LBB22_30
; %bb.22:
	s_and_b32 s31, 0xffff, s30
	s_cmp_gt_i32 s31, 25
	s_cbranch_scc0 .LBB22_33
; %bb.23:
	s_cmp_gt_i32 s31, 28
	s_cbranch_scc0 .LBB22_36
; %bb.24:
	;; [unrolled: 3-line block ×4, first 2 shown]
	s_mov_b64 s[24:25], 0
	s_mov_b64 s[0:1], -1
	s_cmp_eq_u32 s31, 46
	s_mov_b64 s[6:7], 0
	s_cbranch_scc0 .LBB22_155
; %bb.27:
	v_cvt_f32_ubyte0_e32 v3, v2
	v_bfe_u32 v4, v3, 16, 1
	s_movk_i32 s0, 0x7fff
	v_add3_u32 v3, v3, v4, s0
	v_lshrrev_b32_e32 v3, 16, v3
	global_store_dword v[0:1], v3, off
	s_mov_b64 s[6:7], -1
	s_mov_b64 s[0:1], 0
	s_branch .LBB22_155
.LBB22_28:
	s_mov_b64 s[6:7], -1
	s_mov_b64 s[0:1], 0
                                        ; implicit-def: $vgpr0
	s_branch .LBB22_51
.LBB22_29:
	s_mov_b64 s[6:7], -1
	s_mov_b64 s[18:19], 0
	s_mov_b64 s[0:1], 0
                                        ; implicit-def: $vgpr3
	s_branch .LBB22_290
.LBB22_30:
	s_mov_b64 s[24:25], -1
	s_mov_b64 s[0:1], 0
	s_mov_b64 s[6:7], 0
	s_branch .LBB22_224
.LBB22_31:
	s_mov_b64 s[6:7], -1
	s_mov_b64 s[0:1], 0
                                        ; implicit-def: $vgpr0
	s_branch .LBB22_46
.LBB22_32:
	s_mov_b64 s[6:7], -1
	s_mov_b64 s[18:19], 0
	s_mov_b64 s[0:1], 0
                                        ; implicit-def: $vgpr3
	s_branch .LBB22_273
.LBB22_33:
	s_mov_b64 s[24:25], -1
	s_mov_b64 s[0:1], 0
	s_mov_b64 s[6:7], 0
	s_branch .LBB22_182
.LBB22_34:
	s_mov_b64 s[6:7], -1
	s_branch .LBB22_38
.LBB22_35:
	s_mov_b64 s[6:7], -1
	s_mov_b64 s[18:19], 0
	s_mov_b64 s[0:1], 0
                                        ; implicit-def: $vgpr3
	s_branch .LBB22_268
.LBB22_36:
	s_mov_b64 s[24:25], -1
	s_mov_b64 s[0:1], 0
	s_mov_b64 s[6:7], 0
	s_branch .LBB22_165
.LBB22_37:
	s_mov_b64 s[20:21], -1
.LBB22_38:
	s_mov_b64 s[0:1], 0
                                        ; implicit-def: $vgpr0
.LBB22_39:
	s_and_b64 vcc, exec, s[6:7]
	s_cbranch_vccz .LBB22_45
; %bb.40:
	s_cmp_eq_u32 s19, 44
	s_cbranch_scc0 .LBB22_44
; %bb.41:
	global_load_ubyte v0, v[2:3], off
	s_mov_b32 s0, 0x2f800000
	s_mov_b32 s1, 0xcf800000
	s_mov_b64 s[20:21], 0
	s_waitcnt vmcnt(0)
	v_lshlrev_b32_e32 v1, 23, v0
	v_trunc_f32_e32 v1, v1
	v_mul_f32_e64 v4, |v1|, s0
	v_floor_f32_e32 v4, v4
	v_fma_f32 v4, v4, s1, |v1|
	v_cvt_u32_f32_e32 v4, v4
	v_ashrrev_i32_e32 v1, 31, v1
	v_cmp_ne_u32_e32 vcc, 0, v0
	s_mov_b64 s[0:1], -1
	v_xor_b32_e32 v4, v4, v1
	v_sub_u32_e32 v1, v4, v1
	v_cndmask_b32_e32 v0, 0, v1, vcc
	s_branch .LBB22_45
.LBB22_42:
	s_mov_b64 s[6:7], -1
	s_mov_b64 s[18:19], 0
	s_branch .LBB22_150
.LBB22_43:
	s_mov_b64 s[24:25], -1
	s_mov_b64 s[0:1], 0
	s_mov_b64 s[6:7], 0
	s_branch .LBB22_161
.LBB22_44:
	s_mov_b64 s[20:21], -1
                                        ; implicit-def: $vgpr0
.LBB22_45:
	s_mov_b64 s[6:7], 0
.LBB22_46:
	s_and_b64 vcc, exec, s[6:7]
	s_cbranch_vccz .LBB22_50
; %bb.47:
	s_cmp_eq_u32 s19, 29
	s_cbranch_scc0 .LBB22_49
; %bb.48:
	global_load_dwordx2 v[0:1], v[2:3], off
	s_mov_b64 s[0:1], -1
	s_mov_b64 s[20:21], 0
	s_branch .LBB22_50
.LBB22_49:
	s_mov_b64 s[20:21], -1
                                        ; implicit-def: $vgpr0
.LBB22_50:
	s_mov_b64 s[6:7], 0
.LBB22_51:
	s_and_b64 vcc, exec, s[6:7]
	s_cbranch_vccz .LBB22_67
; %bb.52:
	s_cmp_lt_i32 s19, 27
	s_cbranch_scc1 .LBB22_55
; %bb.53:
	s_cmp_gt_i32 s19, 27
	s_cbranch_scc0 .LBB22_56
; %bb.54:
	global_load_dword v0, v[2:3], off
	s_mov_b64 s[0:1], 0
	s_branch .LBB22_57
.LBB22_55:
	s_mov_b64 s[0:1], -1
                                        ; implicit-def: $vgpr0
	s_branch .LBB22_60
.LBB22_56:
	s_mov_b64 s[0:1], -1
                                        ; implicit-def: $vgpr0
.LBB22_57:
	s_andn2_b64 vcc, exec, s[0:1]
	s_cbranch_vccnz .LBB22_59
; %bb.58:
	global_load_ushort v0, v[2:3], off
.LBB22_59:
	s_mov_b64 s[0:1], 0
.LBB22_60:
	s_andn2_b64 vcc, exec, s[0:1]
	s_cbranch_vccnz .LBB22_66
; %bb.61:
	global_load_ubyte v1, v[2:3], off
	s_movk_i32 s0, 0x7f
	s_mov_b64 s[6:7], 0
	s_waitcnt vmcnt(0)
	v_cmp_lt_i16_e32 vcc, s0, v1
	s_and_saveexec_b64 s[0:1], vcc
	s_xor_b64 s[0:1], exec, s[0:1]
	s_cbranch_execz .LBB22_77
; %bb.62:
	s_movk_i32 s6, 0x80
	v_cmp_ne_u16_e32 vcc, s6, v1
	s_and_b64 s[6:7], vcc, exec
	s_andn2_saveexec_b64 s[0:1], s[0:1]
	s_cbranch_execnz .LBB22_78
.LBB22_63:
	s_or_b64 exec, exec, s[0:1]
	v_mov_b32_e32 v0, 0
	s_and_saveexec_b64 s[0:1], s[6:7]
	s_cbranch_execz .LBB22_65
.LBB22_64:
	v_lshlrev_b32_e32 v0, 24, v1
	v_and_b32_e32 v1, 0xffff, v1
	v_and_b32_e32 v4, 7, v1
	v_ffbh_u32_e32 v6, v4
	v_min_u32_e32 v6, 32, v6
	v_subrev_u32_e32 v7, 28, v6
	v_bfe_u32 v5, v1, 3, 4
	v_lshlrev_b32_e32 v1, v7, v1
	v_sub_u32_e32 v6, 29, v6
	v_and_b32_e32 v1, 7, v1
	v_cmp_eq_u32_e32 vcc, 0, v5
	v_cndmask_b32_e32 v5, v5, v6, vcc
	v_cndmask_b32_e32 v1, v4, v1, vcc
	v_mov_b32_e32 v4, 0x3b800000
	v_lshlrev_b32_e32 v1, 20, v1
	v_and_b32_e32 v0, 0x80000000, v0
	v_lshl_add_u32 v4, v5, 23, v4
	v_or3_b32 v0, v0, v4, v1
	v_trunc_f32_e32 v0, v0
	s_mov_b32 s6, 0x2f800000
	v_mul_f32_e64 v1, |v0|, s6
	v_floor_f32_e32 v1, v1
	s_mov_b32 s6, 0xcf800000
	v_fma_f32 v1, v1, s6, |v0|
	v_cvt_u32_f32_e32 v1, v1
	v_ashrrev_i32_e32 v0, 31, v0
	v_xor_b32_e32 v1, v1, v0
	v_sub_u32_e32 v0, v1, v0
.LBB22_65:
	s_or_b64 exec, exec, s[0:1]
.LBB22_66:
	s_mov_b64 s[0:1], -1
.LBB22_67:
	s_branch .LBB22_100
.LBB22_68:
	s_cmp_gt_i32 s19, 22
	s_cbranch_scc0 .LBB22_76
; %bb.69:
	s_cmp_lt_i32 s19, 24
	s_cbranch_scc1 .LBB22_79
; %bb.70:
	s_cmp_gt_i32 s19, 24
	s_cbranch_scc0 .LBB22_80
; %bb.71:
	global_load_ubyte v1, v[2:3], off
	s_movk_i32 s0, 0x7f
	s_mov_b64 s[6:7], 0
	s_waitcnt vmcnt(0)
	v_cmp_lt_i16_e32 vcc, s0, v1
	s_and_saveexec_b64 s[0:1], vcc
	s_xor_b64 s[0:1], exec, s[0:1]
	s_cbranch_execz .LBB22_92
; %bb.72:
	s_movk_i32 s6, 0x80
	v_cmp_ne_u16_e32 vcc, s6, v1
	s_and_b64 s[6:7], vcc, exec
	s_andn2_saveexec_b64 s[0:1], s[0:1]
	s_cbranch_execnz .LBB22_93
.LBB22_73:
	s_or_b64 exec, exec, s[0:1]
	v_mov_b32_e32 v0, 0
	s_and_saveexec_b64 s[0:1], s[6:7]
	s_cbranch_execz .LBB22_75
.LBB22_74:
	v_lshlrev_b32_e32 v0, 24, v1
	v_and_b32_e32 v1, 0xffff, v1
	v_and_b32_e32 v4, 3, v1
	v_ffbh_u32_e32 v6, v4
	v_min_u32_e32 v6, 32, v6
	v_subrev_u32_e32 v7, 29, v6
	v_bfe_u32 v5, v1, 2, 5
	v_lshlrev_b32_e32 v1, v7, v1
	v_sub_u32_e32 v6, 30, v6
	v_and_b32_e32 v1, 3, v1
	v_cmp_eq_u32_e32 vcc, 0, v5
	v_cndmask_b32_e32 v5, v5, v6, vcc
	v_cndmask_b32_e32 v1, v4, v1, vcc
	v_mov_b32_e32 v4, 0x37800000
	v_lshlrev_b32_e32 v1, 21, v1
	v_and_b32_e32 v0, 0x80000000, v0
	v_lshl_add_u32 v4, v5, 23, v4
	v_or3_b32 v0, v0, v4, v1
	v_trunc_f32_e32 v0, v0
	s_mov_b32 s6, 0x2f800000
	v_mul_f32_e64 v1, |v0|, s6
	v_floor_f32_e32 v1, v1
	s_mov_b32 s6, 0xcf800000
	v_fma_f32 v1, v1, s6, |v0|
	v_cvt_u32_f32_e32 v1, v1
	v_ashrrev_i32_e32 v0, 31, v0
	v_xor_b32_e32 v1, v1, v0
	v_sub_u32_e32 v0, v1, v0
.LBB22_75:
	s_or_b64 exec, exec, s[0:1]
	s_mov_b64 s[0:1], 0
	s_branch .LBB22_81
.LBB22_76:
	s_mov_b64 s[6:7], -1
                                        ; implicit-def: $vgpr0
	s_branch .LBB22_87
.LBB22_77:
	s_andn2_saveexec_b64 s[0:1], s[0:1]
	s_cbranch_execz .LBB22_63
.LBB22_78:
	v_cmp_ne_u16_e32 vcc, 0, v1
	s_andn2_b64 s[6:7], s[6:7], exec
	s_and_b64 s[24:25], vcc, exec
	s_or_b64 s[6:7], s[6:7], s[24:25]
	s_or_b64 exec, exec, s[0:1]
	v_mov_b32_e32 v0, 0
	s_and_saveexec_b64 s[0:1], s[6:7]
	s_cbranch_execnz .LBB22_64
	s_branch .LBB22_65
.LBB22_79:
	s_mov_b64 s[0:1], -1
                                        ; implicit-def: $vgpr0
	s_branch .LBB22_84
.LBB22_80:
	s_mov_b64 s[0:1], -1
                                        ; implicit-def: $vgpr0
.LBB22_81:
	s_and_b64 vcc, exec, s[0:1]
	s_cbranch_vccz .LBB22_83
; %bb.82:
	global_load_ubyte v0, v[2:3], off
	s_mov_b32 s0, 0x7f800000
	s_brev_b32 s1, 1
	s_mov_b32 s6, 0x2f800000
	s_waitcnt vmcnt(0)
	v_lshlrev_b32_e32 v0, 24, v0
	v_and_b32_e32 v1, 0x7f000000, v0
	v_ffbh_u32_e32 v4, v1
	v_min_u32_e32 v4, 32, v4
	v_sub_u32_e64 v4, v4, 4 clamp
	v_lshlrev_b32_e32 v6, v4, v1
	v_lshlrev_b32_e32 v4, 23, v4
	v_lshrrev_b32_e32 v6, 4, v6
	v_add_u32_e32 v5, 0x1000000, v1
	v_sub_u32_e32 v4, v6, v4
	v_ashrrev_i32_e32 v5, 8, v5
	v_add_u32_e32 v4, 0x3c000000, v4
	v_and_or_b32 v4, v5, s0, v4
	v_cmp_ne_u32_e32 vcc, 0, v1
	v_cndmask_b32_e32 v1, 0, v4, vcc
	v_and_or_b32 v0, v0, s1, v1
	v_trunc_f32_e32 v0, v0
	v_mul_f32_e64 v1, |v0|, s6
	v_floor_f32_e32 v1, v1
	s_mov_b32 s0, 0xcf800000
	v_fma_f32 v1, v1, s0, |v0|
	v_cvt_u32_f32_e32 v1, v1
	v_ashrrev_i32_e32 v0, 31, v0
	v_xor_b32_e32 v1, v1, v0
	v_sub_u32_e32 v0, v1, v0
.LBB22_83:
	s_mov_b64 s[0:1], 0
.LBB22_84:
	s_andn2_b64 vcc, exec, s[0:1]
	s_cbranch_vccnz .LBB22_86
; %bb.85:
	global_load_ubyte v0, v[2:3], off
	s_movk_i32 s0, 0x7f00
	s_brev_b32 s1, 16
	s_brev_b32 s6, 1
	s_mov_b32 s7, 0x2f800000
	s_waitcnt vmcnt(0)
	v_lshlrev_b16_e32 v1, 8, v0
	v_lshlrev_b32_e32 v0, 25, v0
	v_lshrrev_b32_e32 v4, 4, v0
	v_and_or_b32 v5, v1, s0, 0.5
	v_or_b32_e32 v4, 0x70000000, v4
	v_add_f32_e32 v5, -0.5, v5
	v_mul_f32_e32 v4, 0x7800000, v4
	v_cmp_gt_u32_e32 vcc, s1, v0
	v_bfe_i32 v1, v1, 0, 16
	v_cndmask_b32_e32 v0, v4, v5, vcc
	v_and_or_b32 v0, v1, s6, v0
	v_trunc_f32_e32 v0, v0
	v_mul_f32_e64 v1, |v0|, s7
	v_floor_f32_e32 v1, v1
	s_mov_b32 s0, 0xcf800000
	v_fma_f32 v1, v1, s0, |v0|
	v_cvt_u32_f32_e32 v1, v1
	v_ashrrev_i32_e32 v0, 31, v0
	v_xor_b32_e32 v1, v1, v0
	v_sub_u32_e32 v0, v1, v0
.LBB22_86:
	s_mov_b64 s[6:7], 0
	s_mov_b64 s[0:1], -1
.LBB22_87:
	s_andn2_b64 vcc, exec, s[6:7]
	s_cbranch_vccnz .LBB22_100
; %bb.88:
	s_cmp_gt_i32 s19, 14
	s_cbranch_scc0 .LBB22_91
; %bb.89:
	s_cmp_eq_u32 s19, 15
	s_cbranch_scc0 .LBB22_94
; %bb.90:
	global_load_ushort v0, v[2:3], off
	s_mov_b32 s0, 0x2f800000
	s_mov_b32 s1, 0xcf800000
	s_mov_b64 s[20:21], 0
	s_waitcnt vmcnt(0)
	v_lshlrev_b32_e32 v0, 16, v0
	v_trunc_f32_e32 v0, v0
	v_mul_f32_e64 v1, |v0|, s0
	v_floor_f32_e32 v1, v1
	v_fma_f32 v1, v1, s1, |v0|
	v_cvt_u32_f32_e32 v1, v1
	v_ashrrev_i32_e32 v0, 31, v0
	s_mov_b64 s[0:1], -1
	v_xor_b32_e32 v1, v1, v0
	v_sub_u32_e32 v0, v1, v0
	s_branch .LBB22_95
.LBB22_91:
	s_mov_b64 s[6:7], -1
                                        ; implicit-def: $vgpr0
	s_branch .LBB22_96
.LBB22_92:
	s_andn2_saveexec_b64 s[0:1], s[0:1]
	s_cbranch_execz .LBB22_73
.LBB22_93:
	v_cmp_ne_u16_e32 vcc, 0, v1
	s_andn2_b64 s[6:7], s[6:7], exec
	s_and_b64 s[24:25], vcc, exec
	s_or_b64 s[6:7], s[6:7], s[24:25]
	s_or_b64 exec, exec, s[0:1]
	v_mov_b32_e32 v0, 0
	s_and_saveexec_b64 s[0:1], s[6:7]
	s_cbranch_execnz .LBB22_74
	s_branch .LBB22_75
.LBB22_94:
	s_mov_b64 s[20:21], -1
                                        ; implicit-def: $vgpr0
.LBB22_95:
	s_mov_b64 s[6:7], 0
.LBB22_96:
	s_and_b64 vcc, exec, s[6:7]
	s_cbranch_vccz .LBB22_100
; %bb.97:
	s_cmp_eq_u32 s19, 11
	s_cbranch_scc0 .LBB22_99
; %bb.98:
	global_load_ubyte v0, v[2:3], off
	s_mov_b64 s[0:1], -1
	s_mov_b64 s[20:21], 0
	s_waitcnt vmcnt(0)
	v_cmp_ne_u16_e32 vcc, 0, v0
	v_cndmask_b32_e64 v0, 0, 1, vcc
	s_branch .LBB22_100
.LBB22_99:
	s_mov_b64 s[20:21], -1
                                        ; implicit-def: $vgpr0
.LBB22_100:
	s_branch .LBB22_10
.LBB22_101:
	s_and_b32 s6, 0xffff, s18
	s_cmp_lt_i32 s6, 5
	s_cbranch_scc1 .LBB22_106
; %bb.102:
	s_cmp_lt_i32 s6, 8
	s_cbranch_scc1 .LBB22_107
; %bb.103:
	;; [unrolled: 3-line block ×3, first 2 shown]
	s_cmp_gt_i32 s6, 9
	s_cbranch_scc0 .LBB22_109
; %bb.105:
	global_load_dwordx2 v[0:1], v[2:3], off
	s_movk_i32 s0, 0xffe0
	s_waitcnt vmcnt(0)
	v_trunc_f64_e32 v[0:1], v[0:1]
	v_ldexp_f64 v[4:5], v[0:1], s0
	s_mov_b32 s0, 0
	s_mov_b32 s1, 0xc1f00000
	v_floor_f64_e32 v[4:5], v[4:5]
	v_fma_f64 v[0:1], v[4:5], s[0:1], v[0:1]
	s_mov_b64 s[0:1], 0
	v_cvt_u32_f64_e32 v0, v[0:1]
	s_branch .LBB22_110
.LBB22_106:
                                        ; implicit-def: $vgpr0
	s_branch .LBB22_128
.LBB22_107:
	s_mov_b64 s[0:1], -1
                                        ; implicit-def: $vgpr0
	s_branch .LBB22_116
.LBB22_108:
	s_mov_b64 s[0:1], -1
                                        ; implicit-def: $vgpr0
	s_branch .LBB22_113
.LBB22_109:
	s_mov_b64 s[0:1], -1
                                        ; implicit-def: $vgpr0
.LBB22_110:
	s_andn2_b64 vcc, exec, s[0:1]
	s_cbranch_vccnz .LBB22_112
; %bb.111:
	global_load_dword v0, v[2:3], off
	s_mov_b32 s0, 0x2f800000
	s_waitcnt vmcnt(0)
	v_trunc_f32_e32 v0, v0
	v_mul_f32_e64 v1, |v0|, s0
	v_floor_f32_e32 v1, v1
	s_mov_b32 s0, 0xcf800000
	v_fma_f32 v1, v1, s0, |v0|
	v_cvt_u32_f32_e32 v1, v1
	v_ashrrev_i32_e32 v0, 31, v0
	v_xor_b32_e32 v1, v1, v0
	v_sub_u32_e32 v0, v1, v0
.LBB22_112:
	s_mov_b64 s[0:1], 0
.LBB22_113:
	s_andn2_b64 vcc, exec, s[0:1]
	s_cbranch_vccnz .LBB22_115
; %bb.114:
	global_load_dword v0, v[2:3], off
	s_waitcnt vmcnt(0)
	v_cvt_f32_f16_e32 v0, v0
	v_cvt_i32_f32_e32 v0, v0
.LBB22_115:
	s_mov_b64 s[0:1], 0
.LBB22_116:
	s_andn2_b64 vcc, exec, s[0:1]
	s_cbranch_vccnz .LBB22_127
; %bb.117:
	s_cmp_lt_i32 s6, 6
	s_cbranch_scc1 .LBB22_120
; %bb.118:
	s_cmp_gt_i32 s6, 6
	s_cbranch_scc0 .LBB22_121
; %bb.119:
	global_load_dwordx2 v[0:1], v[2:3], off
	s_movk_i32 s0, 0xffe0
	s_waitcnt vmcnt(0)
	v_trunc_f64_e32 v[0:1], v[0:1]
	v_ldexp_f64 v[4:5], v[0:1], s0
	s_mov_b32 s0, 0
	s_mov_b32 s1, 0xc1f00000
	v_floor_f64_e32 v[4:5], v[4:5]
	v_fma_f64 v[0:1], v[4:5], s[0:1], v[0:1]
	s_mov_b64 s[0:1], 0
	v_cvt_u32_f64_e32 v0, v[0:1]
	s_branch .LBB22_122
.LBB22_120:
	s_mov_b64 s[0:1], -1
                                        ; implicit-def: $vgpr0
	s_branch .LBB22_125
.LBB22_121:
	s_mov_b64 s[0:1], -1
                                        ; implicit-def: $vgpr0
.LBB22_122:
	s_andn2_b64 vcc, exec, s[0:1]
	s_cbranch_vccnz .LBB22_124
; %bb.123:
	global_load_dword v0, v[2:3], off
	s_mov_b32 s0, 0x2f800000
	s_waitcnt vmcnt(0)
	v_trunc_f32_e32 v0, v0
	v_mul_f32_e64 v1, |v0|, s0
	v_floor_f32_e32 v1, v1
	s_mov_b32 s0, 0xcf800000
	v_fma_f32 v1, v1, s0, |v0|
	v_cvt_u32_f32_e32 v1, v1
	v_ashrrev_i32_e32 v0, 31, v0
	v_xor_b32_e32 v1, v1, v0
	v_sub_u32_e32 v0, v1, v0
.LBB22_124:
	s_mov_b64 s[0:1], 0
.LBB22_125:
	s_andn2_b64 vcc, exec, s[0:1]
	s_cbranch_vccnz .LBB22_127
; %bb.126:
	global_load_ushort v0, v[2:3], off
	s_waitcnt vmcnt(0)
	v_cvt_f32_f16_e32 v0, v0
	v_cvt_i32_f32_e32 v0, v0
.LBB22_127:
	s_cbranch_execnz .LBB22_147
.LBB22_128:
	s_cmp_lt_i32 s6, 2
	s_cbranch_scc1 .LBB22_132
; %bb.129:
	s_cmp_lt_i32 s6, 3
	s_cbranch_scc1 .LBB22_133
; %bb.130:
	s_cmp_gt_i32 s6, 3
	s_cbranch_scc0 .LBB22_134
; %bb.131:
	global_load_dwordx2 v[0:1], v[2:3], off
	s_mov_b64 s[0:1], 0
	s_branch .LBB22_135
.LBB22_132:
	s_mov_b64 s[0:1], -1
                                        ; implicit-def: $vgpr0
	s_branch .LBB22_141
.LBB22_133:
	s_mov_b64 s[0:1], -1
                                        ; implicit-def: $vgpr0
	s_branch .LBB22_138
.LBB22_134:
	s_mov_b64 s[0:1], -1
                                        ; implicit-def: $vgpr0
.LBB22_135:
	s_andn2_b64 vcc, exec, s[0:1]
	s_cbranch_vccnz .LBB22_137
; %bb.136:
	global_load_dword v0, v[2:3], off
.LBB22_137:
	s_mov_b64 s[0:1], 0
.LBB22_138:
	s_andn2_b64 vcc, exec, s[0:1]
	s_cbranch_vccnz .LBB22_140
; %bb.139:
	global_load_ushort v0, v[2:3], off
.LBB22_140:
	s_mov_b64 s[0:1], 0
.LBB22_141:
	s_andn2_b64 vcc, exec, s[0:1]
	s_cbranch_vccnz .LBB22_147
; %bb.142:
	s_cmp_gt_i32 s6, 0
	s_cbranch_scc0 .LBB22_144
; %bb.143:
	global_load_ubyte v0, v[2:3], off
	s_mov_b64 s[0:1], 0
	s_branch .LBB22_145
.LBB22_144:
	s_mov_b64 s[0:1], -1
                                        ; implicit-def: $vgpr0
.LBB22_145:
	s_andn2_b64 vcc, exec, s[0:1]
	s_cbranch_vccnz .LBB22_147
; %bb.146:
	global_load_ubyte v0, v[2:3], off
.LBB22_147:
	s_branch .LBB22_11
.LBB22_148:
	s_mov_b64 s[0:1], 0
	s_mov_b64 s[18:19], 0
	s_branch .LBB22_373
.LBB22_149:
	s_mov_b64 s[18:19], -1
.LBB22_150:
	s_mov_b64 s[0:1], 0
                                        ; implicit-def: $vgpr3
.LBB22_151:
	s_and_b64 vcc, exec, s[6:7]
	s_cbranch_vccz .LBB22_267
; %bb.152:
	s_cmp_eq_u32 s25, 44
	s_cbranch_scc0 .LBB22_266
; %bb.153:
	global_load_ubyte v3, v[1:2], off
	s_mov_b32 s0, 0x2f800000
	s_mov_b32 s1, 0xcf800000
	s_mov_b64 s[18:19], 0
	s_waitcnt vmcnt(0)
	v_lshlrev_b32_e32 v4, 23, v3
	v_trunc_f32_e32 v4, v4
	v_mul_f32_e64 v5, |v4|, s0
	v_floor_f32_e32 v5, v5
	v_fma_f32 v5, v5, s1, |v4|
	v_cvt_u32_f32_e32 v5, v5
	v_ashrrev_i32_e32 v4, 31, v4
	v_cmp_ne_u32_e32 vcc, 0, v3
	s_mov_b64 s[0:1], -1
	v_xor_b32_e32 v5, v5, v4
	v_sub_u32_e32 v4, v5, v4
	v_cndmask_b32_e32 v3, 0, v4, vcc
	s_branch .LBB22_267
.LBB22_154:
	s_mov_b64 s[24:25], -1
	s_mov_b64 s[0:1], 0
	s_mov_b64 s[6:7], 0
.LBB22_155:
	s_and_b64 vcc, exec, s[24:25]
	s_cbranch_vccz .LBB22_160
; %bb.156:
	s_cmp_eq_u32 s31, 44
	s_mov_b64 s[0:1], -1
	s_cbranch_scc0 .LBB22_160
; %bb.157:
	v_cvt_f32_ubyte0_e32 v4, v2
	v_lshrrev_b32_e32 v3, 23, v4
	s_movk_i32 s0, 0xff
	v_cmp_ne_u32_e32 vcc, s0, v3
	v_mov_b32_e32 v5, 0xff
	s_and_saveexec_b64 s[6:7], vcc
; %bb.158:
	s_mov_b32 s0, 0x3fffff
	v_and_b32_e32 v5, 0x400000, v4
	v_and_or_b32 v4, v4, s0, v3
	v_cmp_ne_u32_e32 vcc, 0, v5
	v_cmp_ne_u32_e64 s[0:1], 0, v4
	s_and_b64 s[0:1], vcc, s[0:1]
	v_cndmask_b32_e64 v4, 0, 1, s[0:1]
	v_add_u32_e32 v5, v3, v4
; %bb.159:
	s_or_b64 exec, exec, s[6:7]
	s_mov_b64 s[6:7], -1
	s_mov_b64 s[0:1], 0
	global_store_byte v[0:1], v5, off
.LBB22_160:
	s_mov_b64 s[24:25], 0
.LBB22_161:
	s_and_b64 vcc, exec, s[24:25]
	s_cbranch_vccz .LBB22_164
; %bb.162:
	s_cmp_eq_u32 s31, 29
	s_mov_b64 s[0:1], -1
	s_cbranch_scc0 .LBB22_164
; %bb.163:
	v_and_b32_e32 v3, 0xff, v2
	v_mov_b32_e32 v4, 0
	global_store_dwordx2 v[0:1], v[3:4], off
	s_mov_b64 s[6:7], -1
	s_mov_b64 s[0:1], 0
.LBB22_164:
	s_mov_b64 s[24:25], 0
.LBB22_165:
	s_and_b64 vcc, exec, s[24:25]
	s_cbranch_vccz .LBB22_181
; %bb.166:
	s_cmp_lt_i32 s31, 27
	s_mov_b64 s[6:7], -1
	s_cbranch_scc1 .LBB22_172
; %bb.167:
	s_cmp_gt_i32 s31, 27
	s_cbranch_scc0 .LBB22_169
; %bb.168:
	v_and_b32_e32 v3, 0xff, v2
	s_mov_b64 s[6:7], 0
	global_store_dword v[0:1], v3, off
.LBB22_169:
	s_andn2_b64 vcc, exec, s[6:7]
	s_cbranch_vccnz .LBB22_171
; %bb.170:
	v_and_b32_e32 v3, 0xff, v2
	global_store_short v[0:1], v3, off
.LBB22_171:
	s_mov_b64 s[6:7], 0
.LBB22_172:
	s_andn2_b64 vcc, exec, s[6:7]
	s_cbranch_vccnz .LBB22_180
; %bb.173:
	v_cvt_f32_ubyte0_e32 v4, v2
	s_mov_b32 s6, 0x43800000
	v_cmp_gt_u32_e32 vcc, s6, v4
	v_mov_b32_e32 v5, 0x80
	s_and_saveexec_b64 s[6:7], vcc
	s_cbranch_execz .LBB22_179
; %bb.174:
	s_mov_b32 s24, 0x3bffffff
	v_cmp_lt_u32_e32 vcc, s24, v4
	s_mov_b64 s[24:25], 0
                                        ; implicit-def: $vgpr3
	s_and_saveexec_b64 s[28:29], vcc
	s_xor_b64 s[28:29], exec, s[28:29]
	s_cbranch_execz .LBB22_404
; %bb.175:
	v_bfe_u32 v3, v4, 20, 1
	s_mov_b32 s34, 0x487ffff
	v_add3_u32 v3, v4, v3, s34
	s_mov_b64 s[24:25], exec
	v_lshrrev_b32_e32 v3, 20, v3
                                        ; implicit-def: $vgpr4
	s_andn2_saveexec_b64 s[28:29], s[28:29]
	s_cbranch_execnz .LBB22_405
.LBB22_176:
	s_or_b64 exec, exec, s[28:29]
	v_mov_b32_e32 v5, 0
	s_and_saveexec_b64 s[28:29], s[24:25]
.LBB22_177:
	v_mov_b32_e32 v5, v3
.LBB22_178:
	s_or_b64 exec, exec, s[28:29]
.LBB22_179:
	s_or_b64 exec, exec, s[6:7]
	global_store_byte v[0:1], v5, off
.LBB22_180:
	s_mov_b64 s[6:7], -1
.LBB22_181:
	s_mov_b64 s[24:25], 0
.LBB22_182:
	s_and_b64 vcc, exec, s[24:25]
	s_cbranch_vccz .LBB22_223
; %bb.183:
	s_cmp_gt_i32 s31, 22
	s_mov_b64 s[24:25], -1
	s_cbranch_scc0 .LBB22_215
; %bb.184:
	s_cmp_lt_i32 s31, 24
	s_mov_b64 s[6:7], -1
	s_cbranch_scc1 .LBB22_204
; %bb.185:
	s_cmp_gt_i32 s31, 24
	s_cbranch_scc0 .LBB22_193
; %bb.186:
	v_cvt_f32_ubyte0_e32 v4, v2
	s_mov_b32 s6, 0x47800000
	v_cmp_gt_u32_e32 vcc, s6, v4
	v_mov_b32_e32 v5, 0x80
	s_and_saveexec_b64 s[6:7], vcc
	s_cbranch_execz .LBB22_192
; %bb.187:
	s_mov_b32 s24, 0x37ffffff
	v_cmp_lt_u32_e32 vcc, s24, v4
	s_mov_b64 s[24:25], 0
                                        ; implicit-def: $vgpr3
	s_and_saveexec_b64 s[28:29], vcc
	s_xor_b64 s[28:29], exec, s[28:29]
	s_cbranch_execz .LBB22_519
; %bb.188:
	v_bfe_u32 v3, v4, 21, 1
	s_mov_b32 s34, 0x88fffff
	v_add3_u32 v3, v4, v3, s34
	s_mov_b64 s[24:25], exec
	v_lshrrev_b32_e32 v3, 21, v3
                                        ; implicit-def: $vgpr4
	s_andn2_saveexec_b64 s[28:29], s[28:29]
	s_cbranch_execnz .LBB22_520
.LBB22_189:
	s_or_b64 exec, exec, s[28:29]
	v_mov_b32_e32 v5, 0
	s_and_saveexec_b64 s[28:29], s[24:25]
.LBB22_190:
	v_mov_b32_e32 v5, v3
.LBB22_191:
	s_or_b64 exec, exec, s[28:29]
.LBB22_192:
	s_or_b64 exec, exec, s[6:7]
	s_mov_b64 s[6:7], 0
	global_store_byte v[0:1], v5, off
.LBB22_193:
	s_and_b64 vcc, exec, s[6:7]
	s_cbranch_vccz .LBB22_203
; %bb.194:
	v_cvt_f32_ubyte0_e32 v3, v2
	s_mov_b32 s6, 0x43f00000
	v_cmp_gt_u32_e32 vcc, s6, v3
                                        ; implicit-def: $vgpr4
	s_and_saveexec_b64 s[6:7], vcc
	s_xor_b64 s[6:7], exec, s[6:7]
	s_cbranch_execz .LBB22_200
; %bb.195:
	s_mov_b32 s24, 0x3c7fffff
	v_cmp_lt_u32_e32 vcc, s24, v3
                                        ; implicit-def: $vgpr4
	s_and_saveexec_b64 s[24:25], vcc
	s_xor_b64 s[24:25], exec, s[24:25]
; %bb.196:
	v_bfe_u32 v4, v3, 20, 1
	s_mov_b32 s28, 0x407ffff
	v_add3_u32 v3, v3, v4, s28
	v_lshrrev_b32_e32 v4, 20, v3
	v_and_b32_e32 v3, 0xff00000, v3
	s_mov_b32 s28, 0x7f00000
	v_mov_b32_e32 v5, 0x7e
	v_cmp_ne_u32_e32 vcc, s28, v3
	v_cndmask_b32_e32 v4, v5, v4, vcc
                                        ; implicit-def: $vgpr3
; %bb.197:
	s_andn2_saveexec_b64 s[24:25], s[24:25]
; %bb.198:
	v_add_f32_e32 v4, 0x46800000, v3
; %bb.199:
	s_or_b64 exec, exec, s[24:25]
                                        ; implicit-def: $vgpr3
.LBB22_200:
	s_andn2_saveexec_b64 s[6:7], s[6:7]
; %bb.201:
	s_mov_b32 s24, 0x7f800000
	v_mov_b32_e32 v4, 0x7e
	v_mov_b32_e32 v5, 0x7f
	v_cmp_lt_u32_e32 vcc, s24, v3
	v_cndmask_b32_e32 v4, v4, v5, vcc
; %bb.202:
	s_or_b64 exec, exec, s[6:7]
	global_store_byte v[0:1], v4, off
.LBB22_203:
	s_mov_b64 s[6:7], 0
.LBB22_204:
	s_andn2_b64 vcc, exec, s[6:7]
	s_cbranch_vccnz .LBB22_214
; %bb.205:
	v_cvt_f32_ubyte0_e32 v3, v2
	s_mov_b32 s6, 0x47800000
	v_cmp_gt_u32_e32 vcc, s6, v3
                                        ; implicit-def: $vgpr4
	s_and_saveexec_b64 s[6:7], vcc
	s_xor_b64 s[6:7], exec, s[6:7]
	s_cbranch_execz .LBB22_211
; %bb.206:
	s_mov_b32 s24, 0x387fffff
	v_cmp_lt_u32_e32 vcc, s24, v3
                                        ; implicit-def: $vgpr4
	s_and_saveexec_b64 s[24:25], vcc
	s_xor_b64 s[24:25], exec, s[24:25]
; %bb.207:
	v_bfe_u32 v4, v3, 21, 1
	s_mov_b32 s28, 0x80fffff
	v_add3_u32 v3, v3, v4, s28
	v_lshrrev_b32_e32 v4, 21, v3
                                        ; implicit-def: $vgpr3
; %bb.208:
	s_andn2_saveexec_b64 s[24:25], s[24:25]
; %bb.209:
	v_add_f32_e32 v4, 0x43000000, v3
; %bb.210:
	s_or_b64 exec, exec, s[24:25]
                                        ; implicit-def: $vgpr3
.LBB22_211:
	s_andn2_saveexec_b64 s[6:7], s[6:7]
; %bb.212:
	s_mov_b32 s24, 0x7f800000
	v_mov_b32_e32 v4, 0x7c
	v_mov_b32_e32 v5, 0x7f
	v_cmp_lt_u32_e32 vcc, s24, v3
	v_cndmask_b32_e32 v4, v4, v5, vcc
; %bb.213:
	s_or_b64 exec, exec, s[6:7]
	global_store_byte v[0:1], v4, off
.LBB22_214:
	s_mov_b64 s[24:25], 0
	s_mov_b64 s[6:7], -1
.LBB22_215:
	s_andn2_b64 vcc, exec, s[24:25]
	s_cbranch_vccnz .LBB22_223
; %bb.216:
	s_cmp_gt_i32 s31, 14
	s_mov_b64 s[24:25], -1
	s_cbranch_scc0 .LBB22_220
; %bb.217:
	s_cmp_eq_u32 s31, 15
	s_mov_b64 s[0:1], -1
	s_cbranch_scc0 .LBB22_219
; %bb.218:
	v_cvt_f32_ubyte0_e32 v3, v2
	v_bfe_u32 v4, v3, 16, 1
	s_movk_i32 s0, 0x7fff
	v_add3_u32 v3, v3, v4, s0
	global_store_short_d16_hi v[0:1], v3, off
	s_mov_b64 s[6:7], -1
	s_mov_b64 s[0:1], 0
.LBB22_219:
	s_mov_b64 s[24:25], 0
.LBB22_220:
	s_and_b64 vcc, exec, s[24:25]
	s_cbranch_vccz .LBB22_223
; %bb.221:
	s_cmp_eq_u32 s31, 11
	s_mov_b64 s[0:1], -1
	s_cbranch_scc0 .LBB22_223
; %bb.222:
	v_mov_b32_e32 v3, 0
	v_cmp_ne_u16_sdwa s[0:1], v2, v3 src0_sel:BYTE_0 src1_sel:DWORD
	v_cndmask_b32_e64 v3, 0, 1, s[0:1]
	s_mov_b64 s[6:7], -1
	s_mov_b64 s[0:1], 0
	global_store_byte v[0:1], v3, off
.LBB22_223:
	s_mov_b64 s[24:25], 0
.LBB22_224:
	s_and_b64 vcc, exec, s[24:25]
	s_cbranch_vccz .LBB22_263
; %bb.225:
	s_and_b32 s24, 0xffff, s30
	s_cmp_lt_i32 s24, 5
	s_mov_b64 s[6:7], -1
	s_cbranch_scc1 .LBB22_246
; %bb.226:
	s_cmp_lt_i32 s24, 8
	s_cbranch_scc1 .LBB22_236
; %bb.227:
	s_cmp_lt_i32 s24, 9
	s_cbranch_scc1 .LBB22_233
; %bb.228:
	s_cmp_gt_i32 s24, 9
	s_cbranch_scc0 .LBB22_230
; %bb.229:
	s_mov_b32 s6, 0xffff
	v_and_b32_sdwa v3, s6, v2 dst_sel:DWORD dst_unused:UNUSED_PAD src0_sel:DWORD src1_sel:BYTE_0
	v_cvt_f64_u32_e32 v[3:4], v3
	v_mov_b32_e32 v5, 0
	v_mov_b32_e32 v6, v5
	s_mov_b64 s[6:7], 0
	global_store_dwordx4 v[0:1], v[3:6], off
.LBB22_230:
	s_andn2_b64 vcc, exec, s[6:7]
	s_cbranch_vccnz .LBB22_232
; %bb.231:
	v_cvt_f32_ubyte0_e32 v3, v2
	v_mov_b32_e32 v4, 0
	global_store_dwordx2 v[0:1], v[3:4], off
.LBB22_232:
	s_mov_b64 s[6:7], 0
.LBB22_233:
	s_andn2_b64 vcc, exec, s[6:7]
	s_cbranch_vccnz .LBB22_235
; %bb.234:
	v_cvt_f16_u16_sdwa v3, v2 dst_sel:DWORD dst_unused:UNUSED_PAD src0_sel:BYTE_0
	global_store_dword v[0:1], v3, off
.LBB22_235:
	s_mov_b64 s[6:7], 0
.LBB22_236:
	s_andn2_b64 vcc, exec, s[6:7]
	s_cbranch_vccnz .LBB22_245
; %bb.237:
	s_cmp_lt_i32 s24, 6
	s_mov_b64 s[6:7], -1
	s_cbranch_scc1 .LBB22_243
; %bb.238:
	s_cmp_gt_i32 s24, 6
	s_cbranch_scc0 .LBB22_240
; %bb.239:
	s_mov_b32 s6, 0xffff
	v_and_b32_sdwa v3, s6, v2 dst_sel:DWORD dst_unused:UNUSED_PAD src0_sel:DWORD src1_sel:BYTE_0
	v_cvt_f64_u32_e32 v[3:4], v3
	s_mov_b64 s[6:7], 0
	global_store_dwordx2 v[0:1], v[3:4], off
.LBB22_240:
	s_andn2_b64 vcc, exec, s[6:7]
	s_cbranch_vccnz .LBB22_242
; %bb.241:
	v_cvt_f32_ubyte0_e32 v3, v2
	global_store_dword v[0:1], v3, off
.LBB22_242:
	s_mov_b64 s[6:7], 0
.LBB22_243:
	s_andn2_b64 vcc, exec, s[6:7]
	s_cbranch_vccnz .LBB22_245
; %bb.244:
	v_cvt_f16_u16_sdwa v3, v2 dst_sel:DWORD dst_unused:UNUSED_PAD src0_sel:BYTE_0
	global_store_short v[0:1], v3, off
.LBB22_245:
	s_mov_b64 s[6:7], 0
.LBB22_246:
	s_andn2_b64 vcc, exec, s[6:7]
	s_cbranch_vccnz .LBB22_262
; %bb.247:
	s_cmp_lt_i32 s24, 2
	s_mov_b64 s[6:7], -1
	s_cbranch_scc1 .LBB22_257
; %bb.248:
	s_cmp_lt_i32 s24, 3
	s_cbranch_scc1 .LBB22_254
; %bb.249:
	s_cmp_gt_i32 s24, 3
	s_cbranch_scc0 .LBB22_251
; %bb.250:
	v_and_b32_e32 v3, 0xff, v2
	v_mov_b32_e32 v4, 0
	global_store_dwordx2 v[0:1], v[3:4], off
	s_mov_b64 s[6:7], 0
.LBB22_251:
	s_andn2_b64 vcc, exec, s[6:7]
	s_cbranch_vccnz .LBB22_253
; %bb.252:
	v_and_b32_e32 v3, 0xff, v2
	global_store_dword v[0:1], v3, off
.LBB22_253:
	s_mov_b64 s[6:7], 0
.LBB22_254:
	s_andn2_b64 vcc, exec, s[6:7]
	s_cbranch_vccnz .LBB22_256
; %bb.255:
	v_and_b32_e32 v3, 0xff, v2
	global_store_short v[0:1], v3, off
.LBB22_256:
	s_mov_b64 s[6:7], 0
.LBB22_257:
	s_andn2_b64 vcc, exec, s[6:7]
	s_cbranch_vccnz .LBB22_262
; %bb.258:
	s_cmp_gt_i32 s24, 0
	s_mov_b64 s[6:7], -1
	s_cbranch_scc0 .LBB22_260
; %bb.259:
	global_store_byte v[0:1], v2, off
	s_mov_b64 s[6:7], 0
.LBB22_260:
	s_andn2_b64 vcc, exec, s[6:7]
	s_cbranch_vccnz .LBB22_262
; %bb.261:
	global_store_byte v[0:1], v2, off
.LBB22_262:
	s_mov_b64 s[6:7], -1
.LBB22_263:
	s_andn2_b64 vcc, exec, s[6:7]
	s_cbranch_vccnz .LBB22_265
; %bb.264:
	v_add_u32_e32 v11, 0x80, v11
	s_mov_b64 s[24:25], -1
	s_branch .LBB22_374
.LBB22_265:
	s_mov_b64 s[24:25], 0
                                        ; implicit-def: $vgpr11
	s_branch .LBB22_374
.LBB22_266:
	s_mov_b64 s[18:19], -1
                                        ; implicit-def: $vgpr3
.LBB22_267:
	s_mov_b64 s[6:7], 0
.LBB22_268:
	s_and_b64 vcc, exec, s[6:7]
	s_cbranch_vccz .LBB22_272
; %bb.269:
	s_cmp_eq_u32 s25, 29
	s_cbranch_scc0 .LBB22_271
; %bb.270:
	global_load_dwordx2 v[3:4], v[1:2], off
	s_mov_b64 s[0:1], -1
	s_mov_b64 s[18:19], 0
	s_branch .LBB22_272
.LBB22_271:
	s_mov_b64 s[18:19], -1
                                        ; implicit-def: $vgpr3
.LBB22_272:
	s_mov_b64 s[6:7], 0
.LBB22_273:
	s_and_b64 vcc, exec, s[6:7]
	s_cbranch_vccz .LBB22_289
; %bb.274:
	s_cmp_lt_i32 s25, 27
	s_cbranch_scc1 .LBB22_277
; %bb.275:
	s_cmp_gt_i32 s25, 27
	s_cbranch_scc0 .LBB22_278
; %bb.276:
	global_load_dword v3, v[1:2], off
	s_mov_b64 s[0:1], 0
	s_branch .LBB22_279
.LBB22_277:
	s_mov_b64 s[0:1], -1
                                        ; implicit-def: $vgpr3
	s_branch .LBB22_282
.LBB22_278:
	s_mov_b64 s[0:1], -1
                                        ; implicit-def: $vgpr3
.LBB22_279:
	s_andn2_b64 vcc, exec, s[0:1]
	s_cbranch_vccnz .LBB22_281
; %bb.280:
	global_load_ushort v3, v[1:2], off
.LBB22_281:
	s_mov_b64 s[0:1], 0
.LBB22_282:
	s_andn2_b64 vcc, exec, s[0:1]
	s_cbranch_vccnz .LBB22_288
; %bb.283:
	global_load_ubyte v4, v[1:2], off
	s_movk_i32 s0, 0x7f
	s_mov_b64 s[6:7], 0
	s_waitcnt vmcnt(0)
	v_cmp_lt_i16_e32 vcc, s0, v4
	s_and_saveexec_b64 s[0:1], vcc
	s_xor_b64 s[0:1], exec, s[0:1]
	s_cbranch_execz .LBB22_300
; %bb.284:
	s_movk_i32 s6, 0x80
	v_cmp_ne_u16_e32 vcc, s6, v4
	s_and_b64 s[6:7], vcc, exec
	s_andn2_saveexec_b64 s[0:1], s[0:1]
	s_cbranch_execnz .LBB22_301
.LBB22_285:
	s_or_b64 exec, exec, s[0:1]
	v_mov_b32_e32 v3, 0
	s_and_saveexec_b64 s[0:1], s[6:7]
	s_cbranch_execz .LBB22_287
.LBB22_286:
	v_lshlrev_b32_e32 v3, 24, v4
	v_and_b32_e32 v4, 0xffff, v4
	v_and_b32_e32 v5, 7, v4
	v_ffbh_u32_e32 v7, v5
	v_min_u32_e32 v7, 32, v7
	v_subrev_u32_e32 v8, 28, v7
	v_bfe_u32 v6, v4, 3, 4
	v_lshlrev_b32_e32 v4, v8, v4
	v_sub_u32_e32 v7, 29, v7
	v_and_b32_e32 v4, 7, v4
	v_cmp_eq_u32_e32 vcc, 0, v6
	v_cndmask_b32_e32 v6, v6, v7, vcc
	v_cndmask_b32_e32 v4, v5, v4, vcc
	v_mov_b32_e32 v5, 0x3b800000
	v_lshlrev_b32_e32 v4, 20, v4
	v_and_b32_e32 v3, 0x80000000, v3
	v_lshl_add_u32 v5, v6, 23, v5
	v_or3_b32 v3, v3, v5, v4
	v_trunc_f32_e32 v3, v3
	s_mov_b32 s6, 0x2f800000
	v_mul_f32_e64 v4, |v3|, s6
	v_floor_f32_e32 v4, v4
	s_mov_b32 s6, 0xcf800000
	v_fma_f32 v4, v4, s6, |v3|
	v_cvt_u32_f32_e32 v4, v4
	v_ashrrev_i32_e32 v3, 31, v3
	v_xor_b32_e32 v4, v4, v3
	v_sub_u32_e32 v3, v4, v3
.LBB22_287:
	s_or_b64 exec, exec, s[0:1]
.LBB22_288:
	s_mov_b64 s[0:1], -1
.LBB22_289:
	s_mov_b64 s[6:7], 0
.LBB22_290:
	s_and_b64 vcc, exec, s[6:7]
	s_cbranch_vccz .LBB22_323
; %bb.291:
	s_cmp_gt_i32 s25, 22
	s_cbranch_scc0 .LBB22_299
; %bb.292:
	s_cmp_lt_i32 s25, 24
	s_cbranch_scc1 .LBB22_302
; %bb.293:
	s_cmp_gt_i32 s25, 24
	s_cbranch_scc0 .LBB22_303
; %bb.294:
	global_load_ubyte v4, v[1:2], off
	s_movk_i32 s0, 0x7f
	s_mov_b64 s[6:7], 0
	s_waitcnt vmcnt(0)
	v_cmp_lt_i16_e32 vcc, s0, v4
	s_and_saveexec_b64 s[0:1], vcc
	s_xor_b64 s[0:1], exec, s[0:1]
	s_cbranch_execz .LBB22_315
; %bb.295:
	s_movk_i32 s6, 0x80
	v_cmp_ne_u16_e32 vcc, s6, v4
	s_and_b64 s[6:7], vcc, exec
	s_andn2_saveexec_b64 s[0:1], s[0:1]
	s_cbranch_execnz .LBB22_316
.LBB22_296:
	s_or_b64 exec, exec, s[0:1]
	v_mov_b32_e32 v3, 0
	s_and_saveexec_b64 s[0:1], s[6:7]
	s_cbranch_execz .LBB22_298
.LBB22_297:
	v_lshlrev_b32_e32 v3, 24, v4
	v_and_b32_e32 v4, 0xffff, v4
	v_and_b32_e32 v5, 3, v4
	v_ffbh_u32_e32 v7, v5
	v_min_u32_e32 v7, 32, v7
	v_subrev_u32_e32 v8, 29, v7
	v_bfe_u32 v6, v4, 2, 5
	v_lshlrev_b32_e32 v4, v8, v4
	v_sub_u32_e32 v7, 30, v7
	v_and_b32_e32 v4, 3, v4
	v_cmp_eq_u32_e32 vcc, 0, v6
	v_cndmask_b32_e32 v6, v6, v7, vcc
	v_cndmask_b32_e32 v4, v5, v4, vcc
	v_mov_b32_e32 v5, 0x37800000
	v_lshlrev_b32_e32 v4, 21, v4
	v_and_b32_e32 v3, 0x80000000, v3
	v_lshl_add_u32 v5, v6, 23, v5
	v_or3_b32 v3, v3, v5, v4
	v_trunc_f32_e32 v3, v3
	s_mov_b32 s6, 0x2f800000
	v_mul_f32_e64 v4, |v3|, s6
	v_floor_f32_e32 v4, v4
	s_mov_b32 s6, 0xcf800000
	v_fma_f32 v4, v4, s6, |v3|
	v_cvt_u32_f32_e32 v4, v4
	v_ashrrev_i32_e32 v3, 31, v3
	v_xor_b32_e32 v4, v4, v3
	v_sub_u32_e32 v3, v4, v3
.LBB22_298:
	s_or_b64 exec, exec, s[0:1]
	s_mov_b64 s[0:1], 0
	s_branch .LBB22_304
.LBB22_299:
	s_mov_b64 s[6:7], -1
                                        ; implicit-def: $vgpr3
	s_branch .LBB22_310
.LBB22_300:
	s_andn2_saveexec_b64 s[0:1], s[0:1]
	s_cbranch_execz .LBB22_285
.LBB22_301:
	v_cmp_ne_u16_e32 vcc, 0, v4
	s_andn2_b64 s[6:7], s[6:7], exec
	s_and_b64 s[28:29], vcc, exec
	s_or_b64 s[6:7], s[6:7], s[28:29]
	s_or_b64 exec, exec, s[0:1]
	v_mov_b32_e32 v3, 0
	s_and_saveexec_b64 s[0:1], s[6:7]
	s_cbranch_execnz .LBB22_286
	s_branch .LBB22_287
.LBB22_302:
	s_mov_b64 s[0:1], -1
                                        ; implicit-def: $vgpr3
	s_branch .LBB22_307
.LBB22_303:
	s_mov_b64 s[0:1], -1
                                        ; implicit-def: $vgpr3
.LBB22_304:
	s_and_b64 vcc, exec, s[0:1]
	s_cbranch_vccz .LBB22_306
; %bb.305:
	global_load_ubyte v3, v[1:2], off
	s_mov_b32 s0, 0x7f800000
	s_brev_b32 s1, 1
	s_mov_b32 s6, 0x2f800000
	s_waitcnt vmcnt(0)
	v_lshlrev_b32_e32 v3, 24, v3
	v_and_b32_e32 v4, 0x7f000000, v3
	v_ffbh_u32_e32 v5, v4
	v_min_u32_e32 v5, 32, v5
	v_sub_u32_e64 v5, v5, 4 clamp
	v_lshlrev_b32_e32 v7, v5, v4
	v_lshlrev_b32_e32 v5, 23, v5
	v_lshrrev_b32_e32 v7, 4, v7
	v_add_u32_e32 v6, 0x1000000, v4
	v_sub_u32_e32 v5, v7, v5
	v_ashrrev_i32_e32 v6, 8, v6
	v_add_u32_e32 v5, 0x3c000000, v5
	v_and_or_b32 v5, v6, s0, v5
	v_cmp_ne_u32_e32 vcc, 0, v4
	v_cndmask_b32_e32 v4, 0, v5, vcc
	v_and_or_b32 v3, v3, s1, v4
	v_trunc_f32_e32 v3, v3
	v_mul_f32_e64 v4, |v3|, s6
	v_floor_f32_e32 v4, v4
	s_mov_b32 s0, 0xcf800000
	v_fma_f32 v4, v4, s0, |v3|
	v_cvt_u32_f32_e32 v4, v4
	v_ashrrev_i32_e32 v3, 31, v3
	v_xor_b32_e32 v4, v4, v3
	v_sub_u32_e32 v3, v4, v3
.LBB22_306:
	s_mov_b64 s[0:1], 0
.LBB22_307:
	s_andn2_b64 vcc, exec, s[0:1]
	s_cbranch_vccnz .LBB22_309
; %bb.308:
	global_load_ubyte v3, v[1:2], off
	s_movk_i32 s0, 0x7f00
	s_brev_b32 s1, 16
	s_brev_b32 s6, 1
	s_mov_b32 s7, 0x2f800000
	s_waitcnt vmcnt(0)
	v_lshlrev_b16_e32 v4, 8, v3
	v_lshlrev_b32_e32 v3, 25, v3
	v_lshrrev_b32_e32 v5, 4, v3
	v_and_or_b32 v6, v4, s0, 0.5
	v_or_b32_e32 v5, 0x70000000, v5
	v_add_f32_e32 v6, -0.5, v6
	v_mul_f32_e32 v5, 0x7800000, v5
	v_cmp_gt_u32_e32 vcc, s1, v3
	v_bfe_i32 v4, v4, 0, 16
	v_cndmask_b32_e32 v3, v5, v6, vcc
	v_and_or_b32 v3, v4, s6, v3
	v_trunc_f32_e32 v3, v3
	v_mul_f32_e64 v4, |v3|, s7
	v_floor_f32_e32 v4, v4
	s_mov_b32 s0, 0xcf800000
	v_fma_f32 v4, v4, s0, |v3|
	v_cvt_u32_f32_e32 v4, v4
	v_ashrrev_i32_e32 v3, 31, v3
	v_xor_b32_e32 v4, v4, v3
	v_sub_u32_e32 v3, v4, v3
.LBB22_309:
	s_mov_b64 s[6:7], 0
	s_mov_b64 s[0:1], -1
.LBB22_310:
	s_andn2_b64 vcc, exec, s[6:7]
	s_cbranch_vccnz .LBB22_323
; %bb.311:
	s_cmp_gt_i32 s25, 14
	s_cbranch_scc0 .LBB22_314
; %bb.312:
	s_cmp_eq_u32 s25, 15
	s_cbranch_scc0 .LBB22_317
; %bb.313:
	global_load_ushort v3, v[1:2], off
	s_mov_b32 s0, 0x2f800000
	s_mov_b32 s1, 0xcf800000
	s_mov_b64 s[18:19], 0
	s_waitcnt vmcnt(0)
	v_lshlrev_b32_e32 v3, 16, v3
	v_trunc_f32_e32 v3, v3
	v_mul_f32_e64 v4, |v3|, s0
	v_floor_f32_e32 v4, v4
	v_fma_f32 v4, v4, s1, |v3|
	v_cvt_u32_f32_e32 v4, v4
	v_ashrrev_i32_e32 v3, 31, v3
	s_mov_b64 s[0:1], -1
	v_xor_b32_e32 v4, v4, v3
	v_sub_u32_e32 v3, v4, v3
	s_branch .LBB22_318
.LBB22_314:
	s_mov_b64 s[6:7], -1
                                        ; implicit-def: $vgpr3
	s_branch .LBB22_319
.LBB22_315:
	s_andn2_saveexec_b64 s[0:1], s[0:1]
	s_cbranch_execz .LBB22_296
.LBB22_316:
	v_cmp_ne_u16_e32 vcc, 0, v4
	s_andn2_b64 s[6:7], s[6:7], exec
	s_and_b64 s[28:29], vcc, exec
	s_or_b64 s[6:7], s[6:7], s[28:29]
	s_or_b64 exec, exec, s[0:1]
	v_mov_b32_e32 v3, 0
	s_and_saveexec_b64 s[0:1], s[6:7]
	s_cbranch_execnz .LBB22_297
	s_branch .LBB22_298
.LBB22_317:
	s_mov_b64 s[18:19], -1
                                        ; implicit-def: $vgpr3
.LBB22_318:
	s_mov_b64 s[6:7], 0
.LBB22_319:
	s_and_b64 vcc, exec, s[6:7]
	s_cbranch_vccz .LBB22_323
; %bb.320:
	s_cmp_eq_u32 s25, 11
	s_cbranch_scc0 .LBB22_322
; %bb.321:
	global_load_ubyte v3, v[1:2], off
	s_mov_b64 s[0:1], -1
	s_mov_b64 s[18:19], 0
	s_waitcnt vmcnt(0)
	v_cmp_ne_u16_e32 vcc, 0, v3
	v_cndmask_b32_e64 v3, 0, 1, vcc
	s_branch .LBB22_323
.LBB22_322:
	s_mov_b64 s[18:19], -1
                                        ; implicit-def: $vgpr3
.LBB22_323:
	s_branch .LBB22_20
.LBB22_324:
	s_and_b32 s6, 0xffff, s24
	s_cmp_lt_i32 s6, 5
	s_cbranch_scc1 .LBB22_329
; %bb.325:
	s_cmp_lt_i32 s6, 8
	s_cbranch_scc1 .LBB22_330
; %bb.326:
	;; [unrolled: 3-line block ×3, first 2 shown]
	s_cmp_gt_i32 s6, 9
	s_cbranch_scc0 .LBB22_332
; %bb.328:
	global_load_dwordx2 v[3:4], v[1:2], off
	s_movk_i32 s0, 0xffe0
	s_waitcnt vmcnt(0)
	v_trunc_f64_e32 v[3:4], v[3:4]
	v_ldexp_f64 v[5:6], v[3:4], s0
	s_mov_b32 s0, 0
	s_mov_b32 s1, 0xc1f00000
	v_floor_f64_e32 v[5:6], v[5:6]
	v_fma_f64 v[3:4], v[5:6], s[0:1], v[3:4]
	s_mov_b64 s[0:1], 0
	v_cvt_u32_f64_e32 v3, v[3:4]
	s_branch .LBB22_333
.LBB22_329:
	s_mov_b64 s[0:1], -1
                                        ; implicit-def: $vgpr3
	s_branch .LBB22_351
.LBB22_330:
	s_mov_b64 s[0:1], -1
                                        ; implicit-def: $vgpr3
	s_branch .LBB22_339
.LBB22_331:
	s_mov_b64 s[0:1], -1
                                        ; implicit-def: $vgpr3
	s_branch .LBB22_336
.LBB22_332:
	s_mov_b64 s[0:1], -1
                                        ; implicit-def: $vgpr3
.LBB22_333:
	s_andn2_b64 vcc, exec, s[0:1]
	s_cbranch_vccnz .LBB22_335
; %bb.334:
	global_load_dword v3, v[1:2], off
	s_mov_b32 s0, 0x2f800000
	s_waitcnt vmcnt(0)
	v_trunc_f32_e32 v3, v3
	v_mul_f32_e64 v4, |v3|, s0
	v_floor_f32_e32 v4, v4
	s_mov_b32 s0, 0xcf800000
	v_fma_f32 v4, v4, s0, |v3|
	v_cvt_u32_f32_e32 v4, v4
	v_ashrrev_i32_e32 v3, 31, v3
	v_xor_b32_e32 v4, v4, v3
	v_sub_u32_e32 v3, v4, v3
.LBB22_335:
	s_mov_b64 s[0:1], 0
.LBB22_336:
	s_andn2_b64 vcc, exec, s[0:1]
	s_cbranch_vccnz .LBB22_338
; %bb.337:
	global_load_dword v3, v[1:2], off
	s_waitcnt vmcnt(0)
	v_cvt_f32_f16_e32 v3, v3
	v_cvt_i32_f32_e32 v3, v3
.LBB22_338:
	s_mov_b64 s[0:1], 0
.LBB22_339:
	s_andn2_b64 vcc, exec, s[0:1]
	s_cbranch_vccnz .LBB22_350
; %bb.340:
	s_cmp_lt_i32 s6, 6
	s_cbranch_scc1 .LBB22_343
; %bb.341:
	s_cmp_gt_i32 s6, 6
	s_cbranch_scc0 .LBB22_344
; %bb.342:
	global_load_dwordx2 v[3:4], v[1:2], off
	s_movk_i32 s0, 0xffe0
	s_waitcnt vmcnt(0)
	v_trunc_f64_e32 v[3:4], v[3:4]
	v_ldexp_f64 v[5:6], v[3:4], s0
	s_mov_b32 s0, 0
	s_mov_b32 s1, 0xc1f00000
	v_floor_f64_e32 v[5:6], v[5:6]
	v_fma_f64 v[3:4], v[5:6], s[0:1], v[3:4]
	s_mov_b64 s[0:1], 0
	v_cvt_u32_f64_e32 v3, v[3:4]
	s_branch .LBB22_345
.LBB22_343:
	s_mov_b64 s[0:1], -1
                                        ; implicit-def: $vgpr3
	s_branch .LBB22_348
.LBB22_344:
	s_mov_b64 s[0:1], -1
                                        ; implicit-def: $vgpr3
.LBB22_345:
	s_andn2_b64 vcc, exec, s[0:1]
	s_cbranch_vccnz .LBB22_347
; %bb.346:
	global_load_dword v3, v[1:2], off
	s_mov_b32 s0, 0x2f800000
	s_waitcnt vmcnt(0)
	v_trunc_f32_e32 v3, v3
	v_mul_f32_e64 v4, |v3|, s0
	v_floor_f32_e32 v4, v4
	s_mov_b32 s0, 0xcf800000
	v_fma_f32 v4, v4, s0, |v3|
	v_cvt_u32_f32_e32 v4, v4
	v_ashrrev_i32_e32 v3, 31, v3
	v_xor_b32_e32 v4, v4, v3
	v_sub_u32_e32 v3, v4, v3
.LBB22_347:
	s_mov_b64 s[0:1], 0
.LBB22_348:
	s_andn2_b64 vcc, exec, s[0:1]
	s_cbranch_vccnz .LBB22_350
; %bb.349:
	global_load_ushort v3, v[1:2], off
	s_waitcnt vmcnt(0)
	v_cvt_f32_f16_e32 v3, v3
	v_cvt_i32_f32_e32 v3, v3
.LBB22_350:
	s_mov_b64 s[0:1], 0
.LBB22_351:
	s_andn2_b64 vcc, exec, s[0:1]
	s_cbranch_vccnz .LBB22_371
; %bb.352:
	s_cmp_lt_i32 s6, 2
	s_cbranch_scc1 .LBB22_356
; %bb.353:
	s_cmp_lt_i32 s6, 3
	s_cbranch_scc1 .LBB22_357
; %bb.354:
	s_cmp_gt_i32 s6, 3
	s_cbranch_scc0 .LBB22_358
; %bb.355:
	global_load_dwordx2 v[3:4], v[1:2], off
	s_mov_b64 s[0:1], 0
	s_branch .LBB22_359
.LBB22_356:
	s_mov_b64 s[0:1], -1
                                        ; implicit-def: $vgpr3
	s_branch .LBB22_365
.LBB22_357:
	s_mov_b64 s[0:1], -1
                                        ; implicit-def: $vgpr3
	s_branch .LBB22_362
.LBB22_358:
	s_mov_b64 s[0:1], -1
                                        ; implicit-def: $vgpr3
.LBB22_359:
	s_andn2_b64 vcc, exec, s[0:1]
	s_cbranch_vccnz .LBB22_361
; %bb.360:
	global_load_dword v3, v[1:2], off
.LBB22_361:
	s_mov_b64 s[0:1], 0
.LBB22_362:
	s_andn2_b64 vcc, exec, s[0:1]
	s_cbranch_vccnz .LBB22_364
; %bb.363:
	global_load_ushort v3, v[1:2], off
.LBB22_364:
	s_mov_b64 s[0:1], 0
.LBB22_365:
	s_andn2_b64 vcc, exec, s[0:1]
	s_cbranch_vccnz .LBB22_371
; %bb.366:
	s_cmp_gt_i32 s6, 0
	s_cbranch_scc0 .LBB22_368
; %bb.367:
	global_load_ubyte v3, v[1:2], off
	s_mov_b64 s[0:1], 0
	s_branch .LBB22_369
.LBB22_368:
	s_mov_b64 s[0:1], -1
                                        ; implicit-def: $vgpr3
.LBB22_369:
	s_andn2_b64 vcc, exec, s[0:1]
	s_cbranch_vccnz .LBB22_371
; %bb.370:
	global_load_ubyte v3, v[1:2], off
.LBB22_371:
	s_branch .LBB22_21
.LBB22_372:
	s_mov_b64 s[0:1], 0
.LBB22_373:
                                        ; implicit-def: $vgpr11
	s_mov_b64 s[24:25], 0
.LBB22_374:
	s_and_b64 s[6:7], s[0:1], exec
	s_and_b64 s[18:19], s[18:19], exec
	;; [unrolled: 1-line block ×3, first 2 shown]
	s_orn2_b64 s[0:1], s[24:25], exec
.LBB22_375:
	s_or_b64 exec, exec, s[22:23]
	s_mov_b64 s[30:31], 0
	s_mov_b64 s[28:29], 0
                                        ; implicit-def: $sgpr55
                                        ; implicit-def: $vgpr2_vgpr3
                                        ; implicit-def: $vgpr0
	s_and_saveexec_b64 s[22:23], s[0:1]
	s_cbranch_execz .LBB22_384
; %bb.376:
	v_cmp_gt_i32_e32 vcc, s48, v11
	s_mov_b64 s[0:1], -1
	s_mov_b64 s[24:25], s[20:21]
	s_mov_b64 s[26:27], s[18:19]
	;; [unrolled: 1-line block ×3, first 2 shown]
	s_and_saveexec_b64 s[30:31], vcc
	s_cbranch_execz .LBB22_757
; %bb.377:
	s_waitcnt vmcnt(0)
	v_mul_lo_u32 v0, v11, s13
	v_mov_b32_e32 v1, s11
	s_and_b32 s28, s54, 0xff
	s_cmp_lt_i32 s28, 11
	v_ashrrev_i32_e32 v3, 31, v0
	v_add_co_u32_e32 v2, vcc, s10, v0
	v_addc_co_u32_e32 v3, vcc, v1, v3, vcc
	s_cbranch_scc1 .LBB22_387
; %bb.378:
	s_and_b32 s29, 0xffff, s28
	s_cmp_gt_i32 s29, 25
	s_cbranch_scc0 .LBB22_396
; %bb.379:
	s_cmp_gt_i32 s29, 28
	s_cbranch_scc0 .LBB22_398
; %bb.380:
	;; [unrolled: 3-line block ×4, first 2 shown]
	s_cmp_eq_u32 s29, 46
	s_mov_b64 s[26:27], 0
	s_cbranch_scc0 .LBB22_406
; %bb.383:
	global_load_dword v0, v[2:3], off
	s_mov_b32 s0, 0x2f800000
	s_mov_b32 s1, 0xcf800000
	s_mov_b64 s[24:25], 0
	s_waitcnt vmcnt(0)
	v_lshlrev_b32_e32 v0, 16, v0
	v_trunc_f32_e32 v0, v0
	v_mul_f32_e64 v1, |v0|, s0
	v_floor_f32_e32 v1, v1
	v_fma_f32 v1, v1, s1, |v0|
	v_cvt_u32_f32_e32 v1, v1
	v_ashrrev_i32_e32 v0, 31, v0
	s_mov_b64 s[0:1], -1
	v_xor_b32_e32 v1, v1, v0
	v_sub_u32_e32 v0, v1, v0
	s_branch .LBB22_407
.LBB22_384:
	s_or_b64 exec, exec, s[22:23]
	s_mov_b64 s[22:23], 0
	s_and_saveexec_b64 s[0:1], s[20:21]
	s_cbranch_execnz .LBB22_1220
.LBB22_385:
	s_or_b64 exec, exec, s[0:1]
	s_and_saveexec_b64 s[0:1], s[26:27]
	s_xor_b64 s[0:1], exec, s[0:1]
	s_cbranch_execz .LBB22_1221
.LBB22_386:
	s_waitcnt vmcnt(0)
	global_load_ubyte v0, v[2:3], off
	s_or_b64 s[28:29], s[28:29], exec
	s_waitcnt vmcnt(0)
	v_cmp_ne_u16_e32 vcc, 0, v0
	v_cndmask_b32_e64 v0, 0, 1, vcc
	s_or_b64 exec, exec, s[0:1]
	s_and_saveexec_b64 s[0:1], s[30:31]
	s_cbranch_execz .LBB22_1267
	s_branch .LBB22_1222
.LBB22_387:
	s_mov_b64 s[0:1], 0
                                        ; implicit-def: $vgpr0
	s_mov_b64 s[24:25], s[20:21]
	s_cbranch_execnz .LBB22_469
.LBB22_388:
	s_andn2_b64 vcc, exec, s[0:1]
	s_cbranch_vccnz .LBB22_517
.LBB22_389:
	s_waitcnt vmcnt(0)
	v_mul_lo_u32 v1, v11, s14
	v_mov_b32_e32 v2, s3
	s_and_b32 s34, s15, 0xff
	s_cmp_lt_i32 s34, 11
	v_ashrrev_i32_e32 v3, 31, v1
	v_add_co_u32_e32 v1, vcc, s2, v1
	v_addc_co_u32_e32 v2, vcc, v2, v3, vcc
	s_cbranch_scc1 .LBB22_397
; %bb.390:
	s_and_b32 s35, 0xffff, s34
	s_cmp_gt_i32 s35, 25
	s_cbranch_scc0 .LBB22_399
; %bb.391:
	s_cmp_gt_i32 s35, 28
	s_cbranch_scc0 .LBB22_401
; %bb.392:
	;; [unrolled: 3-line block ×4, first 2 shown]
	s_cmp_eq_u32 s35, 46
	s_mov_b64 s[28:29], 0
	s_cbranch_scc0 .LBB22_521
; %bb.395:
	global_load_dword v3, v[1:2], off
	s_mov_b32 s0, 0x2f800000
	s_mov_b32 s1, 0xcf800000
	s_mov_b64 s[26:27], 0
	s_waitcnt vmcnt(0)
	v_lshlrev_b32_e32 v3, 16, v3
	v_trunc_f32_e32 v3, v3
	v_mul_f32_e64 v4, |v3|, s0
	v_floor_f32_e32 v4, v4
	v_fma_f32 v4, v4, s1, |v3|
	v_cvt_u32_f32_e32 v4, v4
	v_ashrrev_i32_e32 v3, 31, v3
	s_mov_b64 s[0:1], -1
	v_xor_b32_e32 v4, v4, v3
	v_sub_u32_e32 v3, v4, v3
	s_branch .LBB22_522
.LBB22_396:
	s_mov_b64 s[26:27], -1
	s_mov_b64 s[0:1], 0
	s_mov_b64 s[24:25], s[20:21]
                                        ; implicit-def: $vgpr0
	s_branch .LBB22_435
.LBB22_397:
	s_mov_b64 s[28:29], -1
	s_mov_b64 s[0:1], 0
                                        ; implicit-def: $vgpr3
	s_mov_b64 s[26:27], s[18:19]
	s_branch .LBB22_583
.LBB22_398:
	s_mov_b64 s[26:27], -1
	s_mov_b64 s[0:1], 0
	s_mov_b64 s[24:25], s[20:21]
                                        ; implicit-def: $vgpr0
	s_branch .LBB22_418
.LBB22_399:
	s_mov_b64 s[28:29], -1
	s_mov_b64 s[0:1], 0
	s_mov_b64 s[26:27], s[18:19]
                                        ; implicit-def: $vgpr3
	s_branch .LBB22_549
.LBB22_400:
	s_mov_b64 s[26:27], -1
	s_mov_b64 s[0:1], 0
	s_mov_b64 s[24:25], s[20:21]
                                        ; implicit-def: $vgpr0
	s_branch .LBB22_413
.LBB22_401:
	s_mov_b64 s[28:29], -1
	s_mov_b64 s[0:1], 0
	s_mov_b64 s[26:27], s[18:19]
                                        ; implicit-def: $vgpr3
	s_branch .LBB22_532
.LBB22_402:
	s_mov_b64 s[26:27], -1
	s_mov_b64 s[0:1], 0
	s_mov_b64 s[24:25], s[20:21]
                                        ; implicit-def: $vgpr0
	s_branch .LBB22_407
.LBB22_403:
	s_mov_b64 s[28:29], -1
	s_mov_b64 s[0:1], 0
	s_mov_b64 s[26:27], s[18:19]
                                        ; implicit-def: $vgpr3
	s_branch .LBB22_527
.LBB22_404:
	s_andn2_saveexec_b64 s[28:29], s[28:29]
	s_cbranch_execz .LBB22_176
.LBB22_405:
	v_add_f32_e32 v3, 0x46000000, v4
	v_and_b32_e32 v3, 0xff, v3
	v_cmp_ne_u32_e32 vcc, 0, v3
	s_andn2_b64 s[24:25], s[24:25], exec
	s_and_b64 s[34:35], vcc, exec
	s_or_b64 s[24:25], s[24:25], s[34:35]
	s_or_b64 exec, exec, s[28:29]
	v_mov_b32_e32 v5, 0
	s_and_saveexec_b64 s[28:29], s[24:25]
	s_cbranch_execnz .LBB22_177
	s_branch .LBB22_178
.LBB22_406:
	s_mov_b64 s[24:25], -1
                                        ; implicit-def: $vgpr0
	s_mov_b64 s[0:1], 0
.LBB22_407:
	s_and_b64 vcc, exec, s[26:27]
	s_cbranch_vccz .LBB22_412
; %bb.408:
	s_cmp_eq_u32 s29, 44
	s_cbranch_scc0 .LBB22_411
; %bb.409:
	global_load_ubyte v0, v[2:3], off
	s_mov_b32 s0, 0x2f800000
	s_mov_b32 s1, 0xcf800000
	s_mov_b64 s[24:25], 0
	s_waitcnt vmcnt(0)
	v_lshlrev_b32_e32 v1, 23, v0
	v_trunc_f32_e32 v1, v1
	v_mul_f32_e64 v4, |v1|, s0
	v_floor_f32_e32 v4, v4
	v_fma_f32 v4, v4, s1, |v1|
	v_cvt_u32_f32_e32 v4, v4
	v_ashrrev_i32_e32 v1, 31, v1
	v_cmp_ne_u32_e32 vcc, 0, v0
	s_mov_b64 s[0:1], -1
	v_xor_b32_e32 v4, v4, v1
	v_sub_u32_e32 v1, v4, v1
	v_cndmask_b32_e32 v0, 0, v1, vcc
	s_branch .LBB22_412
.LBB22_410:
	s_mov_b64 s[28:29], -1
	s_mov_b64 s[0:1], 0
	s_mov_b64 s[26:27], s[18:19]
                                        ; implicit-def: $vgpr3
	s_branch .LBB22_522
.LBB22_411:
	s_mov_b64 s[24:25], -1
                                        ; implicit-def: $vgpr0
.LBB22_412:
	s_mov_b64 s[26:27], 0
.LBB22_413:
	s_and_b64 vcc, exec, s[26:27]
	s_cbranch_vccz .LBB22_417
; %bb.414:
	s_cmp_eq_u32 s29, 29
	s_cbranch_scc0 .LBB22_416
; %bb.415:
	global_load_dwordx2 v[0:1], v[2:3], off
	s_mov_b64 s[0:1], -1
	s_mov_b64 s[24:25], 0
	s_branch .LBB22_417
.LBB22_416:
	s_mov_b64 s[24:25], -1
                                        ; implicit-def: $vgpr0
.LBB22_417:
	s_mov_b64 s[26:27], 0
.LBB22_418:
	s_and_b64 vcc, exec, s[26:27]
	s_cbranch_vccz .LBB22_434
; %bb.419:
	s_cmp_lt_i32 s29, 27
	s_cbranch_scc1 .LBB22_422
; %bb.420:
	s_cmp_gt_i32 s29, 27
	s_cbranch_scc0 .LBB22_423
; %bb.421:
	global_load_dword v0, v[2:3], off
	s_mov_b64 s[0:1], 0
	s_branch .LBB22_424
.LBB22_422:
	s_mov_b64 s[0:1], -1
                                        ; implicit-def: $vgpr0
	s_branch .LBB22_427
.LBB22_423:
	s_mov_b64 s[0:1], -1
                                        ; implicit-def: $vgpr0
.LBB22_424:
	s_andn2_b64 vcc, exec, s[0:1]
	s_cbranch_vccnz .LBB22_426
; %bb.425:
	global_load_ushort v0, v[2:3], off
.LBB22_426:
	s_mov_b64 s[0:1], 0
.LBB22_427:
	s_andn2_b64 vcc, exec, s[0:1]
	s_cbranch_vccnz .LBB22_433
; %bb.428:
	global_load_ubyte v1, v[2:3], off
	s_movk_i32 s0, 0x7f
	s_mov_b64 s[26:27], 0
	s_waitcnt vmcnt(0)
	v_cmp_lt_i16_e32 vcc, s0, v1
	s_and_saveexec_b64 s[0:1], vcc
	s_xor_b64 s[0:1], exec, s[0:1]
	s_cbranch_execz .LBB22_445
; %bb.429:
	s_movk_i32 s26, 0x80
	v_cmp_ne_u16_e32 vcc, s26, v1
	s_and_b64 s[26:27], vcc, exec
	s_andn2_saveexec_b64 s[0:1], s[0:1]
	s_cbranch_execnz .LBB22_446
.LBB22_430:
	s_or_b64 exec, exec, s[0:1]
	v_mov_b32_e32 v0, 0
	s_and_saveexec_b64 s[0:1], s[26:27]
	s_cbranch_execz .LBB22_432
.LBB22_431:
	v_lshlrev_b32_e32 v0, 24, v1
	v_and_b32_e32 v1, 0xffff, v1
	v_and_b32_e32 v4, 7, v1
	v_ffbh_u32_e32 v6, v4
	v_min_u32_e32 v6, 32, v6
	v_subrev_u32_e32 v7, 28, v6
	v_bfe_u32 v5, v1, 3, 4
	v_lshlrev_b32_e32 v1, v7, v1
	v_sub_u32_e32 v6, 29, v6
	v_and_b32_e32 v1, 7, v1
	v_cmp_eq_u32_e32 vcc, 0, v5
	v_cndmask_b32_e32 v5, v5, v6, vcc
	v_cndmask_b32_e32 v1, v4, v1, vcc
	v_mov_b32_e32 v4, 0x3b800000
	v_lshlrev_b32_e32 v1, 20, v1
	v_and_b32_e32 v0, 0x80000000, v0
	v_lshl_add_u32 v4, v5, 23, v4
	v_or3_b32 v0, v0, v4, v1
	v_trunc_f32_e32 v0, v0
	s_mov_b32 s26, 0x2f800000
	v_mul_f32_e64 v1, |v0|, s26
	v_floor_f32_e32 v1, v1
	s_mov_b32 s26, 0xcf800000
	v_fma_f32 v1, v1, s26, |v0|
	v_cvt_u32_f32_e32 v1, v1
	v_ashrrev_i32_e32 v0, 31, v0
	v_xor_b32_e32 v1, v1, v0
	v_sub_u32_e32 v0, v1, v0
.LBB22_432:
	s_or_b64 exec, exec, s[0:1]
.LBB22_433:
	s_mov_b64 s[0:1], -1
.LBB22_434:
	s_mov_b64 s[26:27], 0
.LBB22_435:
	s_and_b64 vcc, exec, s[26:27]
	s_cbranch_vccz .LBB22_468
; %bb.436:
	s_cmp_gt_i32 s29, 22
	s_cbranch_scc0 .LBB22_444
; %bb.437:
	s_cmp_lt_i32 s29, 24
	s_cbranch_scc1 .LBB22_447
; %bb.438:
	s_cmp_gt_i32 s29, 24
	s_cbranch_scc0 .LBB22_448
; %bb.439:
	global_load_ubyte v1, v[2:3], off
	s_movk_i32 s0, 0x7f
	s_mov_b64 s[26:27], 0
	s_waitcnt vmcnt(0)
	v_cmp_lt_i16_e32 vcc, s0, v1
	s_and_saveexec_b64 s[0:1], vcc
	s_xor_b64 s[0:1], exec, s[0:1]
	s_cbranch_execz .LBB22_460
; %bb.440:
	s_movk_i32 s26, 0x80
	v_cmp_ne_u16_e32 vcc, s26, v1
	s_and_b64 s[26:27], vcc, exec
	s_andn2_saveexec_b64 s[0:1], s[0:1]
	s_cbranch_execnz .LBB22_461
.LBB22_441:
	s_or_b64 exec, exec, s[0:1]
	v_mov_b32_e32 v0, 0
	s_and_saveexec_b64 s[0:1], s[26:27]
	s_cbranch_execz .LBB22_443
.LBB22_442:
	v_lshlrev_b32_e32 v0, 24, v1
	v_and_b32_e32 v1, 0xffff, v1
	v_and_b32_e32 v4, 3, v1
	v_ffbh_u32_e32 v6, v4
	v_min_u32_e32 v6, 32, v6
	v_subrev_u32_e32 v7, 29, v6
	v_bfe_u32 v5, v1, 2, 5
	v_lshlrev_b32_e32 v1, v7, v1
	v_sub_u32_e32 v6, 30, v6
	v_and_b32_e32 v1, 3, v1
	v_cmp_eq_u32_e32 vcc, 0, v5
	v_cndmask_b32_e32 v5, v5, v6, vcc
	v_cndmask_b32_e32 v1, v4, v1, vcc
	v_mov_b32_e32 v4, 0x37800000
	v_lshlrev_b32_e32 v1, 21, v1
	v_and_b32_e32 v0, 0x80000000, v0
	v_lshl_add_u32 v4, v5, 23, v4
	v_or3_b32 v0, v0, v4, v1
	v_trunc_f32_e32 v0, v0
	s_mov_b32 s26, 0x2f800000
	v_mul_f32_e64 v1, |v0|, s26
	v_floor_f32_e32 v1, v1
	s_mov_b32 s26, 0xcf800000
	v_fma_f32 v1, v1, s26, |v0|
	v_cvt_u32_f32_e32 v1, v1
	v_ashrrev_i32_e32 v0, 31, v0
	v_xor_b32_e32 v1, v1, v0
	v_sub_u32_e32 v0, v1, v0
.LBB22_443:
	s_or_b64 exec, exec, s[0:1]
	s_mov_b64 s[0:1], 0
	s_branch .LBB22_449
.LBB22_444:
	s_mov_b64 s[26:27], -1
                                        ; implicit-def: $vgpr0
	s_branch .LBB22_455
.LBB22_445:
	s_andn2_saveexec_b64 s[0:1], s[0:1]
	s_cbranch_execz .LBB22_430
.LBB22_446:
	v_cmp_ne_u16_e32 vcc, 0, v1
	s_andn2_b64 s[26:27], s[26:27], exec
	s_and_b64 s[34:35], vcc, exec
	s_or_b64 s[26:27], s[26:27], s[34:35]
	s_or_b64 exec, exec, s[0:1]
	v_mov_b32_e32 v0, 0
	s_and_saveexec_b64 s[0:1], s[26:27]
	s_cbranch_execnz .LBB22_431
	s_branch .LBB22_432
.LBB22_447:
	s_mov_b64 s[0:1], -1
                                        ; implicit-def: $vgpr0
	s_branch .LBB22_452
.LBB22_448:
	s_mov_b64 s[0:1], -1
                                        ; implicit-def: $vgpr0
.LBB22_449:
	s_and_b64 vcc, exec, s[0:1]
	s_cbranch_vccz .LBB22_451
; %bb.450:
	global_load_ubyte v0, v[2:3], off
	s_mov_b32 s0, 0x7f800000
	s_brev_b32 s1, 1
	s_mov_b32 s26, 0x2f800000
	s_waitcnt vmcnt(0)
	v_lshlrev_b32_e32 v0, 24, v0
	v_and_b32_e32 v1, 0x7f000000, v0
	v_ffbh_u32_e32 v4, v1
	v_min_u32_e32 v4, 32, v4
	v_sub_u32_e64 v4, v4, 4 clamp
	v_lshlrev_b32_e32 v6, v4, v1
	v_lshlrev_b32_e32 v4, 23, v4
	v_lshrrev_b32_e32 v6, 4, v6
	v_add_u32_e32 v5, 0x1000000, v1
	v_sub_u32_e32 v4, v6, v4
	v_ashrrev_i32_e32 v5, 8, v5
	v_add_u32_e32 v4, 0x3c000000, v4
	v_and_or_b32 v4, v5, s0, v4
	v_cmp_ne_u32_e32 vcc, 0, v1
	v_cndmask_b32_e32 v1, 0, v4, vcc
	v_and_or_b32 v0, v0, s1, v1
	v_trunc_f32_e32 v0, v0
	v_mul_f32_e64 v1, |v0|, s26
	v_floor_f32_e32 v1, v1
	s_mov_b32 s0, 0xcf800000
	v_fma_f32 v1, v1, s0, |v0|
	v_cvt_u32_f32_e32 v1, v1
	v_ashrrev_i32_e32 v0, 31, v0
	v_xor_b32_e32 v1, v1, v0
	v_sub_u32_e32 v0, v1, v0
.LBB22_451:
	s_mov_b64 s[0:1], 0
.LBB22_452:
	s_andn2_b64 vcc, exec, s[0:1]
	s_cbranch_vccnz .LBB22_454
; %bb.453:
	global_load_ubyte v0, v[2:3], off
	s_movk_i32 s0, 0x7f00
	s_brev_b32 s1, 16
	s_brev_b32 s26, 1
	s_mov_b32 s27, 0x2f800000
	s_waitcnt vmcnt(0)
	v_lshlrev_b16_e32 v1, 8, v0
	v_lshlrev_b32_e32 v0, 25, v0
	v_lshrrev_b32_e32 v4, 4, v0
	v_and_or_b32 v5, v1, s0, 0.5
	v_or_b32_e32 v4, 0x70000000, v4
	v_add_f32_e32 v5, -0.5, v5
	v_mul_f32_e32 v4, 0x7800000, v4
	v_cmp_gt_u32_e32 vcc, s1, v0
	v_bfe_i32 v1, v1, 0, 16
	v_cndmask_b32_e32 v0, v4, v5, vcc
	v_and_or_b32 v0, v1, s26, v0
	v_trunc_f32_e32 v0, v0
	v_mul_f32_e64 v1, |v0|, s27
	v_floor_f32_e32 v1, v1
	s_mov_b32 s0, 0xcf800000
	v_fma_f32 v1, v1, s0, |v0|
	v_cvt_u32_f32_e32 v1, v1
	v_ashrrev_i32_e32 v0, 31, v0
	v_xor_b32_e32 v1, v1, v0
	v_sub_u32_e32 v0, v1, v0
.LBB22_454:
	s_mov_b64 s[26:27], 0
	s_mov_b64 s[0:1], -1
.LBB22_455:
	s_andn2_b64 vcc, exec, s[26:27]
	s_cbranch_vccnz .LBB22_468
; %bb.456:
	s_cmp_gt_i32 s29, 14
	s_cbranch_scc0 .LBB22_459
; %bb.457:
	s_cmp_eq_u32 s29, 15
	s_cbranch_scc0 .LBB22_462
; %bb.458:
	global_load_ushort v0, v[2:3], off
	s_mov_b32 s0, 0x2f800000
	s_mov_b32 s1, 0xcf800000
	s_mov_b64 s[24:25], 0
	s_waitcnt vmcnt(0)
	v_lshlrev_b32_e32 v0, 16, v0
	v_trunc_f32_e32 v0, v0
	v_mul_f32_e64 v1, |v0|, s0
	v_floor_f32_e32 v1, v1
	v_fma_f32 v1, v1, s1, |v0|
	v_cvt_u32_f32_e32 v1, v1
	v_ashrrev_i32_e32 v0, 31, v0
	s_mov_b64 s[0:1], -1
	v_xor_b32_e32 v1, v1, v0
	v_sub_u32_e32 v0, v1, v0
	s_branch .LBB22_463
.LBB22_459:
	s_mov_b64 s[26:27], -1
                                        ; implicit-def: $vgpr0
	s_branch .LBB22_464
.LBB22_460:
	s_andn2_saveexec_b64 s[0:1], s[0:1]
	s_cbranch_execz .LBB22_441
.LBB22_461:
	v_cmp_ne_u16_e32 vcc, 0, v1
	s_andn2_b64 s[26:27], s[26:27], exec
	s_and_b64 s[34:35], vcc, exec
	s_or_b64 s[26:27], s[26:27], s[34:35]
	s_or_b64 exec, exec, s[0:1]
	v_mov_b32_e32 v0, 0
	s_and_saveexec_b64 s[0:1], s[26:27]
	s_cbranch_execnz .LBB22_442
	s_branch .LBB22_443
.LBB22_462:
	s_mov_b64 s[24:25], -1
                                        ; implicit-def: $vgpr0
.LBB22_463:
	s_mov_b64 s[26:27], 0
.LBB22_464:
	s_and_b64 vcc, exec, s[26:27]
	s_cbranch_vccz .LBB22_468
; %bb.465:
	s_cmp_eq_u32 s29, 11
	s_cbranch_scc0 .LBB22_467
; %bb.466:
	global_load_ubyte v0, v[2:3], off
	s_mov_b64 s[0:1], -1
	s_mov_b64 s[24:25], 0
	s_waitcnt vmcnt(0)
	v_cmp_ne_u16_e32 vcc, 0, v0
	v_cndmask_b32_e64 v0, 0, 1, vcc
	s_branch .LBB22_468
.LBB22_467:
	s_mov_b64 s[24:25], -1
                                        ; implicit-def: $vgpr0
.LBB22_468:
	s_branch .LBB22_388
.LBB22_469:
	s_and_b32 s26, 0xffff, s28
	s_cmp_lt_i32 s26, 5
	s_cbranch_scc1 .LBB22_474
; %bb.470:
	s_cmp_lt_i32 s26, 8
	s_cbranch_scc1 .LBB22_475
; %bb.471:
	;; [unrolled: 3-line block ×3, first 2 shown]
	s_cmp_gt_i32 s26, 9
	s_cbranch_scc0 .LBB22_477
; %bb.473:
	global_load_dwordx2 v[0:1], v[2:3], off
	s_movk_i32 s0, 0xffe0
	s_waitcnt vmcnt(0)
	v_trunc_f64_e32 v[0:1], v[0:1]
	v_ldexp_f64 v[4:5], v[0:1], s0
	s_mov_b32 s0, 0
	s_mov_b32 s1, 0xc1f00000
	v_floor_f64_e32 v[4:5], v[4:5]
	v_fma_f64 v[0:1], v[4:5], s[0:1], v[0:1]
	s_mov_b64 s[0:1], 0
	v_cvt_u32_f64_e32 v0, v[0:1]
	s_branch .LBB22_478
.LBB22_474:
	s_mov_b64 s[0:1], -1
                                        ; implicit-def: $vgpr0
	s_branch .LBB22_496
.LBB22_475:
	s_mov_b64 s[0:1], -1
                                        ; implicit-def: $vgpr0
	s_branch .LBB22_484
.LBB22_476:
	s_mov_b64 s[0:1], -1
                                        ; implicit-def: $vgpr0
	s_branch .LBB22_481
.LBB22_477:
	s_mov_b64 s[0:1], -1
                                        ; implicit-def: $vgpr0
.LBB22_478:
	s_andn2_b64 vcc, exec, s[0:1]
	s_cbranch_vccnz .LBB22_480
; %bb.479:
	global_load_dword v0, v[2:3], off
	s_mov_b32 s0, 0x2f800000
	s_waitcnt vmcnt(0)
	v_trunc_f32_e32 v0, v0
	v_mul_f32_e64 v1, |v0|, s0
	v_floor_f32_e32 v1, v1
	s_mov_b32 s0, 0xcf800000
	v_fma_f32 v1, v1, s0, |v0|
	v_cvt_u32_f32_e32 v1, v1
	v_ashrrev_i32_e32 v0, 31, v0
	v_xor_b32_e32 v1, v1, v0
	v_sub_u32_e32 v0, v1, v0
.LBB22_480:
	s_mov_b64 s[0:1], 0
.LBB22_481:
	s_andn2_b64 vcc, exec, s[0:1]
	s_cbranch_vccnz .LBB22_483
; %bb.482:
	global_load_dword v0, v[2:3], off
	s_waitcnt vmcnt(0)
	v_cvt_f32_f16_e32 v0, v0
	v_cvt_i32_f32_e32 v0, v0
.LBB22_483:
	s_mov_b64 s[0:1], 0
.LBB22_484:
	s_andn2_b64 vcc, exec, s[0:1]
	s_cbranch_vccnz .LBB22_495
; %bb.485:
	s_cmp_lt_i32 s26, 6
	s_cbranch_scc1 .LBB22_488
; %bb.486:
	s_cmp_gt_i32 s26, 6
	s_cbranch_scc0 .LBB22_489
; %bb.487:
	global_load_dwordx2 v[0:1], v[2:3], off
	s_movk_i32 s0, 0xffe0
	s_waitcnt vmcnt(0)
	v_trunc_f64_e32 v[0:1], v[0:1]
	v_ldexp_f64 v[4:5], v[0:1], s0
	s_mov_b32 s0, 0
	s_mov_b32 s1, 0xc1f00000
	v_floor_f64_e32 v[4:5], v[4:5]
	v_fma_f64 v[0:1], v[4:5], s[0:1], v[0:1]
	s_mov_b64 s[0:1], 0
	v_cvt_u32_f64_e32 v0, v[0:1]
	s_branch .LBB22_490
.LBB22_488:
	s_mov_b64 s[0:1], -1
                                        ; implicit-def: $vgpr0
	s_branch .LBB22_493
.LBB22_489:
	s_mov_b64 s[0:1], -1
                                        ; implicit-def: $vgpr0
.LBB22_490:
	s_andn2_b64 vcc, exec, s[0:1]
	s_cbranch_vccnz .LBB22_492
; %bb.491:
	global_load_dword v0, v[2:3], off
	s_mov_b32 s0, 0x2f800000
	s_waitcnt vmcnt(0)
	v_trunc_f32_e32 v0, v0
	v_mul_f32_e64 v1, |v0|, s0
	v_floor_f32_e32 v1, v1
	s_mov_b32 s0, 0xcf800000
	v_fma_f32 v1, v1, s0, |v0|
	v_cvt_u32_f32_e32 v1, v1
	v_ashrrev_i32_e32 v0, 31, v0
	v_xor_b32_e32 v1, v1, v0
	v_sub_u32_e32 v0, v1, v0
.LBB22_492:
	s_mov_b64 s[0:1], 0
.LBB22_493:
	s_andn2_b64 vcc, exec, s[0:1]
	s_cbranch_vccnz .LBB22_495
; %bb.494:
	global_load_ushort v0, v[2:3], off
	s_waitcnt vmcnt(0)
	v_cvt_f32_f16_e32 v0, v0
	v_cvt_i32_f32_e32 v0, v0
.LBB22_495:
	s_mov_b64 s[0:1], 0
.LBB22_496:
	s_andn2_b64 vcc, exec, s[0:1]
	s_cbranch_vccnz .LBB22_516
; %bb.497:
	s_cmp_lt_i32 s26, 2
	s_cbranch_scc1 .LBB22_501
; %bb.498:
	s_cmp_lt_i32 s26, 3
	s_cbranch_scc1 .LBB22_502
; %bb.499:
	s_cmp_gt_i32 s26, 3
	s_cbranch_scc0 .LBB22_503
; %bb.500:
	global_load_dwordx2 v[0:1], v[2:3], off
	s_mov_b64 s[0:1], 0
	s_branch .LBB22_504
.LBB22_501:
	s_mov_b64 s[0:1], -1
                                        ; implicit-def: $vgpr0
	s_branch .LBB22_510
.LBB22_502:
	s_mov_b64 s[0:1], -1
                                        ; implicit-def: $vgpr0
	s_branch .LBB22_507
.LBB22_503:
	s_mov_b64 s[0:1], -1
                                        ; implicit-def: $vgpr0
.LBB22_504:
	s_andn2_b64 vcc, exec, s[0:1]
	s_cbranch_vccnz .LBB22_506
; %bb.505:
	global_load_dword v0, v[2:3], off
.LBB22_506:
	s_mov_b64 s[0:1], 0
.LBB22_507:
	s_andn2_b64 vcc, exec, s[0:1]
	s_cbranch_vccnz .LBB22_509
; %bb.508:
	global_load_ushort v0, v[2:3], off
.LBB22_509:
	s_mov_b64 s[0:1], 0
.LBB22_510:
	s_andn2_b64 vcc, exec, s[0:1]
	s_cbranch_vccnz .LBB22_516
; %bb.511:
	s_cmp_gt_i32 s26, 0
	s_cbranch_scc0 .LBB22_513
; %bb.512:
	global_load_ubyte v0, v[2:3], off
	s_mov_b64 s[0:1], 0
	s_branch .LBB22_514
.LBB22_513:
	s_mov_b64 s[0:1], -1
                                        ; implicit-def: $vgpr0
.LBB22_514:
	s_andn2_b64 vcc, exec, s[0:1]
	s_cbranch_vccnz .LBB22_516
; %bb.515:
	global_load_ubyte v0, v[2:3], off
.LBB22_516:
	s_branch .LBB22_389
.LBB22_517:
	s_mov_b64 s[34:35], 0
	s_mov_b64 s[0:1], s[6:7]
	;; [unrolled: 1-line block ×3, first 2 shown]
.LBB22_518:
                                        ; implicit-def: $vgpr11
	s_branch .LBB22_756
.LBB22_519:
	s_andn2_saveexec_b64 s[28:29], s[28:29]
	s_cbranch_execz .LBB22_189
.LBB22_520:
	v_add_f32_e32 v3, 0x42800000, v4
	v_and_b32_e32 v3, 0xff, v3
	v_cmp_ne_u32_e32 vcc, 0, v3
	s_andn2_b64 s[24:25], s[24:25], exec
	s_and_b64 s[34:35], vcc, exec
	s_or_b64 s[24:25], s[24:25], s[34:35]
	s_or_b64 exec, exec, s[28:29]
	v_mov_b32_e32 v5, 0
	s_and_saveexec_b64 s[28:29], s[24:25]
	s_cbranch_execnz .LBB22_190
	s_branch .LBB22_191
.LBB22_521:
	s_mov_b64 s[26:27], -1
                                        ; implicit-def: $vgpr3
	s_mov_b64 s[0:1], 0
.LBB22_522:
	s_and_b64 vcc, exec, s[28:29]
	s_cbranch_vccz .LBB22_526
; %bb.523:
	s_cmp_eq_u32 s35, 44
	s_cbranch_scc0 .LBB22_525
; %bb.524:
	global_load_ubyte v3, v[1:2], off
	s_mov_b32 s0, 0x2f800000
	s_mov_b32 s1, 0xcf800000
	s_mov_b64 s[26:27], 0
	s_waitcnt vmcnt(0)
	v_lshlrev_b32_e32 v4, 23, v3
	v_trunc_f32_e32 v4, v4
	v_mul_f32_e64 v5, |v4|, s0
	v_floor_f32_e32 v5, v5
	v_fma_f32 v5, v5, s1, |v4|
	v_cvt_u32_f32_e32 v5, v5
	v_ashrrev_i32_e32 v4, 31, v4
	v_cmp_ne_u32_e32 vcc, 0, v3
	s_mov_b64 s[0:1], -1
	v_xor_b32_e32 v5, v5, v4
	v_sub_u32_e32 v4, v5, v4
	v_cndmask_b32_e32 v3, 0, v4, vcc
	s_branch .LBB22_526
.LBB22_525:
	s_mov_b64 s[26:27], -1
                                        ; implicit-def: $vgpr3
.LBB22_526:
	s_mov_b64 s[28:29], 0
.LBB22_527:
	s_and_b64 vcc, exec, s[28:29]
	s_cbranch_vccz .LBB22_531
; %bb.528:
	s_cmp_eq_u32 s35, 29
	s_cbranch_scc0 .LBB22_530
; %bb.529:
	global_load_dwordx2 v[3:4], v[1:2], off
	s_mov_b64 s[0:1], -1
	s_mov_b64 s[26:27], 0
	s_branch .LBB22_531
.LBB22_530:
	s_mov_b64 s[26:27], -1
                                        ; implicit-def: $vgpr3
.LBB22_531:
	s_mov_b64 s[28:29], 0
.LBB22_532:
	s_and_b64 vcc, exec, s[28:29]
	s_cbranch_vccz .LBB22_548
; %bb.533:
	s_cmp_lt_i32 s35, 27
	s_cbranch_scc1 .LBB22_536
; %bb.534:
	s_cmp_gt_i32 s35, 27
	s_cbranch_scc0 .LBB22_537
; %bb.535:
	global_load_dword v3, v[1:2], off
	s_mov_b64 s[0:1], 0
	s_branch .LBB22_538
.LBB22_536:
	s_mov_b64 s[0:1], -1
                                        ; implicit-def: $vgpr3
	s_branch .LBB22_541
.LBB22_537:
	s_mov_b64 s[0:1], -1
                                        ; implicit-def: $vgpr3
.LBB22_538:
	s_andn2_b64 vcc, exec, s[0:1]
	s_cbranch_vccnz .LBB22_540
; %bb.539:
	global_load_ushort v3, v[1:2], off
.LBB22_540:
	s_mov_b64 s[0:1], 0
.LBB22_541:
	s_andn2_b64 vcc, exec, s[0:1]
	s_cbranch_vccnz .LBB22_547
; %bb.542:
	global_load_ubyte v4, v[1:2], off
	s_movk_i32 s0, 0x7f
	s_mov_b64 s[28:29], 0
	s_waitcnt vmcnt(0)
	v_cmp_lt_i16_e32 vcc, s0, v4
	s_and_saveexec_b64 s[0:1], vcc
	s_xor_b64 s[0:1], exec, s[0:1]
	s_cbranch_execz .LBB22_559
; %bb.543:
	s_movk_i32 s28, 0x80
	v_cmp_ne_u16_e32 vcc, s28, v4
	s_and_b64 s[28:29], vcc, exec
	s_andn2_saveexec_b64 s[0:1], s[0:1]
	s_cbranch_execnz .LBB22_560
.LBB22_544:
	s_or_b64 exec, exec, s[0:1]
	v_mov_b32_e32 v3, 0
	s_and_saveexec_b64 s[0:1], s[28:29]
	s_cbranch_execz .LBB22_546
.LBB22_545:
	v_lshlrev_b32_e32 v3, 24, v4
	v_and_b32_e32 v4, 0xffff, v4
	v_and_b32_e32 v5, 7, v4
	v_ffbh_u32_e32 v7, v5
	v_min_u32_e32 v7, 32, v7
	v_subrev_u32_e32 v8, 28, v7
	v_bfe_u32 v6, v4, 3, 4
	v_lshlrev_b32_e32 v4, v8, v4
	v_sub_u32_e32 v7, 29, v7
	v_and_b32_e32 v4, 7, v4
	v_cmp_eq_u32_e32 vcc, 0, v6
	v_cndmask_b32_e32 v6, v6, v7, vcc
	v_cndmask_b32_e32 v4, v5, v4, vcc
	v_mov_b32_e32 v5, 0x3b800000
	v_lshlrev_b32_e32 v4, 20, v4
	v_and_b32_e32 v3, 0x80000000, v3
	v_lshl_add_u32 v5, v6, 23, v5
	v_or3_b32 v3, v3, v5, v4
	v_trunc_f32_e32 v3, v3
	s_mov_b32 s28, 0x2f800000
	v_mul_f32_e64 v4, |v3|, s28
	v_floor_f32_e32 v4, v4
	s_mov_b32 s28, 0xcf800000
	v_fma_f32 v4, v4, s28, |v3|
	v_cvt_u32_f32_e32 v4, v4
	v_ashrrev_i32_e32 v3, 31, v3
	v_xor_b32_e32 v4, v4, v3
	v_sub_u32_e32 v3, v4, v3
.LBB22_546:
	s_or_b64 exec, exec, s[0:1]
.LBB22_547:
	s_mov_b64 s[0:1], -1
.LBB22_548:
	s_mov_b64 s[28:29], 0
.LBB22_549:
	s_and_b64 vcc, exec, s[28:29]
	s_cbranch_vccz .LBB22_582
; %bb.550:
	s_cmp_gt_i32 s35, 22
	s_cbranch_scc0 .LBB22_558
; %bb.551:
	s_cmp_lt_i32 s35, 24
	s_cbranch_scc1 .LBB22_561
; %bb.552:
	s_cmp_gt_i32 s35, 24
	s_cbranch_scc0 .LBB22_562
; %bb.553:
	global_load_ubyte v4, v[1:2], off
	s_movk_i32 s0, 0x7f
	s_mov_b64 s[28:29], 0
	s_waitcnt vmcnt(0)
	v_cmp_lt_i16_e32 vcc, s0, v4
	s_and_saveexec_b64 s[0:1], vcc
	s_xor_b64 s[0:1], exec, s[0:1]
	s_cbranch_execz .LBB22_574
; %bb.554:
	s_movk_i32 s28, 0x80
	v_cmp_ne_u16_e32 vcc, s28, v4
	s_and_b64 s[28:29], vcc, exec
	s_andn2_saveexec_b64 s[0:1], s[0:1]
	s_cbranch_execnz .LBB22_575
.LBB22_555:
	s_or_b64 exec, exec, s[0:1]
	v_mov_b32_e32 v3, 0
	s_and_saveexec_b64 s[0:1], s[28:29]
	s_cbranch_execz .LBB22_557
.LBB22_556:
	v_lshlrev_b32_e32 v3, 24, v4
	v_and_b32_e32 v4, 0xffff, v4
	v_and_b32_e32 v5, 3, v4
	v_ffbh_u32_e32 v7, v5
	v_min_u32_e32 v7, 32, v7
	v_subrev_u32_e32 v8, 29, v7
	v_bfe_u32 v6, v4, 2, 5
	v_lshlrev_b32_e32 v4, v8, v4
	v_sub_u32_e32 v7, 30, v7
	v_and_b32_e32 v4, 3, v4
	v_cmp_eq_u32_e32 vcc, 0, v6
	v_cndmask_b32_e32 v6, v6, v7, vcc
	v_cndmask_b32_e32 v4, v5, v4, vcc
	v_mov_b32_e32 v5, 0x37800000
	v_lshlrev_b32_e32 v4, 21, v4
	v_and_b32_e32 v3, 0x80000000, v3
	v_lshl_add_u32 v5, v6, 23, v5
	v_or3_b32 v3, v3, v5, v4
	v_trunc_f32_e32 v3, v3
	s_mov_b32 s28, 0x2f800000
	v_mul_f32_e64 v4, |v3|, s28
	v_floor_f32_e32 v4, v4
	s_mov_b32 s28, 0xcf800000
	v_fma_f32 v4, v4, s28, |v3|
	v_cvt_u32_f32_e32 v4, v4
	v_ashrrev_i32_e32 v3, 31, v3
	v_xor_b32_e32 v4, v4, v3
	v_sub_u32_e32 v3, v4, v3
.LBB22_557:
	s_or_b64 exec, exec, s[0:1]
	s_mov_b64 s[0:1], 0
	s_branch .LBB22_563
.LBB22_558:
	s_mov_b64 s[28:29], -1
                                        ; implicit-def: $vgpr3
	s_branch .LBB22_569
.LBB22_559:
	s_andn2_saveexec_b64 s[0:1], s[0:1]
	s_cbranch_execz .LBB22_544
.LBB22_560:
	v_cmp_ne_u16_e32 vcc, 0, v4
	s_andn2_b64 s[28:29], s[28:29], exec
	s_and_b64 s[36:37], vcc, exec
	s_or_b64 s[28:29], s[28:29], s[36:37]
	s_or_b64 exec, exec, s[0:1]
	v_mov_b32_e32 v3, 0
	s_and_saveexec_b64 s[0:1], s[28:29]
	s_cbranch_execnz .LBB22_545
	s_branch .LBB22_546
.LBB22_561:
	s_mov_b64 s[0:1], -1
                                        ; implicit-def: $vgpr3
	s_branch .LBB22_566
.LBB22_562:
	s_mov_b64 s[0:1], -1
                                        ; implicit-def: $vgpr3
.LBB22_563:
	s_and_b64 vcc, exec, s[0:1]
	s_cbranch_vccz .LBB22_565
; %bb.564:
	global_load_ubyte v3, v[1:2], off
	s_mov_b32 s0, 0x7f800000
	s_brev_b32 s1, 1
	s_mov_b32 s28, 0x2f800000
	s_waitcnt vmcnt(0)
	v_lshlrev_b32_e32 v3, 24, v3
	v_and_b32_e32 v4, 0x7f000000, v3
	v_ffbh_u32_e32 v5, v4
	v_min_u32_e32 v5, 32, v5
	v_sub_u32_e64 v5, v5, 4 clamp
	v_lshlrev_b32_e32 v7, v5, v4
	v_lshlrev_b32_e32 v5, 23, v5
	v_lshrrev_b32_e32 v7, 4, v7
	v_add_u32_e32 v6, 0x1000000, v4
	v_sub_u32_e32 v5, v7, v5
	v_ashrrev_i32_e32 v6, 8, v6
	v_add_u32_e32 v5, 0x3c000000, v5
	v_and_or_b32 v5, v6, s0, v5
	v_cmp_ne_u32_e32 vcc, 0, v4
	v_cndmask_b32_e32 v4, 0, v5, vcc
	v_and_or_b32 v3, v3, s1, v4
	v_trunc_f32_e32 v3, v3
	v_mul_f32_e64 v4, |v3|, s28
	v_floor_f32_e32 v4, v4
	s_mov_b32 s0, 0xcf800000
	v_fma_f32 v4, v4, s0, |v3|
	v_cvt_u32_f32_e32 v4, v4
	v_ashrrev_i32_e32 v3, 31, v3
	v_xor_b32_e32 v4, v4, v3
	v_sub_u32_e32 v3, v4, v3
.LBB22_565:
	s_mov_b64 s[0:1], 0
.LBB22_566:
	s_andn2_b64 vcc, exec, s[0:1]
	s_cbranch_vccnz .LBB22_568
; %bb.567:
	global_load_ubyte v3, v[1:2], off
	s_movk_i32 s0, 0x7f00
	s_brev_b32 s1, 16
	s_brev_b32 s28, 1
	s_mov_b32 s29, 0x2f800000
	s_waitcnt vmcnt(0)
	v_lshlrev_b16_e32 v4, 8, v3
	v_lshlrev_b32_e32 v3, 25, v3
	v_lshrrev_b32_e32 v5, 4, v3
	v_and_or_b32 v6, v4, s0, 0.5
	v_or_b32_e32 v5, 0x70000000, v5
	v_add_f32_e32 v6, -0.5, v6
	v_mul_f32_e32 v5, 0x7800000, v5
	v_cmp_gt_u32_e32 vcc, s1, v3
	v_bfe_i32 v4, v4, 0, 16
	v_cndmask_b32_e32 v3, v5, v6, vcc
	v_and_or_b32 v3, v4, s28, v3
	v_trunc_f32_e32 v3, v3
	v_mul_f32_e64 v4, |v3|, s29
	v_floor_f32_e32 v4, v4
	s_mov_b32 s0, 0xcf800000
	v_fma_f32 v4, v4, s0, |v3|
	v_cvt_u32_f32_e32 v4, v4
	v_ashrrev_i32_e32 v3, 31, v3
	v_xor_b32_e32 v4, v4, v3
	v_sub_u32_e32 v3, v4, v3
.LBB22_568:
	s_mov_b64 s[28:29], 0
	s_mov_b64 s[0:1], -1
.LBB22_569:
	s_andn2_b64 vcc, exec, s[28:29]
	s_cbranch_vccnz .LBB22_582
; %bb.570:
	s_cmp_gt_i32 s35, 14
	s_cbranch_scc0 .LBB22_573
; %bb.571:
	s_cmp_eq_u32 s35, 15
	s_cbranch_scc0 .LBB22_576
; %bb.572:
	global_load_ushort v3, v[1:2], off
	s_mov_b32 s0, 0x2f800000
	s_mov_b32 s1, 0xcf800000
	s_mov_b64 s[26:27], 0
	s_waitcnt vmcnt(0)
	v_lshlrev_b32_e32 v3, 16, v3
	v_trunc_f32_e32 v3, v3
	v_mul_f32_e64 v4, |v3|, s0
	v_floor_f32_e32 v4, v4
	v_fma_f32 v4, v4, s1, |v3|
	v_cvt_u32_f32_e32 v4, v4
	v_ashrrev_i32_e32 v3, 31, v3
	s_mov_b64 s[0:1], -1
	v_xor_b32_e32 v4, v4, v3
	v_sub_u32_e32 v3, v4, v3
	s_branch .LBB22_577
.LBB22_573:
	s_mov_b64 s[28:29], -1
                                        ; implicit-def: $vgpr3
	s_branch .LBB22_578
.LBB22_574:
	s_andn2_saveexec_b64 s[0:1], s[0:1]
	s_cbranch_execz .LBB22_555
.LBB22_575:
	v_cmp_ne_u16_e32 vcc, 0, v4
	s_andn2_b64 s[28:29], s[28:29], exec
	s_and_b64 s[36:37], vcc, exec
	s_or_b64 s[28:29], s[28:29], s[36:37]
	s_or_b64 exec, exec, s[0:1]
	v_mov_b32_e32 v3, 0
	s_and_saveexec_b64 s[0:1], s[28:29]
	s_cbranch_execnz .LBB22_556
	s_branch .LBB22_557
.LBB22_576:
	s_mov_b64 s[26:27], -1
                                        ; implicit-def: $vgpr3
.LBB22_577:
	s_mov_b64 s[28:29], 0
.LBB22_578:
	s_and_b64 vcc, exec, s[28:29]
	s_cbranch_vccz .LBB22_582
; %bb.579:
	s_cmp_eq_u32 s35, 11
	s_cbranch_scc0 .LBB22_581
; %bb.580:
	global_load_ubyte v3, v[1:2], off
	s_mov_b64 s[0:1], -1
	s_mov_b64 s[26:27], 0
	s_waitcnt vmcnt(0)
	v_cmp_ne_u16_e32 vcc, 0, v3
	v_cndmask_b32_e64 v3, 0, 1, vcc
	s_branch .LBB22_582
.LBB22_581:
	s_mov_b64 s[26:27], -1
                                        ; implicit-def: $vgpr3
.LBB22_582:
	s_mov_b64 s[28:29], 0
.LBB22_583:
	s_and_b64 vcc, exec, s[28:29]
	s_cbranch_vccz .LBB22_632
; %bb.584:
	s_and_b32 s28, 0xffff, s34
	s_cmp_lt_i32 s28, 5
	s_cbranch_scc1 .LBB22_589
; %bb.585:
	s_cmp_lt_i32 s28, 8
	s_cbranch_scc1 .LBB22_590
; %bb.586:
	;; [unrolled: 3-line block ×3, first 2 shown]
	s_cmp_gt_i32 s28, 9
	s_cbranch_scc0 .LBB22_592
; %bb.588:
	global_load_dwordx2 v[3:4], v[1:2], off
	s_movk_i32 s0, 0xffe0
	s_waitcnt vmcnt(0)
	v_trunc_f64_e32 v[3:4], v[3:4]
	v_ldexp_f64 v[5:6], v[3:4], s0
	s_mov_b32 s0, 0
	s_mov_b32 s1, 0xc1f00000
	v_floor_f64_e32 v[5:6], v[5:6]
	v_fma_f64 v[3:4], v[5:6], s[0:1], v[3:4]
	s_mov_b64 s[0:1], 0
	v_cvt_u32_f64_e32 v3, v[3:4]
	s_branch .LBB22_593
.LBB22_589:
	s_mov_b64 s[0:1], -1
                                        ; implicit-def: $vgpr3
	s_branch .LBB22_611
.LBB22_590:
	s_mov_b64 s[0:1], -1
                                        ; implicit-def: $vgpr3
	s_branch .LBB22_599
.LBB22_591:
	s_mov_b64 s[0:1], -1
                                        ; implicit-def: $vgpr3
	s_branch .LBB22_596
.LBB22_592:
	s_mov_b64 s[0:1], -1
                                        ; implicit-def: $vgpr3
.LBB22_593:
	s_andn2_b64 vcc, exec, s[0:1]
	s_cbranch_vccnz .LBB22_595
; %bb.594:
	global_load_dword v3, v[1:2], off
	s_mov_b32 s0, 0x2f800000
	s_waitcnt vmcnt(0)
	v_trunc_f32_e32 v3, v3
	v_mul_f32_e64 v4, |v3|, s0
	v_floor_f32_e32 v4, v4
	s_mov_b32 s0, 0xcf800000
	v_fma_f32 v4, v4, s0, |v3|
	v_cvt_u32_f32_e32 v4, v4
	v_ashrrev_i32_e32 v3, 31, v3
	v_xor_b32_e32 v4, v4, v3
	v_sub_u32_e32 v3, v4, v3
.LBB22_595:
	s_mov_b64 s[0:1], 0
.LBB22_596:
	s_andn2_b64 vcc, exec, s[0:1]
	s_cbranch_vccnz .LBB22_598
; %bb.597:
	global_load_dword v3, v[1:2], off
	s_waitcnt vmcnt(0)
	v_cvt_f32_f16_e32 v3, v3
	v_cvt_i32_f32_e32 v3, v3
.LBB22_598:
	s_mov_b64 s[0:1], 0
.LBB22_599:
	s_andn2_b64 vcc, exec, s[0:1]
	s_cbranch_vccnz .LBB22_610
; %bb.600:
	s_cmp_lt_i32 s28, 6
	s_cbranch_scc1 .LBB22_603
; %bb.601:
	s_cmp_gt_i32 s28, 6
	s_cbranch_scc0 .LBB22_604
; %bb.602:
	global_load_dwordx2 v[3:4], v[1:2], off
	s_movk_i32 s0, 0xffe0
	s_waitcnt vmcnt(0)
	v_trunc_f64_e32 v[3:4], v[3:4]
	v_ldexp_f64 v[5:6], v[3:4], s0
	s_mov_b32 s0, 0
	s_mov_b32 s1, 0xc1f00000
	v_floor_f64_e32 v[5:6], v[5:6]
	v_fma_f64 v[3:4], v[5:6], s[0:1], v[3:4]
	s_mov_b64 s[0:1], 0
	v_cvt_u32_f64_e32 v3, v[3:4]
	s_branch .LBB22_605
.LBB22_603:
	s_mov_b64 s[0:1], -1
                                        ; implicit-def: $vgpr3
	s_branch .LBB22_608
.LBB22_604:
	s_mov_b64 s[0:1], -1
                                        ; implicit-def: $vgpr3
.LBB22_605:
	s_andn2_b64 vcc, exec, s[0:1]
	s_cbranch_vccnz .LBB22_607
; %bb.606:
	global_load_dword v3, v[1:2], off
	s_mov_b32 s0, 0x2f800000
	s_waitcnt vmcnt(0)
	v_trunc_f32_e32 v3, v3
	v_mul_f32_e64 v4, |v3|, s0
	v_floor_f32_e32 v4, v4
	s_mov_b32 s0, 0xcf800000
	v_fma_f32 v4, v4, s0, |v3|
	v_cvt_u32_f32_e32 v4, v4
	v_ashrrev_i32_e32 v3, 31, v3
	v_xor_b32_e32 v4, v4, v3
	v_sub_u32_e32 v3, v4, v3
.LBB22_607:
	s_mov_b64 s[0:1], 0
.LBB22_608:
	s_andn2_b64 vcc, exec, s[0:1]
	s_cbranch_vccnz .LBB22_610
; %bb.609:
	global_load_ushort v3, v[1:2], off
	s_waitcnt vmcnt(0)
	v_cvt_f32_f16_e32 v3, v3
	v_cvt_i32_f32_e32 v3, v3
.LBB22_610:
	s_mov_b64 s[0:1], 0
.LBB22_611:
	s_andn2_b64 vcc, exec, s[0:1]
	s_cbranch_vccnz .LBB22_631
; %bb.612:
	s_cmp_lt_i32 s28, 2
	s_cbranch_scc1 .LBB22_616
; %bb.613:
	s_cmp_lt_i32 s28, 3
	s_cbranch_scc1 .LBB22_617
; %bb.614:
	s_cmp_gt_i32 s28, 3
	s_cbranch_scc0 .LBB22_618
; %bb.615:
	global_load_dwordx2 v[3:4], v[1:2], off
	s_mov_b64 s[0:1], 0
	s_branch .LBB22_619
.LBB22_616:
	s_mov_b64 s[0:1], -1
                                        ; implicit-def: $vgpr3
	s_branch .LBB22_625
.LBB22_617:
	s_mov_b64 s[0:1], -1
                                        ; implicit-def: $vgpr3
	s_branch .LBB22_622
.LBB22_618:
	s_mov_b64 s[0:1], -1
                                        ; implicit-def: $vgpr3
.LBB22_619:
	s_andn2_b64 vcc, exec, s[0:1]
	s_cbranch_vccnz .LBB22_621
; %bb.620:
	global_load_dword v3, v[1:2], off
.LBB22_621:
	s_mov_b64 s[0:1], 0
.LBB22_622:
	s_andn2_b64 vcc, exec, s[0:1]
	s_cbranch_vccnz .LBB22_624
; %bb.623:
	global_load_ushort v3, v[1:2], off
.LBB22_624:
	s_mov_b64 s[0:1], 0
.LBB22_625:
	s_andn2_b64 vcc, exec, s[0:1]
	s_cbranch_vccnz .LBB22_631
; %bb.626:
	s_cmp_gt_i32 s28, 0
	s_cbranch_scc0 .LBB22_628
; %bb.627:
	global_load_ubyte v3, v[1:2], off
	s_mov_b64 s[0:1], 0
	s_branch .LBB22_629
.LBB22_628:
	s_mov_b64 s[0:1], -1
                                        ; implicit-def: $vgpr3
.LBB22_629:
	s_andn2_b64 vcc, exec, s[0:1]
	s_cbranch_vccnz .LBB22_631
; %bb.630:
	global_load_ubyte v3, v[1:2], off
.LBB22_631:
	s_mov_b64 s[0:1], -1
.LBB22_632:
	s_andn2_b64 vcc, exec, s[0:1]
	s_cbranch_vccnz .LBB22_640
; %bb.633:
	v_mul_lo_u32 v1, v11, s12
	v_mov_b32_e32 v2, 8
	s_waitcnt vmcnt(0)
	v_lshlrev_b32_e32 v0, v3, v0
	v_cmp_lt_u16_sdwa vcc, v3, v2 src0_sel:BYTE_0 src1_sel:DWORD
	v_cndmask_b32_e32 v2, 0, v0, vcc
	v_ashrrev_i32_e32 v3, 31, v1
	v_mov_b32_e32 v4, s9
	s_and_b32 s38, s33, 0xff
	v_add_co_u32_e32 v0, vcc, s8, v1
	s_cmp_lt_i32 s38, 11
	v_addc_co_u32_e32 v1, vcc, v4, v3, vcc
	s_cbranch_scc1 .LBB22_641
; %bb.634:
	s_and_b32 s39, 0xffff, s38
	s_cmp_gt_i32 s39, 25
	s_cbranch_scc0 .LBB22_642
; %bb.635:
	s_cmp_gt_i32 s39, 28
	s_cbranch_scc0 .LBB22_643
; %bb.636:
	;; [unrolled: 3-line block ×4, first 2 shown]
	s_mov_b64 s[34:35], 0
	s_mov_b64 s[0:1], -1
	s_cmp_eq_u32 s39, 46
	s_mov_b64 s[28:29], 0
	s_cbranch_scc0 .LBB22_646
; %bb.639:
	v_cvt_f32_ubyte0_e32 v3, v2
	v_bfe_u32 v4, v3, 16, 1
	s_movk_i32 s0, 0x7fff
	v_add3_u32 v3, v3, v4, s0
	v_lshrrev_b32_e32 v3, 16, v3
	global_store_dword v[0:1], v3, off
	s_mov_b64 s[28:29], -1
	s_mov_b64 s[0:1], 0
	s_branch .LBB22_646
.LBB22_640:
	s_mov_b64 s[34:35], 0
                                        ; implicit-def: $vgpr11
	s_mov_b64 s[0:1], s[6:7]
	s_branch .LBB22_756
.LBB22_641:
	s_mov_b64 s[34:35], -1
	s_mov_b64 s[28:29], 0
	s_mov_b64 s[0:1], s[6:7]
	s_branch .LBB22_715
.LBB22_642:
	s_mov_b64 s[34:35], -1
	s_mov_b64 s[28:29], 0
	s_mov_b64 s[0:1], s[6:7]
	s_branch .LBB22_673
.LBB22_643:
	s_mov_b64 s[34:35], -1
	s_mov_b64 s[28:29], 0
	s_mov_b64 s[0:1], s[6:7]
	s_branch .LBB22_656
.LBB22_644:
	s_mov_b64 s[34:35], -1
	s_mov_b64 s[28:29], 0
	s_mov_b64 s[0:1], s[6:7]
	s_branch .LBB22_652
.LBB22_645:
	s_mov_b64 s[34:35], -1
	s_mov_b64 s[28:29], 0
	s_mov_b64 s[0:1], s[6:7]
.LBB22_646:
	s_and_b64 vcc, exec, s[34:35]
	s_cbranch_vccz .LBB22_651
; %bb.647:
	s_cmp_eq_u32 s39, 44
	s_mov_b64 s[0:1], -1
	s_cbranch_scc0 .LBB22_651
; %bb.648:
	v_cvt_f32_ubyte0_e32 v4, v2
	v_lshrrev_b32_e32 v3, 23, v4
	s_movk_i32 s0, 0xff
	v_cmp_ne_u32_e32 vcc, s0, v3
	v_mov_b32_e32 v5, 0xff
	s_and_saveexec_b64 s[28:29], vcc
; %bb.649:
	s_mov_b32 s0, 0x3fffff
	v_and_b32_e32 v5, 0x400000, v4
	v_and_or_b32 v4, v4, s0, v3
	v_cmp_ne_u32_e32 vcc, 0, v5
	v_cmp_ne_u32_e64 s[0:1], 0, v4
	s_and_b64 s[0:1], vcc, s[0:1]
	v_cndmask_b32_e64 v4, 0, 1, s[0:1]
	v_add_u32_e32 v5, v3, v4
; %bb.650:
	s_or_b64 exec, exec, s[28:29]
	s_mov_b64 s[28:29], -1
	s_mov_b64 s[0:1], 0
	global_store_byte v[0:1], v5, off
.LBB22_651:
	s_mov_b64 s[34:35], 0
.LBB22_652:
	s_and_b64 vcc, exec, s[34:35]
	s_cbranch_vccz .LBB22_655
; %bb.653:
	s_cmp_eq_u32 s39, 29
	s_mov_b64 s[0:1], -1
	s_cbranch_scc0 .LBB22_655
; %bb.654:
	v_and_b32_e32 v3, 0xff, v2
	v_mov_b32_e32 v4, 0
	global_store_dwordx2 v[0:1], v[3:4], off
	s_mov_b64 s[28:29], -1
	s_mov_b64 s[0:1], 0
.LBB22_655:
	s_mov_b64 s[34:35], 0
.LBB22_656:
	s_and_b64 vcc, exec, s[34:35]
	s_cbranch_vccz .LBB22_672
; %bb.657:
	s_cmp_lt_i32 s39, 27
	s_mov_b64 s[28:29], -1
	s_cbranch_scc1 .LBB22_663
; %bb.658:
	s_cmp_gt_i32 s39, 27
	s_cbranch_scc0 .LBB22_660
; %bb.659:
	v_and_b32_e32 v3, 0xff, v2
	s_mov_b64 s[28:29], 0
	global_store_dword v[0:1], v3, off
.LBB22_660:
	s_andn2_b64 vcc, exec, s[28:29]
	s_cbranch_vccnz .LBB22_662
; %bb.661:
	v_and_b32_e32 v3, 0xff, v2
	global_store_short v[0:1], v3, off
.LBB22_662:
	s_mov_b64 s[28:29], 0
.LBB22_663:
	s_andn2_b64 vcc, exec, s[28:29]
	s_cbranch_vccnz .LBB22_671
; %bb.664:
	v_cvt_f32_ubyte0_e32 v4, v2
	s_mov_b32 s28, 0x43800000
	v_cmp_gt_u32_e32 vcc, s28, v4
	v_mov_b32_e32 v5, 0x80
	s_and_saveexec_b64 s[28:29], vcc
	s_cbranch_execz .LBB22_670
; %bb.665:
	s_mov_b32 s34, 0x3bffffff
	v_cmp_lt_u32_e32 vcc, s34, v4
	s_mov_b64 s[34:35], 0
                                        ; implicit-def: $vgpr3
	s_and_saveexec_b64 s[36:37], vcc
	s_xor_b64 s[36:37], exec, s[36:37]
	s_cbranch_execz .LBB22_772
; %bb.666:
	v_bfe_u32 v3, v4, 20, 1
	s_mov_b32 s40, 0x487ffff
	v_add3_u32 v3, v4, v3, s40
	s_mov_b64 s[34:35], exec
	v_lshrrev_b32_e32 v3, 20, v3
                                        ; implicit-def: $vgpr4
	s_andn2_saveexec_b64 s[36:37], s[36:37]
	s_cbranch_execnz .LBB22_773
.LBB22_667:
	s_or_b64 exec, exec, s[36:37]
	v_mov_b32_e32 v5, 0
	s_and_saveexec_b64 s[36:37], s[34:35]
.LBB22_668:
	v_mov_b32_e32 v5, v3
.LBB22_669:
	s_or_b64 exec, exec, s[36:37]
.LBB22_670:
	s_or_b64 exec, exec, s[28:29]
	global_store_byte v[0:1], v5, off
.LBB22_671:
	s_mov_b64 s[28:29], -1
.LBB22_672:
	s_mov_b64 s[34:35], 0
.LBB22_673:
	s_and_b64 vcc, exec, s[34:35]
	s_cbranch_vccz .LBB22_714
; %bb.674:
	s_cmp_gt_i32 s39, 22
	s_mov_b64 s[34:35], -1
	s_cbranch_scc0 .LBB22_706
; %bb.675:
	s_cmp_lt_i32 s39, 24
	s_mov_b64 s[28:29], -1
	s_cbranch_scc1 .LBB22_695
; %bb.676:
	s_cmp_gt_i32 s39, 24
	s_cbranch_scc0 .LBB22_684
; %bb.677:
	v_cvt_f32_ubyte0_e32 v4, v2
	s_mov_b32 s28, 0x47800000
	v_cmp_gt_u32_e32 vcc, s28, v4
	v_mov_b32_e32 v5, 0x80
	s_and_saveexec_b64 s[28:29], vcc
	s_cbranch_execz .LBB22_683
; %bb.678:
	s_mov_b32 s34, 0x37ffffff
	v_cmp_lt_u32_e32 vcc, s34, v4
	s_mov_b64 s[34:35], 0
                                        ; implicit-def: $vgpr3
	s_and_saveexec_b64 s[36:37], vcc
	s_xor_b64 s[36:37], exec, s[36:37]
	s_cbranch_execz .LBB22_900
; %bb.679:
	v_bfe_u32 v3, v4, 21, 1
	s_mov_b32 s40, 0x88fffff
	v_add3_u32 v3, v4, v3, s40
	s_mov_b64 s[34:35], exec
	v_lshrrev_b32_e32 v3, 21, v3
                                        ; implicit-def: $vgpr4
	s_andn2_saveexec_b64 s[36:37], s[36:37]
	s_cbranch_execnz .LBB22_901
.LBB22_680:
	s_or_b64 exec, exec, s[36:37]
	v_mov_b32_e32 v5, 0
	s_and_saveexec_b64 s[36:37], s[34:35]
.LBB22_681:
	v_mov_b32_e32 v5, v3
.LBB22_682:
	s_or_b64 exec, exec, s[36:37]
.LBB22_683:
	s_or_b64 exec, exec, s[28:29]
	s_mov_b64 s[28:29], 0
	global_store_byte v[0:1], v5, off
.LBB22_684:
	s_and_b64 vcc, exec, s[28:29]
	s_cbranch_vccz .LBB22_694
; %bb.685:
	v_cvt_f32_ubyte0_e32 v3, v2
	s_mov_b32 s28, 0x43f00000
	v_cmp_gt_u32_e32 vcc, s28, v3
                                        ; implicit-def: $vgpr4
	s_and_saveexec_b64 s[28:29], vcc
	s_xor_b64 s[28:29], exec, s[28:29]
	s_cbranch_execz .LBB22_691
; %bb.686:
	s_mov_b32 s34, 0x3c7fffff
	v_cmp_lt_u32_e32 vcc, s34, v3
                                        ; implicit-def: $vgpr4
	s_and_saveexec_b64 s[34:35], vcc
	s_xor_b64 s[34:35], exec, s[34:35]
; %bb.687:
	v_bfe_u32 v4, v3, 20, 1
	s_mov_b32 s36, 0x407ffff
	v_add3_u32 v3, v3, v4, s36
	v_lshrrev_b32_e32 v4, 20, v3
	v_and_b32_e32 v3, 0xff00000, v3
	s_mov_b32 s36, 0x7f00000
	v_mov_b32_e32 v5, 0x7e
	v_cmp_ne_u32_e32 vcc, s36, v3
	v_cndmask_b32_e32 v4, v5, v4, vcc
                                        ; implicit-def: $vgpr3
; %bb.688:
	s_andn2_saveexec_b64 s[34:35], s[34:35]
; %bb.689:
	v_add_f32_e32 v4, 0x46800000, v3
; %bb.690:
	s_or_b64 exec, exec, s[34:35]
                                        ; implicit-def: $vgpr3
.LBB22_691:
	s_andn2_saveexec_b64 s[28:29], s[28:29]
; %bb.692:
	s_mov_b32 s34, 0x7f800000
	v_mov_b32_e32 v4, 0x7e
	v_mov_b32_e32 v5, 0x7f
	v_cmp_lt_u32_e32 vcc, s34, v3
	v_cndmask_b32_e32 v4, v4, v5, vcc
; %bb.693:
	s_or_b64 exec, exec, s[28:29]
	global_store_byte v[0:1], v4, off
.LBB22_694:
	s_mov_b64 s[28:29], 0
.LBB22_695:
	s_andn2_b64 vcc, exec, s[28:29]
	s_cbranch_vccnz .LBB22_705
; %bb.696:
	v_cvt_f32_ubyte0_e32 v3, v2
	s_mov_b32 s28, 0x47800000
	v_cmp_gt_u32_e32 vcc, s28, v3
                                        ; implicit-def: $vgpr4
	s_and_saveexec_b64 s[28:29], vcc
	s_xor_b64 s[28:29], exec, s[28:29]
	s_cbranch_execz .LBB22_702
; %bb.697:
	s_mov_b32 s34, 0x387fffff
	v_cmp_lt_u32_e32 vcc, s34, v3
                                        ; implicit-def: $vgpr4
	s_and_saveexec_b64 s[34:35], vcc
	s_xor_b64 s[34:35], exec, s[34:35]
; %bb.698:
	v_bfe_u32 v4, v3, 21, 1
	s_mov_b32 s36, 0x80fffff
	v_add3_u32 v3, v3, v4, s36
	v_lshrrev_b32_e32 v4, 21, v3
                                        ; implicit-def: $vgpr3
; %bb.699:
	s_andn2_saveexec_b64 s[34:35], s[34:35]
; %bb.700:
	v_add_f32_e32 v4, 0x43000000, v3
; %bb.701:
	s_or_b64 exec, exec, s[34:35]
                                        ; implicit-def: $vgpr3
.LBB22_702:
	s_andn2_saveexec_b64 s[28:29], s[28:29]
; %bb.703:
	s_mov_b32 s34, 0x7f800000
	v_mov_b32_e32 v4, 0x7c
	v_mov_b32_e32 v5, 0x7f
	v_cmp_lt_u32_e32 vcc, s34, v3
	v_cndmask_b32_e32 v4, v4, v5, vcc
; %bb.704:
	s_or_b64 exec, exec, s[28:29]
	global_store_byte v[0:1], v4, off
.LBB22_705:
	s_mov_b64 s[34:35], 0
	s_mov_b64 s[28:29], -1
.LBB22_706:
	s_andn2_b64 vcc, exec, s[34:35]
	s_cbranch_vccnz .LBB22_714
; %bb.707:
	s_cmp_gt_i32 s39, 14
	s_mov_b64 s[34:35], -1
	s_cbranch_scc0 .LBB22_711
; %bb.708:
	s_cmp_eq_u32 s39, 15
	s_mov_b64 s[0:1], -1
	s_cbranch_scc0 .LBB22_710
; %bb.709:
	v_cvt_f32_ubyte0_e32 v3, v2
	v_bfe_u32 v4, v3, 16, 1
	s_movk_i32 s0, 0x7fff
	v_add3_u32 v3, v3, v4, s0
	global_store_short_d16_hi v[0:1], v3, off
	s_mov_b64 s[28:29], -1
	s_mov_b64 s[0:1], 0
.LBB22_710:
	s_mov_b64 s[34:35], 0
.LBB22_711:
	s_and_b64 vcc, exec, s[34:35]
	s_cbranch_vccz .LBB22_714
; %bb.712:
	s_cmp_eq_u32 s39, 11
	s_mov_b64 s[0:1], -1
	s_cbranch_scc0 .LBB22_714
; %bb.713:
	v_mov_b32_e32 v3, 0
	v_cmp_ne_u16_sdwa s[0:1], v2, v3 src0_sel:BYTE_0 src1_sel:DWORD
	v_cndmask_b32_e64 v3, 0, 1, s[0:1]
	s_mov_b64 s[28:29], -1
	s_mov_b64 s[0:1], 0
	global_store_byte v[0:1], v3, off
.LBB22_714:
	s_mov_b64 s[34:35], 0
.LBB22_715:
	s_and_b64 vcc, exec, s[34:35]
	s_cbranch_vccz .LBB22_754
; %bb.716:
	s_and_b32 s34, 0xffff, s38
	s_cmp_lt_i32 s34, 5
	s_mov_b64 s[28:29], -1
	s_cbranch_scc1 .LBB22_737
; %bb.717:
	s_cmp_lt_i32 s34, 8
	s_cbranch_scc1 .LBB22_727
; %bb.718:
	s_cmp_lt_i32 s34, 9
	s_cbranch_scc1 .LBB22_724
; %bb.719:
	s_cmp_gt_i32 s34, 9
	s_cbranch_scc0 .LBB22_721
; %bb.720:
	s_mov_b32 s28, 0xffff
	v_and_b32_sdwa v3, s28, v2 dst_sel:DWORD dst_unused:UNUSED_PAD src0_sel:DWORD src1_sel:BYTE_0
	v_cvt_f64_u32_e32 v[3:4], v3
	v_mov_b32_e32 v5, 0
	v_mov_b32_e32 v6, v5
	s_mov_b64 s[28:29], 0
	global_store_dwordx4 v[0:1], v[3:6], off
.LBB22_721:
	s_andn2_b64 vcc, exec, s[28:29]
	s_cbranch_vccnz .LBB22_723
; %bb.722:
	v_cvt_f32_ubyte0_e32 v3, v2
	v_mov_b32_e32 v4, 0
	global_store_dwordx2 v[0:1], v[3:4], off
.LBB22_723:
	s_mov_b64 s[28:29], 0
.LBB22_724:
	s_andn2_b64 vcc, exec, s[28:29]
	s_cbranch_vccnz .LBB22_726
; %bb.725:
	v_cvt_f16_u16_sdwa v3, v2 dst_sel:DWORD dst_unused:UNUSED_PAD src0_sel:BYTE_0
	global_store_dword v[0:1], v3, off
.LBB22_726:
	s_mov_b64 s[28:29], 0
.LBB22_727:
	s_andn2_b64 vcc, exec, s[28:29]
	s_cbranch_vccnz .LBB22_736
; %bb.728:
	s_cmp_lt_i32 s34, 6
	s_mov_b64 s[28:29], -1
	s_cbranch_scc1 .LBB22_734
; %bb.729:
	s_cmp_gt_i32 s34, 6
	s_cbranch_scc0 .LBB22_731
; %bb.730:
	s_mov_b32 s28, 0xffff
	v_and_b32_sdwa v3, s28, v2 dst_sel:DWORD dst_unused:UNUSED_PAD src0_sel:DWORD src1_sel:BYTE_0
	v_cvt_f64_u32_e32 v[3:4], v3
	s_mov_b64 s[28:29], 0
	global_store_dwordx2 v[0:1], v[3:4], off
.LBB22_731:
	s_andn2_b64 vcc, exec, s[28:29]
	s_cbranch_vccnz .LBB22_733
; %bb.732:
	v_cvt_f32_ubyte0_e32 v3, v2
	global_store_dword v[0:1], v3, off
.LBB22_733:
	s_mov_b64 s[28:29], 0
.LBB22_734:
	s_andn2_b64 vcc, exec, s[28:29]
	s_cbranch_vccnz .LBB22_736
; %bb.735:
	v_cvt_f16_u16_sdwa v3, v2 dst_sel:DWORD dst_unused:UNUSED_PAD src0_sel:BYTE_0
	global_store_short v[0:1], v3, off
.LBB22_736:
	s_mov_b64 s[28:29], 0
.LBB22_737:
	s_andn2_b64 vcc, exec, s[28:29]
	s_cbranch_vccnz .LBB22_753
; %bb.738:
	s_cmp_lt_i32 s34, 2
	s_mov_b64 s[28:29], -1
	s_cbranch_scc1 .LBB22_748
; %bb.739:
	s_cmp_lt_i32 s34, 3
	s_cbranch_scc1 .LBB22_745
; %bb.740:
	s_cmp_gt_i32 s34, 3
	s_cbranch_scc0 .LBB22_742
; %bb.741:
	v_and_b32_e32 v3, 0xff, v2
	v_mov_b32_e32 v4, 0
	s_mov_b64 s[28:29], 0
	global_store_dwordx2 v[0:1], v[3:4], off
.LBB22_742:
	s_andn2_b64 vcc, exec, s[28:29]
	s_cbranch_vccnz .LBB22_744
; %bb.743:
	v_and_b32_e32 v3, 0xff, v2
	global_store_dword v[0:1], v3, off
.LBB22_744:
	s_mov_b64 s[28:29], 0
.LBB22_745:
	s_andn2_b64 vcc, exec, s[28:29]
	s_cbranch_vccnz .LBB22_747
; %bb.746:
	v_and_b32_e32 v3, 0xff, v2
	global_store_short v[0:1], v3, off
.LBB22_747:
	s_mov_b64 s[28:29], 0
.LBB22_748:
	s_andn2_b64 vcc, exec, s[28:29]
	s_cbranch_vccnz .LBB22_753
; %bb.749:
	s_cmp_gt_i32 s34, 0
	s_mov_b64 s[28:29], -1
	s_cbranch_scc0 .LBB22_751
; %bb.750:
	s_mov_b64 s[28:29], 0
	global_store_byte v[0:1], v2, off
.LBB22_751:
	s_andn2_b64 vcc, exec, s[28:29]
	s_cbranch_vccnz .LBB22_753
; %bb.752:
	global_store_byte v[0:1], v2, off
.LBB22_753:
	s_mov_b64 s[28:29], -1
.LBB22_754:
	s_andn2_b64 vcc, exec, s[28:29]
	s_cbranch_vccnz .LBB22_767
; %bb.755:
	v_add_u32_e32 v11, 0x80, v11
	s_mov_b64 s[34:35], -1
.LBB22_756:
	s_andn2_b64 s[28:29], s[6:7], exec
	s_and_b64 s[0:1], s[0:1], exec
	s_or_b64 s[28:29], s[28:29], s[0:1]
	s_andn2_b64 s[0:1], s[18:19], exec
	s_and_b64 s[26:27], s[26:27], exec
	s_or_b64 s[26:27], s[0:1], s[26:27]
	;; [unrolled: 3-line block ×3, first 2 shown]
	s_orn2_b64 s[0:1], s[34:35], exec
.LBB22_757:
	s_or_b64 exec, exec, s[30:31]
	s_mov_b64 s[34:35], 0
	s_mov_b64 s[36:37], 0
	;; [unrolled: 1-line block ×3, first 2 shown]
                                        ; implicit-def: $sgpr55
                                        ; implicit-def: $vgpr2_vgpr3
                                        ; implicit-def: $vgpr0
	s_and_saveexec_b64 s[30:31], s[0:1]
	s_cbranch_execz .LBB22_1219
; %bb.758:
	v_cmp_gt_i32_e32 vcc, s48, v11
	s_mov_b64 s[46:47], -1
	s_mov_b64 s[0:1], s[24:25]
	s_mov_b64 s[38:39], s[26:27]
	;; [unrolled: 1-line block ×3, first 2 shown]
	s_and_saveexec_b64 s[34:35], vcc
	s_cbranch_execz .LBB22_1138
; %bb.759:
	s_waitcnt vmcnt(0)
	v_mul_lo_u32 v0, v11, s13
	v_mov_b32_e32 v1, s11
	s_and_b32 s40, s54, 0xff
	s_cmp_lt_i32 s40, 11
	v_ashrrev_i32_e32 v3, 31, v0
	v_add_co_u32_e32 v2, vcc, s10, v0
	v_addc_co_u32_e32 v3, vcc, v1, v3, vcc
	s_cbranch_scc1 .LBB22_766
; %bb.760:
	s_and_b32 s41, 0xffff, s40
	s_cmp_gt_i32 s41, 25
	s_cbranch_scc0 .LBB22_768
; %bb.761:
	s_cmp_gt_i32 s41, 28
	s_cbranch_scc0 .LBB22_769
; %bb.762:
	;; [unrolled: 3-line block ×4, first 2 shown]
	s_cmp_eq_u32 s41, 46
	s_mov_b64 s[38:39], 0
	s_cbranch_scc0 .LBB22_774
; %bb.765:
	global_load_dword v0, v[2:3], off
	s_mov_b32 s0, 0x2f800000
	s_mov_b32 s1, 0xcf800000
	s_waitcnt vmcnt(0)
	v_lshlrev_b32_e32 v0, 16, v0
	v_trunc_f32_e32 v0, v0
	v_mul_f32_e64 v1, |v0|, s0
	v_floor_f32_e32 v1, v1
	v_fma_f32 v1, v1, s1, |v0|
	v_cvt_u32_f32_e32 v1, v1
	v_ashrrev_i32_e32 v0, 31, v0
	s_mov_b64 s[0:1], -1
	v_xor_b32_e32 v1, v1, v0
	v_sub_u32_e32 v0, v1, v0
	s_branch .LBB22_775
.LBB22_766:
	s_mov_b64 s[38:39], -1
	s_mov_b64 s[0:1], 0
                                        ; implicit-def: $vgpr0
	s_mov_b64 s[36:37], s[24:25]
	s_branch .LBB22_836
.LBB22_767:
	s_mov_b64 s[34:35], 0
	s_branch .LBB22_518
.LBB22_768:
	s_mov_b64 s[38:39], -1
	s_mov_b64 s[0:1], 0
	s_mov_b64 s[36:37], s[24:25]
                                        ; implicit-def: $vgpr0
	s_branch .LBB22_802
.LBB22_769:
	s_mov_b64 s[38:39], -1
	s_mov_b64 s[0:1], 0
	s_mov_b64 s[36:37], s[24:25]
                                        ; implicit-def: $vgpr0
	s_branch .LBB22_785
.LBB22_770:
	s_mov_b64 s[38:39], -1
	s_mov_b64 s[0:1], 0
	s_mov_b64 s[36:37], s[24:25]
                                        ; implicit-def: $vgpr0
	s_branch .LBB22_780
.LBB22_771:
	s_mov_b64 s[38:39], -1
	s_mov_b64 s[0:1], 0
	s_mov_b64 s[36:37], s[24:25]
                                        ; implicit-def: $vgpr0
	s_branch .LBB22_775
.LBB22_772:
	s_andn2_saveexec_b64 s[36:37], s[36:37]
	s_cbranch_execz .LBB22_667
.LBB22_773:
	v_add_f32_e32 v3, 0x46000000, v4
	v_and_b32_e32 v3, 0xff, v3
	v_cmp_ne_u32_e32 vcc, 0, v3
	s_andn2_b64 s[34:35], s[34:35], exec
	s_and_b64 s[40:41], vcc, exec
	s_or_b64 s[34:35], s[34:35], s[40:41]
	s_or_b64 exec, exec, s[36:37]
	v_mov_b32_e32 v5, 0
	s_and_saveexec_b64 s[36:37], s[34:35]
	s_cbranch_execnz .LBB22_668
	s_branch .LBB22_669
.LBB22_774:
	s_mov_b64 s[36:37], -1
                                        ; implicit-def: $vgpr0
	s_mov_b64 s[0:1], 0
.LBB22_775:
	s_and_b64 vcc, exec, s[38:39]
	s_cbranch_vccz .LBB22_779
; %bb.776:
	s_cmp_eq_u32 s41, 44
	s_cbranch_scc0 .LBB22_778
; %bb.777:
	global_load_ubyte v0, v[2:3], off
	s_mov_b32 s0, 0x2f800000
	s_mov_b32 s1, 0xcf800000
	s_mov_b64 s[36:37], 0
	s_waitcnt vmcnt(0)
	v_lshlrev_b32_e32 v1, 23, v0
	v_trunc_f32_e32 v1, v1
	v_mul_f32_e64 v4, |v1|, s0
	v_floor_f32_e32 v4, v4
	v_fma_f32 v4, v4, s1, |v1|
	v_cvt_u32_f32_e32 v4, v4
	v_ashrrev_i32_e32 v1, 31, v1
	v_cmp_ne_u32_e32 vcc, 0, v0
	s_mov_b64 s[0:1], -1
	v_xor_b32_e32 v4, v4, v1
	v_sub_u32_e32 v1, v4, v1
	v_cndmask_b32_e32 v0, 0, v1, vcc
	s_branch .LBB22_779
.LBB22_778:
	s_mov_b64 s[36:37], -1
                                        ; implicit-def: $vgpr0
.LBB22_779:
	s_mov_b64 s[38:39], 0
.LBB22_780:
	s_and_b64 vcc, exec, s[38:39]
	s_cbranch_vccz .LBB22_784
; %bb.781:
	s_cmp_eq_u32 s41, 29
	s_cbranch_scc0 .LBB22_783
; %bb.782:
	global_load_dwordx2 v[0:1], v[2:3], off
	s_mov_b64 s[0:1], -1
	s_mov_b64 s[36:37], 0
	s_branch .LBB22_784
.LBB22_783:
	s_mov_b64 s[36:37], -1
                                        ; implicit-def: $vgpr0
.LBB22_784:
	s_mov_b64 s[38:39], 0
.LBB22_785:
	s_and_b64 vcc, exec, s[38:39]
	s_cbranch_vccz .LBB22_801
; %bb.786:
	s_cmp_lt_i32 s41, 27
	s_cbranch_scc1 .LBB22_789
; %bb.787:
	s_cmp_gt_i32 s41, 27
	s_cbranch_scc0 .LBB22_790
; %bb.788:
	global_load_dword v0, v[2:3], off
	s_mov_b64 s[0:1], 0
	s_branch .LBB22_791
.LBB22_789:
	s_mov_b64 s[0:1], -1
                                        ; implicit-def: $vgpr0
	s_branch .LBB22_794
.LBB22_790:
	s_mov_b64 s[0:1], -1
                                        ; implicit-def: $vgpr0
.LBB22_791:
	s_andn2_b64 vcc, exec, s[0:1]
	s_cbranch_vccnz .LBB22_793
; %bb.792:
	global_load_ushort v0, v[2:3], off
.LBB22_793:
	s_mov_b64 s[0:1], 0
.LBB22_794:
	s_andn2_b64 vcc, exec, s[0:1]
	s_cbranch_vccnz .LBB22_800
; %bb.795:
	global_load_ubyte v1, v[2:3], off
	s_movk_i32 s0, 0x7f
	s_mov_b64 s[38:39], 0
	s_waitcnt vmcnt(0)
	v_cmp_lt_i16_e32 vcc, s0, v1
	s_and_saveexec_b64 s[0:1], vcc
	s_xor_b64 s[0:1], exec, s[0:1]
	s_cbranch_execz .LBB22_812
; %bb.796:
	s_movk_i32 s38, 0x80
	v_cmp_ne_u16_e32 vcc, s38, v1
	s_and_b64 s[38:39], vcc, exec
	s_andn2_saveexec_b64 s[0:1], s[0:1]
	s_cbranch_execnz .LBB22_813
.LBB22_797:
	s_or_b64 exec, exec, s[0:1]
	v_mov_b32_e32 v0, 0
	s_and_saveexec_b64 s[0:1], s[38:39]
	s_cbranch_execz .LBB22_799
.LBB22_798:
	v_lshlrev_b32_e32 v0, 24, v1
	v_and_b32_e32 v1, 0xffff, v1
	v_and_b32_e32 v4, 7, v1
	v_ffbh_u32_e32 v6, v4
	v_min_u32_e32 v6, 32, v6
	v_subrev_u32_e32 v7, 28, v6
	v_bfe_u32 v5, v1, 3, 4
	v_lshlrev_b32_e32 v1, v7, v1
	v_sub_u32_e32 v6, 29, v6
	v_and_b32_e32 v1, 7, v1
	v_cmp_eq_u32_e32 vcc, 0, v5
	v_cndmask_b32_e32 v5, v5, v6, vcc
	v_cndmask_b32_e32 v1, v4, v1, vcc
	v_mov_b32_e32 v4, 0x3b800000
	v_lshlrev_b32_e32 v1, 20, v1
	v_and_b32_e32 v0, 0x80000000, v0
	v_lshl_add_u32 v4, v5, 23, v4
	v_or3_b32 v0, v0, v4, v1
	v_trunc_f32_e32 v0, v0
	s_mov_b32 s38, 0x2f800000
	v_mul_f32_e64 v1, |v0|, s38
	v_floor_f32_e32 v1, v1
	s_mov_b32 s38, 0xcf800000
	v_fma_f32 v1, v1, s38, |v0|
	v_cvt_u32_f32_e32 v1, v1
	v_ashrrev_i32_e32 v0, 31, v0
	v_xor_b32_e32 v1, v1, v0
	v_sub_u32_e32 v0, v1, v0
.LBB22_799:
	s_or_b64 exec, exec, s[0:1]
.LBB22_800:
	s_mov_b64 s[0:1], -1
.LBB22_801:
	s_mov_b64 s[38:39], 0
.LBB22_802:
	s_and_b64 vcc, exec, s[38:39]
	s_cbranch_vccz .LBB22_835
; %bb.803:
	s_cmp_gt_i32 s41, 22
	s_cbranch_scc0 .LBB22_811
; %bb.804:
	s_cmp_lt_i32 s41, 24
	s_cbranch_scc1 .LBB22_814
; %bb.805:
	s_cmp_gt_i32 s41, 24
	s_cbranch_scc0 .LBB22_815
; %bb.806:
	global_load_ubyte v1, v[2:3], off
	s_movk_i32 s0, 0x7f
	s_mov_b64 s[38:39], 0
	s_waitcnt vmcnt(0)
	v_cmp_lt_i16_e32 vcc, s0, v1
	s_and_saveexec_b64 s[0:1], vcc
	s_xor_b64 s[0:1], exec, s[0:1]
	s_cbranch_execz .LBB22_827
; %bb.807:
	s_movk_i32 s38, 0x80
	v_cmp_ne_u16_e32 vcc, s38, v1
	s_and_b64 s[38:39], vcc, exec
	s_andn2_saveexec_b64 s[0:1], s[0:1]
	s_cbranch_execnz .LBB22_828
.LBB22_808:
	s_or_b64 exec, exec, s[0:1]
	v_mov_b32_e32 v0, 0
	s_and_saveexec_b64 s[0:1], s[38:39]
	s_cbranch_execz .LBB22_810
.LBB22_809:
	v_lshlrev_b32_e32 v0, 24, v1
	v_and_b32_e32 v1, 0xffff, v1
	v_and_b32_e32 v4, 3, v1
	v_ffbh_u32_e32 v6, v4
	v_min_u32_e32 v6, 32, v6
	v_subrev_u32_e32 v7, 29, v6
	v_bfe_u32 v5, v1, 2, 5
	v_lshlrev_b32_e32 v1, v7, v1
	v_sub_u32_e32 v6, 30, v6
	v_and_b32_e32 v1, 3, v1
	v_cmp_eq_u32_e32 vcc, 0, v5
	v_cndmask_b32_e32 v5, v5, v6, vcc
	v_cndmask_b32_e32 v1, v4, v1, vcc
	v_mov_b32_e32 v4, 0x37800000
	v_lshlrev_b32_e32 v1, 21, v1
	v_and_b32_e32 v0, 0x80000000, v0
	v_lshl_add_u32 v4, v5, 23, v4
	v_or3_b32 v0, v0, v4, v1
	v_trunc_f32_e32 v0, v0
	s_mov_b32 s38, 0x2f800000
	v_mul_f32_e64 v1, |v0|, s38
	v_floor_f32_e32 v1, v1
	s_mov_b32 s38, 0xcf800000
	v_fma_f32 v1, v1, s38, |v0|
	v_cvt_u32_f32_e32 v1, v1
	v_ashrrev_i32_e32 v0, 31, v0
	v_xor_b32_e32 v1, v1, v0
	v_sub_u32_e32 v0, v1, v0
.LBB22_810:
	s_or_b64 exec, exec, s[0:1]
	s_mov_b64 s[0:1], 0
	s_branch .LBB22_816
.LBB22_811:
	s_mov_b64 s[38:39], -1
                                        ; implicit-def: $vgpr0
	s_branch .LBB22_822
.LBB22_812:
	s_andn2_saveexec_b64 s[0:1], s[0:1]
	s_cbranch_execz .LBB22_797
.LBB22_813:
	v_cmp_ne_u16_e32 vcc, 0, v1
	s_andn2_b64 s[38:39], s[38:39], exec
	s_and_b64 s[42:43], vcc, exec
	s_or_b64 s[38:39], s[38:39], s[42:43]
	s_or_b64 exec, exec, s[0:1]
	v_mov_b32_e32 v0, 0
	s_and_saveexec_b64 s[0:1], s[38:39]
	s_cbranch_execnz .LBB22_798
	s_branch .LBB22_799
.LBB22_814:
	s_mov_b64 s[0:1], -1
                                        ; implicit-def: $vgpr0
	s_branch .LBB22_819
.LBB22_815:
	s_mov_b64 s[0:1], -1
                                        ; implicit-def: $vgpr0
.LBB22_816:
	s_and_b64 vcc, exec, s[0:1]
	s_cbranch_vccz .LBB22_818
; %bb.817:
	global_load_ubyte v0, v[2:3], off
	s_mov_b32 s0, 0x7f800000
	s_brev_b32 s1, 1
	s_mov_b32 s38, 0x2f800000
	s_waitcnt vmcnt(0)
	v_lshlrev_b32_e32 v0, 24, v0
	v_and_b32_e32 v1, 0x7f000000, v0
	v_ffbh_u32_e32 v4, v1
	v_min_u32_e32 v4, 32, v4
	v_sub_u32_e64 v4, v4, 4 clamp
	v_lshlrev_b32_e32 v6, v4, v1
	v_lshlrev_b32_e32 v4, 23, v4
	v_lshrrev_b32_e32 v6, 4, v6
	v_add_u32_e32 v5, 0x1000000, v1
	v_sub_u32_e32 v4, v6, v4
	v_ashrrev_i32_e32 v5, 8, v5
	v_add_u32_e32 v4, 0x3c000000, v4
	v_and_or_b32 v4, v5, s0, v4
	v_cmp_ne_u32_e32 vcc, 0, v1
	v_cndmask_b32_e32 v1, 0, v4, vcc
	v_and_or_b32 v0, v0, s1, v1
	v_trunc_f32_e32 v0, v0
	v_mul_f32_e64 v1, |v0|, s38
	v_floor_f32_e32 v1, v1
	s_mov_b32 s0, 0xcf800000
	v_fma_f32 v1, v1, s0, |v0|
	v_cvt_u32_f32_e32 v1, v1
	v_ashrrev_i32_e32 v0, 31, v0
	v_xor_b32_e32 v1, v1, v0
	v_sub_u32_e32 v0, v1, v0
.LBB22_818:
	s_mov_b64 s[0:1], 0
.LBB22_819:
	s_andn2_b64 vcc, exec, s[0:1]
	s_cbranch_vccnz .LBB22_821
; %bb.820:
	global_load_ubyte v0, v[2:3], off
	s_movk_i32 s0, 0x7f00
	s_brev_b32 s1, 16
	s_brev_b32 s38, 1
	s_mov_b32 s39, 0x2f800000
	s_waitcnt vmcnt(0)
	v_lshlrev_b16_e32 v1, 8, v0
	v_lshlrev_b32_e32 v0, 25, v0
	v_lshrrev_b32_e32 v4, 4, v0
	v_and_or_b32 v5, v1, s0, 0.5
	v_or_b32_e32 v4, 0x70000000, v4
	v_add_f32_e32 v5, -0.5, v5
	v_mul_f32_e32 v4, 0x7800000, v4
	v_cmp_gt_u32_e32 vcc, s1, v0
	v_bfe_i32 v1, v1, 0, 16
	v_cndmask_b32_e32 v0, v4, v5, vcc
	v_and_or_b32 v0, v1, s38, v0
	v_trunc_f32_e32 v0, v0
	v_mul_f32_e64 v1, |v0|, s39
	v_floor_f32_e32 v1, v1
	s_mov_b32 s0, 0xcf800000
	v_fma_f32 v1, v1, s0, |v0|
	v_cvt_u32_f32_e32 v1, v1
	v_ashrrev_i32_e32 v0, 31, v0
	v_xor_b32_e32 v1, v1, v0
	v_sub_u32_e32 v0, v1, v0
.LBB22_821:
	s_mov_b64 s[38:39], 0
	s_mov_b64 s[0:1], -1
.LBB22_822:
	s_andn2_b64 vcc, exec, s[38:39]
	s_cbranch_vccnz .LBB22_835
; %bb.823:
	s_cmp_gt_i32 s41, 14
	s_cbranch_scc0 .LBB22_826
; %bb.824:
	s_cmp_eq_u32 s41, 15
	s_cbranch_scc0 .LBB22_829
; %bb.825:
	global_load_ushort v0, v[2:3], off
	s_mov_b32 s0, 0x2f800000
	s_mov_b32 s1, 0xcf800000
	s_mov_b64 s[36:37], 0
	s_waitcnt vmcnt(0)
	v_lshlrev_b32_e32 v0, 16, v0
	v_trunc_f32_e32 v0, v0
	v_mul_f32_e64 v1, |v0|, s0
	v_floor_f32_e32 v1, v1
	v_fma_f32 v1, v1, s1, |v0|
	v_cvt_u32_f32_e32 v1, v1
	v_ashrrev_i32_e32 v0, 31, v0
	s_mov_b64 s[0:1], -1
	v_xor_b32_e32 v1, v1, v0
	v_sub_u32_e32 v0, v1, v0
	s_branch .LBB22_830
.LBB22_826:
	s_mov_b64 s[38:39], -1
                                        ; implicit-def: $vgpr0
	s_branch .LBB22_831
.LBB22_827:
	s_andn2_saveexec_b64 s[0:1], s[0:1]
	s_cbranch_execz .LBB22_808
.LBB22_828:
	v_cmp_ne_u16_e32 vcc, 0, v1
	s_andn2_b64 s[38:39], s[38:39], exec
	s_and_b64 s[42:43], vcc, exec
	s_or_b64 s[38:39], s[38:39], s[42:43]
	s_or_b64 exec, exec, s[0:1]
	v_mov_b32_e32 v0, 0
	s_and_saveexec_b64 s[0:1], s[38:39]
	s_cbranch_execnz .LBB22_809
	s_branch .LBB22_810
.LBB22_829:
	s_mov_b64 s[36:37], -1
                                        ; implicit-def: $vgpr0
.LBB22_830:
	s_mov_b64 s[38:39], 0
.LBB22_831:
	s_and_b64 vcc, exec, s[38:39]
	s_cbranch_vccz .LBB22_835
; %bb.832:
	s_cmp_eq_u32 s41, 11
	s_cbranch_scc0 .LBB22_834
; %bb.833:
	global_load_ubyte v0, v[2:3], off
	s_mov_b64 s[0:1], -1
	s_mov_b64 s[36:37], 0
	s_waitcnt vmcnt(0)
	v_cmp_ne_u16_e32 vcc, 0, v0
	v_cndmask_b32_e64 v0, 0, 1, vcc
	s_branch .LBB22_835
.LBB22_834:
	s_mov_b64 s[36:37], -1
                                        ; implicit-def: $vgpr0
.LBB22_835:
	s_mov_b64 s[38:39], 0
.LBB22_836:
	s_and_b64 vcc, exec, s[38:39]
	s_cbranch_vccz .LBB22_885
; %bb.837:
	s_and_b32 s38, 0xffff, s40
	s_cmp_lt_i32 s38, 5
	s_cbranch_scc1 .LBB22_842
; %bb.838:
	s_cmp_lt_i32 s38, 8
	s_cbranch_scc1 .LBB22_843
; %bb.839:
	;; [unrolled: 3-line block ×3, first 2 shown]
	s_cmp_gt_i32 s38, 9
	s_cbranch_scc0 .LBB22_845
; %bb.841:
	global_load_dwordx2 v[0:1], v[2:3], off
	s_movk_i32 s0, 0xffe0
	s_waitcnt vmcnt(0)
	v_trunc_f64_e32 v[0:1], v[0:1]
	v_ldexp_f64 v[4:5], v[0:1], s0
	s_mov_b32 s0, 0
	s_mov_b32 s1, 0xc1f00000
	v_floor_f64_e32 v[4:5], v[4:5]
	v_fma_f64 v[0:1], v[4:5], s[0:1], v[0:1]
	s_mov_b64 s[0:1], 0
	v_cvt_u32_f64_e32 v0, v[0:1]
	s_branch .LBB22_846
.LBB22_842:
	s_mov_b64 s[0:1], -1
                                        ; implicit-def: $vgpr0
	s_branch .LBB22_864
.LBB22_843:
	s_mov_b64 s[0:1], -1
                                        ; implicit-def: $vgpr0
	s_branch .LBB22_852
.LBB22_844:
	s_mov_b64 s[0:1], -1
                                        ; implicit-def: $vgpr0
	s_branch .LBB22_849
.LBB22_845:
	s_mov_b64 s[0:1], -1
                                        ; implicit-def: $vgpr0
.LBB22_846:
	s_andn2_b64 vcc, exec, s[0:1]
	s_cbranch_vccnz .LBB22_848
; %bb.847:
	global_load_dword v0, v[2:3], off
	s_mov_b32 s0, 0x2f800000
	s_waitcnt vmcnt(0)
	v_trunc_f32_e32 v0, v0
	v_mul_f32_e64 v1, |v0|, s0
	v_floor_f32_e32 v1, v1
	s_mov_b32 s0, 0xcf800000
	v_fma_f32 v1, v1, s0, |v0|
	v_cvt_u32_f32_e32 v1, v1
	v_ashrrev_i32_e32 v0, 31, v0
	v_xor_b32_e32 v1, v1, v0
	v_sub_u32_e32 v0, v1, v0
.LBB22_848:
	s_mov_b64 s[0:1], 0
.LBB22_849:
	s_andn2_b64 vcc, exec, s[0:1]
	s_cbranch_vccnz .LBB22_851
; %bb.850:
	global_load_dword v0, v[2:3], off
	s_waitcnt vmcnt(0)
	v_cvt_f32_f16_e32 v0, v0
	v_cvt_i32_f32_e32 v0, v0
.LBB22_851:
	s_mov_b64 s[0:1], 0
.LBB22_852:
	s_andn2_b64 vcc, exec, s[0:1]
	s_cbranch_vccnz .LBB22_863
; %bb.853:
	s_cmp_lt_i32 s38, 6
	s_cbranch_scc1 .LBB22_856
; %bb.854:
	s_cmp_gt_i32 s38, 6
	s_cbranch_scc0 .LBB22_857
; %bb.855:
	global_load_dwordx2 v[0:1], v[2:3], off
	s_movk_i32 s0, 0xffe0
	s_waitcnt vmcnt(0)
	v_trunc_f64_e32 v[0:1], v[0:1]
	v_ldexp_f64 v[4:5], v[0:1], s0
	s_mov_b32 s0, 0
	s_mov_b32 s1, 0xc1f00000
	v_floor_f64_e32 v[4:5], v[4:5]
	v_fma_f64 v[0:1], v[4:5], s[0:1], v[0:1]
	s_mov_b64 s[0:1], 0
	v_cvt_u32_f64_e32 v0, v[0:1]
	s_branch .LBB22_858
.LBB22_856:
	s_mov_b64 s[0:1], -1
                                        ; implicit-def: $vgpr0
	s_branch .LBB22_861
.LBB22_857:
	s_mov_b64 s[0:1], -1
                                        ; implicit-def: $vgpr0
.LBB22_858:
	s_andn2_b64 vcc, exec, s[0:1]
	s_cbranch_vccnz .LBB22_860
; %bb.859:
	global_load_dword v0, v[2:3], off
	s_mov_b32 s0, 0x2f800000
	s_waitcnt vmcnt(0)
	v_trunc_f32_e32 v0, v0
	v_mul_f32_e64 v1, |v0|, s0
	v_floor_f32_e32 v1, v1
	s_mov_b32 s0, 0xcf800000
	v_fma_f32 v1, v1, s0, |v0|
	v_cvt_u32_f32_e32 v1, v1
	v_ashrrev_i32_e32 v0, 31, v0
	v_xor_b32_e32 v1, v1, v0
	v_sub_u32_e32 v0, v1, v0
.LBB22_860:
	s_mov_b64 s[0:1], 0
.LBB22_861:
	s_andn2_b64 vcc, exec, s[0:1]
	s_cbranch_vccnz .LBB22_863
; %bb.862:
	global_load_ushort v0, v[2:3], off
	s_waitcnt vmcnt(0)
	v_cvt_f32_f16_e32 v0, v0
	v_cvt_i32_f32_e32 v0, v0
.LBB22_863:
	s_mov_b64 s[0:1], 0
.LBB22_864:
	s_andn2_b64 vcc, exec, s[0:1]
	s_cbranch_vccnz .LBB22_884
; %bb.865:
	s_cmp_lt_i32 s38, 2
	s_cbranch_scc1 .LBB22_869
; %bb.866:
	s_cmp_lt_i32 s38, 3
	s_cbranch_scc1 .LBB22_870
; %bb.867:
	s_cmp_gt_i32 s38, 3
	s_cbranch_scc0 .LBB22_871
; %bb.868:
	global_load_dwordx2 v[0:1], v[2:3], off
	s_mov_b64 s[0:1], 0
	s_branch .LBB22_872
.LBB22_869:
	s_mov_b64 s[0:1], -1
                                        ; implicit-def: $vgpr0
	s_branch .LBB22_878
.LBB22_870:
	s_mov_b64 s[0:1], -1
                                        ; implicit-def: $vgpr0
	s_branch .LBB22_875
.LBB22_871:
	s_mov_b64 s[0:1], -1
                                        ; implicit-def: $vgpr0
.LBB22_872:
	s_andn2_b64 vcc, exec, s[0:1]
	s_cbranch_vccnz .LBB22_874
; %bb.873:
	global_load_dword v0, v[2:3], off
.LBB22_874:
	s_mov_b64 s[0:1], 0
.LBB22_875:
	s_andn2_b64 vcc, exec, s[0:1]
	s_cbranch_vccnz .LBB22_877
; %bb.876:
	global_load_ushort v0, v[2:3], off
.LBB22_877:
	s_mov_b64 s[0:1], 0
.LBB22_878:
	s_andn2_b64 vcc, exec, s[0:1]
	s_cbranch_vccnz .LBB22_884
; %bb.879:
	s_cmp_gt_i32 s38, 0
	s_cbranch_scc0 .LBB22_881
; %bb.880:
	global_load_ubyte v0, v[2:3], off
	s_mov_b64 s[0:1], 0
	s_branch .LBB22_882
.LBB22_881:
	s_mov_b64 s[0:1], -1
                                        ; implicit-def: $vgpr0
.LBB22_882:
	s_andn2_b64 vcc, exec, s[0:1]
	s_cbranch_vccnz .LBB22_884
; %bb.883:
	global_load_ubyte v0, v[2:3], off
.LBB22_884:
	s_mov_b64 s[0:1], -1
.LBB22_885:
	s_andn2_b64 vcc, exec, s[0:1]
	s_cbranch_vccnz .LBB22_893
; %bb.886:
	s_waitcnt vmcnt(0)
	v_mul_lo_u32 v1, v11, s14
	v_mov_b32_e32 v2, s3
	s_and_b32 s42, s15, 0xff
	s_cmp_lt_i32 s42, 11
	v_ashrrev_i32_e32 v3, 31, v1
	v_add_co_u32_e32 v1, vcc, s2, v1
	v_addc_co_u32_e32 v2, vcc, v2, v3, vcc
	s_cbranch_scc1 .LBB22_895
; %bb.887:
	s_and_b32 s43, 0xffff, s42
	s_cmp_gt_i32 s43, 25
	s_cbranch_scc0 .LBB22_896
; %bb.888:
	s_cmp_gt_i32 s43, 28
	s_cbranch_scc0 .LBB22_897
; %bb.889:
	;; [unrolled: 3-line block ×4, first 2 shown]
	s_cmp_eq_u32 s43, 46
	s_mov_b64 s[40:41], 0
	s_cbranch_scc0 .LBB22_902
; %bb.892:
	global_load_dword v3, v[1:2], off
	s_mov_b32 s0, 0x2f800000
	s_mov_b32 s1, 0xcf800000
	s_mov_b64 s[38:39], 0
	s_waitcnt vmcnt(0)
	v_lshlrev_b32_e32 v3, 16, v3
	v_trunc_f32_e32 v3, v3
	v_mul_f32_e64 v4, |v3|, s0
	v_floor_f32_e32 v4, v4
	v_fma_f32 v4, v4, s1, |v3|
	v_cvt_u32_f32_e32 v4, v4
	v_ashrrev_i32_e32 v3, 31, v3
	s_mov_b64 s[0:1], -1
	v_xor_b32_e32 v4, v4, v3
	v_sub_u32_e32 v3, v4, v3
	s_branch .LBB22_903
.LBB22_893:
	s_mov_b64 s[42:43], 0
	s_mov_b64 s[0:1], s[28:29]
	;; [unrolled: 1-line block ×3, first 2 shown]
.LBB22_894:
                                        ; implicit-def: $vgpr11
	s_branch .LBB22_1137
.LBB22_895:
	s_mov_b64 s[40:41], -1
	s_mov_b64 s[0:1], 0
                                        ; implicit-def: $vgpr3
	s_mov_b64 s[38:39], s[26:27]
	s_branch .LBB22_964
.LBB22_896:
	s_mov_b64 s[40:41], -1
	s_mov_b64 s[0:1], 0
	s_mov_b64 s[38:39], s[26:27]
                                        ; implicit-def: $vgpr3
	s_branch .LBB22_930
.LBB22_897:
	s_mov_b64 s[40:41], -1
	s_mov_b64 s[0:1], 0
	s_mov_b64 s[38:39], s[26:27]
                                        ; implicit-def: $vgpr3
	s_branch .LBB22_913
.LBB22_898:
	s_mov_b64 s[40:41], -1
	s_mov_b64 s[0:1], 0
	s_mov_b64 s[38:39], s[26:27]
                                        ; implicit-def: $vgpr3
	s_branch .LBB22_908
.LBB22_899:
	s_mov_b64 s[40:41], -1
	s_mov_b64 s[0:1], 0
	s_mov_b64 s[38:39], s[26:27]
                                        ; implicit-def: $vgpr3
	s_branch .LBB22_903
.LBB22_900:
	s_andn2_saveexec_b64 s[36:37], s[36:37]
	s_cbranch_execz .LBB22_680
.LBB22_901:
	v_add_f32_e32 v3, 0x42800000, v4
	v_and_b32_e32 v3, 0xff, v3
	v_cmp_ne_u32_e32 vcc, 0, v3
	s_andn2_b64 s[34:35], s[34:35], exec
	s_and_b64 s[40:41], vcc, exec
	s_or_b64 s[34:35], s[34:35], s[40:41]
	s_or_b64 exec, exec, s[36:37]
	v_mov_b32_e32 v5, 0
	s_and_saveexec_b64 s[36:37], s[34:35]
	s_cbranch_execnz .LBB22_681
	s_branch .LBB22_682
.LBB22_902:
	s_mov_b64 s[38:39], -1
                                        ; implicit-def: $vgpr3
	s_mov_b64 s[0:1], 0
.LBB22_903:
	s_and_b64 vcc, exec, s[40:41]
	s_cbranch_vccz .LBB22_907
; %bb.904:
	s_cmp_eq_u32 s43, 44
	s_cbranch_scc0 .LBB22_906
; %bb.905:
	global_load_ubyte v3, v[1:2], off
	s_mov_b32 s0, 0x2f800000
	s_mov_b32 s1, 0xcf800000
	s_mov_b64 s[38:39], 0
	s_waitcnt vmcnt(0)
	v_lshlrev_b32_e32 v4, 23, v3
	v_trunc_f32_e32 v4, v4
	v_mul_f32_e64 v5, |v4|, s0
	v_floor_f32_e32 v5, v5
	v_fma_f32 v5, v5, s1, |v4|
	v_cvt_u32_f32_e32 v5, v5
	v_ashrrev_i32_e32 v4, 31, v4
	v_cmp_ne_u32_e32 vcc, 0, v3
	s_mov_b64 s[0:1], -1
	v_xor_b32_e32 v5, v5, v4
	v_sub_u32_e32 v4, v5, v4
	v_cndmask_b32_e32 v3, 0, v4, vcc
	s_branch .LBB22_907
.LBB22_906:
	s_mov_b64 s[38:39], -1
                                        ; implicit-def: $vgpr3
.LBB22_907:
	s_mov_b64 s[40:41], 0
.LBB22_908:
	s_and_b64 vcc, exec, s[40:41]
	s_cbranch_vccz .LBB22_912
; %bb.909:
	s_cmp_eq_u32 s43, 29
	s_cbranch_scc0 .LBB22_911
; %bb.910:
	global_load_dwordx2 v[3:4], v[1:2], off
	s_mov_b64 s[0:1], -1
	s_mov_b64 s[38:39], 0
	s_branch .LBB22_912
.LBB22_911:
	s_mov_b64 s[38:39], -1
                                        ; implicit-def: $vgpr3
.LBB22_912:
	s_mov_b64 s[40:41], 0
.LBB22_913:
	s_and_b64 vcc, exec, s[40:41]
	s_cbranch_vccz .LBB22_929
; %bb.914:
	s_cmp_lt_i32 s43, 27
	s_cbranch_scc1 .LBB22_917
; %bb.915:
	s_cmp_gt_i32 s43, 27
	s_cbranch_scc0 .LBB22_918
; %bb.916:
	global_load_dword v3, v[1:2], off
	s_mov_b64 s[0:1], 0
	s_branch .LBB22_919
.LBB22_917:
	s_mov_b64 s[0:1], -1
                                        ; implicit-def: $vgpr3
	s_branch .LBB22_922
.LBB22_918:
	s_mov_b64 s[0:1], -1
                                        ; implicit-def: $vgpr3
.LBB22_919:
	s_andn2_b64 vcc, exec, s[0:1]
	s_cbranch_vccnz .LBB22_921
; %bb.920:
	global_load_ushort v3, v[1:2], off
.LBB22_921:
	s_mov_b64 s[0:1], 0
.LBB22_922:
	s_andn2_b64 vcc, exec, s[0:1]
	s_cbranch_vccnz .LBB22_928
; %bb.923:
	global_load_ubyte v4, v[1:2], off
	s_movk_i32 s0, 0x7f
	s_mov_b64 s[40:41], 0
	s_waitcnt vmcnt(0)
	v_cmp_lt_i16_e32 vcc, s0, v4
	s_and_saveexec_b64 s[0:1], vcc
	s_xor_b64 s[0:1], exec, s[0:1]
	s_cbranch_execz .LBB22_940
; %bb.924:
	s_movk_i32 s40, 0x80
	v_cmp_ne_u16_e32 vcc, s40, v4
	s_and_b64 s[40:41], vcc, exec
	s_andn2_saveexec_b64 s[0:1], s[0:1]
	s_cbranch_execnz .LBB22_941
.LBB22_925:
	s_or_b64 exec, exec, s[0:1]
	v_mov_b32_e32 v3, 0
	s_and_saveexec_b64 s[0:1], s[40:41]
	s_cbranch_execz .LBB22_927
.LBB22_926:
	v_lshlrev_b32_e32 v3, 24, v4
	v_and_b32_e32 v4, 0xffff, v4
	v_and_b32_e32 v5, 7, v4
	v_ffbh_u32_e32 v7, v5
	v_min_u32_e32 v7, 32, v7
	v_subrev_u32_e32 v8, 28, v7
	v_bfe_u32 v6, v4, 3, 4
	v_lshlrev_b32_e32 v4, v8, v4
	v_sub_u32_e32 v7, 29, v7
	v_and_b32_e32 v4, 7, v4
	v_cmp_eq_u32_e32 vcc, 0, v6
	v_cndmask_b32_e32 v6, v6, v7, vcc
	v_cndmask_b32_e32 v4, v5, v4, vcc
	v_mov_b32_e32 v5, 0x3b800000
	v_lshlrev_b32_e32 v4, 20, v4
	v_and_b32_e32 v3, 0x80000000, v3
	v_lshl_add_u32 v5, v6, 23, v5
	v_or3_b32 v3, v3, v5, v4
	v_trunc_f32_e32 v3, v3
	s_mov_b32 s40, 0x2f800000
	v_mul_f32_e64 v4, |v3|, s40
	v_floor_f32_e32 v4, v4
	s_mov_b32 s40, 0xcf800000
	v_fma_f32 v4, v4, s40, |v3|
	v_cvt_u32_f32_e32 v4, v4
	v_ashrrev_i32_e32 v3, 31, v3
	v_xor_b32_e32 v4, v4, v3
	v_sub_u32_e32 v3, v4, v3
.LBB22_927:
	s_or_b64 exec, exec, s[0:1]
.LBB22_928:
	s_mov_b64 s[0:1], -1
.LBB22_929:
	s_mov_b64 s[40:41], 0
.LBB22_930:
	s_and_b64 vcc, exec, s[40:41]
	s_cbranch_vccz .LBB22_963
; %bb.931:
	s_cmp_gt_i32 s43, 22
	s_cbranch_scc0 .LBB22_939
; %bb.932:
	s_cmp_lt_i32 s43, 24
	s_cbranch_scc1 .LBB22_942
; %bb.933:
	s_cmp_gt_i32 s43, 24
	s_cbranch_scc0 .LBB22_943
; %bb.934:
	global_load_ubyte v4, v[1:2], off
	s_movk_i32 s0, 0x7f
	s_mov_b64 s[40:41], 0
	s_waitcnt vmcnt(0)
	v_cmp_lt_i16_e32 vcc, s0, v4
	s_and_saveexec_b64 s[0:1], vcc
	s_xor_b64 s[0:1], exec, s[0:1]
	s_cbranch_execz .LBB22_955
; %bb.935:
	s_movk_i32 s40, 0x80
	v_cmp_ne_u16_e32 vcc, s40, v4
	s_and_b64 s[40:41], vcc, exec
	s_andn2_saveexec_b64 s[0:1], s[0:1]
	s_cbranch_execnz .LBB22_956
.LBB22_936:
	s_or_b64 exec, exec, s[0:1]
	v_mov_b32_e32 v3, 0
	s_and_saveexec_b64 s[0:1], s[40:41]
	s_cbranch_execz .LBB22_938
.LBB22_937:
	v_lshlrev_b32_e32 v3, 24, v4
	v_and_b32_e32 v4, 0xffff, v4
	v_and_b32_e32 v5, 3, v4
	v_ffbh_u32_e32 v7, v5
	v_min_u32_e32 v7, 32, v7
	v_subrev_u32_e32 v8, 29, v7
	v_bfe_u32 v6, v4, 2, 5
	v_lshlrev_b32_e32 v4, v8, v4
	v_sub_u32_e32 v7, 30, v7
	v_and_b32_e32 v4, 3, v4
	v_cmp_eq_u32_e32 vcc, 0, v6
	v_cndmask_b32_e32 v6, v6, v7, vcc
	v_cndmask_b32_e32 v4, v5, v4, vcc
	v_mov_b32_e32 v5, 0x37800000
	v_lshlrev_b32_e32 v4, 21, v4
	v_and_b32_e32 v3, 0x80000000, v3
	v_lshl_add_u32 v5, v6, 23, v5
	v_or3_b32 v3, v3, v5, v4
	v_trunc_f32_e32 v3, v3
	s_mov_b32 s40, 0x2f800000
	v_mul_f32_e64 v4, |v3|, s40
	v_floor_f32_e32 v4, v4
	s_mov_b32 s40, 0xcf800000
	v_fma_f32 v4, v4, s40, |v3|
	v_cvt_u32_f32_e32 v4, v4
	v_ashrrev_i32_e32 v3, 31, v3
	v_xor_b32_e32 v4, v4, v3
	v_sub_u32_e32 v3, v4, v3
.LBB22_938:
	s_or_b64 exec, exec, s[0:1]
	s_mov_b64 s[0:1], 0
	s_branch .LBB22_944
.LBB22_939:
	s_mov_b64 s[40:41], -1
                                        ; implicit-def: $vgpr3
	s_branch .LBB22_950
.LBB22_940:
	s_andn2_saveexec_b64 s[0:1], s[0:1]
	s_cbranch_execz .LBB22_925
.LBB22_941:
	v_cmp_ne_u16_e32 vcc, 0, v4
	s_andn2_b64 s[40:41], s[40:41], exec
	s_and_b64 s[44:45], vcc, exec
	s_or_b64 s[40:41], s[40:41], s[44:45]
	s_or_b64 exec, exec, s[0:1]
	v_mov_b32_e32 v3, 0
	s_and_saveexec_b64 s[0:1], s[40:41]
	s_cbranch_execnz .LBB22_926
	s_branch .LBB22_927
.LBB22_942:
	s_mov_b64 s[0:1], -1
                                        ; implicit-def: $vgpr3
	s_branch .LBB22_947
.LBB22_943:
	s_mov_b64 s[0:1], -1
                                        ; implicit-def: $vgpr3
.LBB22_944:
	s_and_b64 vcc, exec, s[0:1]
	s_cbranch_vccz .LBB22_946
; %bb.945:
	global_load_ubyte v3, v[1:2], off
	s_mov_b32 s0, 0x7f800000
	s_brev_b32 s1, 1
	s_mov_b32 s40, 0x2f800000
	s_waitcnt vmcnt(0)
	v_lshlrev_b32_e32 v3, 24, v3
	v_and_b32_e32 v4, 0x7f000000, v3
	v_ffbh_u32_e32 v5, v4
	v_min_u32_e32 v5, 32, v5
	v_sub_u32_e64 v5, v5, 4 clamp
	v_lshlrev_b32_e32 v7, v5, v4
	v_lshlrev_b32_e32 v5, 23, v5
	v_lshrrev_b32_e32 v7, 4, v7
	v_add_u32_e32 v6, 0x1000000, v4
	v_sub_u32_e32 v5, v7, v5
	v_ashrrev_i32_e32 v6, 8, v6
	v_add_u32_e32 v5, 0x3c000000, v5
	v_and_or_b32 v5, v6, s0, v5
	v_cmp_ne_u32_e32 vcc, 0, v4
	v_cndmask_b32_e32 v4, 0, v5, vcc
	v_and_or_b32 v3, v3, s1, v4
	v_trunc_f32_e32 v3, v3
	v_mul_f32_e64 v4, |v3|, s40
	v_floor_f32_e32 v4, v4
	s_mov_b32 s0, 0xcf800000
	v_fma_f32 v4, v4, s0, |v3|
	v_cvt_u32_f32_e32 v4, v4
	v_ashrrev_i32_e32 v3, 31, v3
	v_xor_b32_e32 v4, v4, v3
	v_sub_u32_e32 v3, v4, v3
.LBB22_946:
	s_mov_b64 s[0:1], 0
.LBB22_947:
	s_andn2_b64 vcc, exec, s[0:1]
	s_cbranch_vccnz .LBB22_949
; %bb.948:
	global_load_ubyte v3, v[1:2], off
	s_movk_i32 s0, 0x7f00
	s_brev_b32 s1, 16
	s_brev_b32 s40, 1
	s_mov_b32 s41, 0x2f800000
	s_waitcnt vmcnt(0)
	v_lshlrev_b16_e32 v4, 8, v3
	v_lshlrev_b32_e32 v3, 25, v3
	v_lshrrev_b32_e32 v5, 4, v3
	v_and_or_b32 v6, v4, s0, 0.5
	v_or_b32_e32 v5, 0x70000000, v5
	v_add_f32_e32 v6, -0.5, v6
	v_mul_f32_e32 v5, 0x7800000, v5
	v_cmp_gt_u32_e32 vcc, s1, v3
	v_bfe_i32 v4, v4, 0, 16
	v_cndmask_b32_e32 v3, v5, v6, vcc
	v_and_or_b32 v3, v4, s40, v3
	v_trunc_f32_e32 v3, v3
	v_mul_f32_e64 v4, |v3|, s41
	v_floor_f32_e32 v4, v4
	s_mov_b32 s0, 0xcf800000
	v_fma_f32 v4, v4, s0, |v3|
	v_cvt_u32_f32_e32 v4, v4
	v_ashrrev_i32_e32 v3, 31, v3
	v_xor_b32_e32 v4, v4, v3
	v_sub_u32_e32 v3, v4, v3
.LBB22_949:
	s_mov_b64 s[40:41], 0
	s_mov_b64 s[0:1], -1
.LBB22_950:
	s_andn2_b64 vcc, exec, s[40:41]
	s_cbranch_vccnz .LBB22_963
; %bb.951:
	s_cmp_gt_i32 s43, 14
	s_cbranch_scc0 .LBB22_954
; %bb.952:
	s_cmp_eq_u32 s43, 15
	s_cbranch_scc0 .LBB22_957
; %bb.953:
	global_load_ushort v3, v[1:2], off
	s_mov_b32 s0, 0x2f800000
	s_mov_b32 s1, 0xcf800000
	s_mov_b64 s[38:39], 0
	s_waitcnt vmcnt(0)
	v_lshlrev_b32_e32 v3, 16, v3
	v_trunc_f32_e32 v3, v3
	v_mul_f32_e64 v4, |v3|, s0
	v_floor_f32_e32 v4, v4
	v_fma_f32 v4, v4, s1, |v3|
	v_cvt_u32_f32_e32 v4, v4
	v_ashrrev_i32_e32 v3, 31, v3
	s_mov_b64 s[0:1], -1
	v_xor_b32_e32 v4, v4, v3
	v_sub_u32_e32 v3, v4, v3
	s_branch .LBB22_958
.LBB22_954:
	s_mov_b64 s[40:41], -1
                                        ; implicit-def: $vgpr3
	s_branch .LBB22_959
.LBB22_955:
	s_andn2_saveexec_b64 s[0:1], s[0:1]
	s_cbranch_execz .LBB22_936
.LBB22_956:
	v_cmp_ne_u16_e32 vcc, 0, v4
	s_andn2_b64 s[40:41], s[40:41], exec
	s_and_b64 s[44:45], vcc, exec
	s_or_b64 s[40:41], s[40:41], s[44:45]
	s_or_b64 exec, exec, s[0:1]
	v_mov_b32_e32 v3, 0
	s_and_saveexec_b64 s[0:1], s[40:41]
	s_cbranch_execnz .LBB22_937
	s_branch .LBB22_938
.LBB22_957:
	s_mov_b64 s[38:39], -1
                                        ; implicit-def: $vgpr3
.LBB22_958:
	s_mov_b64 s[40:41], 0
.LBB22_959:
	s_and_b64 vcc, exec, s[40:41]
	s_cbranch_vccz .LBB22_963
; %bb.960:
	s_cmp_eq_u32 s43, 11
	s_cbranch_scc0 .LBB22_962
; %bb.961:
	global_load_ubyte v3, v[1:2], off
	s_mov_b64 s[0:1], -1
	s_mov_b64 s[38:39], 0
	s_waitcnt vmcnt(0)
	v_cmp_ne_u16_e32 vcc, 0, v3
	v_cndmask_b32_e64 v3, 0, 1, vcc
	s_branch .LBB22_963
.LBB22_962:
	s_mov_b64 s[38:39], -1
                                        ; implicit-def: $vgpr3
.LBB22_963:
	s_mov_b64 s[40:41], 0
.LBB22_964:
	s_and_b64 vcc, exec, s[40:41]
	s_cbranch_vccz .LBB22_1013
; %bb.965:
	s_and_b32 s40, 0xffff, s42
	s_cmp_lt_i32 s40, 5
	s_cbranch_scc1 .LBB22_970
; %bb.966:
	s_cmp_lt_i32 s40, 8
	s_cbranch_scc1 .LBB22_971
; %bb.967:
	;; [unrolled: 3-line block ×3, first 2 shown]
	s_cmp_gt_i32 s40, 9
	s_cbranch_scc0 .LBB22_973
; %bb.969:
	global_load_dwordx2 v[3:4], v[1:2], off
	s_movk_i32 s0, 0xffe0
	s_waitcnt vmcnt(0)
	v_trunc_f64_e32 v[3:4], v[3:4]
	v_ldexp_f64 v[5:6], v[3:4], s0
	s_mov_b32 s0, 0
	s_mov_b32 s1, 0xc1f00000
	v_floor_f64_e32 v[5:6], v[5:6]
	v_fma_f64 v[3:4], v[5:6], s[0:1], v[3:4]
	s_mov_b64 s[0:1], 0
	v_cvt_u32_f64_e32 v3, v[3:4]
	s_branch .LBB22_974
.LBB22_970:
	s_mov_b64 s[0:1], -1
                                        ; implicit-def: $vgpr3
	s_branch .LBB22_992
.LBB22_971:
	s_mov_b64 s[0:1], -1
                                        ; implicit-def: $vgpr3
	s_branch .LBB22_980
.LBB22_972:
	s_mov_b64 s[0:1], -1
                                        ; implicit-def: $vgpr3
	s_branch .LBB22_977
.LBB22_973:
	s_mov_b64 s[0:1], -1
                                        ; implicit-def: $vgpr3
.LBB22_974:
	s_andn2_b64 vcc, exec, s[0:1]
	s_cbranch_vccnz .LBB22_976
; %bb.975:
	global_load_dword v3, v[1:2], off
	s_mov_b32 s0, 0x2f800000
	s_waitcnt vmcnt(0)
	v_trunc_f32_e32 v3, v3
	v_mul_f32_e64 v4, |v3|, s0
	v_floor_f32_e32 v4, v4
	s_mov_b32 s0, 0xcf800000
	v_fma_f32 v4, v4, s0, |v3|
	v_cvt_u32_f32_e32 v4, v4
	v_ashrrev_i32_e32 v3, 31, v3
	v_xor_b32_e32 v4, v4, v3
	v_sub_u32_e32 v3, v4, v3
.LBB22_976:
	s_mov_b64 s[0:1], 0
.LBB22_977:
	s_andn2_b64 vcc, exec, s[0:1]
	s_cbranch_vccnz .LBB22_979
; %bb.978:
	global_load_dword v3, v[1:2], off
	s_waitcnt vmcnt(0)
	v_cvt_f32_f16_e32 v3, v3
	v_cvt_i32_f32_e32 v3, v3
.LBB22_979:
	s_mov_b64 s[0:1], 0
.LBB22_980:
	s_andn2_b64 vcc, exec, s[0:1]
	s_cbranch_vccnz .LBB22_991
; %bb.981:
	s_cmp_lt_i32 s40, 6
	s_cbranch_scc1 .LBB22_984
; %bb.982:
	s_cmp_gt_i32 s40, 6
	s_cbranch_scc0 .LBB22_985
; %bb.983:
	global_load_dwordx2 v[3:4], v[1:2], off
	s_movk_i32 s0, 0xffe0
	s_waitcnt vmcnt(0)
	v_trunc_f64_e32 v[3:4], v[3:4]
	v_ldexp_f64 v[5:6], v[3:4], s0
	s_mov_b32 s0, 0
	s_mov_b32 s1, 0xc1f00000
	v_floor_f64_e32 v[5:6], v[5:6]
	v_fma_f64 v[3:4], v[5:6], s[0:1], v[3:4]
	s_mov_b64 s[0:1], 0
	v_cvt_u32_f64_e32 v3, v[3:4]
	s_branch .LBB22_986
.LBB22_984:
	s_mov_b64 s[0:1], -1
                                        ; implicit-def: $vgpr3
	s_branch .LBB22_989
.LBB22_985:
	s_mov_b64 s[0:1], -1
                                        ; implicit-def: $vgpr3
.LBB22_986:
	s_andn2_b64 vcc, exec, s[0:1]
	s_cbranch_vccnz .LBB22_988
; %bb.987:
	global_load_dword v3, v[1:2], off
	s_mov_b32 s0, 0x2f800000
	s_waitcnt vmcnt(0)
	v_trunc_f32_e32 v3, v3
	v_mul_f32_e64 v4, |v3|, s0
	v_floor_f32_e32 v4, v4
	s_mov_b32 s0, 0xcf800000
	v_fma_f32 v4, v4, s0, |v3|
	v_cvt_u32_f32_e32 v4, v4
	v_ashrrev_i32_e32 v3, 31, v3
	v_xor_b32_e32 v4, v4, v3
	v_sub_u32_e32 v3, v4, v3
.LBB22_988:
	s_mov_b64 s[0:1], 0
.LBB22_989:
	s_andn2_b64 vcc, exec, s[0:1]
	s_cbranch_vccnz .LBB22_991
; %bb.990:
	global_load_ushort v3, v[1:2], off
	s_waitcnt vmcnt(0)
	v_cvt_f32_f16_e32 v3, v3
	v_cvt_i32_f32_e32 v3, v3
.LBB22_991:
	s_mov_b64 s[0:1], 0
.LBB22_992:
	s_andn2_b64 vcc, exec, s[0:1]
	s_cbranch_vccnz .LBB22_1012
; %bb.993:
	s_cmp_lt_i32 s40, 2
	s_cbranch_scc1 .LBB22_997
; %bb.994:
	s_cmp_lt_i32 s40, 3
	s_cbranch_scc1 .LBB22_998
; %bb.995:
	s_cmp_gt_i32 s40, 3
	s_cbranch_scc0 .LBB22_999
; %bb.996:
	global_load_dwordx2 v[3:4], v[1:2], off
	s_mov_b64 s[0:1], 0
	s_branch .LBB22_1000
.LBB22_997:
	s_mov_b64 s[0:1], -1
                                        ; implicit-def: $vgpr3
	s_branch .LBB22_1006
.LBB22_998:
	s_mov_b64 s[0:1], -1
                                        ; implicit-def: $vgpr3
	s_branch .LBB22_1003
.LBB22_999:
	s_mov_b64 s[0:1], -1
                                        ; implicit-def: $vgpr3
.LBB22_1000:
	s_andn2_b64 vcc, exec, s[0:1]
	s_cbranch_vccnz .LBB22_1002
; %bb.1001:
	global_load_dword v3, v[1:2], off
.LBB22_1002:
	s_mov_b64 s[0:1], 0
.LBB22_1003:
	s_andn2_b64 vcc, exec, s[0:1]
	s_cbranch_vccnz .LBB22_1005
; %bb.1004:
	global_load_ushort v3, v[1:2], off
.LBB22_1005:
	s_mov_b64 s[0:1], 0
.LBB22_1006:
	s_andn2_b64 vcc, exec, s[0:1]
	s_cbranch_vccnz .LBB22_1012
; %bb.1007:
	s_cmp_gt_i32 s40, 0
	s_cbranch_scc0 .LBB22_1009
; %bb.1008:
	global_load_ubyte v3, v[1:2], off
	s_mov_b64 s[0:1], 0
	s_branch .LBB22_1010
.LBB22_1009:
	s_mov_b64 s[0:1], -1
                                        ; implicit-def: $vgpr3
.LBB22_1010:
	s_andn2_b64 vcc, exec, s[0:1]
	s_cbranch_vccnz .LBB22_1012
; %bb.1011:
	global_load_ubyte v3, v[1:2], off
.LBB22_1012:
	s_mov_b64 s[0:1], -1
.LBB22_1013:
	s_andn2_b64 vcc, exec, s[0:1]
	s_cbranch_vccnz .LBB22_1021
; %bb.1014:
	v_mul_lo_u32 v1, v11, s12
	v_mov_b32_e32 v2, 8
	s_waitcnt vmcnt(0)
	v_lshlrev_b32_e32 v0, v3, v0
	v_cmp_lt_u16_sdwa vcc, v3, v2 src0_sel:BYTE_0 src1_sel:DWORD
	v_cndmask_b32_e32 v2, 0, v0, vcc
	v_ashrrev_i32_e32 v3, 31, v1
	v_mov_b32_e32 v4, s9
	s_and_b32 s46, s33, 0xff
	v_add_co_u32_e32 v0, vcc, s8, v1
	s_cmp_lt_i32 s46, 11
	v_addc_co_u32_e32 v1, vcc, v4, v3, vcc
	s_cbranch_scc1 .LBB22_1022
; %bb.1015:
	s_and_b32 s47, 0xffff, s46
	s_cmp_gt_i32 s47, 25
	s_cbranch_scc0 .LBB22_1023
; %bb.1016:
	s_cmp_gt_i32 s47, 28
	s_cbranch_scc0 .LBB22_1024
; %bb.1017:
	;; [unrolled: 3-line block ×4, first 2 shown]
	s_mov_b64 s[42:43], 0
	s_mov_b64 s[0:1], -1
	s_cmp_eq_u32 s47, 46
	s_mov_b64 s[40:41], 0
	s_cbranch_scc0 .LBB22_1027
; %bb.1020:
	v_cvt_f32_ubyte0_e32 v3, v2
	v_bfe_u32 v4, v3, 16, 1
	s_movk_i32 s0, 0x7fff
	v_add3_u32 v3, v3, v4, s0
	v_lshrrev_b32_e32 v3, 16, v3
	global_store_dword v[0:1], v3, off
	s_mov_b64 s[40:41], -1
	s_mov_b64 s[0:1], 0
	s_branch .LBB22_1027
.LBB22_1021:
	s_mov_b64 s[42:43], 0
                                        ; implicit-def: $vgpr11
	s_mov_b64 s[0:1], s[28:29]
	s_branch .LBB22_1137
.LBB22_1022:
	s_mov_b64 s[42:43], -1
	s_mov_b64 s[40:41], 0
	s_mov_b64 s[0:1], s[28:29]
	s_branch .LBB22_1096
.LBB22_1023:
	s_mov_b64 s[42:43], -1
	s_mov_b64 s[40:41], 0
	s_mov_b64 s[0:1], s[28:29]
	s_branch .LBB22_1054
.LBB22_1024:
	s_mov_b64 s[42:43], -1
	s_mov_b64 s[40:41], 0
	s_mov_b64 s[0:1], s[28:29]
	s_branch .LBB22_1037
.LBB22_1025:
	s_mov_b64 s[42:43], -1
	s_mov_b64 s[40:41], 0
	s_mov_b64 s[0:1], s[28:29]
	s_branch .LBB22_1033
.LBB22_1026:
	s_mov_b64 s[42:43], -1
	s_mov_b64 s[40:41], 0
	s_mov_b64 s[0:1], s[28:29]
.LBB22_1027:
	s_and_b64 vcc, exec, s[42:43]
	s_cbranch_vccz .LBB22_1032
; %bb.1028:
	s_cmp_eq_u32 s47, 44
	s_mov_b64 s[0:1], -1
	s_cbranch_scc0 .LBB22_1032
; %bb.1029:
	v_cvt_f32_ubyte0_e32 v4, v2
	v_lshrrev_b32_e32 v3, 23, v4
	s_movk_i32 s0, 0xff
	v_cmp_ne_u32_e32 vcc, s0, v3
	v_mov_b32_e32 v5, 0xff
	s_and_saveexec_b64 s[40:41], vcc
; %bb.1030:
	s_mov_b32 s0, 0x3fffff
	v_and_b32_e32 v5, 0x400000, v4
	v_and_or_b32 v4, v4, s0, v3
	v_cmp_ne_u32_e32 vcc, 0, v5
	v_cmp_ne_u32_e64 s[0:1], 0, v4
	s_and_b64 s[0:1], vcc, s[0:1]
	v_cndmask_b32_e64 v4, 0, 1, s[0:1]
	v_add_u32_e32 v5, v3, v4
; %bb.1031:
	s_or_b64 exec, exec, s[40:41]
	s_mov_b64 s[40:41], -1
	s_mov_b64 s[0:1], 0
	global_store_byte v[0:1], v5, off
.LBB22_1032:
	s_mov_b64 s[42:43], 0
.LBB22_1033:
	s_and_b64 vcc, exec, s[42:43]
	s_cbranch_vccz .LBB22_1036
; %bb.1034:
	s_cmp_eq_u32 s47, 29
	s_mov_b64 s[0:1], -1
	s_cbranch_scc0 .LBB22_1036
; %bb.1035:
	v_and_b32_e32 v3, 0xff, v2
	v_mov_b32_e32 v4, 0
	global_store_dwordx2 v[0:1], v[3:4], off
	s_mov_b64 s[40:41], -1
	s_mov_b64 s[0:1], 0
.LBB22_1036:
	s_mov_b64 s[42:43], 0
.LBB22_1037:
	s_and_b64 vcc, exec, s[42:43]
	s_cbranch_vccz .LBB22_1053
; %bb.1038:
	s_cmp_lt_i32 s47, 27
	s_mov_b64 s[40:41], -1
	s_cbranch_scc1 .LBB22_1044
; %bb.1039:
	s_cmp_gt_i32 s47, 27
	s_cbranch_scc0 .LBB22_1041
; %bb.1040:
	v_and_b32_e32 v3, 0xff, v2
	s_mov_b64 s[40:41], 0
	global_store_dword v[0:1], v3, off
.LBB22_1041:
	s_andn2_b64 vcc, exec, s[40:41]
	s_cbranch_vccnz .LBB22_1043
; %bb.1042:
	v_and_b32_e32 v3, 0xff, v2
	global_store_short v[0:1], v3, off
.LBB22_1043:
	s_mov_b64 s[40:41], 0
.LBB22_1044:
	s_andn2_b64 vcc, exec, s[40:41]
	s_cbranch_vccnz .LBB22_1052
; %bb.1045:
	v_cvt_f32_ubyte0_e32 v4, v2
	s_mov_b32 s40, 0x43800000
	v_cmp_gt_u32_e32 vcc, s40, v4
	v_mov_b32_e32 v5, 0x80
	s_and_saveexec_b64 s[40:41], vcc
	s_cbranch_execz .LBB22_1051
; %bb.1046:
	s_mov_b32 s42, 0x3bffffff
	v_cmp_lt_u32_e32 vcc, s42, v4
	s_mov_b64 s[42:43], 0
                                        ; implicit-def: $vgpr3
	s_and_saveexec_b64 s[44:45], vcc
	s_xor_b64 s[44:45], exec, s[44:45]
	s_cbranch_execz .LBB22_1153
; %bb.1047:
	v_bfe_u32 v3, v4, 20, 1
	s_mov_b32 s49, 0x487ffff
	v_add3_u32 v3, v4, v3, s49
	s_mov_b64 s[42:43], exec
	v_lshrrev_b32_e32 v3, 20, v3
                                        ; implicit-def: $vgpr4
	s_andn2_saveexec_b64 s[44:45], s[44:45]
	s_cbranch_execnz .LBB22_1154
.LBB22_1048:
	s_or_b64 exec, exec, s[44:45]
	v_mov_b32_e32 v5, 0
	s_and_saveexec_b64 s[44:45], s[42:43]
.LBB22_1049:
	v_mov_b32_e32 v5, v3
.LBB22_1050:
	s_or_b64 exec, exec, s[44:45]
.LBB22_1051:
	s_or_b64 exec, exec, s[40:41]
	global_store_byte v[0:1], v5, off
.LBB22_1052:
	s_mov_b64 s[40:41], -1
.LBB22_1053:
	s_mov_b64 s[42:43], 0
.LBB22_1054:
	s_and_b64 vcc, exec, s[42:43]
	s_cbranch_vccz .LBB22_1095
; %bb.1055:
	s_cmp_gt_i32 s47, 22
	s_mov_b64 s[42:43], -1
	s_cbranch_scc0 .LBB22_1087
; %bb.1056:
	s_cmp_lt_i32 s47, 24
	s_mov_b64 s[40:41], -1
	s_cbranch_scc1 .LBB22_1076
; %bb.1057:
	s_cmp_gt_i32 s47, 24
	s_cbranch_scc0 .LBB22_1065
; %bb.1058:
	v_cvt_f32_ubyte0_e32 v4, v2
	s_mov_b32 s40, 0x47800000
	v_cmp_gt_u32_e32 vcc, s40, v4
	v_mov_b32_e32 v5, 0x80
	s_and_saveexec_b64 s[40:41], vcc
	s_cbranch_execz .LBB22_1064
; %bb.1059:
	s_mov_b32 s42, 0x37ffffff
	v_cmp_lt_u32_e32 vcc, s42, v4
	s_mov_b64 s[42:43], 0
                                        ; implicit-def: $vgpr3
	s_and_saveexec_b64 s[44:45], vcc
	s_xor_b64 s[44:45], exec, s[44:45]
	s_cbranch_execz .LBB22_2147
; %bb.1060:
	v_bfe_u32 v3, v4, 21, 1
	s_mov_b32 s49, 0x88fffff
	v_add3_u32 v3, v4, v3, s49
	s_mov_b64 s[42:43], exec
	v_lshrrev_b32_e32 v3, 21, v3
                                        ; implicit-def: $vgpr4
	s_andn2_saveexec_b64 s[44:45], s[44:45]
	s_cbranch_execnz .LBB22_2148
.LBB22_1061:
	s_or_b64 exec, exec, s[44:45]
	v_mov_b32_e32 v5, 0
	s_and_saveexec_b64 s[44:45], s[42:43]
.LBB22_1062:
	v_mov_b32_e32 v5, v3
.LBB22_1063:
	s_or_b64 exec, exec, s[44:45]
.LBB22_1064:
	s_or_b64 exec, exec, s[40:41]
	s_mov_b64 s[40:41], 0
	global_store_byte v[0:1], v5, off
.LBB22_1065:
	s_and_b64 vcc, exec, s[40:41]
	s_cbranch_vccz .LBB22_1075
; %bb.1066:
	v_cvt_f32_ubyte0_e32 v3, v2
	s_mov_b32 s40, 0x43f00000
	v_cmp_gt_u32_e32 vcc, s40, v3
                                        ; implicit-def: $vgpr4
	s_and_saveexec_b64 s[40:41], vcc
	s_xor_b64 s[40:41], exec, s[40:41]
	s_cbranch_execz .LBB22_1072
; %bb.1067:
	s_mov_b32 s42, 0x3c7fffff
	v_cmp_lt_u32_e32 vcc, s42, v3
                                        ; implicit-def: $vgpr4
	s_and_saveexec_b64 s[42:43], vcc
	s_xor_b64 s[42:43], exec, s[42:43]
; %bb.1068:
	v_bfe_u32 v4, v3, 20, 1
	s_mov_b32 s44, 0x407ffff
	v_add3_u32 v3, v3, v4, s44
	v_lshrrev_b32_e32 v4, 20, v3
	v_and_b32_e32 v3, 0xff00000, v3
	s_mov_b32 s44, 0x7f00000
	v_mov_b32_e32 v5, 0x7e
	v_cmp_ne_u32_e32 vcc, s44, v3
	v_cndmask_b32_e32 v4, v5, v4, vcc
                                        ; implicit-def: $vgpr3
; %bb.1069:
	s_andn2_saveexec_b64 s[42:43], s[42:43]
; %bb.1070:
	v_add_f32_e32 v4, 0x46800000, v3
; %bb.1071:
	s_or_b64 exec, exec, s[42:43]
                                        ; implicit-def: $vgpr3
.LBB22_1072:
	s_andn2_saveexec_b64 s[40:41], s[40:41]
; %bb.1073:
	s_mov_b32 s42, 0x7f800000
	v_mov_b32_e32 v4, 0x7e
	v_mov_b32_e32 v5, 0x7f
	v_cmp_lt_u32_e32 vcc, s42, v3
	v_cndmask_b32_e32 v4, v4, v5, vcc
; %bb.1074:
	s_or_b64 exec, exec, s[40:41]
	global_store_byte v[0:1], v4, off
.LBB22_1075:
	s_mov_b64 s[40:41], 0
.LBB22_1076:
	s_andn2_b64 vcc, exec, s[40:41]
	s_cbranch_vccnz .LBB22_1086
; %bb.1077:
	v_cvt_f32_ubyte0_e32 v3, v2
	s_mov_b32 s40, 0x47800000
	v_cmp_gt_u32_e32 vcc, s40, v3
                                        ; implicit-def: $vgpr4
	s_and_saveexec_b64 s[40:41], vcc
	s_xor_b64 s[40:41], exec, s[40:41]
	s_cbranch_execz .LBB22_1083
; %bb.1078:
	s_mov_b32 s42, 0x387fffff
	v_cmp_lt_u32_e32 vcc, s42, v3
                                        ; implicit-def: $vgpr4
	s_and_saveexec_b64 s[42:43], vcc
	s_xor_b64 s[42:43], exec, s[42:43]
; %bb.1079:
	v_bfe_u32 v4, v3, 21, 1
	s_mov_b32 s44, 0x80fffff
	v_add3_u32 v3, v3, v4, s44
	v_lshrrev_b32_e32 v4, 21, v3
                                        ; implicit-def: $vgpr3
; %bb.1080:
	s_andn2_saveexec_b64 s[42:43], s[42:43]
; %bb.1081:
	v_add_f32_e32 v4, 0x43000000, v3
; %bb.1082:
	s_or_b64 exec, exec, s[42:43]
                                        ; implicit-def: $vgpr3
.LBB22_1083:
	s_andn2_saveexec_b64 s[40:41], s[40:41]
; %bb.1084:
	s_mov_b32 s42, 0x7f800000
	v_mov_b32_e32 v4, 0x7c
	v_mov_b32_e32 v5, 0x7f
	v_cmp_lt_u32_e32 vcc, s42, v3
	v_cndmask_b32_e32 v4, v4, v5, vcc
; %bb.1085:
	s_or_b64 exec, exec, s[40:41]
	global_store_byte v[0:1], v4, off
.LBB22_1086:
	s_mov_b64 s[42:43], 0
	s_mov_b64 s[40:41], -1
.LBB22_1087:
	s_andn2_b64 vcc, exec, s[42:43]
	s_cbranch_vccnz .LBB22_1095
; %bb.1088:
	s_cmp_gt_i32 s47, 14
	s_mov_b64 s[42:43], -1
	s_cbranch_scc0 .LBB22_1092
; %bb.1089:
	s_cmp_eq_u32 s47, 15
	s_mov_b64 s[0:1], -1
	s_cbranch_scc0 .LBB22_1091
; %bb.1090:
	v_cvt_f32_ubyte0_e32 v3, v2
	v_bfe_u32 v4, v3, 16, 1
	s_movk_i32 s0, 0x7fff
	v_add3_u32 v3, v3, v4, s0
	global_store_short_d16_hi v[0:1], v3, off
	s_mov_b64 s[40:41], -1
	s_mov_b64 s[0:1], 0
.LBB22_1091:
	s_mov_b64 s[42:43], 0
.LBB22_1092:
	s_and_b64 vcc, exec, s[42:43]
	s_cbranch_vccz .LBB22_1095
; %bb.1093:
	s_cmp_eq_u32 s47, 11
	s_mov_b64 s[0:1], -1
	s_cbranch_scc0 .LBB22_1095
; %bb.1094:
	v_mov_b32_e32 v3, 0
	v_cmp_ne_u16_sdwa s[0:1], v2, v3 src0_sel:BYTE_0 src1_sel:DWORD
	v_cndmask_b32_e64 v3, 0, 1, s[0:1]
	s_mov_b64 s[40:41], -1
	s_mov_b64 s[0:1], 0
	global_store_byte v[0:1], v3, off
.LBB22_1095:
	s_mov_b64 s[42:43], 0
.LBB22_1096:
	s_and_b64 vcc, exec, s[42:43]
	s_cbranch_vccz .LBB22_1135
; %bb.1097:
	s_and_b32 s42, 0xffff, s46
	s_cmp_lt_i32 s42, 5
	s_mov_b64 s[40:41], -1
	s_cbranch_scc1 .LBB22_1118
; %bb.1098:
	s_cmp_lt_i32 s42, 8
	s_cbranch_scc1 .LBB22_1108
; %bb.1099:
	s_cmp_lt_i32 s42, 9
	s_cbranch_scc1 .LBB22_1105
; %bb.1100:
	s_cmp_gt_i32 s42, 9
	s_cbranch_scc0 .LBB22_1102
; %bb.1101:
	s_mov_b32 s40, 0xffff
	v_and_b32_sdwa v3, s40, v2 dst_sel:DWORD dst_unused:UNUSED_PAD src0_sel:DWORD src1_sel:BYTE_0
	v_cvt_f64_u32_e32 v[3:4], v3
	v_mov_b32_e32 v5, 0
	v_mov_b32_e32 v6, v5
	s_mov_b64 s[40:41], 0
	global_store_dwordx4 v[0:1], v[3:6], off
.LBB22_1102:
	s_andn2_b64 vcc, exec, s[40:41]
	s_cbranch_vccnz .LBB22_1104
; %bb.1103:
	v_cvt_f32_ubyte0_e32 v3, v2
	v_mov_b32_e32 v4, 0
	global_store_dwordx2 v[0:1], v[3:4], off
.LBB22_1104:
	s_mov_b64 s[40:41], 0
.LBB22_1105:
	s_andn2_b64 vcc, exec, s[40:41]
	s_cbranch_vccnz .LBB22_1107
; %bb.1106:
	v_cvt_f16_u16_sdwa v3, v2 dst_sel:DWORD dst_unused:UNUSED_PAD src0_sel:BYTE_0
	global_store_dword v[0:1], v3, off
.LBB22_1107:
	s_mov_b64 s[40:41], 0
.LBB22_1108:
	s_andn2_b64 vcc, exec, s[40:41]
	s_cbranch_vccnz .LBB22_1117
; %bb.1109:
	s_cmp_lt_i32 s42, 6
	s_mov_b64 s[40:41], -1
	s_cbranch_scc1 .LBB22_1115
; %bb.1110:
	s_cmp_gt_i32 s42, 6
	s_cbranch_scc0 .LBB22_1112
; %bb.1111:
	s_mov_b32 s40, 0xffff
	v_and_b32_sdwa v3, s40, v2 dst_sel:DWORD dst_unused:UNUSED_PAD src0_sel:DWORD src1_sel:BYTE_0
	v_cvt_f64_u32_e32 v[3:4], v3
	s_mov_b64 s[40:41], 0
	global_store_dwordx2 v[0:1], v[3:4], off
.LBB22_1112:
	s_andn2_b64 vcc, exec, s[40:41]
	s_cbranch_vccnz .LBB22_1114
; %bb.1113:
	v_cvt_f32_ubyte0_e32 v3, v2
	global_store_dword v[0:1], v3, off
.LBB22_1114:
	s_mov_b64 s[40:41], 0
.LBB22_1115:
	s_andn2_b64 vcc, exec, s[40:41]
	s_cbranch_vccnz .LBB22_1117
; %bb.1116:
	v_cvt_f16_u16_sdwa v3, v2 dst_sel:DWORD dst_unused:UNUSED_PAD src0_sel:BYTE_0
	global_store_short v[0:1], v3, off
.LBB22_1117:
	s_mov_b64 s[40:41], 0
.LBB22_1118:
	s_andn2_b64 vcc, exec, s[40:41]
	s_cbranch_vccnz .LBB22_1134
; %bb.1119:
	s_cmp_lt_i32 s42, 2
	s_mov_b64 s[40:41], -1
	s_cbranch_scc1 .LBB22_1129
; %bb.1120:
	s_cmp_lt_i32 s42, 3
	s_cbranch_scc1 .LBB22_1126
; %bb.1121:
	s_cmp_gt_i32 s42, 3
	s_cbranch_scc0 .LBB22_1123
; %bb.1122:
	v_and_b32_e32 v3, 0xff, v2
	v_mov_b32_e32 v4, 0
	s_mov_b64 s[40:41], 0
	global_store_dwordx2 v[0:1], v[3:4], off
.LBB22_1123:
	s_andn2_b64 vcc, exec, s[40:41]
	s_cbranch_vccnz .LBB22_1125
; %bb.1124:
	v_and_b32_e32 v3, 0xff, v2
	global_store_dword v[0:1], v3, off
.LBB22_1125:
	s_mov_b64 s[40:41], 0
.LBB22_1126:
	s_andn2_b64 vcc, exec, s[40:41]
	s_cbranch_vccnz .LBB22_1128
; %bb.1127:
	v_and_b32_e32 v3, 0xff, v2
	global_store_short v[0:1], v3, off
.LBB22_1128:
	s_mov_b64 s[40:41], 0
.LBB22_1129:
	s_andn2_b64 vcc, exec, s[40:41]
	s_cbranch_vccnz .LBB22_1134
; %bb.1130:
	s_cmp_gt_i32 s42, 0
	s_mov_b64 s[40:41], -1
	s_cbranch_scc0 .LBB22_1132
; %bb.1131:
	s_mov_b64 s[40:41], 0
	global_store_byte v[0:1], v2, off
.LBB22_1132:
	s_andn2_b64 vcc, exec, s[40:41]
	s_cbranch_vccnz .LBB22_1134
; %bb.1133:
	global_store_byte v[0:1], v2, off
.LBB22_1134:
	s_mov_b64 s[40:41], -1
.LBB22_1135:
	s_andn2_b64 vcc, exec, s[40:41]
	s_cbranch_vccnz .LBB22_1148
; %bb.1136:
	v_add_u32_e32 v11, 0x80, v11
	s_mov_b64 s[42:43], -1
.LBB22_1137:
	s_andn2_b64 s[40:41], s[28:29], exec
	s_and_b64 s[0:1], s[0:1], exec
	s_or_b64 s[40:41], s[40:41], s[0:1]
	s_andn2_b64 s[0:1], s[26:27], exec
	s_and_b64 s[38:39], s[38:39], exec
	s_or_b64 s[38:39], s[0:1], s[38:39]
	;; [unrolled: 3-line block ×3, first 2 shown]
	s_orn2_b64 s[46:47], s[42:43], exec
.LBB22_1138:
	s_or_b64 exec, exec, s[34:35]
	s_mov_b64 s[42:43], 0
	s_mov_b64 s[36:37], 0
	;; [unrolled: 1-line block ×3, first 2 shown]
                                        ; implicit-def: $sgpr55
                                        ; implicit-def: $vgpr2_vgpr3
                                        ; implicit-def: $vgpr0
	s_and_saveexec_b64 s[34:35], s[46:47]
	s_cbranch_execz .LBB22_1218
; %bb.1139:
	v_cmp_gt_i32_e32 vcc, s48, v11
	s_mov_b64 s[46:47], 0
	s_mov_b64 s[48:49], s[0:1]
	;; [unrolled: 1-line block ×4, first 2 shown]
                                        ; implicit-def: $sgpr55
                                        ; implicit-def: $vgpr2_vgpr3
                                        ; implicit-def: $vgpr0
	s_and_saveexec_b64 s[36:37], vcc
	s_cbranch_execz .LBB22_1217
; %bb.1140:
	s_waitcnt vmcnt(0)
	v_mul_lo_u32 v0, v11, s13
	v_mov_b32_e32 v1, s11
	s_and_b32 s55, s54, 0xff
	s_cmp_lt_i32 s55, 11
	v_ashrrev_i32_e32 v3, 31, v0
	v_add_co_u32_e32 v2, vcc, s10, v0
	v_addc_co_u32_e32 v3, vcc, v1, v3, vcc
	s_cbranch_scc1 .LBB22_1147
; %bb.1141:
	s_and_b32 s50, 0xffff, s55
	s_cmp_gt_i32 s50, 25
	s_cbranch_scc0 .LBB22_1149
; %bb.1142:
	s_cmp_gt_i32 s50, 28
	s_cbranch_scc0 .LBB22_1150
; %bb.1143:
	;; [unrolled: 3-line block ×4, first 2 shown]
	s_cmp_eq_u32 s50, 46
	s_mov_b64 s[48:49], 0
	s_cbranch_scc0 .LBB22_1155
; %bb.1146:
	global_load_dword v0, v[2:3], off
	s_mov_b32 s42, 0x2f800000
	s_mov_b32 s43, 0xcf800000
	s_mov_b64 s[46:47], -1
	s_waitcnt vmcnt(0)
	v_lshlrev_b32_e32 v0, 16, v0
	v_trunc_f32_e32 v0, v0
	v_mul_f32_e64 v1, |v0|, s42
	v_floor_f32_e32 v1, v1
	v_fma_f32 v1, v1, s43, |v0|
	v_cvt_u32_f32_e32 v1, v1
	v_ashrrev_i32_e32 v0, 31, v0
	s_mov_b64 s[42:43], 0
	v_xor_b32_e32 v1, v1, v0
	v_sub_u32_e32 v0, v1, v0
	s_branch .LBB22_1157
.LBB22_1147:
	s_mov_b64 s[48:49], -1
                                        ; implicit-def: $vgpr0
	s_mov_b64 s[42:43], s[0:1]
	s_branch .LBB22_1216
.LBB22_1148:
	s_mov_b64 s[42:43], 0
	s_branch .LBB22_894
.LBB22_1149:
	s_mov_b64 s[48:49], -1
	s_mov_b64 s[42:43], s[0:1]
                                        ; implicit-def: $vgpr0
	s_branch .LBB22_1184
.LBB22_1150:
	s_mov_b64 s[48:49], -1
	s_mov_b64 s[42:43], s[0:1]
                                        ; implicit-def: $vgpr0
	s_branch .LBB22_1167
.LBB22_1151:
	s_mov_b64 s[48:49], -1
	s_mov_b64 s[42:43], s[0:1]
                                        ; implicit-def: $vgpr0
	s_branch .LBB22_1162
.LBB22_1152:
	s_mov_b64 s[48:49], -1
	s_mov_b64 s[42:43], s[0:1]
	s_branch .LBB22_1156
.LBB22_1153:
	s_andn2_saveexec_b64 s[44:45], s[44:45]
	s_cbranch_execz .LBB22_1048
.LBB22_1154:
	v_add_f32_e32 v3, 0x46000000, v4
	v_and_b32_e32 v3, 0xff, v3
	v_cmp_ne_u32_e32 vcc, 0, v3
	s_andn2_b64 s[42:43], s[42:43], exec
	s_and_b64 s[50:51], vcc, exec
	s_or_b64 s[42:43], s[42:43], s[50:51]
	s_or_b64 exec, exec, s[44:45]
	v_mov_b32_e32 v5, 0
	s_and_saveexec_b64 s[44:45], s[42:43]
	s_cbranch_execnz .LBB22_1049
	s_branch .LBB22_1050
.LBB22_1155:
	s_mov_b64 s[42:43], -1
.LBB22_1156:
                                        ; implicit-def: $vgpr0
.LBB22_1157:
	s_and_b64 vcc, exec, s[48:49]
	s_cbranch_vccz .LBB22_1161
; %bb.1158:
	s_cmp_eq_u32 s50, 44
	s_cbranch_scc0 .LBB22_1160
; %bb.1159:
	global_load_ubyte v0, v[2:3], off
	s_mov_b32 s42, 0x2f800000
	s_mov_b32 s43, 0xcf800000
	s_mov_b64 s[46:47], -1
	s_waitcnt vmcnt(0)
	v_lshlrev_b32_e32 v1, 23, v0
	v_trunc_f32_e32 v1, v1
	v_mul_f32_e64 v4, |v1|, s42
	v_floor_f32_e32 v4, v4
	v_fma_f32 v4, v4, s43, |v1|
	v_cvt_u32_f32_e32 v4, v4
	v_ashrrev_i32_e32 v1, 31, v1
	v_cmp_ne_u32_e32 vcc, 0, v0
	s_mov_b64 s[42:43], 0
	v_xor_b32_e32 v4, v4, v1
	v_sub_u32_e32 v1, v4, v1
	v_cndmask_b32_e32 v0, 0, v1, vcc
	s_branch .LBB22_1161
.LBB22_1160:
	s_mov_b64 s[42:43], -1
                                        ; implicit-def: $vgpr0
.LBB22_1161:
	s_mov_b64 s[48:49], 0
.LBB22_1162:
	s_and_b64 vcc, exec, s[48:49]
	s_cbranch_vccz .LBB22_1166
; %bb.1163:
	s_cmp_eq_u32 s50, 29
	s_cbranch_scc0 .LBB22_1165
; %bb.1164:
	global_load_dwordx2 v[0:1], v[2:3], off
	s_mov_b64 s[42:43], 0
	s_mov_b64 s[46:47], -1
	s_branch .LBB22_1166
.LBB22_1165:
	s_mov_b64 s[42:43], -1
                                        ; implicit-def: $vgpr0
.LBB22_1166:
	s_mov_b64 s[48:49], 0
.LBB22_1167:
	s_and_b64 vcc, exec, s[48:49]
	s_cbranch_vccz .LBB22_1183
; %bb.1168:
	s_cmp_lt_i32 s50, 27
	s_cbranch_scc1 .LBB22_1171
; %bb.1169:
	s_cmp_gt_i32 s50, 27
	s_cbranch_scc0 .LBB22_1172
; %bb.1170:
	global_load_dword v0, v[2:3], off
	s_mov_b64 s[46:47], 0
	s_branch .LBB22_1173
.LBB22_1171:
	s_mov_b64 s[46:47], -1
                                        ; implicit-def: $vgpr0
	s_branch .LBB22_1176
.LBB22_1172:
	s_mov_b64 s[46:47], -1
                                        ; implicit-def: $vgpr0
.LBB22_1173:
	s_andn2_b64 vcc, exec, s[46:47]
	s_cbranch_vccnz .LBB22_1175
; %bb.1174:
	global_load_ushort v0, v[2:3], off
.LBB22_1175:
	s_mov_b64 s[46:47], 0
.LBB22_1176:
	s_andn2_b64 vcc, exec, s[46:47]
	s_cbranch_vccnz .LBB22_1182
; %bb.1177:
	global_load_ubyte v1, v[2:3], off
	s_movk_i32 s46, 0x7f
	s_mov_b64 s[48:49], 0
	s_waitcnt vmcnt(0)
	v_cmp_lt_i16_e32 vcc, s46, v1
	s_and_saveexec_b64 s[46:47], vcc
	s_xor_b64 s[46:47], exec, s[46:47]
	s_cbranch_execz .LBB22_1194
; %bb.1178:
	s_movk_i32 s48, 0x80
	v_cmp_ne_u16_e32 vcc, s48, v1
	s_and_b64 s[48:49], vcc, exec
	s_andn2_saveexec_b64 s[46:47], s[46:47]
	s_cbranch_execnz .LBB22_1195
.LBB22_1179:
	s_or_b64 exec, exec, s[46:47]
	v_mov_b32_e32 v0, 0
	s_and_saveexec_b64 s[46:47], s[48:49]
	s_cbranch_execz .LBB22_1181
.LBB22_1180:
	v_lshlrev_b32_e32 v0, 24, v1
	v_and_b32_e32 v1, 0xffff, v1
	v_and_b32_e32 v4, 7, v1
	v_ffbh_u32_e32 v6, v4
	v_min_u32_e32 v6, 32, v6
	v_subrev_u32_e32 v7, 28, v6
	v_bfe_u32 v5, v1, 3, 4
	v_lshlrev_b32_e32 v1, v7, v1
	v_sub_u32_e32 v6, 29, v6
	v_and_b32_e32 v1, 7, v1
	v_cmp_eq_u32_e32 vcc, 0, v5
	v_cndmask_b32_e32 v5, v5, v6, vcc
	v_cndmask_b32_e32 v1, v4, v1, vcc
	v_mov_b32_e32 v4, 0x3b800000
	v_lshlrev_b32_e32 v1, 20, v1
	v_and_b32_e32 v0, 0x80000000, v0
	v_lshl_add_u32 v4, v5, 23, v4
	v_or3_b32 v0, v0, v4, v1
	v_trunc_f32_e32 v0, v0
	s_mov_b32 s48, 0x2f800000
	v_mul_f32_e64 v1, |v0|, s48
	v_floor_f32_e32 v1, v1
	s_mov_b32 s48, 0xcf800000
	v_fma_f32 v1, v1, s48, |v0|
	v_cvt_u32_f32_e32 v1, v1
	v_ashrrev_i32_e32 v0, 31, v0
	v_xor_b32_e32 v1, v1, v0
	v_sub_u32_e32 v0, v1, v0
.LBB22_1181:
	s_or_b64 exec, exec, s[46:47]
.LBB22_1182:
	s_mov_b64 s[46:47], -1
.LBB22_1183:
	s_mov_b64 s[48:49], 0
.LBB22_1184:
	s_and_b64 vcc, exec, s[48:49]
	s_cbranch_vccz .LBB22_1215
; %bb.1185:
	s_cmp_gt_i32 s50, 22
	s_cbranch_scc0 .LBB22_1193
; %bb.1186:
	s_cmp_lt_i32 s50, 24
	s_cbranch_scc1 .LBB22_1196
; %bb.1187:
	s_cmp_gt_i32 s50, 24
	s_cbranch_scc0 .LBB22_1197
; %bb.1188:
	global_load_ubyte v1, v[2:3], off
	s_movk_i32 s44, 0x7f
	s_mov_b64 s[46:47], 0
	s_waitcnt vmcnt(0)
	v_cmp_lt_i16_e32 vcc, s44, v1
	s_and_saveexec_b64 s[44:45], vcc
	s_xor_b64 s[44:45], exec, s[44:45]
	s_cbranch_execz .LBB22_1209
; %bb.1189:
	s_movk_i32 s46, 0x80
	v_cmp_ne_u16_e32 vcc, s46, v1
	s_and_b64 s[46:47], vcc, exec
	s_andn2_saveexec_b64 s[44:45], s[44:45]
	s_cbranch_execnz .LBB22_1210
.LBB22_1190:
	s_or_b64 exec, exec, s[44:45]
	v_mov_b32_e32 v0, 0
	s_and_saveexec_b64 s[44:45], s[46:47]
	s_cbranch_execz .LBB22_1192
.LBB22_1191:
	v_lshlrev_b32_e32 v0, 24, v1
	v_and_b32_e32 v1, 0xffff, v1
	v_and_b32_e32 v4, 3, v1
	v_ffbh_u32_e32 v6, v4
	v_min_u32_e32 v6, 32, v6
	v_subrev_u32_e32 v7, 29, v6
	v_bfe_u32 v5, v1, 2, 5
	v_lshlrev_b32_e32 v1, v7, v1
	v_sub_u32_e32 v6, 30, v6
	v_and_b32_e32 v1, 3, v1
	v_cmp_eq_u32_e32 vcc, 0, v5
	v_cndmask_b32_e32 v5, v5, v6, vcc
	v_cndmask_b32_e32 v1, v4, v1, vcc
	v_mov_b32_e32 v4, 0x37800000
	v_lshlrev_b32_e32 v1, 21, v1
	v_and_b32_e32 v0, 0x80000000, v0
	v_lshl_add_u32 v4, v5, 23, v4
	v_or3_b32 v0, v0, v4, v1
	v_trunc_f32_e32 v0, v0
	s_mov_b32 s46, 0x2f800000
	v_mul_f32_e64 v1, |v0|, s46
	v_floor_f32_e32 v1, v1
	s_mov_b32 s46, 0xcf800000
	v_fma_f32 v1, v1, s46, |v0|
	v_cvt_u32_f32_e32 v1, v1
	v_ashrrev_i32_e32 v0, 31, v0
	v_xor_b32_e32 v1, v1, v0
	v_sub_u32_e32 v0, v1, v0
.LBB22_1192:
	s_or_b64 exec, exec, s[44:45]
	s_mov_b64 s[44:45], 0
	s_branch .LBB22_1198
.LBB22_1193:
	s_mov_b64 s[44:45], -1
                                        ; implicit-def: $vgpr0
	s_branch .LBB22_1204
.LBB22_1194:
	s_andn2_saveexec_b64 s[46:47], s[46:47]
	s_cbranch_execz .LBB22_1179
.LBB22_1195:
	v_cmp_ne_u16_e32 vcc, 0, v1
	s_andn2_b64 s[48:49], s[48:49], exec
	s_and_b64 s[52:53], vcc, exec
	s_or_b64 s[48:49], s[48:49], s[52:53]
	s_or_b64 exec, exec, s[46:47]
	v_mov_b32_e32 v0, 0
	s_and_saveexec_b64 s[46:47], s[48:49]
	s_cbranch_execnz .LBB22_1180
	s_branch .LBB22_1181
.LBB22_1196:
	s_mov_b64 s[44:45], -1
                                        ; implicit-def: $vgpr0
	s_branch .LBB22_1201
.LBB22_1197:
	s_mov_b64 s[44:45], -1
                                        ; implicit-def: $vgpr0
.LBB22_1198:
	s_and_b64 vcc, exec, s[44:45]
	s_cbranch_vccz .LBB22_1200
; %bb.1199:
	global_load_ubyte v0, v[2:3], off
	s_mov_b32 s44, 0x7f800000
	s_brev_b32 s45, 1
	s_mov_b32 s46, 0x2f800000
	s_waitcnt vmcnt(0)
	v_lshlrev_b32_e32 v0, 24, v0
	v_and_b32_e32 v1, 0x7f000000, v0
	v_ffbh_u32_e32 v4, v1
	v_min_u32_e32 v4, 32, v4
	v_sub_u32_e64 v4, v4, 4 clamp
	v_lshlrev_b32_e32 v6, v4, v1
	v_lshlrev_b32_e32 v4, 23, v4
	v_lshrrev_b32_e32 v6, 4, v6
	v_add_u32_e32 v5, 0x1000000, v1
	v_sub_u32_e32 v4, v6, v4
	v_ashrrev_i32_e32 v5, 8, v5
	v_add_u32_e32 v4, 0x3c000000, v4
	v_and_or_b32 v4, v5, s44, v4
	v_cmp_ne_u32_e32 vcc, 0, v1
	v_cndmask_b32_e32 v1, 0, v4, vcc
	v_and_or_b32 v0, v0, s45, v1
	v_trunc_f32_e32 v0, v0
	v_mul_f32_e64 v1, |v0|, s46
	v_floor_f32_e32 v1, v1
	s_mov_b32 s44, 0xcf800000
	v_fma_f32 v1, v1, s44, |v0|
	v_cvt_u32_f32_e32 v1, v1
	v_ashrrev_i32_e32 v0, 31, v0
	v_xor_b32_e32 v1, v1, v0
	v_sub_u32_e32 v0, v1, v0
.LBB22_1200:
	s_mov_b64 s[44:45], 0
.LBB22_1201:
	s_andn2_b64 vcc, exec, s[44:45]
	s_cbranch_vccnz .LBB22_1203
; %bb.1202:
	global_load_ubyte v0, v[2:3], off
	s_movk_i32 s44, 0x7f00
	s_brev_b32 s45, 16
	s_brev_b32 s46, 1
	s_mov_b32 s47, 0x2f800000
	s_waitcnt vmcnt(0)
	v_lshlrev_b16_e32 v1, 8, v0
	v_lshlrev_b32_e32 v0, 25, v0
	v_lshrrev_b32_e32 v4, 4, v0
	v_and_or_b32 v5, v1, s44, 0.5
	v_or_b32_e32 v4, 0x70000000, v4
	v_add_f32_e32 v5, -0.5, v5
	v_mul_f32_e32 v4, 0x7800000, v4
	v_cmp_gt_u32_e32 vcc, s45, v0
	v_bfe_i32 v1, v1, 0, 16
	v_cndmask_b32_e32 v0, v4, v5, vcc
	v_and_or_b32 v0, v1, s46, v0
	v_trunc_f32_e32 v0, v0
	v_mul_f32_e64 v1, |v0|, s47
	v_floor_f32_e32 v1, v1
	s_mov_b32 s44, 0xcf800000
	v_fma_f32 v1, v1, s44, |v0|
	v_cvt_u32_f32_e32 v1, v1
	v_ashrrev_i32_e32 v0, 31, v0
	v_xor_b32_e32 v1, v1, v0
	v_sub_u32_e32 v0, v1, v0
.LBB22_1203:
	s_mov_b64 s[44:45], 0
	s_mov_b64 s[46:47], -1
.LBB22_1204:
	s_andn2_b64 vcc, exec, s[44:45]
	s_mov_b64 s[44:45], 0
	s_cbranch_vccnz .LBB22_1215
; %bb.1205:
	s_cmp_gt_i32 s50, 14
	s_cbranch_scc0 .LBB22_1208
; %bb.1206:
	s_cmp_eq_u32 s50, 15
	s_cbranch_scc0 .LBB22_1211
; %bb.1207:
	global_load_ushort v0, v[2:3], off
	s_mov_b32 s42, 0x2f800000
	s_mov_b32 s43, 0xcf800000
	s_mov_b64 s[46:47], -1
	s_waitcnt vmcnt(0)
	v_lshlrev_b32_e32 v0, 16, v0
	v_trunc_f32_e32 v0, v0
	v_mul_f32_e64 v1, |v0|, s42
	v_floor_f32_e32 v1, v1
	v_fma_f32 v1, v1, s43, |v0|
	v_cvt_u32_f32_e32 v1, v1
	v_ashrrev_i32_e32 v0, 31, v0
	s_mov_b64 s[42:43], 0
	v_xor_b32_e32 v1, v1, v0
	v_sub_u32_e32 v0, v1, v0
	s_branch .LBB22_1212
.LBB22_1208:
	s_mov_b64 s[48:49], -1
                                        ; implicit-def: $vgpr0
	s_branch .LBB22_1213
.LBB22_1209:
	s_andn2_saveexec_b64 s[44:45], s[44:45]
	s_cbranch_execz .LBB22_1190
.LBB22_1210:
	v_cmp_ne_u16_e32 vcc, 0, v1
	s_andn2_b64 s[46:47], s[46:47], exec
	s_and_b64 s[48:49], vcc, exec
	s_or_b64 s[46:47], s[46:47], s[48:49]
	s_or_b64 exec, exec, s[44:45]
	v_mov_b32_e32 v0, 0
	s_and_saveexec_b64 s[44:45], s[46:47]
	s_cbranch_execnz .LBB22_1191
	s_branch .LBB22_1192
.LBB22_1211:
	s_mov_b64 s[42:43], -1
                                        ; implicit-def: $vgpr0
.LBB22_1212:
	s_mov_b64 s[48:49], 0
.LBB22_1213:
	s_and_b64 vcc, exec, s[48:49]
	s_cbranch_vccz .LBB22_1215
; %bb.1214:
	s_cmp_lg_u32 s50, 11
	s_cselect_b64 s[48:49], -1, 0
	s_andn2_b64 s[42:43], s[42:43], exec
	s_and_b64 s[48:49], s[48:49], exec
	s_mov_b64 s[44:45], -1
	s_or_b64 s[42:43], s[42:43], s[48:49]
.LBB22_1215:
	s_mov_b64 s[48:49], 0
.LBB22_1216:
	s_and_b64 s[52:53], s[46:47], exec
	s_and_b64 s[46:47], s[44:45], exec
	s_andn2_b64 s[44:45], s[0:1], exec
	s_and_b64 s[42:43], s[42:43], exec
	s_and_b64 s[50:51], s[48:49], exec
	s_or_b64 s[48:49], s[44:45], s[42:43]
.LBB22_1217:
	s_or_b64 exec, exec, s[36:37]
	s_and_b64 s[42:43], s[46:47], exec
	s_andn2_b64 s[0:1], s[0:1], exec
	s_and_b64 s[46:47], s[48:49], exec
	s_and_b64 s[44:45], s[52:53], exec
	;; [unrolled: 1-line block ×3, first 2 shown]
	s_or_b64 s[0:1], s[0:1], s[46:47]
.LBB22_1218:
	s_or_b64 exec, exec, s[34:35]
	s_andn2_b64 s[28:29], s[28:29], exec
	s_and_b64 s[34:35], s[40:41], exec
	s_or_b64 s[28:29], s[28:29], s[34:35]
	s_andn2_b64 s[26:27], s[26:27], exec
	s_and_b64 s[34:35], s[38:39], exec
	s_andn2_b64 s[24:25], s[24:25], exec
	s_and_b64 s[0:1], s[0:1], exec
	s_or_b64 s[26:27], s[26:27], s[34:35]
	s_and_b64 s[38:39], s[44:45], exec
	s_and_b64 s[36:37], s[36:37], exec
	;; [unrolled: 1-line block ×3, first 2 shown]
	s_or_b64 s[24:25], s[24:25], s[0:1]
.LBB22_1219:
	s_or_b64 exec, exec, s[30:31]
	s_andn2_b64 s[0:1], s[6:7], exec
	s_and_b64 s[6:7], s[28:29], exec
	s_or_b64 s[6:7], s[0:1], s[6:7]
	s_andn2_b64 s[0:1], s[18:19], exec
	s_and_b64 s[18:19], s[26:27], exec
	s_or_b64 s[18:19], s[0:1], s[18:19]
	s_andn2_b64 s[0:1], s[20:21], exec
	s_and_b64 s[20:21], s[24:25], exec
	s_and_b64 s[28:29], s[38:39], exec
	;; [unrolled: 1-line block ×4, first 2 shown]
	s_or_b64 s[20:21], s[0:1], s[20:21]
	s_or_b64 exec, exec, s[22:23]
	s_mov_b64 s[22:23], 0
	s_and_saveexec_b64 s[0:1], s[20:21]
	s_cbranch_execz .LBB22_385
.LBB22_1220:
	s_mov_b64 s[22:23], exec
	s_andn2_b64 s[26:27], s[26:27], exec
	s_trap 2
	s_or_b64 exec, exec, s[0:1]
	s_and_saveexec_b64 s[0:1], s[26:27]
	s_xor_b64 s[0:1], exec, s[0:1]
	s_cbranch_execnz .LBB22_386
.LBB22_1221:
	s_or_b64 exec, exec, s[0:1]
	s_and_saveexec_b64 s[0:1], s[30:31]
	s_cbranch_execz .LBB22_1267
.LBB22_1222:
	s_sext_i32_i16 s20, s55
	s_cmp_lt_i32 s20, 5
	s_cbranch_scc1 .LBB22_1227
; %bb.1223:
	s_cmp_lt_i32 s20, 8
	s_cbranch_scc1 .LBB22_1228
; %bb.1224:
	s_cmp_lt_i32 s20, 9
	s_cbranch_scc1 .LBB22_1229
; %bb.1225:
	s_cmp_gt_i32 s20, 9
	s_cbranch_scc0 .LBB22_1230
; %bb.1226:
	s_waitcnt vmcnt(0)
	global_load_dwordx2 v[0:1], v[2:3], off
	s_movk_i32 s20, 0xffe0
	s_waitcnt vmcnt(0)
	v_trunc_f64_e32 v[0:1], v[0:1]
	v_ldexp_f64 v[4:5], v[0:1], s20
	s_mov_b32 s20, 0
	s_mov_b32 s21, 0xc1f00000
	v_floor_f64_e32 v[4:5], v[4:5]
	v_fma_f64 v[0:1], v[4:5], s[20:21], v[0:1]
	s_mov_b64 s[20:21], 0
	v_cvt_u32_f64_e32 v0, v[0:1]
	s_branch .LBB22_1231
.LBB22_1227:
                                        ; implicit-def: $vgpr0
	s_branch .LBB22_1248
.LBB22_1228:
                                        ; implicit-def: $vgpr0
	s_branch .LBB22_1237
.LBB22_1229:
	s_mov_b64 s[20:21], -1
                                        ; implicit-def: $vgpr0
	s_branch .LBB22_1234
.LBB22_1230:
	s_mov_b64 s[20:21], -1
                                        ; implicit-def: $vgpr0
.LBB22_1231:
	s_andn2_b64 vcc, exec, s[20:21]
	s_cbranch_vccnz .LBB22_1233
; %bb.1232:
	s_waitcnt vmcnt(0)
	global_load_dword v0, v[2:3], off
	s_mov_b32 s20, 0x2f800000
	s_waitcnt vmcnt(0)
	v_trunc_f32_e32 v0, v0
	v_mul_f32_e64 v1, |v0|, s20
	v_floor_f32_e32 v1, v1
	s_mov_b32 s20, 0xcf800000
	v_fma_f32 v1, v1, s20, |v0|
	v_cvt_u32_f32_e32 v1, v1
	v_ashrrev_i32_e32 v0, 31, v0
	v_xor_b32_e32 v1, v1, v0
	v_sub_u32_e32 v0, v1, v0
.LBB22_1233:
	s_mov_b64 s[20:21], 0
.LBB22_1234:
	s_andn2_b64 vcc, exec, s[20:21]
	s_cbranch_vccnz .LBB22_1236
; %bb.1235:
	s_waitcnt vmcnt(0)
	global_load_dword v0, v[2:3], off
	s_waitcnt vmcnt(0)
	v_cvt_f32_f16_e32 v0, v0
	v_cvt_i32_f32_e32 v0, v0
.LBB22_1236:
	s_cbranch_execnz .LBB22_1247
.LBB22_1237:
	s_sext_i32_i16 s20, s55
	s_cmp_lt_i32 s20, 6
	s_cbranch_scc1 .LBB22_1240
; %bb.1238:
	s_cmp_gt_i32 s20, 6
	s_cbranch_scc0 .LBB22_1241
; %bb.1239:
	s_waitcnt vmcnt(0)
	global_load_dwordx2 v[0:1], v[2:3], off
	s_movk_i32 s20, 0xffe0
	s_waitcnt vmcnt(0)
	v_trunc_f64_e32 v[0:1], v[0:1]
	v_ldexp_f64 v[4:5], v[0:1], s20
	s_mov_b32 s20, 0
	s_mov_b32 s21, 0xc1f00000
	v_floor_f64_e32 v[4:5], v[4:5]
	v_fma_f64 v[0:1], v[4:5], s[20:21], v[0:1]
	s_mov_b64 s[20:21], 0
	v_cvt_u32_f64_e32 v0, v[0:1]
	s_branch .LBB22_1242
.LBB22_1240:
	s_mov_b64 s[20:21], -1
                                        ; implicit-def: $vgpr0
	s_branch .LBB22_1245
.LBB22_1241:
	s_mov_b64 s[20:21], -1
                                        ; implicit-def: $vgpr0
.LBB22_1242:
	s_andn2_b64 vcc, exec, s[20:21]
	s_cbranch_vccnz .LBB22_1244
; %bb.1243:
	s_waitcnt vmcnt(0)
	global_load_dword v0, v[2:3], off
	s_mov_b32 s20, 0x2f800000
	s_waitcnt vmcnt(0)
	v_trunc_f32_e32 v0, v0
	v_mul_f32_e64 v1, |v0|, s20
	v_floor_f32_e32 v1, v1
	s_mov_b32 s20, 0xcf800000
	v_fma_f32 v1, v1, s20, |v0|
	v_cvt_u32_f32_e32 v1, v1
	v_ashrrev_i32_e32 v0, 31, v0
	v_xor_b32_e32 v1, v1, v0
	v_sub_u32_e32 v0, v1, v0
.LBB22_1244:
	s_mov_b64 s[20:21], 0
.LBB22_1245:
	s_andn2_b64 vcc, exec, s[20:21]
	s_cbranch_vccnz .LBB22_1247
; %bb.1246:
	s_waitcnt vmcnt(0)
	global_load_ushort v0, v[2:3], off
	s_waitcnt vmcnt(0)
	v_cvt_f32_f16_e32 v0, v0
	v_cvt_i32_f32_e32 v0, v0
.LBB22_1247:
	s_cbranch_execnz .LBB22_1266
.LBB22_1248:
	s_sext_i32_i16 s20, s55
	s_cmp_lt_i32 s20, 2
	s_cbranch_scc1 .LBB22_1252
; %bb.1249:
	s_cmp_lt_i32 s20, 3
	s_cbranch_scc1 .LBB22_1253
; %bb.1250:
	s_cmp_gt_i32 s20, 3
	s_cbranch_scc0 .LBB22_1254
; %bb.1251:
	s_waitcnt vmcnt(0)
	global_load_dwordx2 v[0:1], v[2:3], off
	s_mov_b64 s[20:21], 0
	s_branch .LBB22_1255
.LBB22_1252:
                                        ; implicit-def: $vgpr0
	s_branch .LBB22_1261
.LBB22_1253:
	s_mov_b64 s[20:21], -1
                                        ; implicit-def: $vgpr0
	s_branch .LBB22_1258
.LBB22_1254:
	s_mov_b64 s[20:21], -1
                                        ; implicit-def: $vgpr0
.LBB22_1255:
	s_andn2_b64 vcc, exec, s[20:21]
	s_cbranch_vccnz .LBB22_1257
; %bb.1256:
	s_waitcnt vmcnt(0)
	global_load_dword v0, v[2:3], off
.LBB22_1257:
	s_mov_b64 s[20:21], 0
.LBB22_1258:
	s_andn2_b64 vcc, exec, s[20:21]
	s_cbranch_vccnz .LBB22_1260
; %bb.1259:
	s_waitcnt vmcnt(0)
	global_load_ushort v0, v[2:3], off
.LBB22_1260:
	s_cbranch_execnz .LBB22_1266
.LBB22_1261:
	s_sext_i32_i16 s20, s55
	s_cmp_gt_i32 s20, 0
	s_cbranch_scc0 .LBB22_1263
; %bb.1262:
	s_waitcnt vmcnt(0)
	global_load_ubyte v0, v[2:3], off
	s_mov_b64 s[20:21], 0
	s_branch .LBB22_1264
.LBB22_1263:
	s_mov_b64 s[20:21], -1
                                        ; implicit-def: $vgpr0
.LBB22_1264:
	s_andn2_b64 vcc, exec, s[20:21]
	s_cbranch_vccnz .LBB22_1266
; %bb.1265:
	s_waitcnt vmcnt(0)
	global_load_ubyte v0, v[2:3], off
.LBB22_1266:
	s_or_b64 s[28:29], s[28:29], exec
.LBB22_1267:
	s_or_b64 exec, exec, s[0:1]
	s_mov_b64 s[26:27], 0
	s_mov_b64 s[30:31], 0
	;; [unrolled: 1-line block ×3, first 2 shown]
                                        ; implicit-def: $sgpr34
                                        ; implicit-def: $vgpr1_vgpr2
                                        ; implicit-def: $vgpr3
	s_and_saveexec_b64 s[0:1], s[28:29]
	s_cbranch_execz .LBB22_1275
; %bb.1268:
	s_waitcnt vmcnt(0)
	v_mul_lo_u32 v1, v11, s14
	v_mov_b32_e32 v2, s3
	s_and_b32 s34, s15, 0xff
	s_cmp_lt_i32 s34, 11
	v_ashrrev_i32_e32 v3, 31, v1
	v_add_co_u32_e32 v1, vcc, s2, v1
	v_addc_co_u32_e32 v2, vcc, v2, v3, vcc
	s_cbranch_scc1 .LBB22_1278
; %bb.1269:
	s_and_b32 s30, 0xffff, s34
	s_cmp_gt_i32 s30, 25
	s_cbranch_scc0 .LBB22_1279
; %bb.1270:
	s_cmp_gt_i32 s30, 28
	s_cbranch_scc0 .LBB22_1280
; %bb.1271:
	;; [unrolled: 3-line block ×4, first 2 shown]
	s_cmp_eq_u32 s30, 46
	s_mov_b64 s[28:29], 0
	s_cbranch_scc0 .LBB22_1283
; %bb.1274:
	global_load_dword v3, v[1:2], off
	s_mov_b32 s20, 0x2f800000
	s_mov_b32 s21, 0xcf800000
	s_mov_b64 s[24:25], -1
	s_waitcnt vmcnt(0)
	v_lshlrev_b32_e32 v3, 16, v3
	v_trunc_f32_e32 v3, v3
	v_mul_f32_e64 v4, |v3|, s20
	v_floor_f32_e32 v4, v4
	v_fma_f32 v4, v4, s21, |v3|
	v_cvt_u32_f32_e32 v4, v4
	v_ashrrev_i32_e32 v3, 31, v3
	s_mov_b64 s[20:21], 0
	v_xor_b32_e32 v4, v4, v3
	v_sub_u32_e32 v3, v4, v3
	s_branch .LBB22_1285
.LBB22_1275:
	s_or_b64 exec, exec, s[0:1]
	s_and_saveexec_b64 s[0:1], s[18:19]
	s_cbranch_execnz .LBB22_1344
.LBB22_1276:
	s_or_b64 exec, exec, s[0:1]
	s_and_saveexec_b64 s[0:1], s[26:27]
	s_xor_b64 s[0:1], exec, s[0:1]
	s_cbranch_execz .LBB22_1345
.LBB22_1277:
	s_waitcnt vmcnt(0)
	global_load_ubyte v3, v[1:2], off
	s_or_b64 s[24:25], s[24:25], exec
	s_waitcnt vmcnt(0)
	v_cmp_ne_u16_e32 vcc, 0, v3
	v_cndmask_b32_e64 v3, 0, 1, vcc
	s_or_b64 exec, exec, s[0:1]
	s_and_saveexec_b64 s[0:1], s[30:31]
	s_cbranch_execz .LBB22_1391
	s_branch .LBB22_1346
.LBB22_1278:
	s_mov_b64 s[28:29], -1
                                        ; implicit-def: $vgpr3
	s_mov_b64 s[20:21], s[18:19]
	s_branch .LBB22_1343
.LBB22_1279:
	s_mov_b64 s[20:21], s[18:19]
                                        ; implicit-def: $vgpr3
	s_cbranch_execnz .LBB22_1312
	s_branch .LBB22_1342
.LBB22_1280:
	s_mov_b64 s[28:29], -1
	s_mov_b64 s[20:21], s[18:19]
                                        ; implicit-def: $vgpr3
	s_branch .LBB22_1295
.LBB22_1281:
	s_mov_b64 s[28:29], -1
	s_mov_b64 s[20:21], s[18:19]
                                        ; implicit-def: $vgpr3
	s_branch .LBB22_1290
.LBB22_1282:
	s_mov_b64 s[28:29], -1
	s_mov_b64 s[20:21], s[18:19]
	s_branch .LBB22_1284
.LBB22_1283:
	s_mov_b64 s[20:21], -1
.LBB22_1284:
                                        ; implicit-def: $vgpr3
.LBB22_1285:
	s_and_b64 vcc, exec, s[28:29]
	s_cbranch_vccz .LBB22_1289
; %bb.1286:
	s_cmp_eq_u32 s30, 44
	s_cbranch_scc0 .LBB22_1288
; %bb.1287:
	global_load_ubyte v3, v[1:2], off
	s_mov_b32 s20, 0x2f800000
	s_mov_b32 s21, 0xcf800000
	s_mov_b64 s[24:25], -1
	s_waitcnt vmcnt(0)
	v_lshlrev_b32_e32 v4, 23, v3
	v_trunc_f32_e32 v4, v4
	v_mul_f32_e64 v5, |v4|, s20
	v_floor_f32_e32 v5, v5
	v_fma_f32 v5, v5, s21, |v4|
	v_cvt_u32_f32_e32 v5, v5
	v_ashrrev_i32_e32 v4, 31, v4
	v_cmp_ne_u32_e32 vcc, 0, v3
	s_mov_b64 s[20:21], 0
	v_xor_b32_e32 v5, v5, v4
	v_sub_u32_e32 v4, v5, v4
	v_cndmask_b32_e32 v3, 0, v4, vcc
	s_branch .LBB22_1289
.LBB22_1288:
	s_mov_b64 s[20:21], -1
                                        ; implicit-def: $vgpr3
.LBB22_1289:
	s_mov_b64 s[28:29], 0
.LBB22_1290:
	s_and_b64 vcc, exec, s[28:29]
	s_cbranch_vccz .LBB22_1294
; %bb.1291:
	s_cmp_eq_u32 s30, 29
	s_cbranch_scc0 .LBB22_1293
; %bb.1292:
	global_load_dwordx2 v[3:4], v[1:2], off
	s_mov_b64 s[20:21], 0
	s_mov_b64 s[24:25], -1
	s_branch .LBB22_1294
.LBB22_1293:
	s_mov_b64 s[20:21], -1
                                        ; implicit-def: $vgpr3
.LBB22_1294:
	s_mov_b64 s[28:29], 0
.LBB22_1295:
	s_and_b64 vcc, exec, s[28:29]
	s_cbranch_vccz .LBB22_1311
; %bb.1296:
	s_cmp_lt_i32 s30, 27
	s_cbranch_scc1 .LBB22_1299
; %bb.1297:
	s_cmp_gt_i32 s30, 27
	s_cbranch_scc0 .LBB22_1300
; %bb.1298:
	global_load_dword v3, v[1:2], off
	s_mov_b64 s[24:25], 0
	s_branch .LBB22_1301
.LBB22_1299:
	s_mov_b64 s[24:25], -1
                                        ; implicit-def: $vgpr3
	s_branch .LBB22_1304
.LBB22_1300:
	s_mov_b64 s[24:25], -1
                                        ; implicit-def: $vgpr3
.LBB22_1301:
	s_andn2_b64 vcc, exec, s[24:25]
	s_cbranch_vccnz .LBB22_1303
; %bb.1302:
	global_load_ushort v3, v[1:2], off
.LBB22_1303:
	s_mov_b64 s[24:25], 0
.LBB22_1304:
	s_andn2_b64 vcc, exec, s[24:25]
	s_cbranch_vccnz .LBB22_1310
; %bb.1305:
	global_load_ubyte v4, v[1:2], off
	s_movk_i32 s24, 0x7f
	s_mov_b64 s[28:29], 0
	s_waitcnt vmcnt(0)
	v_cmp_lt_i16_e32 vcc, s24, v4
	s_and_saveexec_b64 s[24:25], vcc
	s_xor_b64 s[24:25], exec, s[24:25]
	s_cbranch_execz .LBB22_1321
; %bb.1306:
	s_movk_i32 s28, 0x80
	v_cmp_ne_u16_e32 vcc, s28, v4
	s_and_b64 s[28:29], vcc, exec
	s_andn2_saveexec_b64 s[24:25], s[24:25]
	s_cbranch_execnz .LBB22_1322
.LBB22_1307:
	s_or_b64 exec, exec, s[24:25]
	v_mov_b32_e32 v3, 0
	s_and_saveexec_b64 s[24:25], s[28:29]
	s_cbranch_execz .LBB22_1309
.LBB22_1308:
	v_lshlrev_b32_e32 v3, 24, v4
	v_and_b32_e32 v4, 0xffff, v4
	v_and_b32_e32 v5, 7, v4
	v_ffbh_u32_e32 v7, v5
	v_min_u32_e32 v7, 32, v7
	v_subrev_u32_e32 v8, 28, v7
	v_bfe_u32 v6, v4, 3, 4
	v_lshlrev_b32_e32 v4, v8, v4
	v_sub_u32_e32 v7, 29, v7
	v_and_b32_e32 v4, 7, v4
	v_cmp_eq_u32_e32 vcc, 0, v6
	v_cndmask_b32_e32 v6, v6, v7, vcc
	v_cndmask_b32_e32 v4, v5, v4, vcc
	v_mov_b32_e32 v5, 0x3b800000
	v_lshlrev_b32_e32 v4, 20, v4
	v_and_b32_e32 v3, 0x80000000, v3
	v_lshl_add_u32 v5, v6, 23, v5
	v_or3_b32 v3, v3, v5, v4
	v_trunc_f32_e32 v3, v3
	s_mov_b32 s28, 0x2f800000
	v_mul_f32_e64 v4, |v3|, s28
	v_floor_f32_e32 v4, v4
	s_mov_b32 s28, 0xcf800000
	v_fma_f32 v4, v4, s28, |v3|
	v_cvt_u32_f32_e32 v4, v4
	v_ashrrev_i32_e32 v3, 31, v3
	v_xor_b32_e32 v4, v4, v3
	v_sub_u32_e32 v3, v4, v3
.LBB22_1309:
	s_or_b64 exec, exec, s[24:25]
.LBB22_1310:
	s_mov_b64 s[24:25], -1
.LBB22_1311:
	s_branch .LBB22_1342
.LBB22_1312:
	s_cmp_gt_i32 s30, 22
	s_cbranch_scc0 .LBB22_1320
; %bb.1313:
	s_cmp_lt_i32 s30, 24
	s_cbranch_scc1 .LBB22_1323
; %bb.1314:
	s_cmp_gt_i32 s30, 24
	s_cbranch_scc0 .LBB22_1324
; %bb.1315:
	global_load_ubyte v4, v[1:2], off
	s_movk_i32 s24, 0x7f
	s_waitcnt vmcnt(0)
	v_cmp_lt_i16_e32 vcc, s24, v4
	s_and_saveexec_b64 s[24:25], vcc
	s_xor_b64 s[24:25], exec, s[24:25]
	s_cbranch_execz .LBB22_1336
; %bb.1316:
	s_movk_i32 s26, 0x80
	v_cmp_ne_u16_e32 vcc, s26, v4
	s_and_b64 s[26:27], vcc, exec
	s_andn2_saveexec_b64 s[24:25], s[24:25]
	s_cbranch_execnz .LBB22_1337
.LBB22_1317:
	s_or_b64 exec, exec, s[24:25]
	v_mov_b32_e32 v3, 0
	s_and_saveexec_b64 s[24:25], s[26:27]
	s_cbranch_execz .LBB22_1319
.LBB22_1318:
	v_lshlrev_b32_e32 v3, 24, v4
	v_and_b32_e32 v4, 0xffff, v4
	v_and_b32_e32 v5, 3, v4
	v_ffbh_u32_e32 v7, v5
	v_min_u32_e32 v7, 32, v7
	v_subrev_u32_e32 v8, 29, v7
	v_bfe_u32 v6, v4, 2, 5
	v_lshlrev_b32_e32 v4, v8, v4
	v_sub_u32_e32 v7, 30, v7
	v_and_b32_e32 v4, 3, v4
	v_cmp_eq_u32_e32 vcc, 0, v6
	v_cndmask_b32_e32 v6, v6, v7, vcc
	v_cndmask_b32_e32 v4, v5, v4, vcc
	v_mov_b32_e32 v5, 0x37800000
	v_lshlrev_b32_e32 v4, 21, v4
	v_and_b32_e32 v3, 0x80000000, v3
	v_lshl_add_u32 v5, v6, 23, v5
	v_or3_b32 v3, v3, v5, v4
	v_trunc_f32_e32 v3, v3
	s_mov_b32 s26, 0x2f800000
	v_mul_f32_e64 v4, |v3|, s26
	v_floor_f32_e32 v4, v4
	s_mov_b32 s26, 0xcf800000
	v_fma_f32 v4, v4, s26, |v3|
	v_cvt_u32_f32_e32 v4, v4
	v_ashrrev_i32_e32 v3, 31, v3
	v_xor_b32_e32 v4, v4, v3
	v_sub_u32_e32 v3, v4, v3
.LBB22_1319:
	s_or_b64 exec, exec, s[24:25]
	s_mov_b64 s[24:25], 0
	s_branch .LBB22_1325
.LBB22_1320:
	s_mov_b64 s[26:27], -1
                                        ; implicit-def: $vgpr3
	s_branch .LBB22_1331
.LBB22_1321:
	s_andn2_saveexec_b64 s[24:25], s[24:25]
	s_cbranch_execz .LBB22_1307
.LBB22_1322:
	v_cmp_ne_u16_e32 vcc, 0, v4
	s_andn2_b64 s[28:29], s[28:29], exec
	s_and_b64 s[36:37], vcc, exec
	s_or_b64 s[28:29], s[28:29], s[36:37]
	s_or_b64 exec, exec, s[24:25]
	v_mov_b32_e32 v3, 0
	s_and_saveexec_b64 s[24:25], s[28:29]
	s_cbranch_execnz .LBB22_1308
	s_branch .LBB22_1309
.LBB22_1323:
	s_mov_b64 s[24:25], -1
                                        ; implicit-def: $vgpr3
	s_branch .LBB22_1328
.LBB22_1324:
	s_mov_b64 s[24:25], -1
                                        ; implicit-def: $vgpr3
.LBB22_1325:
	s_and_b64 vcc, exec, s[24:25]
	s_cbranch_vccz .LBB22_1327
; %bb.1326:
	global_load_ubyte v3, v[1:2], off
	s_mov_b32 s24, 0x7f800000
	s_brev_b32 s25, 1
	s_mov_b32 s26, 0x2f800000
	s_waitcnt vmcnt(0)
	v_lshlrev_b32_e32 v3, 24, v3
	v_and_b32_e32 v4, 0x7f000000, v3
	v_ffbh_u32_e32 v5, v4
	v_min_u32_e32 v5, 32, v5
	v_sub_u32_e64 v5, v5, 4 clamp
	v_lshlrev_b32_e32 v7, v5, v4
	v_lshlrev_b32_e32 v5, 23, v5
	v_lshrrev_b32_e32 v7, 4, v7
	v_add_u32_e32 v6, 0x1000000, v4
	v_sub_u32_e32 v5, v7, v5
	v_ashrrev_i32_e32 v6, 8, v6
	v_add_u32_e32 v5, 0x3c000000, v5
	v_and_or_b32 v5, v6, s24, v5
	v_cmp_ne_u32_e32 vcc, 0, v4
	v_cndmask_b32_e32 v4, 0, v5, vcc
	v_and_or_b32 v3, v3, s25, v4
	v_trunc_f32_e32 v3, v3
	v_mul_f32_e64 v4, |v3|, s26
	v_floor_f32_e32 v4, v4
	s_mov_b32 s24, 0xcf800000
	v_fma_f32 v4, v4, s24, |v3|
	v_cvt_u32_f32_e32 v4, v4
	v_ashrrev_i32_e32 v3, 31, v3
	v_xor_b32_e32 v4, v4, v3
	v_sub_u32_e32 v3, v4, v3
.LBB22_1327:
	s_mov_b64 s[24:25], 0
.LBB22_1328:
	s_andn2_b64 vcc, exec, s[24:25]
	s_cbranch_vccnz .LBB22_1330
; %bb.1329:
	global_load_ubyte v3, v[1:2], off
	s_movk_i32 s24, 0x7f00
	s_brev_b32 s25, 16
	s_brev_b32 s26, 1
	s_mov_b32 s27, 0x2f800000
	s_waitcnt vmcnt(0)
	v_lshlrev_b16_e32 v4, 8, v3
	v_lshlrev_b32_e32 v3, 25, v3
	v_lshrrev_b32_e32 v5, 4, v3
	v_and_or_b32 v6, v4, s24, 0.5
	v_or_b32_e32 v5, 0x70000000, v5
	v_add_f32_e32 v6, -0.5, v6
	v_mul_f32_e32 v5, 0x7800000, v5
	v_cmp_gt_u32_e32 vcc, s25, v3
	v_bfe_i32 v4, v4, 0, 16
	v_cndmask_b32_e32 v3, v5, v6, vcc
	v_and_or_b32 v3, v4, s26, v3
	v_trunc_f32_e32 v3, v3
	v_mul_f32_e64 v4, |v3|, s27
	v_floor_f32_e32 v4, v4
	s_mov_b32 s24, 0xcf800000
	v_fma_f32 v4, v4, s24, |v3|
	v_cvt_u32_f32_e32 v4, v4
	v_ashrrev_i32_e32 v3, 31, v3
	v_xor_b32_e32 v4, v4, v3
	v_sub_u32_e32 v3, v4, v3
.LBB22_1330:
	s_mov_b64 s[26:27], 0
	s_mov_b64 s[24:25], -1
.LBB22_1331:
	s_andn2_b64 vcc, exec, s[26:27]
	s_mov_b64 s[26:27], 0
	s_cbranch_vccnz .LBB22_1342
; %bb.1332:
	s_cmp_gt_i32 s30, 14
	s_cbranch_scc0 .LBB22_1335
; %bb.1333:
	s_cmp_eq_u32 s30, 15
	s_cbranch_scc0 .LBB22_1338
; %bb.1334:
	global_load_ushort v3, v[1:2], off
	s_mov_b32 s20, 0x2f800000
	s_mov_b32 s21, 0xcf800000
	s_mov_b64 s[24:25], -1
	s_waitcnt vmcnt(0)
	v_lshlrev_b32_e32 v3, 16, v3
	v_trunc_f32_e32 v3, v3
	v_mul_f32_e64 v4, |v3|, s20
	v_floor_f32_e32 v4, v4
	v_fma_f32 v4, v4, s21, |v3|
	v_cvt_u32_f32_e32 v4, v4
	v_ashrrev_i32_e32 v3, 31, v3
	s_mov_b64 s[20:21], 0
	v_xor_b32_e32 v4, v4, v3
	v_sub_u32_e32 v3, v4, v3
	s_branch .LBB22_1339
.LBB22_1335:
	s_mov_b64 s[28:29], -1
                                        ; implicit-def: $vgpr3
	s_branch .LBB22_1340
.LBB22_1336:
	s_andn2_saveexec_b64 s[24:25], s[24:25]
	s_cbranch_execz .LBB22_1317
.LBB22_1337:
	v_cmp_ne_u16_e32 vcc, 0, v4
	s_andn2_b64 s[26:27], s[26:27], exec
	s_and_b64 s[28:29], vcc, exec
	s_or_b64 s[26:27], s[26:27], s[28:29]
	s_or_b64 exec, exec, s[24:25]
	v_mov_b32_e32 v3, 0
	s_and_saveexec_b64 s[24:25], s[26:27]
	s_cbranch_execnz .LBB22_1318
	s_branch .LBB22_1319
.LBB22_1338:
	s_mov_b64 s[20:21], -1
                                        ; implicit-def: $vgpr3
.LBB22_1339:
	s_mov_b64 s[28:29], 0
.LBB22_1340:
	s_and_b64 vcc, exec, s[28:29]
	s_cbranch_vccz .LBB22_1342
; %bb.1341:
	s_cmp_lg_u32 s30, 11
	s_cselect_b64 s[28:29], -1, 0
	s_andn2_b64 s[20:21], s[20:21], exec
	s_and_b64 s[28:29], s[28:29], exec
	s_mov_b64 s[26:27], -1
	s_or_b64 s[20:21], s[20:21], s[28:29]
.LBB22_1342:
	s_mov_b64 s[28:29], 0
.LBB22_1343:
	s_andn2_b64 s[18:19], s[18:19], exec
	s_and_b64 s[20:21], s[20:21], exec
	s_and_b64 s[24:25], s[24:25], exec
	;; [unrolled: 1-line block ×4, first 2 shown]
	s_or_b64 s[18:19], s[18:19], s[20:21]
	s_or_b64 exec, exec, s[0:1]
	s_and_saveexec_b64 s[0:1], s[18:19]
	s_cbranch_execz .LBB22_1276
.LBB22_1344:
	s_or_b64 s[22:23], s[22:23], exec
	s_andn2_b64 s[26:27], s[26:27], exec
	s_trap 2
	s_or_b64 exec, exec, s[0:1]
	s_and_saveexec_b64 s[0:1], s[26:27]
	s_xor_b64 s[0:1], exec, s[0:1]
	s_cbranch_execnz .LBB22_1277
.LBB22_1345:
	s_or_b64 exec, exec, s[0:1]
	s_and_saveexec_b64 s[0:1], s[30:31]
	s_cbranch_execz .LBB22_1391
.LBB22_1346:
	s_sext_i32_i16 s18, s34
	s_cmp_lt_i32 s18, 5
	s_cbranch_scc1 .LBB22_1351
; %bb.1347:
	s_cmp_lt_i32 s18, 8
	s_cbranch_scc1 .LBB22_1352
; %bb.1348:
	;; [unrolled: 3-line block ×3, first 2 shown]
	s_cmp_gt_i32 s18, 9
	s_cbranch_scc0 .LBB22_1354
; %bb.1350:
	s_waitcnt vmcnt(0)
	global_load_dwordx2 v[3:4], v[1:2], off
	s_movk_i32 s18, 0xffe0
	s_waitcnt vmcnt(0)
	v_trunc_f64_e32 v[3:4], v[3:4]
	v_ldexp_f64 v[5:6], v[3:4], s18
	s_mov_b32 s18, 0
	s_mov_b32 s19, 0xc1f00000
	v_floor_f64_e32 v[5:6], v[5:6]
	v_fma_f64 v[3:4], v[5:6], s[18:19], v[3:4]
	s_mov_b64 s[18:19], 0
	v_cvt_u32_f64_e32 v3, v[3:4]
	s_branch .LBB22_1355
.LBB22_1351:
                                        ; implicit-def: $vgpr3
	s_branch .LBB22_1372
.LBB22_1352:
                                        ; implicit-def: $vgpr3
	s_branch .LBB22_1361
.LBB22_1353:
	s_mov_b64 s[18:19], -1
                                        ; implicit-def: $vgpr3
	s_branch .LBB22_1358
.LBB22_1354:
	s_mov_b64 s[18:19], -1
                                        ; implicit-def: $vgpr3
.LBB22_1355:
	s_andn2_b64 vcc, exec, s[18:19]
	s_cbranch_vccnz .LBB22_1357
; %bb.1356:
	s_waitcnt vmcnt(0)
	global_load_dword v3, v[1:2], off
	s_mov_b32 s18, 0x2f800000
	s_waitcnt vmcnt(0)
	v_trunc_f32_e32 v3, v3
	v_mul_f32_e64 v4, |v3|, s18
	v_floor_f32_e32 v4, v4
	s_mov_b32 s18, 0xcf800000
	v_fma_f32 v4, v4, s18, |v3|
	v_cvt_u32_f32_e32 v4, v4
	v_ashrrev_i32_e32 v3, 31, v3
	v_xor_b32_e32 v4, v4, v3
	v_sub_u32_e32 v3, v4, v3
.LBB22_1357:
	s_mov_b64 s[18:19], 0
.LBB22_1358:
	s_andn2_b64 vcc, exec, s[18:19]
	s_cbranch_vccnz .LBB22_1360
; %bb.1359:
	s_waitcnt vmcnt(0)
	global_load_dword v3, v[1:2], off
	s_waitcnt vmcnt(0)
	v_cvt_f32_f16_e32 v3, v3
	v_cvt_i32_f32_e32 v3, v3
.LBB22_1360:
	s_cbranch_execnz .LBB22_1371
.LBB22_1361:
	s_sext_i32_i16 s18, s34
	s_cmp_lt_i32 s18, 6
	s_cbranch_scc1 .LBB22_1364
; %bb.1362:
	s_cmp_gt_i32 s18, 6
	s_cbranch_scc0 .LBB22_1365
; %bb.1363:
	s_waitcnt vmcnt(0)
	global_load_dwordx2 v[3:4], v[1:2], off
	s_movk_i32 s18, 0xffe0
	s_waitcnt vmcnt(0)
	v_trunc_f64_e32 v[3:4], v[3:4]
	v_ldexp_f64 v[5:6], v[3:4], s18
	s_mov_b32 s18, 0
	s_mov_b32 s19, 0xc1f00000
	v_floor_f64_e32 v[5:6], v[5:6]
	v_fma_f64 v[3:4], v[5:6], s[18:19], v[3:4]
	s_mov_b64 s[18:19], 0
	v_cvt_u32_f64_e32 v3, v[3:4]
	s_branch .LBB22_1366
.LBB22_1364:
	s_mov_b64 s[18:19], -1
                                        ; implicit-def: $vgpr3
	s_branch .LBB22_1369
.LBB22_1365:
	s_mov_b64 s[18:19], -1
                                        ; implicit-def: $vgpr3
.LBB22_1366:
	s_andn2_b64 vcc, exec, s[18:19]
	s_cbranch_vccnz .LBB22_1368
; %bb.1367:
	s_waitcnt vmcnt(0)
	global_load_dword v3, v[1:2], off
	s_mov_b32 s18, 0x2f800000
	s_waitcnt vmcnt(0)
	v_trunc_f32_e32 v3, v3
	v_mul_f32_e64 v4, |v3|, s18
	v_floor_f32_e32 v4, v4
	s_mov_b32 s18, 0xcf800000
	v_fma_f32 v4, v4, s18, |v3|
	v_cvt_u32_f32_e32 v4, v4
	v_ashrrev_i32_e32 v3, 31, v3
	v_xor_b32_e32 v4, v4, v3
	v_sub_u32_e32 v3, v4, v3
.LBB22_1368:
	s_mov_b64 s[18:19], 0
.LBB22_1369:
	s_andn2_b64 vcc, exec, s[18:19]
	s_cbranch_vccnz .LBB22_1371
; %bb.1370:
	s_waitcnt vmcnt(0)
	global_load_ushort v3, v[1:2], off
	s_waitcnt vmcnt(0)
	v_cvt_f32_f16_e32 v3, v3
	v_cvt_i32_f32_e32 v3, v3
.LBB22_1371:
	s_cbranch_execnz .LBB22_1390
.LBB22_1372:
	s_sext_i32_i16 s18, s34
	s_cmp_lt_i32 s18, 2
	s_cbranch_scc1 .LBB22_1376
; %bb.1373:
	s_cmp_lt_i32 s18, 3
	s_cbranch_scc1 .LBB22_1377
; %bb.1374:
	s_cmp_gt_i32 s18, 3
	s_cbranch_scc0 .LBB22_1378
; %bb.1375:
	s_waitcnt vmcnt(0)
	global_load_dwordx2 v[3:4], v[1:2], off
	s_mov_b64 s[18:19], 0
	s_branch .LBB22_1379
.LBB22_1376:
                                        ; implicit-def: $vgpr3
	s_branch .LBB22_1385
.LBB22_1377:
	s_mov_b64 s[18:19], -1
                                        ; implicit-def: $vgpr3
	s_branch .LBB22_1382
.LBB22_1378:
	s_mov_b64 s[18:19], -1
                                        ; implicit-def: $vgpr3
.LBB22_1379:
	s_andn2_b64 vcc, exec, s[18:19]
	s_cbranch_vccnz .LBB22_1381
; %bb.1380:
	s_waitcnt vmcnt(0)
	global_load_dword v3, v[1:2], off
.LBB22_1381:
	s_mov_b64 s[18:19], 0
.LBB22_1382:
	s_andn2_b64 vcc, exec, s[18:19]
	s_cbranch_vccnz .LBB22_1384
; %bb.1383:
	s_waitcnt vmcnt(0)
	global_load_ushort v3, v[1:2], off
.LBB22_1384:
	s_cbranch_execnz .LBB22_1390
.LBB22_1385:
	s_sext_i32_i16 s18, s34
	s_cmp_gt_i32 s18, 0
	s_cbranch_scc0 .LBB22_1387
; %bb.1386:
	s_waitcnt vmcnt(0)
	global_load_ubyte v3, v[1:2], off
	s_mov_b64 s[18:19], 0
	s_branch .LBB22_1388
.LBB22_1387:
	s_mov_b64 s[18:19], -1
                                        ; implicit-def: $vgpr3
.LBB22_1388:
	s_andn2_b64 vcc, exec, s[18:19]
	s_cbranch_vccnz .LBB22_1390
; %bb.1389:
	s_waitcnt vmcnt(0)
	global_load_ubyte v3, v[1:2], off
.LBB22_1390:
	s_or_b64 s[24:25], s[24:25], exec
.LBB22_1391:
	s_or_b64 exec, exec, s[0:1]
	s_mov_b64 s[26:27], 0
	s_mov_b64 s[20:21], 0
                                        ; implicit-def: $sgpr30
                                        ; implicit-def: $vgpr1_vgpr2
                                        ; implicit-def: $vgpr4
	s_and_saveexec_b64 s[18:19], s[24:25]
	s_cbranch_execz .LBB22_1466
; %bb.1392:
	s_waitcnt vmcnt(0)
	v_mul_lo_u32 v1, v11, s12
	v_mov_b32_e32 v2, 8
	v_lshlrev_b32_e32 v0, v3, v0
	v_cmp_lt_u16_sdwa vcc, v3, v2 src0_sel:BYTE_0 src1_sel:DWORD
	v_cndmask_b32_e32 v4, 0, v0, vcc
	v_ashrrev_i32_e32 v0, 31, v1
	v_mov_b32_e32 v2, s9
	s_and_b32 s30, s33, 0xff
	v_add_co_u32_e32 v1, vcc, s8, v1
	s_cmp_lt_i32 s30, 11
	v_addc_co_u32_e32 v2, vcc, v2, v0, vcc
	s_cbranch_scc1 .LBB22_1469
; %bb.1393:
	s_and_b32 s31, 0xffff, s30
	s_mov_b64 s[24:25], -1
	s_cmp_gt_i32 s31, 25
	s_mov_b64 s[0:1], s[6:7]
	s_cbranch_scc0 .LBB22_1426
; %bb.1394:
	s_mov_b64 s[20:21], -1
	s_cmp_gt_i32 s31, 28
	s_mov_b64 s[0:1], s[6:7]
	s_cbranch_scc0 .LBB22_1410
; %bb.1395:
	s_cmp_gt_i32 s31, 43
	s_mov_b64 s[0:1], s[6:7]
	s_cbranch_scc0 .LBB22_1406
; %bb.1396:
	;; [unrolled: 4-line block ×3, first 2 shown]
	s_cmp_eq_u32 s31, 46
	s_mov_b64 s[0:1], -1
	s_cbranch_scc0 .LBB22_1399
; %bb.1398:
	v_cvt_f32_ubyte0_e32 v0, v4
	v_bfe_u32 v3, v0, 16, 1
	s_movk_i32 s0, 0x7fff
	v_add3_u32 v0, v0, v3, s0
	v_lshrrev_b32_e32 v0, 16, v0
	global_store_dword v[1:2], v0, off
	s_mov_b64 s[0:1], 0
.LBB22_1399:
	s_mov_b64 s[20:21], 0
.LBB22_1400:
	s_and_b64 vcc, exec, s[20:21]
	s_cbranch_vccz .LBB22_1405
; %bb.1401:
	s_cmp_eq_u32 s31, 44
	s_mov_b64 s[0:1], -1
	s_cbranch_scc0 .LBB22_1405
; %bb.1402:
	v_cvt_f32_ubyte0_e32 v3, v4
	v_lshrrev_b32_e32 v0, 23, v3
	s_movk_i32 s0, 0xff
	v_cmp_ne_u32_e32 vcc, s0, v0
	v_mov_b32_e32 v5, 0xff
	s_and_saveexec_b64 s[20:21], vcc
; %bb.1403:
	s_mov_b32 s0, 0x3fffff
	v_and_b32_e32 v5, 0x400000, v3
	v_and_or_b32 v3, v3, s0, v0
	v_cmp_ne_u32_e32 vcc, 0, v5
	v_cmp_ne_u32_e64 s[0:1], 0, v3
	s_and_b64 s[0:1], vcc, s[0:1]
	v_cndmask_b32_e64 v3, 0, 1, s[0:1]
	v_add_u32_e32 v5, v0, v3
; %bb.1404:
	s_or_b64 exec, exec, s[20:21]
	s_mov_b64 s[0:1], 0
	global_store_byte v[1:2], v5, off
.LBB22_1405:
	s_mov_b64 s[20:21], 0
.LBB22_1406:
	s_and_b64 vcc, exec, s[20:21]
	s_cbranch_vccz .LBB22_1409
; %bb.1407:
	s_cmp_eq_u32 s31, 29
	s_mov_b64 s[0:1], -1
	s_cbranch_scc0 .LBB22_1409
; %bb.1408:
	v_and_b32_e32 v5, 0xff, v4
	v_mov_b32_e32 v6, 0
	global_store_dwordx2 v[1:2], v[5:6], off
	s_mov_b64 s[0:1], 0
.LBB22_1409:
	s_mov_b64 s[20:21], 0
.LBB22_1410:
	s_and_b64 vcc, exec, s[20:21]
	s_cbranch_vccz .LBB22_1425
; %bb.1411:
	s_cmp_lt_i32 s31, 27
	s_mov_b64 s[20:21], -1
	s_cbranch_scc1 .LBB22_1417
; %bb.1412:
	s_cmp_gt_i32 s31, 27
	s_cbranch_scc0 .LBB22_1414
; %bb.1413:
	v_and_b32_e32 v0, 0xff, v4
	s_mov_b64 s[20:21], 0
	global_store_dword v[1:2], v0, off
.LBB22_1414:
	s_andn2_b64 vcc, exec, s[20:21]
	s_cbranch_vccnz .LBB22_1416
; %bb.1415:
	v_and_b32_e32 v0, 0xff, v4
	global_store_short v[1:2], v0, off
.LBB22_1416:
	s_mov_b64 s[20:21], 0
.LBB22_1417:
	s_andn2_b64 vcc, exec, s[20:21]
	s_cbranch_vccnz .LBB22_1425
; %bb.1418:
	v_cvt_f32_ubyte0_e32 v3, v4
	s_mov_b32 s20, 0x43800000
	v_cmp_gt_u32_e32 vcc, s20, v3
	v_mov_b32_e32 v5, 0x80
	s_and_saveexec_b64 s[20:21], vcc
	s_cbranch_execz .LBB22_1424
; %bb.1419:
	s_mov_b32 s24, 0x3bffffff
	v_cmp_lt_u32_e32 vcc, s24, v3
	s_mov_b64 s[24:25], 0
                                        ; implicit-def: $vgpr0
	s_and_saveexec_b64 s[26:27], vcc
	s_xor_b64 s[26:27], exec, s[26:27]
	s_cbranch_execz .LBB22_1526
; %bb.1420:
	v_bfe_u32 v0, v3, 20, 1
	s_mov_b32 s28, 0x487ffff
	v_add3_u32 v0, v3, v0, s28
	s_mov_b64 s[24:25], exec
	v_lshrrev_b32_e32 v0, 20, v0
                                        ; implicit-def: $vgpr3
	s_andn2_saveexec_b64 s[26:27], s[26:27]
	s_cbranch_execnz .LBB22_1527
.LBB22_1421:
	s_or_b64 exec, exec, s[26:27]
	v_mov_b32_e32 v5, 0
	s_and_saveexec_b64 s[26:27], s[24:25]
.LBB22_1422:
	v_mov_b32_e32 v5, v0
.LBB22_1423:
	s_or_b64 exec, exec, s[26:27]
.LBB22_1424:
	s_or_b64 exec, exec, s[20:21]
	global_store_byte v[1:2], v5, off
.LBB22_1425:
	s_mov_b64 s[24:25], 0
.LBB22_1426:
	s_mov_b64 s[20:21], 0
	s_and_b64 vcc, exec, s[24:25]
	s_cbranch_vccz .LBB22_1470
; %bb.1427:
	s_cmp_gt_i32 s31, 22
	s_mov_b64 s[24:25], -1
	s_cbranch_scc0 .LBB22_1459
; %bb.1428:
	s_cmp_lt_i32 s31, 24
	s_cbranch_scc1 .LBB22_1448
; %bb.1429:
	s_cmp_gt_i32 s31, 24
	s_cbranch_scc0 .LBB22_1437
; %bb.1430:
	v_cvt_f32_ubyte0_e32 v3, v4
	s_mov_b32 s24, 0x47800000
	v_cmp_gt_u32_e32 vcc, s24, v3
	v_mov_b32_e32 v5, 0x80
	s_and_saveexec_b64 s[24:25], vcc
	s_cbranch_execz .LBB22_1436
; %bb.1431:
	s_mov_b32 s26, 0x37ffffff
	v_cmp_lt_u32_e32 vcc, s26, v3
	s_mov_b64 s[26:27], 0
                                        ; implicit-def: $vgpr0
	s_and_saveexec_b64 s[28:29], vcc
	s_xor_b64 s[28:29], exec, s[28:29]
	s_cbranch_execz .LBB22_1646
; %bb.1432:
	v_bfe_u32 v0, v3, 21, 1
	s_mov_b32 s34, 0x88fffff
	v_add3_u32 v0, v3, v0, s34
	s_mov_b64 s[26:27], exec
	v_lshrrev_b32_e32 v0, 21, v0
                                        ; implicit-def: $vgpr3
	s_andn2_saveexec_b64 s[28:29], s[28:29]
	s_cbranch_execnz .LBB22_1647
.LBB22_1433:
	s_or_b64 exec, exec, s[28:29]
	v_mov_b32_e32 v5, 0
	s_and_saveexec_b64 s[28:29], s[26:27]
.LBB22_1434:
	v_mov_b32_e32 v5, v0
.LBB22_1435:
	s_or_b64 exec, exec, s[28:29]
.LBB22_1436:
	s_or_b64 exec, exec, s[24:25]
	s_mov_b64 s[24:25], 0
	global_store_byte v[1:2], v5, off
.LBB22_1437:
	s_and_b64 vcc, exec, s[24:25]
	s_cbranch_vccz .LBB22_1447
; %bb.1438:
	v_cvt_f32_ubyte0_e32 v0, v4
	s_mov_b32 s24, 0x43f00000
	v_cmp_gt_u32_e32 vcc, s24, v0
                                        ; implicit-def: $vgpr3
	s_and_saveexec_b64 s[24:25], vcc
	s_xor_b64 s[24:25], exec, s[24:25]
	s_cbranch_execz .LBB22_1444
; %bb.1439:
	s_mov_b32 s26, 0x3c7fffff
	v_cmp_lt_u32_e32 vcc, s26, v0
                                        ; implicit-def: $vgpr3
	s_and_saveexec_b64 s[26:27], vcc
	s_xor_b64 s[26:27], exec, s[26:27]
; %bb.1440:
	v_bfe_u32 v3, v0, 20, 1
	s_mov_b32 s28, 0x407ffff
	v_add3_u32 v0, v0, v3, s28
	v_lshrrev_b32_e32 v3, 20, v0
	v_and_b32_e32 v0, 0xff00000, v0
	s_mov_b32 s28, 0x7f00000
	v_mov_b32_e32 v5, 0x7e
	v_cmp_ne_u32_e32 vcc, s28, v0
	v_cndmask_b32_e32 v3, v5, v3, vcc
                                        ; implicit-def: $vgpr0
; %bb.1441:
	s_andn2_saveexec_b64 s[26:27], s[26:27]
; %bb.1442:
	v_add_f32_e32 v3, 0x46800000, v0
; %bb.1443:
	s_or_b64 exec, exec, s[26:27]
                                        ; implicit-def: $vgpr0
.LBB22_1444:
	s_andn2_saveexec_b64 s[24:25], s[24:25]
; %bb.1445:
	s_mov_b32 s26, 0x7f800000
	v_mov_b32_e32 v3, 0x7e
	v_mov_b32_e32 v5, 0x7f
	v_cmp_lt_u32_e32 vcc, s26, v0
	v_cndmask_b32_e32 v3, v3, v5, vcc
; %bb.1446:
	s_or_b64 exec, exec, s[24:25]
	global_store_byte v[1:2], v3, off
.LBB22_1447:
	s_mov_b64 s[24:25], 0
.LBB22_1448:
	s_andn2_b64 vcc, exec, s[24:25]
	s_cbranch_vccnz .LBB22_1458
; %bb.1449:
	v_cvt_f32_ubyte0_e32 v0, v4
	s_mov_b32 s24, 0x47800000
	v_cmp_gt_u32_e32 vcc, s24, v0
                                        ; implicit-def: $vgpr3
	s_and_saveexec_b64 s[24:25], vcc
	s_xor_b64 s[24:25], exec, s[24:25]
	s_cbranch_execz .LBB22_1455
; %bb.1450:
	s_mov_b32 s26, 0x387fffff
	v_cmp_lt_u32_e32 vcc, s26, v0
                                        ; implicit-def: $vgpr3
	s_and_saveexec_b64 s[26:27], vcc
	s_xor_b64 s[26:27], exec, s[26:27]
; %bb.1451:
	v_bfe_u32 v3, v0, 21, 1
	s_mov_b32 s28, 0x80fffff
	v_add3_u32 v0, v0, v3, s28
	v_lshrrev_b32_e32 v3, 21, v0
                                        ; implicit-def: $vgpr0
; %bb.1452:
	s_andn2_saveexec_b64 s[26:27], s[26:27]
; %bb.1453:
	v_add_f32_e32 v3, 0x43000000, v0
; %bb.1454:
	s_or_b64 exec, exec, s[26:27]
                                        ; implicit-def: $vgpr0
.LBB22_1455:
	s_andn2_saveexec_b64 s[24:25], s[24:25]
; %bb.1456:
	s_mov_b32 s26, 0x7f800000
	v_mov_b32_e32 v3, 0x7c
	v_mov_b32_e32 v5, 0x7f
	v_cmp_lt_u32_e32 vcc, s26, v0
	v_cndmask_b32_e32 v3, v3, v5, vcc
; %bb.1457:
	s_or_b64 exec, exec, s[24:25]
	global_store_byte v[1:2], v3, off
.LBB22_1458:
	s_mov_b64 s[24:25], 0
.LBB22_1459:
	s_andn2_b64 vcc, exec, s[24:25]
	s_mov_b64 s[24:25], 0
	s_cbranch_vccnz .LBB22_1471
; %bb.1460:
	s_cmp_gt_i32 s31, 14
	s_mov_b64 s[26:27], -1
	s_cbranch_scc0 .LBB22_1464
; %bb.1461:
	s_cmp_eq_u32 s31, 15
	s_mov_b64 s[0:1], -1
	s_cbranch_scc0 .LBB22_1463
; %bb.1462:
	v_cvt_f32_ubyte0_e32 v0, v4
	v_bfe_u32 v3, v0, 16, 1
	s_movk_i32 s0, 0x7fff
	v_add3_u32 v0, v0, v3, s0
	global_store_short_d16_hi v[1:2], v0, off
	s_mov_b64 s[0:1], 0
.LBB22_1463:
	s_mov_b64 s[26:27], 0
.LBB22_1464:
	s_and_b64 vcc, exec, s[26:27]
	s_cbranch_vccz .LBB22_1471
; %bb.1465:
	s_cmp_lg_u32 s31, 11
	s_cselect_b64 s[26:27], -1, 0
	s_andn2_b64 s[0:1], s[0:1], exec
	s_and_b64 s[26:27], s[26:27], exec
	s_mov_b64 s[24:25], -1
	s_or_b64 s[0:1], s[0:1], s[26:27]
	s_branch .LBB22_1471
.LBB22_1466:
	s_or_b64 exec, exec, s[18:19]
	s_and_saveexec_b64 s[0:1], s[6:7]
	s_cbranch_execnz .LBB22_1472
.LBB22_1467:
	s_or_b64 exec, exec, s[0:1]
	s_and_saveexec_b64 s[0:1], s[26:27]
	s_xor_b64 s[0:1], exec, s[0:1]
	s_cbranch_execz .LBB22_1473
.LBB22_1468:
	s_waitcnt vmcnt(0)
	v_mov_b32_e32 v0, 0
	v_cmp_ne_u16_sdwa s[6:7], v4, v0 src0_sel:BYTE_0 src1_sel:DWORD
	v_cndmask_b32_e64 v0, 0, 1, s[6:7]
	global_store_byte v[1:2], v0, off
	s_or_b64 exec, exec, s[0:1]
	s_and_saveexec_b64 s[0:1], s[20:21]
	s_xor_b64 s[0:1], exec, s[0:1]
	s_cbranch_execz .LBB22_1511
	s_branch .LBB22_1474
.LBB22_1469:
	s_mov_b64 s[24:25], 0
	s_mov_b64 s[20:21], -1
	s_mov_b64 s[0:1], s[6:7]
	s_branch .LBB22_1471
.LBB22_1470:
	s_mov_b64 s[24:25], 0
.LBB22_1471:
	s_andn2_b64 s[6:7], s[6:7], exec
	s_and_b64 s[0:1], s[0:1], exec
	s_and_b64 s[20:21], s[20:21], exec
	;; [unrolled: 1-line block ×3, first 2 shown]
	s_or_b64 s[6:7], s[6:7], s[0:1]
	s_or_b64 exec, exec, s[18:19]
	s_and_saveexec_b64 s[0:1], s[6:7]
	s_cbranch_execz .LBB22_1467
.LBB22_1472:
	s_or_b64 s[22:23], s[22:23], exec
	s_andn2_b64 s[26:27], s[26:27], exec
	s_trap 2
	s_or_b64 exec, exec, s[0:1]
	s_and_saveexec_b64 s[0:1], s[26:27]
	s_xor_b64 s[0:1], exec, s[0:1]
	s_cbranch_execnz .LBB22_1468
.LBB22_1473:
	s_or_b64 exec, exec, s[0:1]
	s_and_saveexec_b64 s[0:1], s[20:21]
	s_xor_b64 s[0:1], exec, s[0:1]
	s_cbranch_execz .LBB22_1511
.LBB22_1474:
	s_sext_i32_i16 s18, s30
	s_cmp_lt_i32 s18, 5
	s_mov_b64 s[6:7], -1
	s_cbranch_scc1 .LBB22_1495
; %bb.1475:
	s_cmp_lt_i32 s18, 8
	s_cbranch_scc1 .LBB22_1485
; %bb.1476:
	s_cmp_lt_i32 s18, 9
	s_cbranch_scc1 .LBB22_1482
; %bb.1477:
	s_cmp_gt_i32 s18, 9
	s_cbranch_scc0 .LBB22_1479
; %bb.1478:
	s_mov_b32 s6, 0xffff
	s_waitcnt vmcnt(0)
	v_and_b32_sdwa v0, s6, v4 dst_sel:DWORD dst_unused:UNUSED_PAD src0_sel:DWORD src1_sel:BYTE_0
	v_cvt_f64_u32_e32 v[5:6], v0
	v_mov_b32_e32 v7, 0
	v_mov_b32_e32 v8, v7
	s_mov_b64 s[6:7], 0
	global_store_dwordx4 v[1:2], v[5:8], off
.LBB22_1479:
	s_andn2_b64 vcc, exec, s[6:7]
	s_cbranch_vccnz .LBB22_1481
; %bb.1480:
	s_waitcnt vmcnt(0)
	v_cvt_f32_ubyte0_e32 v5, v4
	v_mov_b32_e32 v6, 0
	global_store_dwordx2 v[1:2], v[5:6], off
.LBB22_1481:
	s_mov_b64 s[6:7], 0
.LBB22_1482:
	s_andn2_b64 vcc, exec, s[6:7]
	s_cbranch_vccnz .LBB22_1484
; %bb.1483:
	s_waitcnt vmcnt(0)
	v_cvt_f16_u16_sdwa v0, v4 dst_sel:DWORD dst_unused:UNUSED_PAD src0_sel:BYTE_0
	global_store_dword v[1:2], v0, off
.LBB22_1484:
	s_mov_b64 s[6:7], 0
.LBB22_1485:
	s_andn2_b64 vcc, exec, s[6:7]
	s_cbranch_vccnz .LBB22_1494
; %bb.1486:
	s_sext_i32_i16 s18, s30
	s_cmp_lt_i32 s18, 6
	s_mov_b64 s[6:7], -1
	s_cbranch_scc1 .LBB22_1492
; %bb.1487:
	s_cmp_gt_i32 s18, 6
	s_cbranch_scc0 .LBB22_1489
; %bb.1488:
	s_mov_b32 s6, 0xffff
	s_waitcnt vmcnt(0)
	v_and_b32_sdwa v0, s6, v4 dst_sel:DWORD dst_unused:UNUSED_PAD src0_sel:DWORD src1_sel:BYTE_0
	v_cvt_f64_u32_e32 v[5:6], v0
	s_mov_b64 s[6:7], 0
	global_store_dwordx2 v[1:2], v[5:6], off
.LBB22_1489:
	s_andn2_b64 vcc, exec, s[6:7]
	s_cbranch_vccnz .LBB22_1491
; %bb.1490:
	s_waitcnt vmcnt(0)
	v_cvt_f32_ubyte0_e32 v0, v4
	global_store_dword v[1:2], v0, off
.LBB22_1491:
	s_mov_b64 s[6:7], 0
.LBB22_1492:
	s_andn2_b64 vcc, exec, s[6:7]
	s_cbranch_vccnz .LBB22_1494
; %bb.1493:
	s_waitcnt vmcnt(0)
	v_cvt_f16_u16_sdwa v0, v4 dst_sel:DWORD dst_unused:UNUSED_PAD src0_sel:BYTE_0
	global_store_short v[1:2], v0, off
.LBB22_1494:
	s_mov_b64 s[6:7], 0
.LBB22_1495:
	s_andn2_b64 vcc, exec, s[6:7]
	s_cbranch_vccnz .LBB22_1511
; %bb.1496:
	s_sext_i32_i16 s18, s30
	s_cmp_lt_i32 s18, 2
	s_mov_b64 s[6:7], -1
	s_cbranch_scc1 .LBB22_1506
; %bb.1497:
	s_cmp_lt_i32 s18, 3
	s_cbranch_scc1 .LBB22_1503
; %bb.1498:
	s_cmp_gt_i32 s18, 3
	s_cbranch_scc0 .LBB22_1500
; %bb.1499:
	s_waitcnt vmcnt(0)
	v_and_b32_e32 v5, 0xff, v4
	v_mov_b32_e32 v6, 0
	s_mov_b64 s[6:7], 0
	global_store_dwordx2 v[1:2], v[5:6], off
.LBB22_1500:
	s_andn2_b64 vcc, exec, s[6:7]
	s_cbranch_vccnz .LBB22_1502
; %bb.1501:
	s_waitcnt vmcnt(0)
	v_and_b32_e32 v0, 0xff, v4
	global_store_dword v[1:2], v0, off
.LBB22_1502:
	s_mov_b64 s[6:7], 0
.LBB22_1503:
	s_andn2_b64 vcc, exec, s[6:7]
	s_cbranch_vccnz .LBB22_1505
; %bb.1504:
	s_waitcnt vmcnt(0)
	v_and_b32_e32 v0, 0xff, v4
	global_store_short v[1:2], v0, off
.LBB22_1505:
	s_mov_b64 s[6:7], 0
.LBB22_1506:
	s_andn2_b64 vcc, exec, s[6:7]
	s_cbranch_vccnz .LBB22_1511
; %bb.1507:
	s_sext_i32_i16 s6, s30
	s_cmp_gt_i32 s6, 0
	s_mov_b64 s[6:7], -1
	s_cbranch_scc0 .LBB22_1509
; %bb.1508:
	s_mov_b64 s[6:7], 0
	s_waitcnt vmcnt(0)
	global_store_byte v[1:2], v4, off
.LBB22_1509:
	s_andn2_b64 vcc, exec, s[6:7]
	s_cbranch_vccnz .LBB22_1511
; %bb.1510:
	s_waitcnt vmcnt(0)
	global_store_byte v[1:2], v4, off
.LBB22_1511:
	s_or_b64 exec, exec, s[0:1]
	s_and_b64 s[6:7], s[22:23], exec
                                        ; implicit-def: $vgpr11
.LBB22_1512:
	s_or_saveexec_b64 s[4:5], s[4:5]
	s_mov_b64 s[0:1], 0
                                        ; implicit-def: $sgpr20
                                        ; implicit-def: $vgpr0_vgpr1
                                        ; implicit-def: $vgpr2
	s_xor_b64 exec, exec, s[4:5]
	s_cbranch_execz .LBB22_2949
; %bb.1513:
	v_mul_lo_u32 v5, s13, v11
	s_waitcnt vmcnt(0)
	v_mov_b32_e32 v0, s11
	s_and_b32 s24, s54, 0xff
	s_cmp_lt_i32 s24, 11
	v_ashrrev_i32_e32 v1, 31, v5
	v_add_co_u32_e32 v2, vcc, s10, v5
	v_addc_co_u32_e32 v3, vcc, v0, v1, vcc
	s_cbranch_scc1 .LBB22_1520
; %bb.1514:
	s_and_b32 s22, 0xffff, s24
	s_cmp_gt_i32 s22, 25
	s_cbranch_scc0 .LBB22_1522
; %bb.1515:
	s_cmp_gt_i32 s22, 28
	s_cbranch_scc0 .LBB22_1523
; %bb.1516:
	;; [unrolled: 3-line block ×4, first 2 shown]
	s_cmp_eq_u32 s22, 46
	s_mov_b64 s[18:19], 0
	s_cbranch_scc0 .LBB22_1528
; %bb.1519:
	global_load_dword v0, v[2:3], off
	s_mov_b32 s0, 0x2f800000
	s_mov_b32 s1, 0xcf800000
	s_mov_b64 s[20:21], -1
	s_waitcnt vmcnt(0)
	v_lshlrev_b32_e32 v0, 16, v0
	v_trunc_f32_e32 v0, v0
	v_mul_f32_e64 v1, |v0|, s0
	v_floor_f32_e32 v1, v1
	v_fma_f32 v1, v1, s1, |v0|
	v_cvt_u32_f32_e32 v1, v1
	v_ashrrev_i32_e32 v0, 31, v0
	s_mov_b64 s[0:1], 0
	v_xor_b32_e32 v1, v1, v0
	v_sub_u32_e32 v0, v1, v0
	s_branch .LBB22_1529
.LBB22_1520:
	s_mov_b64 s[20:21], 0
                                        ; implicit-def: $vgpr0
	s_mov_b64 s[18:19], s[6:7]
	s_cbranch_execnz .LBB22_1587
.LBB22_1521:
	s_andn2_b64 vcc, exec, s[20:21]
	s_cbranch_vccz .LBB22_1632
	s_branch .LBB22_2947
.LBB22_1522:
	s_mov_b64 s[20:21], 0
                                        ; implicit-def: $vgpr0
	s_cbranch_execnz .LBB22_1554
	s_branch .LBB22_1583
.LBB22_1523:
	s_mov_b64 s[20:21], 0
                                        ; implicit-def: $vgpr0
	s_cbranch_execz .LBB22_1553
	s_branch .LBB22_1538
.LBB22_1524:
	s_mov_b64 s[20:21], 0
                                        ; implicit-def: $vgpr0
	s_cbranch_execnz .LBB22_1534
	s_branch .LBB22_1537
.LBB22_1525:
	s_mov_b64 s[18:19], -1
	s_mov_b64 s[20:21], 0
                                        ; implicit-def: $vgpr0
	s_branch .LBB22_1529
.LBB22_1526:
	s_andn2_saveexec_b64 s[26:27], s[26:27]
	s_cbranch_execz .LBB22_1421
.LBB22_1527:
	v_add_f32_e32 v0, 0x46000000, v3
	v_and_b32_e32 v0, 0xff, v0
	v_cmp_ne_u32_e32 vcc, 0, v0
	s_andn2_b64 s[24:25], s[24:25], exec
	s_and_b64 s[28:29], vcc, exec
	s_or_b64 s[24:25], s[24:25], s[28:29]
	s_or_b64 exec, exec, s[26:27]
	v_mov_b32_e32 v5, 0
	s_and_saveexec_b64 s[26:27], s[24:25]
	s_cbranch_execnz .LBB22_1422
	s_branch .LBB22_1423
.LBB22_1528:
	s_mov_b64 s[0:1], -1
                                        ; implicit-def: $vgpr0
	s_mov_b64 s[20:21], 0
.LBB22_1529:
	s_and_b64 vcc, exec, s[18:19]
	s_cbranch_vccz .LBB22_1532
; %bb.1530:
	s_cmp_eq_u32 s22, 44
	s_cbranch_scc0 .LBB22_1533
; %bb.1531:
	global_load_ubyte v0, v[2:3], off
	s_mov_b32 s0, 0x2f800000
	s_mov_b32 s1, 0xcf800000
	s_mov_b64 s[20:21], -1
	s_waitcnt vmcnt(0)
	v_lshlrev_b32_e32 v1, 23, v0
	v_trunc_f32_e32 v1, v1
	v_mul_f32_e64 v4, |v1|, s0
	v_floor_f32_e32 v4, v4
	v_fma_f32 v4, v4, s1, |v1|
	v_cvt_u32_f32_e32 v4, v4
	v_ashrrev_i32_e32 v1, 31, v1
	v_cmp_ne_u32_e32 vcc, 0, v0
	s_mov_b64 s[0:1], 0
	v_xor_b32_e32 v4, v4, v1
	v_sub_u32_e32 v1, v4, v1
	v_cndmask_b32_e32 v0, 0, v1, vcc
.LBB22_1532:
	s_branch .LBB22_1537
.LBB22_1533:
	s_mov_b64 s[0:1], -1
                                        ; implicit-def: $vgpr0
	s_branch .LBB22_1537
.LBB22_1534:
	s_cmp_eq_u32 s22, 29
	s_cbranch_scc0 .LBB22_1536
; %bb.1535:
	global_load_dwordx2 v[0:1], v[2:3], off
	s_mov_b64 s[0:1], 0
	s_mov_b64 s[20:21], -1
	s_branch .LBB22_1537
.LBB22_1536:
	s_mov_b64 s[0:1], -1
                                        ; implicit-def: $vgpr0
.LBB22_1537:
	s_branch .LBB22_1553
.LBB22_1538:
	s_cmp_lt_i32 s22, 27
	s_cbranch_scc1 .LBB22_1541
; %bb.1539:
	s_cmp_gt_i32 s22, 27
	s_cbranch_scc0 .LBB22_1542
; %bb.1540:
	global_load_dword v0, v[2:3], off
	s_mov_b64 s[18:19], 0
	s_branch .LBB22_1543
.LBB22_1541:
	s_mov_b64 s[18:19], -1
                                        ; implicit-def: $vgpr0
	s_branch .LBB22_1546
.LBB22_1542:
	s_mov_b64 s[18:19], -1
                                        ; implicit-def: $vgpr0
.LBB22_1543:
	s_andn2_b64 vcc, exec, s[18:19]
	s_cbranch_vccnz .LBB22_1545
; %bb.1544:
	global_load_ushort v0, v[2:3], off
.LBB22_1545:
	s_mov_b64 s[18:19], 0
.LBB22_1546:
	s_andn2_b64 vcc, exec, s[18:19]
	s_cbranch_vccnz .LBB22_1552
; %bb.1547:
	global_load_ubyte v1, v[2:3], off
	s_movk_i32 s18, 0x7f
	s_mov_b64 s[20:21], 0
	s_waitcnt vmcnt(0)
	v_cmp_lt_i16_e32 vcc, s18, v1
	s_and_saveexec_b64 s[18:19], vcc
	s_xor_b64 s[18:19], exec, s[18:19]
	s_cbranch_execz .LBB22_1563
; %bb.1548:
	s_movk_i32 s20, 0x80
	v_cmp_ne_u16_e32 vcc, s20, v1
	s_and_b64 s[20:21], vcc, exec
	s_andn2_saveexec_b64 s[18:19], s[18:19]
	s_cbranch_execnz .LBB22_1564
.LBB22_1549:
	s_or_b64 exec, exec, s[18:19]
	v_mov_b32_e32 v0, 0
	s_and_saveexec_b64 s[18:19], s[20:21]
	s_cbranch_execz .LBB22_1551
.LBB22_1550:
	v_lshlrev_b32_e32 v0, 24, v1
	v_and_b32_e32 v1, 0xffff, v1
	v_and_b32_e32 v4, 7, v1
	v_ffbh_u32_e32 v7, v4
	v_min_u32_e32 v7, 32, v7
	v_subrev_u32_e32 v8, 28, v7
	v_bfe_u32 v6, v1, 3, 4
	v_lshlrev_b32_e32 v1, v8, v1
	v_sub_u32_e32 v7, 29, v7
	v_and_b32_e32 v1, 7, v1
	v_cmp_eq_u32_e32 vcc, 0, v6
	v_cndmask_b32_e32 v6, v6, v7, vcc
	v_cndmask_b32_e32 v1, v4, v1, vcc
	v_mov_b32_e32 v4, 0x3b800000
	v_lshlrev_b32_e32 v1, 20, v1
	v_and_b32_e32 v0, 0x80000000, v0
	v_lshl_add_u32 v4, v6, 23, v4
	v_or3_b32 v0, v0, v4, v1
	v_trunc_f32_e32 v0, v0
	s_mov_b32 s20, 0x2f800000
	v_mul_f32_e64 v1, |v0|, s20
	v_floor_f32_e32 v1, v1
	s_mov_b32 s20, 0xcf800000
	v_fma_f32 v1, v1, s20, |v0|
	v_cvt_u32_f32_e32 v1, v1
	v_ashrrev_i32_e32 v0, 31, v0
	v_xor_b32_e32 v1, v1, v0
	v_sub_u32_e32 v0, v1, v0
.LBB22_1551:
	s_or_b64 exec, exec, s[18:19]
.LBB22_1552:
	s_mov_b64 s[20:21], -1
.LBB22_1553:
	s_branch .LBB22_1583
.LBB22_1554:
	s_cmp_gt_i32 s22, 22
	s_cbranch_scc0 .LBB22_1562
; %bb.1555:
	s_cmp_lt_i32 s22, 24
	s_cbranch_scc1 .LBB22_1565
; %bb.1556:
	s_cmp_gt_i32 s22, 24
	s_cbranch_scc0 .LBB22_1566
; %bb.1557:
	global_load_ubyte v1, v[2:3], off
	s_movk_i32 s16, 0x7f
	s_mov_b64 s[18:19], 0
	s_waitcnt vmcnt(0)
	v_cmp_lt_i16_e32 vcc, s16, v1
	s_and_saveexec_b64 s[16:17], vcc
	s_xor_b64 s[16:17], exec, s[16:17]
	s_cbranch_execz .LBB22_1577
; %bb.1558:
	s_movk_i32 s18, 0x80
	v_cmp_ne_u16_e32 vcc, s18, v1
	s_and_b64 s[18:19], vcc, exec
	s_andn2_saveexec_b64 s[16:17], s[16:17]
	s_cbranch_execnz .LBB22_1578
.LBB22_1559:
	s_or_b64 exec, exec, s[16:17]
	v_mov_b32_e32 v0, 0
	s_and_saveexec_b64 s[16:17], s[18:19]
	s_cbranch_execz .LBB22_1561
.LBB22_1560:
	v_lshlrev_b32_e32 v0, 24, v1
	v_and_b32_e32 v1, 0xffff, v1
	v_and_b32_e32 v4, 3, v1
	v_ffbh_u32_e32 v7, v4
	v_min_u32_e32 v7, 32, v7
	v_subrev_u32_e32 v8, 29, v7
	v_bfe_u32 v6, v1, 2, 5
	v_lshlrev_b32_e32 v1, v8, v1
	v_sub_u32_e32 v7, 30, v7
	v_and_b32_e32 v1, 3, v1
	v_cmp_eq_u32_e32 vcc, 0, v6
	v_cndmask_b32_e32 v6, v6, v7, vcc
	v_cndmask_b32_e32 v1, v4, v1, vcc
	v_mov_b32_e32 v4, 0x37800000
	v_lshlrev_b32_e32 v1, 21, v1
	v_and_b32_e32 v0, 0x80000000, v0
	v_lshl_add_u32 v4, v6, 23, v4
	v_or3_b32 v0, v0, v4, v1
	v_trunc_f32_e32 v0, v0
	s_mov_b32 s18, 0x2f800000
	v_mul_f32_e64 v1, |v0|, s18
	v_floor_f32_e32 v1, v1
	s_mov_b32 s18, 0xcf800000
	v_fma_f32 v1, v1, s18, |v0|
	v_cvt_u32_f32_e32 v1, v1
	v_ashrrev_i32_e32 v0, 31, v0
	v_xor_b32_e32 v1, v1, v0
	v_sub_u32_e32 v0, v1, v0
.LBB22_1561:
	s_or_b64 exec, exec, s[16:17]
	s_mov_b64 s[16:17], 0
	s_branch .LBB22_1567
.LBB22_1562:
                                        ; implicit-def: $vgpr0
	s_mov_b64 s[16:17], 0
	s_branch .LBB22_1573
.LBB22_1563:
	s_andn2_saveexec_b64 s[18:19], s[18:19]
	s_cbranch_execz .LBB22_1549
.LBB22_1564:
	v_cmp_ne_u16_e32 vcc, 0, v1
	s_andn2_b64 s[20:21], s[20:21], exec
	s_and_b64 s[26:27], vcc, exec
	s_or_b64 s[20:21], s[20:21], s[26:27]
	s_or_b64 exec, exec, s[18:19]
	v_mov_b32_e32 v0, 0
	s_and_saveexec_b64 s[18:19], s[20:21]
	s_cbranch_execnz .LBB22_1550
	s_branch .LBB22_1551
.LBB22_1565:
	s_mov_b64 s[16:17], -1
                                        ; implicit-def: $vgpr0
	s_branch .LBB22_1570
.LBB22_1566:
	s_mov_b64 s[16:17], -1
                                        ; implicit-def: $vgpr0
.LBB22_1567:
	s_and_b64 vcc, exec, s[16:17]
	s_cbranch_vccz .LBB22_1569
; %bb.1568:
	global_load_ubyte v0, v[2:3], off
	s_mov_b32 s16, 0x7f800000
	s_brev_b32 s17, 1
	s_mov_b32 s18, 0x2f800000
	s_waitcnt vmcnt(0)
	v_lshlrev_b32_e32 v0, 24, v0
	v_and_b32_e32 v1, 0x7f000000, v0
	v_ffbh_u32_e32 v4, v1
	v_min_u32_e32 v4, 32, v4
	v_sub_u32_e64 v4, v4, 4 clamp
	v_lshlrev_b32_e32 v7, v4, v1
	v_lshlrev_b32_e32 v4, 23, v4
	v_lshrrev_b32_e32 v7, 4, v7
	v_add_u32_e32 v6, 0x1000000, v1
	v_sub_u32_e32 v4, v7, v4
	v_ashrrev_i32_e32 v6, 8, v6
	v_add_u32_e32 v4, 0x3c000000, v4
	v_and_or_b32 v4, v6, s16, v4
	v_cmp_ne_u32_e32 vcc, 0, v1
	v_cndmask_b32_e32 v1, 0, v4, vcc
	v_and_or_b32 v0, v0, s17, v1
	v_trunc_f32_e32 v0, v0
	v_mul_f32_e64 v1, |v0|, s18
	v_floor_f32_e32 v1, v1
	s_mov_b32 s16, 0xcf800000
	v_fma_f32 v1, v1, s16, |v0|
	v_cvt_u32_f32_e32 v1, v1
	v_ashrrev_i32_e32 v0, 31, v0
	v_xor_b32_e32 v1, v1, v0
	v_sub_u32_e32 v0, v1, v0
.LBB22_1569:
	s_mov_b64 s[16:17], 0
.LBB22_1570:
	s_andn2_b64 vcc, exec, s[16:17]
	s_cbranch_vccnz .LBB22_1572
; %bb.1571:
	global_load_ubyte v0, v[2:3], off
	s_movk_i32 s16, 0x7f00
	s_brev_b32 s17, 16
	s_brev_b32 s18, 1
	s_mov_b32 s19, 0x2f800000
	s_waitcnt vmcnt(0)
	v_lshlrev_b16_e32 v1, 8, v0
	v_lshlrev_b32_e32 v0, 25, v0
	v_lshrrev_b32_e32 v4, 4, v0
	v_and_or_b32 v6, v1, s16, 0.5
	v_or_b32_e32 v4, 0x70000000, v4
	v_add_f32_e32 v6, -0.5, v6
	v_mul_f32_e32 v4, 0x7800000, v4
	v_cmp_gt_u32_e32 vcc, s17, v0
	v_bfe_i32 v1, v1, 0, 16
	v_cndmask_b32_e32 v0, v4, v6, vcc
	v_and_or_b32 v0, v1, s18, v0
	v_trunc_f32_e32 v0, v0
	v_mul_f32_e64 v1, |v0|, s19
	v_floor_f32_e32 v1, v1
	s_mov_b32 s16, 0xcf800000
	v_fma_f32 v1, v1, s16, |v0|
	v_cvt_u32_f32_e32 v1, v1
	v_ashrrev_i32_e32 v0, 31, v0
	v_xor_b32_e32 v1, v1, v0
	v_sub_u32_e32 v0, v1, v0
.LBB22_1572:
	s_mov_b64 s[20:21], -1
	s_mov_b64 s[16:17], 0
	s_cbranch_execnz .LBB22_1583
.LBB22_1573:
	s_cmp_gt_i32 s22, 14
	s_cbranch_scc0 .LBB22_1576
; %bb.1574:
	s_cmp_eq_u32 s22, 15
	s_cbranch_scc0 .LBB22_1579
; %bb.1575:
	global_load_ushort v0, v[2:3], off
	s_mov_b32 s0, 0x2f800000
	s_mov_b32 s1, 0xcf800000
	s_mov_b64 s[20:21], -1
	s_waitcnt vmcnt(0)
	v_lshlrev_b32_e32 v0, 16, v0
	v_trunc_f32_e32 v0, v0
	v_mul_f32_e64 v1, |v0|, s0
	v_floor_f32_e32 v1, v1
	v_fma_f32 v1, v1, s1, |v0|
	v_cvt_u32_f32_e32 v1, v1
	v_ashrrev_i32_e32 v0, 31, v0
	s_mov_b64 s[0:1], 0
	v_xor_b32_e32 v1, v1, v0
	v_sub_u32_e32 v0, v1, v0
	s_branch .LBB22_1580
.LBB22_1576:
	s_mov_b64 s[18:19], -1
                                        ; implicit-def: $vgpr0
	s_branch .LBB22_1581
.LBB22_1577:
	s_andn2_saveexec_b64 s[16:17], s[16:17]
	s_cbranch_execz .LBB22_1559
.LBB22_1578:
	v_cmp_ne_u16_e32 vcc, 0, v1
	s_andn2_b64 s[18:19], s[18:19], exec
	s_and_b64 s[20:21], vcc, exec
	s_or_b64 s[18:19], s[18:19], s[20:21]
	s_or_b64 exec, exec, s[16:17]
	v_mov_b32_e32 v0, 0
	s_and_saveexec_b64 s[16:17], s[18:19]
	s_cbranch_execnz .LBB22_1560
	s_branch .LBB22_1561
.LBB22_1579:
	s_mov_b64 s[0:1], -1
                                        ; implicit-def: $vgpr0
.LBB22_1580:
	s_mov_b64 s[18:19], 0
.LBB22_1581:
	s_and_b64 vcc, exec, s[18:19]
	s_cbranch_vccz .LBB22_1583
; %bb.1582:
	s_cmp_lg_u32 s22, 11
	s_mov_b64 s[16:17], -1
	s_cselect_b64 s[0:1], -1, 0
.LBB22_1583:
	s_and_b64 vcc, exec, s[0:1]
	s_mov_b64 s[18:19], s[6:7]
	s_cbranch_vccnz .LBB22_1644
; %bb.1584:
	s_andn2_b64 vcc, exec, s[16:17]
	s_cbranch_vccnz .LBB22_1586
.LBB22_1585:
	global_load_ubyte v0, v[2:3], off
	s_mov_b64 s[20:21], -1
	s_waitcnt vmcnt(0)
	v_cmp_ne_u16_e32 vcc, 0, v0
	v_cndmask_b32_e64 v0, 0, 1, vcc
.LBB22_1586:
	s_branch .LBB22_1521
.LBB22_1587:
	s_and_b32 s16, 0xffff, s24
	s_cmp_lt_i32 s16, 5
	s_cbranch_scc1 .LBB22_1592
; %bb.1588:
	s_cmp_lt_i32 s16, 8
	s_cbranch_scc1 .LBB22_1593
; %bb.1589:
	;; [unrolled: 3-line block ×3, first 2 shown]
	s_cmp_gt_i32 s16, 9
	s_cbranch_scc0 .LBB22_1595
; %bb.1591:
	global_load_dwordx2 v[0:1], v[2:3], off
	s_movk_i32 s0, 0xffe0
	s_waitcnt vmcnt(0)
	v_trunc_f64_e32 v[0:1], v[0:1]
	v_ldexp_f64 v[6:7], v[0:1], s0
	s_mov_b32 s0, 0
	s_mov_b32 s1, 0xc1f00000
	v_floor_f64_e32 v[6:7], v[6:7]
	v_fma_f64 v[0:1], v[6:7], s[0:1], v[0:1]
	s_mov_b64 s[0:1], 0
	v_cvt_u32_f64_e32 v0, v[0:1]
	s_branch .LBB22_1596
.LBB22_1592:
                                        ; implicit-def: $vgpr0
	s_branch .LBB22_1613
.LBB22_1593:
                                        ; implicit-def: $vgpr0
	s_branch .LBB22_1602
.LBB22_1594:
	s_mov_b64 s[0:1], -1
                                        ; implicit-def: $vgpr0
	s_branch .LBB22_1599
.LBB22_1595:
	s_mov_b64 s[0:1], -1
                                        ; implicit-def: $vgpr0
.LBB22_1596:
	s_andn2_b64 vcc, exec, s[0:1]
	s_cbranch_vccnz .LBB22_1598
; %bb.1597:
	global_load_dword v0, v[2:3], off
	s_mov_b32 s0, 0x2f800000
	s_waitcnt vmcnt(0)
	v_trunc_f32_e32 v0, v0
	v_mul_f32_e64 v1, |v0|, s0
	v_floor_f32_e32 v1, v1
	s_mov_b32 s0, 0xcf800000
	v_fma_f32 v1, v1, s0, |v0|
	v_cvt_u32_f32_e32 v1, v1
	v_ashrrev_i32_e32 v0, 31, v0
	v_xor_b32_e32 v1, v1, v0
	v_sub_u32_e32 v0, v1, v0
.LBB22_1598:
	s_mov_b64 s[0:1], 0
.LBB22_1599:
	s_andn2_b64 vcc, exec, s[0:1]
	s_cbranch_vccnz .LBB22_1601
; %bb.1600:
	global_load_dword v0, v[2:3], off
	s_waitcnt vmcnt(0)
	v_cvt_f32_f16_e32 v0, v0
	v_cvt_i32_f32_e32 v0, v0
.LBB22_1601:
	s_cbranch_execnz .LBB22_1612
.LBB22_1602:
	s_cmp_lt_i32 s16, 6
	s_cbranch_scc1 .LBB22_1605
; %bb.1603:
	s_cmp_gt_i32 s16, 6
	s_cbranch_scc0 .LBB22_1606
; %bb.1604:
	global_load_dwordx2 v[0:1], v[2:3], off
	s_movk_i32 s0, 0xffe0
	s_waitcnt vmcnt(0)
	v_trunc_f64_e32 v[0:1], v[0:1]
	v_ldexp_f64 v[6:7], v[0:1], s0
	s_mov_b32 s0, 0
	s_mov_b32 s1, 0xc1f00000
	v_floor_f64_e32 v[6:7], v[6:7]
	v_fma_f64 v[0:1], v[6:7], s[0:1], v[0:1]
	s_mov_b64 s[0:1], 0
	v_cvt_u32_f64_e32 v0, v[0:1]
	s_branch .LBB22_1607
.LBB22_1605:
	s_mov_b64 s[0:1], -1
                                        ; implicit-def: $vgpr0
	s_branch .LBB22_1610
.LBB22_1606:
	s_mov_b64 s[0:1], -1
                                        ; implicit-def: $vgpr0
.LBB22_1607:
	s_andn2_b64 vcc, exec, s[0:1]
	s_cbranch_vccnz .LBB22_1609
; %bb.1608:
	global_load_dword v0, v[2:3], off
	s_mov_b32 s0, 0x2f800000
	s_waitcnt vmcnt(0)
	v_trunc_f32_e32 v0, v0
	v_mul_f32_e64 v1, |v0|, s0
	v_floor_f32_e32 v1, v1
	s_mov_b32 s0, 0xcf800000
	v_fma_f32 v1, v1, s0, |v0|
	v_cvt_u32_f32_e32 v1, v1
	v_ashrrev_i32_e32 v0, 31, v0
	v_xor_b32_e32 v1, v1, v0
	v_sub_u32_e32 v0, v1, v0
.LBB22_1609:
	s_mov_b64 s[0:1], 0
.LBB22_1610:
	s_andn2_b64 vcc, exec, s[0:1]
	s_cbranch_vccnz .LBB22_1612
; %bb.1611:
	global_load_ushort v0, v[2:3], off
	s_waitcnt vmcnt(0)
	v_cvt_f32_f16_e32 v0, v0
	v_cvt_i32_f32_e32 v0, v0
.LBB22_1612:
	s_cbranch_execnz .LBB22_1631
.LBB22_1613:
	s_cmp_lt_i32 s16, 2
	s_cbranch_scc1 .LBB22_1617
; %bb.1614:
	s_cmp_lt_i32 s16, 3
	s_cbranch_scc1 .LBB22_1618
; %bb.1615:
	s_cmp_gt_i32 s16, 3
	s_cbranch_scc0 .LBB22_1619
; %bb.1616:
	global_load_dwordx2 v[0:1], v[2:3], off
	s_mov_b64 s[0:1], 0
	s_branch .LBB22_1620
.LBB22_1617:
                                        ; implicit-def: $vgpr0
	s_branch .LBB22_1626
.LBB22_1618:
	s_mov_b64 s[0:1], -1
                                        ; implicit-def: $vgpr0
	s_branch .LBB22_1623
.LBB22_1619:
	s_mov_b64 s[0:1], -1
                                        ; implicit-def: $vgpr0
.LBB22_1620:
	s_andn2_b64 vcc, exec, s[0:1]
	s_cbranch_vccnz .LBB22_1622
; %bb.1621:
	global_load_dword v0, v[2:3], off
.LBB22_1622:
	s_mov_b64 s[0:1], 0
.LBB22_1623:
	s_andn2_b64 vcc, exec, s[0:1]
	s_cbranch_vccnz .LBB22_1625
; %bb.1624:
	global_load_ushort v0, v[2:3], off
.LBB22_1625:
	s_cbranch_execnz .LBB22_1631
.LBB22_1626:
	s_cmp_gt_i32 s16, 0
	s_cbranch_scc0 .LBB22_1628
; %bb.1627:
	global_load_ubyte v0, v[2:3], off
	s_mov_b64 s[0:1], 0
	s_branch .LBB22_1629
.LBB22_1628:
	s_mov_b64 s[0:1], -1
                                        ; implicit-def: $vgpr0
.LBB22_1629:
	s_andn2_b64 vcc, exec, s[0:1]
	s_cbranch_vccnz .LBB22_1631
; %bb.1630:
	global_load_ubyte v0, v[2:3], off
.LBB22_1631:
.LBB22_1632:
	v_mul_lo_u32 v6, s14, v11
	s_waitcnt vmcnt(0)
	v_mov_b32_e32 v1, s3
	s_and_b32 s25, s15, 0xff
	s_cmp_lt_i32 s25, 11
	v_ashrrev_i32_e32 v2, 31, v6
	v_add_co_u32_e32 v3, vcc, s2, v6
	v_addc_co_u32_e32 v4, vcc, v1, v2, vcc
	s_cbranch_scc1 .LBB22_1639
; %bb.1633:
	s_and_b32 s15, 0xffff, s25
	s_cmp_gt_i32 s15, 25
	s_mov_b64 s[16:17], 0
	s_cbranch_scc0 .LBB22_1641
; %bb.1634:
	s_cmp_gt_i32 s15, 28
	s_cbranch_scc0 .LBB22_1642
; %bb.1635:
	s_cmp_gt_i32 s15, 43
	;; [unrolled: 3-line block ×3, first 2 shown]
	s_cbranch_scc0 .LBB22_1645
; %bb.1637:
	s_cmp_eq_u32 s15, 46
	s_mov_b64 s[22:23], 0
	s_cbranch_scc0 .LBB22_1648
; %bb.1638:
	global_load_dword v1, v[3:4], off
	s_mov_b32 s0, 0x2f800000
	s_mov_b32 s1, 0xcf800000
	s_mov_b64 s[20:21], -1
	s_waitcnt vmcnt(0)
	v_lshlrev_b32_e32 v1, 16, v1
	v_trunc_f32_e32 v1, v1
	v_mul_f32_e64 v2, |v1|, s0
	v_floor_f32_e32 v2, v2
	v_fma_f32 v2, v2, s1, |v1|
	v_cvt_u32_f32_e32 v2, v2
	v_ashrrev_i32_e32 v1, 31, v1
	s_mov_b64 s[0:1], 0
	v_xor_b32_e32 v2, v2, v1
	v_sub_u32_e32 v1, v2, v1
	s_branch .LBB22_1649
.LBB22_1639:
	s_mov_b64 s[20:21], 0
                                        ; implicit-def: $vgpr1
	s_cbranch_execnz .LBB22_1710
.LBB22_1640:
	s_andn2_b64 vcc, exec, s[20:21]
	s_cbranch_vccnz .LBB22_2947
	s_branch .LBB22_1757
.LBB22_1641:
	s_mov_b64 s[20:21], 0
	s_mov_b64 s[0:1], 0
                                        ; implicit-def: $vgpr1
	s_cbranch_execnz .LBB22_1676
	s_branch .LBB22_1706
.LBB22_1642:
	s_mov_b64 s[22:23], -1
	s_mov_b64 s[20:21], 0
	s_mov_b64 s[0:1], 0
                                        ; implicit-def: $vgpr1
	s_branch .LBB22_1659
.LBB22_1643:
	s_mov_b64 s[22:23], -1
	s_mov_b64 s[20:21], 0
	s_mov_b64 s[0:1], 0
                                        ; implicit-def: $vgpr1
	s_branch .LBB22_1654
.LBB22_1644:
	s_or_b64 s[18:19], s[6:7], exec
	s_trap 2
	s_cbranch_execz .LBB22_1585
	s_branch .LBB22_1586
.LBB22_1645:
	s_mov_b64 s[22:23], -1
	s_mov_b64 s[20:21], 0
	s_mov_b64 s[0:1], 0
                                        ; implicit-def: $vgpr1
	s_branch .LBB22_1649
.LBB22_1646:
	s_andn2_saveexec_b64 s[28:29], s[28:29]
	s_cbranch_execz .LBB22_1433
.LBB22_1647:
	v_add_f32_e32 v0, 0x42800000, v3
	v_and_b32_e32 v0, 0xff, v0
	v_cmp_ne_u32_e32 vcc, 0, v0
	s_andn2_b64 s[26:27], s[26:27], exec
	s_and_b64 s[34:35], vcc, exec
	s_or_b64 s[26:27], s[26:27], s[34:35]
	s_or_b64 exec, exec, s[28:29]
	v_mov_b32_e32 v5, 0
	s_and_saveexec_b64 s[28:29], s[26:27]
	s_cbranch_execnz .LBB22_1434
	s_branch .LBB22_1435
.LBB22_1648:
	s_mov_b64 s[0:1], -1
                                        ; implicit-def: $vgpr1
	s_mov_b64 s[20:21], 0
.LBB22_1649:
	s_and_b64 vcc, exec, s[22:23]
	s_cbranch_vccz .LBB22_1653
; %bb.1650:
	s_cmp_eq_u32 s15, 44
	s_cbranch_scc0 .LBB22_1652
; %bb.1651:
	global_load_ubyte v1, v[3:4], off
	s_mov_b32 s0, 0x2f800000
	s_mov_b32 s1, 0xcf800000
	s_mov_b64 s[20:21], -1
	s_waitcnt vmcnt(0)
	v_lshlrev_b32_e32 v2, 23, v1
	v_trunc_f32_e32 v2, v2
	v_mul_f32_e64 v7, |v2|, s0
	v_floor_f32_e32 v7, v7
	v_fma_f32 v7, v7, s1, |v2|
	v_cvt_u32_f32_e32 v7, v7
	v_ashrrev_i32_e32 v2, 31, v2
	v_cmp_ne_u32_e32 vcc, 0, v1
	s_mov_b64 s[0:1], 0
	v_xor_b32_e32 v7, v7, v2
	v_sub_u32_e32 v2, v7, v2
	v_cndmask_b32_e32 v1, 0, v2, vcc
	s_branch .LBB22_1653
.LBB22_1652:
	s_mov_b64 s[0:1], -1
                                        ; implicit-def: $vgpr1
.LBB22_1653:
	s_mov_b64 s[22:23], 0
.LBB22_1654:
	s_and_b64 vcc, exec, s[22:23]
	s_cbranch_vccz .LBB22_1658
; %bb.1655:
	s_cmp_eq_u32 s15, 29
	s_cbranch_scc0 .LBB22_1657
; %bb.1656:
	global_load_dwordx2 v[1:2], v[3:4], off
	s_mov_b64 s[0:1], 0
	s_mov_b64 s[20:21], -1
	s_branch .LBB22_1658
.LBB22_1657:
	s_mov_b64 s[0:1], -1
                                        ; implicit-def: $vgpr1
.LBB22_1658:
	s_mov_b64 s[22:23], 0
.LBB22_1659:
	s_and_b64 vcc, exec, s[22:23]
	s_cbranch_vccz .LBB22_1675
; %bb.1660:
	s_cmp_lt_i32 s15, 27
	s_cbranch_scc1 .LBB22_1663
; %bb.1661:
	s_cmp_gt_i32 s15, 27
	s_cbranch_scc0 .LBB22_1664
; %bb.1662:
	global_load_dword v1, v[3:4], off
	s_mov_b64 s[20:21], 0
	s_branch .LBB22_1665
.LBB22_1663:
	s_mov_b64 s[20:21], -1
                                        ; implicit-def: $vgpr1
	s_branch .LBB22_1668
.LBB22_1664:
	s_mov_b64 s[20:21], -1
                                        ; implicit-def: $vgpr1
.LBB22_1665:
	s_andn2_b64 vcc, exec, s[20:21]
	s_cbranch_vccnz .LBB22_1667
; %bb.1666:
	global_load_ushort v1, v[3:4], off
.LBB22_1667:
	s_mov_b64 s[20:21], 0
.LBB22_1668:
	s_andn2_b64 vcc, exec, s[20:21]
	s_cbranch_vccnz .LBB22_1674
; %bb.1669:
	global_load_ubyte v2, v[3:4], off
	s_movk_i32 s20, 0x7f
	s_mov_b64 s[22:23], 0
	s_waitcnt vmcnt(0)
	v_cmp_lt_i16_e32 vcc, s20, v2
	s_and_saveexec_b64 s[20:21], vcc
	s_xor_b64 s[20:21], exec, s[20:21]
	s_cbranch_execz .LBB22_1685
; %bb.1670:
	s_movk_i32 s22, 0x80
	v_cmp_ne_u16_e32 vcc, s22, v2
	s_and_b64 s[22:23], vcc, exec
	s_andn2_saveexec_b64 s[20:21], s[20:21]
	s_cbranch_execnz .LBB22_1686
.LBB22_1671:
	s_or_b64 exec, exec, s[20:21]
	v_mov_b32_e32 v1, 0
	s_and_saveexec_b64 s[20:21], s[22:23]
	s_cbranch_execz .LBB22_1673
.LBB22_1672:
	v_lshlrev_b32_e32 v1, 24, v2
	v_and_b32_e32 v2, 0xffff, v2
	v_and_b32_e32 v7, 7, v2
	v_ffbh_u32_e32 v9, v7
	v_min_u32_e32 v9, 32, v9
	v_subrev_u32_e32 v10, 28, v9
	v_bfe_u32 v8, v2, 3, 4
	v_lshlrev_b32_e32 v2, v10, v2
	v_sub_u32_e32 v9, 29, v9
	v_and_b32_e32 v2, 7, v2
	v_cmp_eq_u32_e32 vcc, 0, v8
	v_cndmask_b32_e32 v8, v8, v9, vcc
	v_cndmask_b32_e32 v2, v7, v2, vcc
	v_mov_b32_e32 v7, 0x3b800000
	v_lshlrev_b32_e32 v2, 20, v2
	v_and_b32_e32 v1, 0x80000000, v1
	v_lshl_add_u32 v7, v8, 23, v7
	v_or3_b32 v1, v1, v7, v2
	v_trunc_f32_e32 v1, v1
	s_mov_b32 s22, 0x2f800000
	v_mul_f32_e64 v2, |v1|, s22
	v_floor_f32_e32 v2, v2
	s_mov_b32 s22, 0xcf800000
	v_fma_f32 v2, v2, s22, |v1|
	v_cvt_u32_f32_e32 v2, v2
	v_ashrrev_i32_e32 v1, 31, v1
	v_xor_b32_e32 v2, v2, v1
	v_sub_u32_e32 v1, v2, v1
.LBB22_1673:
	s_or_b64 exec, exec, s[20:21]
.LBB22_1674:
	s_mov_b64 s[20:21], -1
.LBB22_1675:
	s_branch .LBB22_1706
.LBB22_1676:
	s_cmp_gt_i32 s15, 22
	s_cbranch_scc0 .LBB22_1684
; %bb.1677:
	s_cmp_lt_i32 s15, 24
	s_cbranch_scc1 .LBB22_1687
; %bb.1678:
	s_cmp_gt_i32 s15, 24
	s_cbranch_scc0 .LBB22_1688
; %bb.1679:
	global_load_ubyte v2, v[3:4], off
	s_movk_i32 s16, 0x7f
	s_mov_b64 s[20:21], 0
	s_waitcnt vmcnt(0)
	v_cmp_lt_i16_e32 vcc, s16, v2
	s_and_saveexec_b64 s[16:17], vcc
	s_xor_b64 s[16:17], exec, s[16:17]
	s_cbranch_execz .LBB22_1700
; %bb.1680:
	s_movk_i32 s20, 0x80
	v_cmp_ne_u16_e32 vcc, s20, v2
	s_and_b64 s[20:21], vcc, exec
	s_andn2_saveexec_b64 s[16:17], s[16:17]
	s_cbranch_execnz .LBB22_1701
.LBB22_1681:
	s_or_b64 exec, exec, s[16:17]
	v_mov_b32_e32 v1, 0
	s_and_saveexec_b64 s[16:17], s[20:21]
	s_cbranch_execz .LBB22_1683
.LBB22_1682:
	v_lshlrev_b32_e32 v1, 24, v2
	v_and_b32_e32 v2, 0xffff, v2
	v_and_b32_e32 v7, 3, v2
	v_ffbh_u32_e32 v9, v7
	v_min_u32_e32 v9, 32, v9
	v_subrev_u32_e32 v10, 29, v9
	v_bfe_u32 v8, v2, 2, 5
	v_lshlrev_b32_e32 v2, v10, v2
	v_sub_u32_e32 v9, 30, v9
	v_and_b32_e32 v2, 3, v2
	v_cmp_eq_u32_e32 vcc, 0, v8
	v_cndmask_b32_e32 v8, v8, v9, vcc
	v_cndmask_b32_e32 v2, v7, v2, vcc
	v_mov_b32_e32 v7, 0x37800000
	v_lshlrev_b32_e32 v2, 21, v2
	v_and_b32_e32 v1, 0x80000000, v1
	v_lshl_add_u32 v7, v8, 23, v7
	v_or3_b32 v1, v1, v7, v2
	v_trunc_f32_e32 v1, v1
	s_mov_b32 s20, 0x2f800000
	v_mul_f32_e64 v2, |v1|, s20
	v_floor_f32_e32 v2, v2
	s_mov_b32 s20, 0xcf800000
	v_fma_f32 v2, v2, s20, |v1|
	v_cvt_u32_f32_e32 v2, v2
	v_ashrrev_i32_e32 v1, 31, v1
	v_xor_b32_e32 v2, v2, v1
	v_sub_u32_e32 v1, v2, v1
.LBB22_1683:
	s_or_b64 exec, exec, s[16:17]
	s_mov_b64 s[16:17], 0
	s_branch .LBB22_1689
.LBB22_1684:
	s_mov_b64 s[16:17], -1
                                        ; implicit-def: $vgpr1
	s_branch .LBB22_1695
.LBB22_1685:
	s_andn2_saveexec_b64 s[20:21], s[20:21]
	s_cbranch_execz .LBB22_1671
.LBB22_1686:
	v_cmp_ne_u16_e32 vcc, 0, v2
	s_andn2_b64 s[22:23], s[22:23], exec
	s_and_b64 s[26:27], vcc, exec
	s_or_b64 s[22:23], s[22:23], s[26:27]
	s_or_b64 exec, exec, s[20:21]
	v_mov_b32_e32 v1, 0
	s_and_saveexec_b64 s[20:21], s[22:23]
	s_cbranch_execnz .LBB22_1672
	s_branch .LBB22_1673
.LBB22_1687:
	s_mov_b64 s[16:17], -1
                                        ; implicit-def: $vgpr1
	s_branch .LBB22_1692
.LBB22_1688:
	s_mov_b64 s[16:17], -1
                                        ; implicit-def: $vgpr1
.LBB22_1689:
	s_and_b64 vcc, exec, s[16:17]
	s_cbranch_vccz .LBB22_1691
; %bb.1690:
	global_load_ubyte v1, v[3:4], off
	s_mov_b32 s16, 0x7f800000
	s_brev_b32 s17, 1
	s_mov_b32 s20, 0x2f800000
	s_waitcnt vmcnt(0)
	v_lshlrev_b32_e32 v1, 24, v1
	v_and_b32_e32 v2, 0x7f000000, v1
	v_ffbh_u32_e32 v7, v2
	v_min_u32_e32 v7, 32, v7
	v_sub_u32_e64 v7, v7, 4 clamp
	v_lshlrev_b32_e32 v9, v7, v2
	v_lshlrev_b32_e32 v7, 23, v7
	v_lshrrev_b32_e32 v9, 4, v9
	v_add_u32_e32 v8, 0x1000000, v2
	v_sub_u32_e32 v7, v9, v7
	v_ashrrev_i32_e32 v8, 8, v8
	v_add_u32_e32 v7, 0x3c000000, v7
	v_and_or_b32 v7, v8, s16, v7
	v_cmp_ne_u32_e32 vcc, 0, v2
	v_cndmask_b32_e32 v2, 0, v7, vcc
	v_and_or_b32 v1, v1, s17, v2
	v_trunc_f32_e32 v1, v1
	v_mul_f32_e64 v2, |v1|, s20
	v_floor_f32_e32 v2, v2
	s_mov_b32 s16, 0xcf800000
	v_fma_f32 v2, v2, s16, |v1|
	v_cvt_u32_f32_e32 v2, v2
	v_ashrrev_i32_e32 v1, 31, v1
	v_xor_b32_e32 v2, v2, v1
	v_sub_u32_e32 v1, v2, v1
.LBB22_1691:
	s_mov_b64 s[16:17], 0
.LBB22_1692:
	s_andn2_b64 vcc, exec, s[16:17]
	s_cbranch_vccnz .LBB22_1694
; %bb.1693:
	global_load_ubyte v1, v[3:4], off
	s_movk_i32 s16, 0x7f00
	s_brev_b32 s17, 16
	s_brev_b32 s20, 1
	s_mov_b32 s21, 0x2f800000
	s_waitcnt vmcnt(0)
	v_lshlrev_b16_e32 v2, 8, v1
	v_lshlrev_b32_e32 v1, 25, v1
	v_lshrrev_b32_e32 v7, 4, v1
	v_and_or_b32 v8, v2, s16, 0.5
	v_or_b32_e32 v7, 0x70000000, v7
	v_add_f32_e32 v8, -0.5, v8
	v_mul_f32_e32 v7, 0x7800000, v7
	v_cmp_gt_u32_e32 vcc, s17, v1
	v_bfe_i32 v2, v2, 0, 16
	v_cndmask_b32_e32 v1, v7, v8, vcc
	v_and_or_b32 v1, v2, s20, v1
	v_trunc_f32_e32 v1, v1
	v_mul_f32_e64 v2, |v1|, s21
	v_floor_f32_e32 v2, v2
	s_mov_b32 s16, 0xcf800000
	v_fma_f32 v2, v2, s16, |v1|
	v_cvt_u32_f32_e32 v2, v2
	v_ashrrev_i32_e32 v1, 31, v1
	v_xor_b32_e32 v2, v2, v1
	v_sub_u32_e32 v1, v2, v1
.LBB22_1694:
	s_mov_b64 s[16:17], 0
	s_mov_b64 s[20:21], -1
.LBB22_1695:
	s_andn2_b64 vcc, exec, s[16:17]
	s_mov_b64 s[16:17], 0
	s_cbranch_vccnz .LBB22_1706
; %bb.1696:
	s_cmp_gt_i32 s15, 14
	s_cbranch_scc0 .LBB22_1699
; %bb.1697:
	s_cmp_eq_u32 s15, 15
	s_cbranch_scc0 .LBB22_1702
; %bb.1698:
	global_load_ushort v1, v[3:4], off
	s_mov_b32 s0, 0x2f800000
	s_mov_b32 s1, 0xcf800000
	s_mov_b64 s[20:21], -1
	s_waitcnt vmcnt(0)
	v_lshlrev_b32_e32 v1, 16, v1
	v_trunc_f32_e32 v1, v1
	v_mul_f32_e64 v2, |v1|, s0
	v_floor_f32_e32 v2, v2
	v_fma_f32 v2, v2, s1, |v1|
	v_cvt_u32_f32_e32 v2, v2
	v_ashrrev_i32_e32 v1, 31, v1
	s_mov_b64 s[0:1], 0
	v_xor_b32_e32 v2, v2, v1
	v_sub_u32_e32 v1, v2, v1
	s_branch .LBB22_1703
.LBB22_1699:
	s_mov_b64 s[22:23], -1
                                        ; implicit-def: $vgpr1
	s_branch .LBB22_1704
.LBB22_1700:
	s_andn2_saveexec_b64 s[16:17], s[16:17]
	s_cbranch_execz .LBB22_1681
.LBB22_1701:
	v_cmp_ne_u16_e32 vcc, 0, v2
	s_andn2_b64 s[20:21], s[20:21], exec
	s_and_b64 s[22:23], vcc, exec
	s_or_b64 s[20:21], s[20:21], s[22:23]
	s_or_b64 exec, exec, s[16:17]
	v_mov_b32_e32 v1, 0
	s_and_saveexec_b64 s[16:17], s[20:21]
	s_cbranch_execnz .LBB22_1682
	s_branch .LBB22_1683
.LBB22_1702:
	s_mov_b64 s[0:1], -1
                                        ; implicit-def: $vgpr1
.LBB22_1703:
	s_mov_b64 s[22:23], 0
.LBB22_1704:
	s_and_b64 vcc, exec, s[22:23]
	s_cbranch_vccz .LBB22_1706
; %bb.1705:
	s_cmp_lg_u32 s15, 11
	s_mov_b64 s[16:17], -1
	s_cselect_b64 s[0:1], -1, 0
.LBB22_1706:
	s_and_b64 vcc, exec, s[0:1]
	s_cbranch_vccnz .LBB22_1769
; %bb.1707:
	s_andn2_b64 vcc, exec, s[16:17]
	s_cbranch_vccnz .LBB22_1709
.LBB22_1708:
	global_load_ubyte v1, v[3:4], off
	s_mov_b64 s[20:21], -1
	s_waitcnt vmcnt(0)
	v_cmp_ne_u16_e32 vcc, 0, v1
	v_cndmask_b32_e64 v1, 0, 1, vcc
.LBB22_1709:
	s_branch .LBB22_1640
.LBB22_1710:
	s_and_b32 s15, 0xffff, s25
	s_cmp_lt_i32 s15, 5
	s_cbranch_scc1 .LBB22_1715
; %bb.1711:
	s_cmp_lt_i32 s15, 8
	s_cbranch_scc1 .LBB22_1716
; %bb.1712:
	;; [unrolled: 3-line block ×3, first 2 shown]
	s_cmp_gt_i32 s15, 9
	s_cbranch_scc0 .LBB22_1718
; %bb.1714:
	global_load_dwordx2 v[1:2], v[3:4], off
	s_movk_i32 s0, 0xffe0
	s_waitcnt vmcnt(0)
	v_trunc_f64_e32 v[1:2], v[1:2]
	v_ldexp_f64 v[7:8], v[1:2], s0
	s_mov_b32 s0, 0
	s_mov_b32 s1, 0xc1f00000
	v_floor_f64_e32 v[7:8], v[7:8]
	v_fma_f64 v[1:2], v[7:8], s[0:1], v[1:2]
	s_mov_b64 s[0:1], 0
	v_cvt_u32_f64_e32 v1, v[1:2]
	s_branch .LBB22_1719
.LBB22_1715:
                                        ; implicit-def: $vgpr1
	s_branch .LBB22_1737
.LBB22_1716:
	s_mov_b64 s[0:1], -1
                                        ; implicit-def: $vgpr1
	s_branch .LBB22_1725
.LBB22_1717:
	s_mov_b64 s[0:1], -1
                                        ; implicit-def: $vgpr1
	s_branch .LBB22_1722
.LBB22_1718:
	s_mov_b64 s[0:1], -1
                                        ; implicit-def: $vgpr1
.LBB22_1719:
	s_andn2_b64 vcc, exec, s[0:1]
	s_cbranch_vccnz .LBB22_1721
; %bb.1720:
	global_load_dword v1, v[3:4], off
	s_mov_b32 s0, 0x2f800000
	s_waitcnt vmcnt(0)
	v_trunc_f32_e32 v1, v1
	v_mul_f32_e64 v2, |v1|, s0
	v_floor_f32_e32 v2, v2
	s_mov_b32 s0, 0xcf800000
	v_fma_f32 v2, v2, s0, |v1|
	v_cvt_u32_f32_e32 v2, v2
	v_ashrrev_i32_e32 v1, 31, v1
	v_xor_b32_e32 v2, v2, v1
	v_sub_u32_e32 v1, v2, v1
.LBB22_1721:
	s_mov_b64 s[0:1], 0
.LBB22_1722:
	s_andn2_b64 vcc, exec, s[0:1]
	s_cbranch_vccnz .LBB22_1724
; %bb.1723:
	global_load_dword v1, v[3:4], off
	s_waitcnt vmcnt(0)
	v_cvt_f32_f16_e32 v1, v1
	v_cvt_i32_f32_e32 v1, v1
.LBB22_1724:
	s_mov_b64 s[0:1], 0
.LBB22_1725:
	s_andn2_b64 vcc, exec, s[0:1]
	s_cbranch_vccnz .LBB22_1736
; %bb.1726:
	s_cmp_lt_i32 s15, 6
	s_cbranch_scc1 .LBB22_1729
; %bb.1727:
	s_cmp_gt_i32 s15, 6
	s_cbranch_scc0 .LBB22_1730
; %bb.1728:
	global_load_dwordx2 v[1:2], v[3:4], off
	s_movk_i32 s0, 0xffe0
	s_waitcnt vmcnt(0)
	v_trunc_f64_e32 v[1:2], v[1:2]
	v_ldexp_f64 v[7:8], v[1:2], s0
	s_mov_b32 s0, 0
	s_mov_b32 s1, 0xc1f00000
	v_floor_f64_e32 v[7:8], v[7:8]
	v_fma_f64 v[1:2], v[7:8], s[0:1], v[1:2]
	s_mov_b64 s[0:1], 0
	v_cvt_u32_f64_e32 v1, v[1:2]
	s_branch .LBB22_1731
.LBB22_1729:
	s_mov_b64 s[0:1], -1
                                        ; implicit-def: $vgpr1
	s_branch .LBB22_1734
.LBB22_1730:
	s_mov_b64 s[0:1], -1
                                        ; implicit-def: $vgpr1
.LBB22_1731:
	s_andn2_b64 vcc, exec, s[0:1]
	s_cbranch_vccnz .LBB22_1733
; %bb.1732:
	global_load_dword v1, v[3:4], off
	s_mov_b32 s0, 0x2f800000
	s_waitcnt vmcnt(0)
	v_trunc_f32_e32 v1, v1
	v_mul_f32_e64 v2, |v1|, s0
	v_floor_f32_e32 v2, v2
	s_mov_b32 s0, 0xcf800000
	v_fma_f32 v2, v2, s0, |v1|
	v_cvt_u32_f32_e32 v2, v2
	v_ashrrev_i32_e32 v1, 31, v1
	v_xor_b32_e32 v2, v2, v1
	v_sub_u32_e32 v1, v2, v1
.LBB22_1733:
	s_mov_b64 s[0:1], 0
.LBB22_1734:
	s_andn2_b64 vcc, exec, s[0:1]
	s_cbranch_vccnz .LBB22_1736
; %bb.1735:
	global_load_ushort v1, v[3:4], off
	s_waitcnt vmcnt(0)
	v_cvt_f32_f16_e32 v1, v1
	v_cvt_i32_f32_e32 v1, v1
.LBB22_1736:
	s_cbranch_execnz .LBB22_1756
.LBB22_1737:
	s_cmp_lt_i32 s15, 2
	s_cbranch_scc1 .LBB22_1741
; %bb.1738:
	s_cmp_lt_i32 s15, 3
	s_cbranch_scc1 .LBB22_1742
; %bb.1739:
	s_cmp_gt_i32 s15, 3
	s_cbranch_scc0 .LBB22_1743
; %bb.1740:
	global_load_dwordx2 v[1:2], v[3:4], off
	s_mov_b64 s[0:1], 0
	s_branch .LBB22_1744
.LBB22_1741:
	s_mov_b64 s[0:1], -1
                                        ; implicit-def: $vgpr1
	s_branch .LBB22_1750
.LBB22_1742:
	s_mov_b64 s[0:1], -1
                                        ; implicit-def: $vgpr1
	s_branch .LBB22_1747
.LBB22_1743:
	s_mov_b64 s[0:1], -1
                                        ; implicit-def: $vgpr1
.LBB22_1744:
	s_andn2_b64 vcc, exec, s[0:1]
	s_cbranch_vccnz .LBB22_1746
; %bb.1745:
	global_load_dword v1, v[3:4], off
.LBB22_1746:
	s_mov_b64 s[0:1], 0
.LBB22_1747:
	s_andn2_b64 vcc, exec, s[0:1]
	s_cbranch_vccnz .LBB22_1749
; %bb.1748:
	global_load_ushort v1, v[3:4], off
.LBB22_1749:
	s_mov_b64 s[0:1], 0
.LBB22_1750:
	s_andn2_b64 vcc, exec, s[0:1]
	s_cbranch_vccnz .LBB22_1756
; %bb.1751:
	s_cmp_gt_i32 s15, 0
	s_cbranch_scc0 .LBB22_1753
; %bb.1752:
	global_load_ubyte v1, v[3:4], off
	s_mov_b64 s[0:1], 0
	s_branch .LBB22_1754
.LBB22_1753:
	s_mov_b64 s[0:1], -1
                                        ; implicit-def: $vgpr1
.LBB22_1754:
	s_andn2_b64 vcc, exec, s[0:1]
	s_cbranch_vccnz .LBB22_1756
; %bb.1755:
	global_load_ubyte v1, v[3:4], off
.LBB22_1756:
.LBB22_1757:
	s_lshl_b32 s13, s13, 7
	v_add_u32_e32 v7, s13, v5
	s_waitcnt vmcnt(0)
	v_ashrrev_i32_e32 v2, 31, v7
	v_mov_b32_e32 v3, s11
	v_add_co_u32_e32 v4, vcc, s10, v7
	s_cmp_lt_i32 s24, 11
	v_addc_co_u32_e32 v5, vcc, v3, v2, vcc
	s_cbranch_scc1 .LBB22_1764
; %bb.1758:
	s_and_b32 s15, 0xffff, s24
	s_cmp_gt_i32 s15, 25
	s_mov_b64 s[16:17], 0
	s_cbranch_scc0 .LBB22_1766
; %bb.1759:
	s_cmp_gt_i32 s15, 28
	s_cbranch_scc0 .LBB22_1767
; %bb.1760:
	s_cmp_gt_i32 s15, 43
	;; [unrolled: 3-line block ×3, first 2 shown]
	s_cbranch_scc0 .LBB22_1770
; %bb.1762:
	s_cmp_eq_u32 s15, 46
	s_mov_b64 s[22:23], 0
	s_cbranch_scc0 .LBB22_1771
; %bb.1763:
	global_load_dword v2, v[4:5], off
	s_mov_b32 s0, 0x2f800000
	s_mov_b32 s1, 0xcf800000
	s_mov_b64 s[20:21], -1
	s_waitcnt vmcnt(0)
	v_lshlrev_b32_e32 v2, 16, v2
	v_trunc_f32_e32 v2, v2
	v_mul_f32_e64 v3, |v2|, s0
	v_floor_f32_e32 v3, v3
	v_fma_f32 v3, v3, s1, |v2|
	v_cvt_u32_f32_e32 v3, v3
	v_ashrrev_i32_e32 v2, 31, v2
	s_mov_b64 s[0:1], 0
	v_xor_b32_e32 v3, v3, v2
	v_sub_u32_e32 v2, v3, v2
	s_branch .LBB22_1772
.LBB22_1764:
	s_mov_b64 s[20:21], 0
                                        ; implicit-def: $vgpr2
	s_cbranch_execnz .LBB22_1834
.LBB22_1765:
	s_andn2_b64 vcc, exec, s[20:21]
	s_cbranch_vccnz .LBB22_2947
	s_branch .LBB22_1882
.LBB22_1766:
	s_mov_b64 s[22:23], -1
	s_mov_b64 s[20:21], 0
	s_mov_b64 s[0:1], 0
                                        ; implicit-def: $vgpr2
	s_branch .LBB22_1799
.LBB22_1767:
	s_mov_b64 s[22:23], -1
	s_mov_b64 s[20:21], 0
	s_mov_b64 s[0:1], 0
                                        ; implicit-def: $vgpr2
	s_branch .LBB22_1782
.LBB22_1768:
	s_mov_b64 s[22:23], -1
	s_mov_b64 s[20:21], 0
	s_mov_b64 s[0:1], 0
                                        ; implicit-def: $vgpr2
	s_branch .LBB22_1777
.LBB22_1769:
	s_trap 2
	s_or_b64 s[18:19], s[18:19], exec
	s_cbranch_execz .LBB22_1708
	s_branch .LBB22_1709
.LBB22_1770:
	s_mov_b64 s[22:23], -1
	s_mov_b64 s[20:21], 0
	s_mov_b64 s[0:1], 0
                                        ; implicit-def: $vgpr2
	s_branch .LBB22_1772
.LBB22_1771:
	s_mov_b64 s[0:1], -1
                                        ; implicit-def: $vgpr2
	s_mov_b64 s[20:21], 0
.LBB22_1772:
	s_and_b64 vcc, exec, s[22:23]
	s_cbranch_vccz .LBB22_1776
; %bb.1773:
	s_cmp_eq_u32 s15, 44
	s_cbranch_scc0 .LBB22_1775
; %bb.1774:
	global_load_ubyte v2, v[4:5], off
	s_mov_b32 s0, 0x2f800000
	s_mov_b32 s1, 0xcf800000
	s_mov_b64 s[20:21], -1
	s_waitcnt vmcnt(0)
	v_lshlrev_b32_e32 v3, 23, v2
	v_trunc_f32_e32 v3, v3
	v_mul_f32_e64 v8, |v3|, s0
	v_floor_f32_e32 v8, v8
	v_fma_f32 v8, v8, s1, |v3|
	v_cvt_u32_f32_e32 v8, v8
	v_ashrrev_i32_e32 v3, 31, v3
	v_cmp_ne_u32_e32 vcc, 0, v2
	s_mov_b64 s[0:1], 0
	v_xor_b32_e32 v8, v8, v3
	v_sub_u32_e32 v3, v8, v3
	v_cndmask_b32_e32 v2, 0, v3, vcc
	s_branch .LBB22_1776
.LBB22_1775:
	s_mov_b64 s[0:1], -1
                                        ; implicit-def: $vgpr2
.LBB22_1776:
	s_mov_b64 s[22:23], 0
.LBB22_1777:
	s_and_b64 vcc, exec, s[22:23]
	s_cbranch_vccz .LBB22_1781
; %bb.1778:
	s_cmp_eq_u32 s15, 29
	s_cbranch_scc0 .LBB22_1780
; %bb.1779:
	global_load_dwordx2 v[2:3], v[4:5], off
	s_mov_b64 s[0:1], 0
	s_mov_b64 s[20:21], -1
	s_branch .LBB22_1781
.LBB22_1780:
	s_mov_b64 s[0:1], -1
                                        ; implicit-def: $vgpr2
.LBB22_1781:
	s_mov_b64 s[22:23], 0
.LBB22_1782:
	s_and_b64 vcc, exec, s[22:23]
	s_cbranch_vccz .LBB22_1798
; %bb.1783:
	s_cmp_lt_i32 s15, 27
	s_cbranch_scc1 .LBB22_1786
; %bb.1784:
	s_cmp_gt_i32 s15, 27
	s_cbranch_scc0 .LBB22_1787
; %bb.1785:
	global_load_dword v2, v[4:5], off
	s_mov_b64 s[20:21], 0
	s_branch .LBB22_1788
.LBB22_1786:
	s_mov_b64 s[20:21], -1
                                        ; implicit-def: $vgpr2
	s_branch .LBB22_1791
.LBB22_1787:
	s_mov_b64 s[20:21], -1
                                        ; implicit-def: $vgpr2
.LBB22_1788:
	s_andn2_b64 vcc, exec, s[20:21]
	s_cbranch_vccnz .LBB22_1790
; %bb.1789:
	global_load_ushort v2, v[4:5], off
.LBB22_1790:
	s_mov_b64 s[20:21], 0
.LBB22_1791:
	s_andn2_b64 vcc, exec, s[20:21]
	s_cbranch_vccnz .LBB22_1797
; %bb.1792:
	global_load_ubyte v3, v[4:5], off
	s_movk_i32 s20, 0x7f
	s_mov_b64 s[22:23], 0
	s_waitcnt vmcnt(0)
	v_cmp_lt_i16_e32 vcc, s20, v3
	s_and_saveexec_b64 s[20:21], vcc
	s_xor_b64 s[20:21], exec, s[20:21]
	s_cbranch_execz .LBB22_1809
; %bb.1793:
	s_movk_i32 s22, 0x80
	v_cmp_ne_u16_e32 vcc, s22, v3
	s_and_b64 s[22:23], vcc, exec
	s_andn2_saveexec_b64 s[20:21], s[20:21]
	s_cbranch_execnz .LBB22_1810
.LBB22_1794:
	s_or_b64 exec, exec, s[20:21]
	v_mov_b32_e32 v2, 0
	s_and_saveexec_b64 s[20:21], s[22:23]
	s_cbranch_execz .LBB22_1796
.LBB22_1795:
	v_lshlrev_b32_e32 v2, 24, v3
	v_and_b32_e32 v3, 0xffff, v3
	v_and_b32_e32 v8, 7, v3
	v_ffbh_u32_e32 v10, v8
	v_min_u32_e32 v10, 32, v10
	v_subrev_u32_e32 v12, 28, v10
	v_bfe_u32 v9, v3, 3, 4
	v_lshlrev_b32_e32 v3, v12, v3
	v_sub_u32_e32 v10, 29, v10
	v_and_b32_e32 v3, 7, v3
	v_cmp_eq_u32_e32 vcc, 0, v9
	v_cndmask_b32_e32 v9, v9, v10, vcc
	v_cndmask_b32_e32 v3, v8, v3, vcc
	v_mov_b32_e32 v8, 0x3b800000
	v_lshlrev_b32_e32 v3, 20, v3
	v_and_b32_e32 v2, 0x80000000, v2
	v_lshl_add_u32 v8, v9, 23, v8
	v_or3_b32 v2, v2, v8, v3
	v_trunc_f32_e32 v2, v2
	s_mov_b32 s22, 0x2f800000
	v_mul_f32_e64 v3, |v2|, s22
	v_floor_f32_e32 v3, v3
	s_mov_b32 s22, 0xcf800000
	v_fma_f32 v3, v3, s22, |v2|
	v_cvt_u32_f32_e32 v3, v3
	v_ashrrev_i32_e32 v2, 31, v2
	v_xor_b32_e32 v3, v3, v2
	v_sub_u32_e32 v2, v3, v2
.LBB22_1796:
	s_or_b64 exec, exec, s[20:21]
.LBB22_1797:
	s_mov_b64 s[20:21], -1
.LBB22_1798:
	s_mov_b64 s[22:23], 0
.LBB22_1799:
	s_and_b64 vcc, exec, s[22:23]
	s_cbranch_vccz .LBB22_1830
; %bb.1800:
	s_cmp_gt_i32 s15, 22
	s_cbranch_scc0 .LBB22_1808
; %bb.1801:
	s_cmp_lt_i32 s15, 24
	s_cbranch_scc1 .LBB22_1811
; %bb.1802:
	s_cmp_gt_i32 s15, 24
	s_cbranch_scc0 .LBB22_1812
; %bb.1803:
	global_load_ubyte v3, v[4:5], off
	s_movk_i32 s16, 0x7f
	s_mov_b64 s[20:21], 0
	s_waitcnt vmcnt(0)
	v_cmp_lt_i16_e32 vcc, s16, v3
	s_and_saveexec_b64 s[16:17], vcc
	s_xor_b64 s[16:17], exec, s[16:17]
	s_cbranch_execz .LBB22_1824
; %bb.1804:
	s_movk_i32 s20, 0x80
	v_cmp_ne_u16_e32 vcc, s20, v3
	s_and_b64 s[20:21], vcc, exec
	s_andn2_saveexec_b64 s[16:17], s[16:17]
	s_cbranch_execnz .LBB22_1825
.LBB22_1805:
	s_or_b64 exec, exec, s[16:17]
	v_mov_b32_e32 v2, 0
	s_and_saveexec_b64 s[16:17], s[20:21]
	s_cbranch_execz .LBB22_1807
.LBB22_1806:
	v_lshlrev_b32_e32 v2, 24, v3
	v_and_b32_e32 v3, 0xffff, v3
	v_and_b32_e32 v8, 3, v3
	v_ffbh_u32_e32 v10, v8
	v_min_u32_e32 v10, 32, v10
	v_subrev_u32_e32 v12, 29, v10
	v_bfe_u32 v9, v3, 2, 5
	v_lshlrev_b32_e32 v3, v12, v3
	v_sub_u32_e32 v10, 30, v10
	v_and_b32_e32 v3, 3, v3
	v_cmp_eq_u32_e32 vcc, 0, v9
	v_cndmask_b32_e32 v9, v9, v10, vcc
	v_cndmask_b32_e32 v3, v8, v3, vcc
	v_mov_b32_e32 v8, 0x37800000
	v_lshlrev_b32_e32 v3, 21, v3
	v_and_b32_e32 v2, 0x80000000, v2
	v_lshl_add_u32 v8, v9, 23, v8
	v_or3_b32 v2, v2, v8, v3
	v_trunc_f32_e32 v2, v2
	s_mov_b32 s20, 0x2f800000
	v_mul_f32_e64 v3, |v2|, s20
	v_floor_f32_e32 v3, v3
	s_mov_b32 s20, 0xcf800000
	v_fma_f32 v3, v3, s20, |v2|
	v_cvt_u32_f32_e32 v3, v3
	v_ashrrev_i32_e32 v2, 31, v2
	v_xor_b32_e32 v3, v3, v2
	v_sub_u32_e32 v2, v3, v2
.LBB22_1807:
	s_or_b64 exec, exec, s[16:17]
	s_mov_b64 s[16:17], 0
	s_branch .LBB22_1813
.LBB22_1808:
	s_mov_b64 s[16:17], -1
                                        ; implicit-def: $vgpr2
	s_branch .LBB22_1819
.LBB22_1809:
	s_andn2_saveexec_b64 s[20:21], s[20:21]
	s_cbranch_execz .LBB22_1794
.LBB22_1810:
	v_cmp_ne_u16_e32 vcc, 0, v3
	s_andn2_b64 s[22:23], s[22:23], exec
	s_and_b64 s[26:27], vcc, exec
	s_or_b64 s[22:23], s[22:23], s[26:27]
	s_or_b64 exec, exec, s[20:21]
	v_mov_b32_e32 v2, 0
	s_and_saveexec_b64 s[20:21], s[22:23]
	s_cbranch_execnz .LBB22_1795
	s_branch .LBB22_1796
.LBB22_1811:
	s_mov_b64 s[16:17], -1
                                        ; implicit-def: $vgpr2
	s_branch .LBB22_1816
.LBB22_1812:
	s_mov_b64 s[16:17], -1
                                        ; implicit-def: $vgpr2
.LBB22_1813:
	s_and_b64 vcc, exec, s[16:17]
	s_cbranch_vccz .LBB22_1815
; %bb.1814:
	global_load_ubyte v2, v[4:5], off
	s_mov_b32 s16, 0x7f800000
	s_brev_b32 s17, 1
	s_mov_b32 s20, 0x2f800000
	s_waitcnt vmcnt(0)
	v_lshlrev_b32_e32 v2, 24, v2
	v_and_b32_e32 v3, 0x7f000000, v2
	v_ffbh_u32_e32 v8, v3
	v_min_u32_e32 v8, 32, v8
	v_sub_u32_e64 v8, v8, 4 clamp
	v_lshlrev_b32_e32 v10, v8, v3
	v_lshlrev_b32_e32 v8, 23, v8
	v_lshrrev_b32_e32 v10, 4, v10
	v_add_u32_e32 v9, 0x1000000, v3
	v_sub_u32_e32 v8, v10, v8
	v_ashrrev_i32_e32 v9, 8, v9
	v_add_u32_e32 v8, 0x3c000000, v8
	v_and_or_b32 v8, v9, s16, v8
	v_cmp_ne_u32_e32 vcc, 0, v3
	v_cndmask_b32_e32 v3, 0, v8, vcc
	v_and_or_b32 v2, v2, s17, v3
	v_trunc_f32_e32 v2, v2
	v_mul_f32_e64 v3, |v2|, s20
	v_floor_f32_e32 v3, v3
	s_mov_b32 s16, 0xcf800000
	v_fma_f32 v3, v3, s16, |v2|
	v_cvt_u32_f32_e32 v3, v3
	v_ashrrev_i32_e32 v2, 31, v2
	v_xor_b32_e32 v3, v3, v2
	v_sub_u32_e32 v2, v3, v2
.LBB22_1815:
	s_mov_b64 s[16:17], 0
.LBB22_1816:
	s_andn2_b64 vcc, exec, s[16:17]
	s_cbranch_vccnz .LBB22_1818
; %bb.1817:
	global_load_ubyte v2, v[4:5], off
	s_movk_i32 s16, 0x7f00
	s_brev_b32 s17, 16
	s_brev_b32 s20, 1
	s_mov_b32 s21, 0x2f800000
	s_waitcnt vmcnt(0)
	v_lshlrev_b16_e32 v3, 8, v2
	v_lshlrev_b32_e32 v2, 25, v2
	v_lshrrev_b32_e32 v8, 4, v2
	v_and_or_b32 v9, v3, s16, 0.5
	v_or_b32_e32 v8, 0x70000000, v8
	v_add_f32_e32 v9, -0.5, v9
	v_mul_f32_e32 v8, 0x7800000, v8
	v_cmp_gt_u32_e32 vcc, s17, v2
	v_bfe_i32 v3, v3, 0, 16
	v_cndmask_b32_e32 v2, v8, v9, vcc
	v_and_or_b32 v2, v3, s20, v2
	v_trunc_f32_e32 v2, v2
	v_mul_f32_e64 v3, |v2|, s21
	v_floor_f32_e32 v3, v3
	s_mov_b32 s16, 0xcf800000
	v_fma_f32 v3, v3, s16, |v2|
	v_cvt_u32_f32_e32 v3, v3
	v_ashrrev_i32_e32 v2, 31, v2
	v_xor_b32_e32 v3, v3, v2
	v_sub_u32_e32 v2, v3, v2
.LBB22_1818:
	s_mov_b64 s[16:17], 0
	s_mov_b64 s[20:21], -1
.LBB22_1819:
	s_andn2_b64 vcc, exec, s[16:17]
	s_mov_b64 s[16:17], 0
	s_cbranch_vccnz .LBB22_1830
; %bb.1820:
	s_cmp_gt_i32 s15, 14
	s_cbranch_scc0 .LBB22_1823
; %bb.1821:
	s_cmp_eq_u32 s15, 15
	s_cbranch_scc0 .LBB22_1826
; %bb.1822:
	global_load_ushort v2, v[4:5], off
	s_mov_b32 s0, 0x2f800000
	s_mov_b32 s1, 0xcf800000
	s_mov_b64 s[20:21], -1
	s_waitcnt vmcnt(0)
	v_lshlrev_b32_e32 v2, 16, v2
	v_trunc_f32_e32 v2, v2
	v_mul_f32_e64 v3, |v2|, s0
	v_floor_f32_e32 v3, v3
	v_fma_f32 v3, v3, s1, |v2|
	v_cvt_u32_f32_e32 v3, v3
	v_ashrrev_i32_e32 v2, 31, v2
	s_mov_b64 s[0:1], 0
	v_xor_b32_e32 v3, v3, v2
	v_sub_u32_e32 v2, v3, v2
	s_branch .LBB22_1827
.LBB22_1823:
	s_mov_b64 s[22:23], -1
                                        ; implicit-def: $vgpr2
	s_branch .LBB22_1828
.LBB22_1824:
	s_andn2_saveexec_b64 s[16:17], s[16:17]
	s_cbranch_execz .LBB22_1805
.LBB22_1825:
	v_cmp_ne_u16_e32 vcc, 0, v3
	s_andn2_b64 s[20:21], s[20:21], exec
	s_and_b64 s[22:23], vcc, exec
	s_or_b64 s[20:21], s[20:21], s[22:23]
	s_or_b64 exec, exec, s[16:17]
	v_mov_b32_e32 v2, 0
	s_and_saveexec_b64 s[16:17], s[20:21]
	s_cbranch_execnz .LBB22_1806
	s_branch .LBB22_1807
.LBB22_1826:
	s_mov_b64 s[0:1], -1
                                        ; implicit-def: $vgpr2
.LBB22_1827:
	s_mov_b64 s[22:23], 0
.LBB22_1828:
	s_and_b64 vcc, exec, s[22:23]
	s_cbranch_vccz .LBB22_1830
; %bb.1829:
	s_cmp_lg_u32 s15, 11
	s_mov_b64 s[16:17], -1
	s_cselect_b64 s[0:1], -1, 0
.LBB22_1830:
	s_and_b64 vcc, exec, s[0:1]
	s_cbranch_vccnz .LBB22_1893
; %bb.1831:
	s_andn2_b64 vcc, exec, s[16:17]
	s_cbranch_vccnz .LBB22_1833
.LBB22_1832:
	global_load_ubyte v2, v[4:5], off
	s_mov_b64 s[20:21], -1
	s_waitcnt vmcnt(0)
	v_cmp_ne_u16_e32 vcc, 0, v2
	v_cndmask_b32_e64 v2, 0, 1, vcc
.LBB22_1833:
	s_branch .LBB22_1765
.LBB22_1834:
	s_and_b32 s15, 0xffff, s24
	s_cmp_lt_i32 s15, 5
	s_cbranch_scc1 .LBB22_1839
; %bb.1835:
	s_cmp_lt_i32 s15, 8
	s_cbranch_scc1 .LBB22_1840
; %bb.1836:
	;; [unrolled: 3-line block ×3, first 2 shown]
	s_cmp_gt_i32 s15, 9
	s_cbranch_scc0 .LBB22_1842
; %bb.1838:
	global_load_dwordx2 v[2:3], v[4:5], off
	s_movk_i32 s0, 0xffe0
	s_waitcnt vmcnt(0)
	v_trunc_f64_e32 v[2:3], v[2:3]
	v_ldexp_f64 v[8:9], v[2:3], s0
	s_mov_b32 s0, 0
	s_mov_b32 s1, 0xc1f00000
	v_floor_f64_e32 v[8:9], v[8:9]
	v_fma_f64 v[2:3], v[8:9], s[0:1], v[2:3]
	s_mov_b64 s[0:1], 0
	v_cvt_u32_f64_e32 v2, v[2:3]
	s_branch .LBB22_1843
.LBB22_1839:
	s_mov_b64 s[0:1], -1
                                        ; implicit-def: $vgpr2
	s_branch .LBB22_1861
.LBB22_1840:
	s_mov_b64 s[0:1], -1
                                        ; implicit-def: $vgpr2
	s_branch .LBB22_1849
.LBB22_1841:
	s_mov_b64 s[0:1], -1
                                        ; implicit-def: $vgpr2
	s_branch .LBB22_1846
.LBB22_1842:
	s_mov_b64 s[0:1], -1
                                        ; implicit-def: $vgpr2
.LBB22_1843:
	s_andn2_b64 vcc, exec, s[0:1]
	s_cbranch_vccnz .LBB22_1845
; %bb.1844:
	global_load_dword v2, v[4:5], off
	s_mov_b32 s0, 0x2f800000
	s_waitcnt vmcnt(0)
	v_trunc_f32_e32 v2, v2
	v_mul_f32_e64 v3, |v2|, s0
	v_floor_f32_e32 v3, v3
	s_mov_b32 s0, 0xcf800000
	v_fma_f32 v3, v3, s0, |v2|
	v_cvt_u32_f32_e32 v3, v3
	v_ashrrev_i32_e32 v2, 31, v2
	v_xor_b32_e32 v3, v3, v2
	v_sub_u32_e32 v2, v3, v2
.LBB22_1845:
	s_mov_b64 s[0:1], 0
.LBB22_1846:
	s_andn2_b64 vcc, exec, s[0:1]
	s_cbranch_vccnz .LBB22_1848
; %bb.1847:
	global_load_dword v2, v[4:5], off
	s_waitcnt vmcnt(0)
	v_cvt_f32_f16_e32 v2, v2
	v_cvt_i32_f32_e32 v2, v2
.LBB22_1848:
	s_mov_b64 s[0:1], 0
.LBB22_1849:
	s_andn2_b64 vcc, exec, s[0:1]
	s_cbranch_vccnz .LBB22_1860
; %bb.1850:
	s_cmp_lt_i32 s15, 6
	s_cbranch_scc1 .LBB22_1853
; %bb.1851:
	s_cmp_gt_i32 s15, 6
	s_cbranch_scc0 .LBB22_1854
; %bb.1852:
	global_load_dwordx2 v[2:3], v[4:5], off
	s_movk_i32 s0, 0xffe0
	s_waitcnt vmcnt(0)
	v_trunc_f64_e32 v[2:3], v[2:3]
	v_ldexp_f64 v[8:9], v[2:3], s0
	s_mov_b32 s0, 0
	s_mov_b32 s1, 0xc1f00000
	v_floor_f64_e32 v[8:9], v[8:9]
	v_fma_f64 v[2:3], v[8:9], s[0:1], v[2:3]
	s_mov_b64 s[0:1], 0
	v_cvt_u32_f64_e32 v2, v[2:3]
	s_branch .LBB22_1855
.LBB22_1853:
	s_mov_b64 s[0:1], -1
                                        ; implicit-def: $vgpr2
	s_branch .LBB22_1858
.LBB22_1854:
	s_mov_b64 s[0:1], -1
                                        ; implicit-def: $vgpr2
.LBB22_1855:
	s_andn2_b64 vcc, exec, s[0:1]
	s_cbranch_vccnz .LBB22_1857
; %bb.1856:
	global_load_dword v2, v[4:5], off
	s_mov_b32 s0, 0x2f800000
	s_waitcnt vmcnt(0)
	v_trunc_f32_e32 v2, v2
	v_mul_f32_e64 v3, |v2|, s0
	v_floor_f32_e32 v3, v3
	s_mov_b32 s0, 0xcf800000
	v_fma_f32 v3, v3, s0, |v2|
	v_cvt_u32_f32_e32 v3, v3
	v_ashrrev_i32_e32 v2, 31, v2
	v_xor_b32_e32 v3, v3, v2
	v_sub_u32_e32 v2, v3, v2
.LBB22_1857:
	s_mov_b64 s[0:1], 0
.LBB22_1858:
	s_andn2_b64 vcc, exec, s[0:1]
	s_cbranch_vccnz .LBB22_1860
; %bb.1859:
	global_load_ushort v2, v[4:5], off
	s_waitcnt vmcnt(0)
	v_cvt_f32_f16_e32 v2, v2
	v_cvt_i32_f32_e32 v2, v2
.LBB22_1860:
	s_mov_b64 s[0:1], 0
.LBB22_1861:
	s_andn2_b64 vcc, exec, s[0:1]
	s_cbranch_vccnz .LBB22_1881
; %bb.1862:
	s_cmp_lt_i32 s15, 2
	s_cbranch_scc1 .LBB22_1866
; %bb.1863:
	s_cmp_lt_i32 s15, 3
	s_cbranch_scc1 .LBB22_1867
; %bb.1864:
	s_cmp_gt_i32 s15, 3
	s_cbranch_scc0 .LBB22_1868
; %bb.1865:
	global_load_dwordx2 v[2:3], v[4:5], off
	s_mov_b64 s[0:1], 0
	s_branch .LBB22_1869
.LBB22_1866:
	s_mov_b64 s[0:1], -1
                                        ; implicit-def: $vgpr2
	s_branch .LBB22_1875
.LBB22_1867:
	s_mov_b64 s[0:1], -1
                                        ; implicit-def: $vgpr2
	s_branch .LBB22_1872
.LBB22_1868:
	s_mov_b64 s[0:1], -1
                                        ; implicit-def: $vgpr2
.LBB22_1869:
	s_andn2_b64 vcc, exec, s[0:1]
	s_cbranch_vccnz .LBB22_1871
; %bb.1870:
	global_load_dword v2, v[4:5], off
.LBB22_1871:
	s_mov_b64 s[0:1], 0
.LBB22_1872:
	s_andn2_b64 vcc, exec, s[0:1]
	s_cbranch_vccnz .LBB22_1874
; %bb.1873:
	global_load_ushort v2, v[4:5], off
.LBB22_1874:
	s_mov_b64 s[0:1], 0
.LBB22_1875:
	s_andn2_b64 vcc, exec, s[0:1]
	s_cbranch_vccnz .LBB22_1881
; %bb.1876:
	s_cmp_gt_i32 s15, 0
	s_cbranch_scc0 .LBB22_1878
; %bb.1877:
	global_load_ubyte v2, v[4:5], off
	s_mov_b64 s[0:1], 0
	s_branch .LBB22_1879
.LBB22_1878:
	s_mov_b64 s[0:1], -1
                                        ; implicit-def: $vgpr2
.LBB22_1879:
	s_andn2_b64 vcc, exec, s[0:1]
	s_cbranch_vccnz .LBB22_1881
; %bb.1880:
	global_load_ubyte v2, v[4:5], off
.LBB22_1881:
.LBB22_1882:
	s_lshl_b32 s22, s14, 7
	v_add_u32_e32 v8, s22, v6
	s_waitcnt vmcnt(0)
	v_ashrrev_i32_e32 v3, 31, v8
	v_mov_b32_e32 v4, s3
	v_add_co_u32_e32 v5, vcc, s2, v8
	s_cmp_lt_i32 s25, 11
	v_addc_co_u32_e32 v6, vcc, v4, v3, vcc
	s_cbranch_scc1 .LBB22_1889
; %bb.1883:
	s_and_b32 s23, 0xffff, s25
	s_cmp_gt_i32 s23, 25
	s_mov_b64 s[14:15], 0
	s_cbranch_scc0 .LBB22_1890
; %bb.1884:
	s_cmp_gt_i32 s23, 28
	s_cbranch_scc0 .LBB22_1891
; %bb.1885:
	s_cmp_gt_i32 s23, 43
	;; [unrolled: 3-line block ×3, first 2 shown]
	s_cbranch_scc0 .LBB22_1894
; %bb.1887:
	s_cmp_eq_u32 s23, 46
	s_mov_b64 s[20:21], 0
	s_cbranch_scc0 .LBB22_1895
; %bb.1888:
	global_load_dword v3, v[5:6], off
	s_mov_b32 s0, 0x2f800000
	s_mov_b32 s1, 0xcf800000
	s_mov_b64 s[16:17], -1
	s_waitcnt vmcnt(0)
	v_lshlrev_b32_e32 v3, 16, v3
	v_trunc_f32_e32 v3, v3
	v_mul_f32_e64 v4, |v3|, s0
	v_floor_f32_e32 v4, v4
	v_fma_f32 v4, v4, s1, |v3|
	v_cvt_u32_f32_e32 v4, v4
	v_ashrrev_i32_e32 v3, 31, v3
	s_mov_b64 s[0:1], 0
	v_xor_b32_e32 v4, v4, v3
	v_sub_u32_e32 v3, v4, v3
	s_branch .LBB22_1896
.LBB22_1889:
	s_mov_b64 s[0:1], -1
	s_mov_b64 s[16:17], 0
                                        ; implicit-def: $vgpr3
	s_branch .LBB22_1958
.LBB22_1890:
	s_mov_b64 s[20:21], -1
	s_mov_b64 s[16:17], 0
	s_mov_b64 s[0:1], 0
                                        ; implicit-def: $vgpr3
	s_branch .LBB22_1923
.LBB22_1891:
	s_mov_b64 s[20:21], -1
	s_mov_b64 s[16:17], 0
	s_mov_b64 s[0:1], 0
                                        ; implicit-def: $vgpr3
	s_branch .LBB22_1906
.LBB22_1892:
	s_mov_b64 s[20:21], -1
	s_mov_b64 s[16:17], 0
	s_mov_b64 s[0:1], 0
                                        ; implicit-def: $vgpr3
	s_branch .LBB22_1901
.LBB22_1893:
	s_trap 2
	s_or_b64 s[18:19], s[18:19], exec
	s_cbranch_execz .LBB22_1832
	s_branch .LBB22_1833
.LBB22_1894:
	s_mov_b64 s[20:21], -1
	s_mov_b64 s[16:17], 0
	s_mov_b64 s[0:1], 0
                                        ; implicit-def: $vgpr3
	s_branch .LBB22_1896
.LBB22_1895:
	s_mov_b64 s[0:1], -1
                                        ; implicit-def: $vgpr3
	s_mov_b64 s[16:17], 0
.LBB22_1896:
	s_and_b64 vcc, exec, s[20:21]
	s_cbranch_vccz .LBB22_1900
; %bb.1897:
	s_cmp_eq_u32 s23, 44
	s_cbranch_scc0 .LBB22_1899
; %bb.1898:
	global_load_ubyte v3, v[5:6], off
	s_mov_b32 s0, 0x2f800000
	s_mov_b32 s1, 0xcf800000
	s_mov_b64 s[16:17], -1
	s_waitcnt vmcnt(0)
	v_lshlrev_b32_e32 v4, 23, v3
	v_trunc_f32_e32 v4, v4
	v_mul_f32_e64 v9, |v4|, s0
	v_floor_f32_e32 v9, v9
	v_fma_f32 v9, v9, s1, |v4|
	v_cvt_u32_f32_e32 v9, v9
	v_ashrrev_i32_e32 v4, 31, v4
	v_cmp_ne_u32_e32 vcc, 0, v3
	s_mov_b64 s[0:1], 0
	v_xor_b32_e32 v9, v9, v4
	v_sub_u32_e32 v4, v9, v4
	v_cndmask_b32_e32 v3, 0, v4, vcc
	s_branch .LBB22_1900
.LBB22_1899:
	s_mov_b64 s[0:1], -1
                                        ; implicit-def: $vgpr3
.LBB22_1900:
	s_mov_b64 s[20:21], 0
.LBB22_1901:
	s_and_b64 vcc, exec, s[20:21]
	s_cbranch_vccz .LBB22_1905
; %bb.1902:
	s_cmp_eq_u32 s23, 29
	s_cbranch_scc0 .LBB22_1904
; %bb.1903:
	global_load_dwordx2 v[3:4], v[5:6], off
	s_mov_b64 s[0:1], 0
	s_mov_b64 s[16:17], -1
	s_branch .LBB22_1905
.LBB22_1904:
	s_mov_b64 s[0:1], -1
                                        ; implicit-def: $vgpr3
.LBB22_1905:
	s_mov_b64 s[20:21], 0
.LBB22_1906:
	s_and_b64 vcc, exec, s[20:21]
	s_cbranch_vccz .LBB22_1922
; %bb.1907:
	s_cmp_lt_i32 s23, 27
	s_cbranch_scc1 .LBB22_1910
; %bb.1908:
	s_cmp_gt_i32 s23, 27
	s_cbranch_scc0 .LBB22_1911
; %bb.1909:
	global_load_dword v3, v[5:6], off
	s_mov_b64 s[16:17], 0
	s_branch .LBB22_1912
.LBB22_1910:
	s_mov_b64 s[16:17], -1
                                        ; implicit-def: $vgpr3
	s_branch .LBB22_1915
.LBB22_1911:
	s_mov_b64 s[16:17], -1
                                        ; implicit-def: $vgpr3
.LBB22_1912:
	s_andn2_b64 vcc, exec, s[16:17]
	s_cbranch_vccnz .LBB22_1914
; %bb.1913:
	global_load_ushort v3, v[5:6], off
.LBB22_1914:
	s_mov_b64 s[16:17], 0
.LBB22_1915:
	s_andn2_b64 vcc, exec, s[16:17]
	s_cbranch_vccnz .LBB22_1921
; %bb.1916:
	global_load_ubyte v4, v[5:6], off
	s_movk_i32 s16, 0x7f
	s_mov_b64 s[20:21], 0
	s_waitcnt vmcnt(0)
	v_cmp_lt_i16_e32 vcc, s16, v4
	s_and_saveexec_b64 s[16:17], vcc
	s_xor_b64 s[16:17], exec, s[16:17]
	s_cbranch_execz .LBB22_1933
; %bb.1917:
	s_movk_i32 s20, 0x80
	v_cmp_ne_u16_e32 vcc, s20, v4
	s_and_b64 s[20:21], vcc, exec
	s_andn2_saveexec_b64 s[16:17], s[16:17]
	s_cbranch_execnz .LBB22_1934
.LBB22_1918:
	s_or_b64 exec, exec, s[16:17]
	v_mov_b32_e32 v3, 0
	s_and_saveexec_b64 s[16:17], s[20:21]
	s_cbranch_execz .LBB22_1920
.LBB22_1919:
	v_lshlrev_b32_e32 v3, 24, v4
	v_and_b32_e32 v4, 0xffff, v4
	v_and_b32_e32 v9, 7, v4
	v_ffbh_u32_e32 v12, v9
	v_min_u32_e32 v12, 32, v12
	v_subrev_u32_e32 v13, 28, v12
	v_bfe_u32 v10, v4, 3, 4
	v_lshlrev_b32_e32 v4, v13, v4
	v_sub_u32_e32 v12, 29, v12
	v_and_b32_e32 v4, 7, v4
	v_cmp_eq_u32_e32 vcc, 0, v10
	v_cndmask_b32_e32 v10, v10, v12, vcc
	v_cndmask_b32_e32 v4, v9, v4, vcc
	v_mov_b32_e32 v9, 0x3b800000
	v_lshlrev_b32_e32 v4, 20, v4
	v_and_b32_e32 v3, 0x80000000, v3
	v_lshl_add_u32 v9, v10, 23, v9
	v_or3_b32 v3, v3, v9, v4
	v_trunc_f32_e32 v3, v3
	s_mov_b32 s20, 0x2f800000
	v_mul_f32_e64 v4, |v3|, s20
	v_floor_f32_e32 v4, v4
	s_mov_b32 s20, 0xcf800000
	v_fma_f32 v4, v4, s20, |v3|
	v_cvt_u32_f32_e32 v4, v4
	v_ashrrev_i32_e32 v3, 31, v3
	v_xor_b32_e32 v4, v4, v3
	v_sub_u32_e32 v3, v4, v3
.LBB22_1920:
	s_or_b64 exec, exec, s[16:17]
.LBB22_1921:
	s_mov_b64 s[16:17], -1
.LBB22_1922:
	s_mov_b64 s[20:21], 0
.LBB22_1923:
	s_and_b64 vcc, exec, s[20:21]
	s_cbranch_vccz .LBB22_1954
; %bb.1924:
	s_cmp_gt_i32 s23, 22
	s_cbranch_scc0 .LBB22_1932
; %bb.1925:
	s_cmp_lt_i32 s23, 24
	s_cbranch_scc1 .LBB22_1935
; %bb.1926:
	s_cmp_gt_i32 s23, 24
	s_cbranch_scc0 .LBB22_1936
; %bb.1927:
	global_load_ubyte v4, v[5:6], off
	s_movk_i32 s14, 0x7f
	s_mov_b64 s[16:17], 0
	s_waitcnt vmcnt(0)
	v_cmp_lt_i16_e32 vcc, s14, v4
	s_and_saveexec_b64 s[14:15], vcc
	s_xor_b64 s[14:15], exec, s[14:15]
	s_cbranch_execz .LBB22_1948
; %bb.1928:
	s_movk_i32 s16, 0x80
	v_cmp_ne_u16_e32 vcc, s16, v4
	s_and_b64 s[16:17], vcc, exec
	s_andn2_saveexec_b64 s[14:15], s[14:15]
	s_cbranch_execnz .LBB22_1949
.LBB22_1929:
	s_or_b64 exec, exec, s[14:15]
	v_mov_b32_e32 v3, 0
	s_and_saveexec_b64 s[14:15], s[16:17]
	s_cbranch_execz .LBB22_1931
.LBB22_1930:
	v_lshlrev_b32_e32 v3, 24, v4
	v_and_b32_e32 v4, 0xffff, v4
	v_and_b32_e32 v9, 3, v4
	v_ffbh_u32_e32 v12, v9
	v_min_u32_e32 v12, 32, v12
	v_subrev_u32_e32 v13, 29, v12
	v_bfe_u32 v10, v4, 2, 5
	v_lshlrev_b32_e32 v4, v13, v4
	v_sub_u32_e32 v12, 30, v12
	v_and_b32_e32 v4, 3, v4
	v_cmp_eq_u32_e32 vcc, 0, v10
	v_cndmask_b32_e32 v10, v10, v12, vcc
	v_cndmask_b32_e32 v4, v9, v4, vcc
	v_mov_b32_e32 v9, 0x37800000
	v_lshlrev_b32_e32 v4, 21, v4
	v_and_b32_e32 v3, 0x80000000, v3
	v_lshl_add_u32 v9, v10, 23, v9
	v_or3_b32 v3, v3, v9, v4
	v_trunc_f32_e32 v3, v3
	s_mov_b32 s16, 0x2f800000
	v_mul_f32_e64 v4, |v3|, s16
	v_floor_f32_e32 v4, v4
	s_mov_b32 s16, 0xcf800000
	v_fma_f32 v4, v4, s16, |v3|
	v_cvt_u32_f32_e32 v4, v4
	v_ashrrev_i32_e32 v3, 31, v3
	v_xor_b32_e32 v4, v4, v3
	v_sub_u32_e32 v3, v4, v3
.LBB22_1931:
	s_or_b64 exec, exec, s[14:15]
	s_mov_b64 s[14:15], 0
	s_branch .LBB22_1937
.LBB22_1932:
	s_mov_b64 s[14:15], -1
                                        ; implicit-def: $vgpr3
	s_branch .LBB22_1943
.LBB22_1933:
	s_andn2_saveexec_b64 s[16:17], s[16:17]
	s_cbranch_execz .LBB22_1918
.LBB22_1934:
	v_cmp_ne_u16_e32 vcc, 0, v4
	s_andn2_b64 s[20:21], s[20:21], exec
	s_and_b64 s[26:27], vcc, exec
	s_or_b64 s[20:21], s[20:21], s[26:27]
	s_or_b64 exec, exec, s[16:17]
	v_mov_b32_e32 v3, 0
	s_and_saveexec_b64 s[16:17], s[20:21]
	s_cbranch_execnz .LBB22_1919
	s_branch .LBB22_1920
.LBB22_1935:
	s_mov_b64 s[14:15], -1
                                        ; implicit-def: $vgpr3
	s_branch .LBB22_1940
.LBB22_1936:
	s_mov_b64 s[14:15], -1
                                        ; implicit-def: $vgpr3
.LBB22_1937:
	s_and_b64 vcc, exec, s[14:15]
	s_cbranch_vccz .LBB22_1939
; %bb.1938:
	global_load_ubyte v3, v[5:6], off
	s_mov_b32 s14, 0x7f800000
	s_brev_b32 s15, 1
	s_mov_b32 s16, 0x2f800000
	s_waitcnt vmcnt(0)
	v_lshlrev_b32_e32 v3, 24, v3
	v_and_b32_e32 v4, 0x7f000000, v3
	v_ffbh_u32_e32 v9, v4
	v_min_u32_e32 v9, 32, v9
	v_sub_u32_e64 v9, v9, 4 clamp
	v_lshlrev_b32_e32 v12, v9, v4
	v_lshlrev_b32_e32 v9, 23, v9
	v_lshrrev_b32_e32 v12, 4, v12
	v_add_u32_e32 v10, 0x1000000, v4
	v_sub_u32_e32 v9, v12, v9
	v_ashrrev_i32_e32 v10, 8, v10
	v_add_u32_e32 v9, 0x3c000000, v9
	v_and_or_b32 v9, v10, s14, v9
	v_cmp_ne_u32_e32 vcc, 0, v4
	v_cndmask_b32_e32 v4, 0, v9, vcc
	v_and_or_b32 v3, v3, s15, v4
	v_trunc_f32_e32 v3, v3
	v_mul_f32_e64 v4, |v3|, s16
	v_floor_f32_e32 v4, v4
	s_mov_b32 s14, 0xcf800000
	v_fma_f32 v4, v4, s14, |v3|
	v_cvt_u32_f32_e32 v4, v4
	v_ashrrev_i32_e32 v3, 31, v3
	v_xor_b32_e32 v4, v4, v3
	v_sub_u32_e32 v3, v4, v3
.LBB22_1939:
	s_mov_b64 s[14:15], 0
.LBB22_1940:
	s_andn2_b64 vcc, exec, s[14:15]
	s_cbranch_vccnz .LBB22_1942
; %bb.1941:
	global_load_ubyte v3, v[5:6], off
	s_movk_i32 s14, 0x7f00
	s_brev_b32 s15, 16
	s_brev_b32 s16, 1
	s_mov_b32 s17, 0x2f800000
	s_waitcnt vmcnt(0)
	v_lshlrev_b16_e32 v4, 8, v3
	v_lshlrev_b32_e32 v3, 25, v3
	v_lshrrev_b32_e32 v9, 4, v3
	v_and_or_b32 v10, v4, s14, 0.5
	v_or_b32_e32 v9, 0x70000000, v9
	v_add_f32_e32 v10, -0.5, v10
	v_mul_f32_e32 v9, 0x7800000, v9
	v_cmp_gt_u32_e32 vcc, s15, v3
	v_bfe_i32 v4, v4, 0, 16
	v_cndmask_b32_e32 v3, v9, v10, vcc
	v_and_or_b32 v3, v4, s16, v3
	v_trunc_f32_e32 v3, v3
	v_mul_f32_e64 v4, |v3|, s17
	v_floor_f32_e32 v4, v4
	s_mov_b32 s14, 0xcf800000
	v_fma_f32 v4, v4, s14, |v3|
	v_cvt_u32_f32_e32 v4, v4
	v_ashrrev_i32_e32 v3, 31, v3
	v_xor_b32_e32 v4, v4, v3
	v_sub_u32_e32 v3, v4, v3
.LBB22_1942:
	s_mov_b64 s[14:15], 0
	s_mov_b64 s[16:17], -1
.LBB22_1943:
	s_andn2_b64 vcc, exec, s[14:15]
	s_mov_b64 s[14:15], 0
	s_cbranch_vccnz .LBB22_1954
; %bb.1944:
	s_cmp_gt_i32 s23, 14
	s_cbranch_scc0 .LBB22_1947
; %bb.1945:
	s_cmp_eq_u32 s23, 15
	s_cbranch_scc0 .LBB22_1950
; %bb.1946:
	global_load_ushort v3, v[5:6], off
	s_mov_b32 s0, 0x2f800000
	s_mov_b32 s1, 0xcf800000
	s_mov_b64 s[16:17], -1
	s_waitcnt vmcnt(0)
	v_lshlrev_b32_e32 v3, 16, v3
	v_trunc_f32_e32 v3, v3
	v_mul_f32_e64 v4, |v3|, s0
	v_floor_f32_e32 v4, v4
	v_fma_f32 v4, v4, s1, |v3|
	v_cvt_u32_f32_e32 v4, v4
	v_ashrrev_i32_e32 v3, 31, v3
	s_mov_b64 s[0:1], 0
	v_xor_b32_e32 v4, v4, v3
	v_sub_u32_e32 v3, v4, v3
	s_branch .LBB22_1951
.LBB22_1947:
	s_mov_b64 s[20:21], -1
                                        ; implicit-def: $vgpr3
	s_branch .LBB22_1952
.LBB22_1948:
	s_andn2_saveexec_b64 s[14:15], s[14:15]
	s_cbranch_execz .LBB22_1929
.LBB22_1949:
	v_cmp_ne_u16_e32 vcc, 0, v4
	s_andn2_b64 s[16:17], s[16:17], exec
	s_and_b64 s[20:21], vcc, exec
	s_or_b64 s[16:17], s[16:17], s[20:21]
	s_or_b64 exec, exec, s[14:15]
	v_mov_b32_e32 v3, 0
	s_and_saveexec_b64 s[14:15], s[16:17]
	s_cbranch_execnz .LBB22_1930
	s_branch .LBB22_1931
.LBB22_1950:
	s_mov_b64 s[0:1], -1
                                        ; implicit-def: $vgpr3
.LBB22_1951:
	s_mov_b64 s[20:21], 0
.LBB22_1952:
	s_and_b64 vcc, exec, s[20:21]
	s_cbranch_vccz .LBB22_1954
; %bb.1953:
	s_cmp_lg_u32 s23, 11
	s_mov_b64 s[14:15], -1
	s_cselect_b64 s[0:1], -1, 0
.LBB22_1954:
	s_and_b64 vcc, exec, s[0:1]
	s_cbranch_vccnz .LBB22_2019
; %bb.1955:
	s_andn2_b64 vcc, exec, s[14:15]
	s_cbranch_vccnz .LBB22_1957
.LBB22_1956:
	global_load_ubyte v3, v[5:6], off
	s_mov_b64 s[16:17], -1
	s_waitcnt vmcnt(0)
	v_cmp_ne_u16_e32 vcc, 0, v3
	v_cndmask_b32_e64 v3, 0, 1, vcc
.LBB22_1957:
	s_mov_b64 s[0:1], 0
.LBB22_1958:
	s_and_b64 vcc, exec, s[0:1]
	s_cbranch_vccz .LBB22_2007
; %bb.1959:
	s_and_b32 s14, 0xffff, s25
	s_cmp_lt_i32 s14, 5
	s_cbranch_scc1 .LBB22_1964
; %bb.1960:
	s_cmp_lt_i32 s14, 8
	s_cbranch_scc1 .LBB22_1965
; %bb.1961:
	;; [unrolled: 3-line block ×3, first 2 shown]
	s_cmp_gt_i32 s14, 9
	s_cbranch_scc0 .LBB22_1967
; %bb.1963:
	global_load_dwordx2 v[3:4], v[5:6], off
	s_movk_i32 s0, 0xffe0
	s_waitcnt vmcnt(0)
	v_trunc_f64_e32 v[3:4], v[3:4]
	v_ldexp_f64 v[9:10], v[3:4], s0
	s_mov_b32 s0, 0
	s_mov_b32 s1, 0xc1f00000
	v_floor_f64_e32 v[9:10], v[9:10]
	v_fma_f64 v[3:4], v[9:10], s[0:1], v[3:4]
	s_mov_b64 s[0:1], 0
	v_cvt_u32_f64_e32 v3, v[3:4]
	s_branch .LBB22_1968
.LBB22_1964:
	s_mov_b64 s[0:1], -1
                                        ; implicit-def: $vgpr3
	s_branch .LBB22_1986
.LBB22_1965:
	s_mov_b64 s[0:1], -1
                                        ; implicit-def: $vgpr3
	s_branch .LBB22_1974
.LBB22_1966:
	s_mov_b64 s[0:1], -1
                                        ; implicit-def: $vgpr3
	s_branch .LBB22_1971
.LBB22_1967:
	s_mov_b64 s[0:1], -1
                                        ; implicit-def: $vgpr3
.LBB22_1968:
	s_andn2_b64 vcc, exec, s[0:1]
	s_cbranch_vccnz .LBB22_1970
; %bb.1969:
	global_load_dword v3, v[5:6], off
	s_mov_b32 s0, 0x2f800000
	s_waitcnt vmcnt(0)
	v_trunc_f32_e32 v3, v3
	v_mul_f32_e64 v4, |v3|, s0
	v_floor_f32_e32 v4, v4
	s_mov_b32 s0, 0xcf800000
	v_fma_f32 v4, v4, s0, |v3|
	v_cvt_u32_f32_e32 v4, v4
	v_ashrrev_i32_e32 v3, 31, v3
	v_xor_b32_e32 v4, v4, v3
	v_sub_u32_e32 v3, v4, v3
.LBB22_1970:
	s_mov_b64 s[0:1], 0
.LBB22_1971:
	s_andn2_b64 vcc, exec, s[0:1]
	s_cbranch_vccnz .LBB22_1973
; %bb.1972:
	global_load_dword v3, v[5:6], off
	s_waitcnt vmcnt(0)
	v_cvt_f32_f16_e32 v3, v3
	v_cvt_i32_f32_e32 v3, v3
.LBB22_1973:
	s_mov_b64 s[0:1], 0
.LBB22_1974:
	s_andn2_b64 vcc, exec, s[0:1]
	s_cbranch_vccnz .LBB22_1985
; %bb.1975:
	s_cmp_lt_i32 s14, 6
	s_cbranch_scc1 .LBB22_1978
; %bb.1976:
	s_cmp_gt_i32 s14, 6
	s_cbranch_scc0 .LBB22_1979
; %bb.1977:
	global_load_dwordx2 v[3:4], v[5:6], off
	s_movk_i32 s0, 0xffe0
	s_waitcnt vmcnt(0)
	v_trunc_f64_e32 v[3:4], v[3:4]
	v_ldexp_f64 v[9:10], v[3:4], s0
	s_mov_b32 s0, 0
	s_mov_b32 s1, 0xc1f00000
	v_floor_f64_e32 v[9:10], v[9:10]
	v_fma_f64 v[3:4], v[9:10], s[0:1], v[3:4]
	s_mov_b64 s[0:1], 0
	v_cvt_u32_f64_e32 v3, v[3:4]
	s_branch .LBB22_1980
.LBB22_1978:
	s_mov_b64 s[0:1], -1
                                        ; implicit-def: $vgpr3
	s_branch .LBB22_1983
.LBB22_1979:
	s_mov_b64 s[0:1], -1
                                        ; implicit-def: $vgpr3
.LBB22_1980:
	s_andn2_b64 vcc, exec, s[0:1]
	s_cbranch_vccnz .LBB22_1982
; %bb.1981:
	global_load_dword v3, v[5:6], off
	s_mov_b32 s0, 0x2f800000
	s_waitcnt vmcnt(0)
	v_trunc_f32_e32 v3, v3
	v_mul_f32_e64 v4, |v3|, s0
	v_floor_f32_e32 v4, v4
	s_mov_b32 s0, 0xcf800000
	v_fma_f32 v4, v4, s0, |v3|
	v_cvt_u32_f32_e32 v4, v4
	v_ashrrev_i32_e32 v3, 31, v3
	v_xor_b32_e32 v4, v4, v3
	v_sub_u32_e32 v3, v4, v3
.LBB22_1982:
	s_mov_b64 s[0:1], 0
.LBB22_1983:
	s_andn2_b64 vcc, exec, s[0:1]
	s_cbranch_vccnz .LBB22_1985
; %bb.1984:
	global_load_ushort v3, v[5:6], off
	s_waitcnt vmcnt(0)
	v_cvt_f32_f16_e32 v3, v3
	v_cvt_i32_f32_e32 v3, v3
.LBB22_1985:
	s_mov_b64 s[0:1], 0
.LBB22_1986:
	s_andn2_b64 vcc, exec, s[0:1]
	s_cbranch_vccnz .LBB22_2006
; %bb.1987:
	s_cmp_lt_i32 s14, 2
	s_cbranch_scc1 .LBB22_1991
; %bb.1988:
	s_cmp_lt_i32 s14, 3
	s_cbranch_scc1 .LBB22_1992
; %bb.1989:
	s_cmp_gt_i32 s14, 3
	s_cbranch_scc0 .LBB22_1993
; %bb.1990:
	global_load_dwordx2 v[3:4], v[5:6], off
	s_mov_b64 s[0:1], 0
	s_branch .LBB22_1994
.LBB22_1991:
	s_mov_b64 s[0:1], -1
                                        ; implicit-def: $vgpr3
	s_branch .LBB22_2000
.LBB22_1992:
	s_mov_b64 s[0:1], -1
                                        ; implicit-def: $vgpr3
	s_branch .LBB22_1997
.LBB22_1993:
	s_mov_b64 s[0:1], -1
                                        ; implicit-def: $vgpr3
.LBB22_1994:
	s_andn2_b64 vcc, exec, s[0:1]
	s_cbranch_vccnz .LBB22_1996
; %bb.1995:
	global_load_dword v3, v[5:6], off
.LBB22_1996:
	s_mov_b64 s[0:1], 0
.LBB22_1997:
	s_andn2_b64 vcc, exec, s[0:1]
	s_cbranch_vccnz .LBB22_1999
; %bb.1998:
	global_load_ushort v3, v[5:6], off
.LBB22_1999:
	s_mov_b64 s[0:1], 0
.LBB22_2000:
	s_andn2_b64 vcc, exec, s[0:1]
	s_cbranch_vccnz .LBB22_2006
; %bb.2001:
	s_cmp_gt_i32 s14, 0
	s_cbranch_scc0 .LBB22_2003
; %bb.2002:
	global_load_ubyte v3, v[5:6], off
	s_mov_b64 s[0:1], 0
	s_branch .LBB22_2004
.LBB22_2003:
	s_mov_b64 s[0:1], -1
                                        ; implicit-def: $vgpr3
.LBB22_2004:
	s_andn2_b64 vcc, exec, s[0:1]
	s_cbranch_vccnz .LBB22_2006
; %bb.2005:
	global_load_ubyte v3, v[5:6], off
.LBB22_2006:
	s_mov_b64 s[16:17], -1
.LBB22_2007:
	s_andn2_b64 vcc, exec, s[16:17]
	s_cbranch_vccnz .LBB22_2947
; %bb.2008:
	v_add_u32_e32 v9, s13, v7
	s_waitcnt vmcnt(0)
	v_ashrrev_i32_e32 v4, 31, v9
	v_mov_b32_e32 v5, s11
	v_add_co_u32_e32 v6, vcc, s10, v9
	s_cmp_lt_i32 s24, 11
	v_addc_co_u32_e32 v7, vcc, v5, v4, vcc
	s_cbranch_scc1 .LBB22_2015
; %bb.2009:
	s_and_b32 s23, 0xffff, s24
	s_cmp_gt_i32 s23, 25
	s_mov_b64 s[14:15], 0
	s_cbranch_scc0 .LBB22_2016
; %bb.2010:
	s_cmp_gt_i32 s23, 28
	s_cbranch_scc0 .LBB22_2017
; %bb.2011:
	s_cmp_gt_i32 s23, 43
	;; [unrolled: 3-line block ×3, first 2 shown]
	s_cbranch_scc0 .LBB22_2020
; %bb.2013:
	s_cmp_eq_u32 s23, 46
	s_mov_b64 s[20:21], 0
	s_cbranch_scc0 .LBB22_2021
; %bb.2014:
	global_load_dword v4, v[6:7], off
	s_mov_b32 s0, 0x2f800000
	s_mov_b32 s1, 0xcf800000
	s_mov_b64 s[16:17], -1
	s_waitcnt vmcnt(0)
	v_lshlrev_b32_e32 v4, 16, v4
	v_trunc_f32_e32 v4, v4
	v_mul_f32_e64 v5, |v4|, s0
	v_floor_f32_e32 v5, v5
	v_fma_f32 v5, v5, s1, |v4|
	v_cvt_u32_f32_e32 v5, v5
	v_ashrrev_i32_e32 v4, 31, v4
	s_mov_b64 s[0:1], 0
	v_xor_b32_e32 v5, v5, v4
	v_sub_u32_e32 v4, v5, v4
	s_branch .LBB22_2022
.LBB22_2015:
	s_mov_b64 s[0:1], -1
	s_mov_b64 s[16:17], 0
                                        ; implicit-def: $vgpr4
	s_branch .LBB22_2084
.LBB22_2016:
	s_mov_b64 s[20:21], -1
	s_mov_b64 s[16:17], 0
	s_mov_b64 s[0:1], 0
                                        ; implicit-def: $vgpr4
	s_branch .LBB22_2049
.LBB22_2017:
	s_mov_b64 s[20:21], -1
	s_mov_b64 s[16:17], 0
	s_mov_b64 s[0:1], 0
                                        ; implicit-def: $vgpr4
	s_branch .LBB22_2032
.LBB22_2018:
	s_mov_b64 s[20:21], -1
	s_mov_b64 s[16:17], 0
	s_mov_b64 s[0:1], 0
                                        ; implicit-def: $vgpr4
	s_branch .LBB22_2027
.LBB22_2019:
	s_trap 2
	s_or_b64 s[18:19], s[18:19], exec
	s_cbranch_execz .LBB22_1956
	s_branch .LBB22_1957
.LBB22_2020:
	s_mov_b64 s[20:21], -1
	s_mov_b64 s[16:17], 0
	s_mov_b64 s[0:1], 0
                                        ; implicit-def: $vgpr4
	s_branch .LBB22_2022
.LBB22_2021:
	s_mov_b64 s[0:1], -1
                                        ; implicit-def: $vgpr4
	s_mov_b64 s[16:17], 0
.LBB22_2022:
	s_and_b64 vcc, exec, s[20:21]
	s_cbranch_vccz .LBB22_2026
; %bb.2023:
	s_cmp_eq_u32 s23, 44
	s_cbranch_scc0 .LBB22_2025
; %bb.2024:
	global_load_ubyte v4, v[6:7], off
	s_mov_b32 s0, 0x2f800000
	s_mov_b32 s1, 0xcf800000
	s_mov_b64 s[16:17], -1
	s_waitcnt vmcnt(0)
	v_lshlrev_b32_e32 v5, 23, v4
	v_trunc_f32_e32 v5, v5
	v_mul_f32_e64 v10, |v5|, s0
	v_floor_f32_e32 v10, v10
	v_fma_f32 v10, v10, s1, |v5|
	v_cvt_u32_f32_e32 v10, v10
	v_ashrrev_i32_e32 v5, 31, v5
	v_cmp_ne_u32_e32 vcc, 0, v4
	s_mov_b64 s[0:1], 0
	v_xor_b32_e32 v10, v10, v5
	v_sub_u32_e32 v5, v10, v5
	v_cndmask_b32_e32 v4, 0, v5, vcc
	s_branch .LBB22_2026
.LBB22_2025:
	s_mov_b64 s[0:1], -1
                                        ; implicit-def: $vgpr4
.LBB22_2026:
	s_mov_b64 s[20:21], 0
.LBB22_2027:
	s_and_b64 vcc, exec, s[20:21]
	s_cbranch_vccz .LBB22_2031
; %bb.2028:
	s_cmp_eq_u32 s23, 29
	s_cbranch_scc0 .LBB22_2030
; %bb.2029:
	global_load_dwordx2 v[4:5], v[6:7], off
	s_mov_b64 s[0:1], 0
	s_mov_b64 s[16:17], -1
	s_branch .LBB22_2031
.LBB22_2030:
	s_mov_b64 s[0:1], -1
                                        ; implicit-def: $vgpr4
.LBB22_2031:
	s_mov_b64 s[20:21], 0
.LBB22_2032:
	s_and_b64 vcc, exec, s[20:21]
	s_cbranch_vccz .LBB22_2048
; %bb.2033:
	s_cmp_lt_i32 s23, 27
	s_cbranch_scc1 .LBB22_2036
; %bb.2034:
	s_cmp_gt_i32 s23, 27
	s_cbranch_scc0 .LBB22_2037
; %bb.2035:
	global_load_dword v4, v[6:7], off
	s_mov_b64 s[16:17], 0
	s_branch .LBB22_2038
.LBB22_2036:
	s_mov_b64 s[16:17], -1
                                        ; implicit-def: $vgpr4
	s_branch .LBB22_2041
.LBB22_2037:
	s_mov_b64 s[16:17], -1
                                        ; implicit-def: $vgpr4
.LBB22_2038:
	s_andn2_b64 vcc, exec, s[16:17]
	s_cbranch_vccnz .LBB22_2040
; %bb.2039:
	global_load_ushort v4, v[6:7], off
.LBB22_2040:
	s_mov_b64 s[16:17], 0
.LBB22_2041:
	s_andn2_b64 vcc, exec, s[16:17]
	s_cbranch_vccnz .LBB22_2047
; %bb.2042:
	global_load_ubyte v5, v[6:7], off
	s_movk_i32 s16, 0x7f
	s_mov_b64 s[20:21], 0
	s_waitcnt vmcnt(0)
	v_cmp_lt_i16_e32 vcc, s16, v5
	s_and_saveexec_b64 s[16:17], vcc
	s_xor_b64 s[16:17], exec, s[16:17]
	s_cbranch_execz .LBB22_2059
; %bb.2043:
	s_movk_i32 s20, 0x80
	v_cmp_ne_u16_e32 vcc, s20, v5
	s_and_b64 s[20:21], vcc, exec
	s_andn2_saveexec_b64 s[16:17], s[16:17]
	s_cbranch_execnz .LBB22_2060
.LBB22_2044:
	s_or_b64 exec, exec, s[16:17]
	v_mov_b32_e32 v4, 0
	s_and_saveexec_b64 s[16:17], s[20:21]
	s_cbranch_execz .LBB22_2046
.LBB22_2045:
	v_lshlrev_b32_e32 v4, 24, v5
	v_and_b32_e32 v5, 0xffff, v5
	v_and_b32_e32 v10, 7, v5
	v_ffbh_u32_e32 v13, v10
	v_min_u32_e32 v13, 32, v13
	v_subrev_u32_e32 v14, 28, v13
	v_bfe_u32 v12, v5, 3, 4
	v_lshlrev_b32_e32 v5, v14, v5
	v_sub_u32_e32 v13, 29, v13
	v_and_b32_e32 v5, 7, v5
	v_cmp_eq_u32_e32 vcc, 0, v12
	v_cndmask_b32_e32 v12, v12, v13, vcc
	v_cndmask_b32_e32 v5, v10, v5, vcc
	v_mov_b32_e32 v10, 0x3b800000
	v_lshlrev_b32_e32 v5, 20, v5
	v_and_b32_e32 v4, 0x80000000, v4
	v_lshl_add_u32 v10, v12, 23, v10
	v_or3_b32 v4, v4, v10, v5
	v_trunc_f32_e32 v4, v4
	s_mov_b32 s20, 0x2f800000
	v_mul_f32_e64 v5, |v4|, s20
	v_floor_f32_e32 v5, v5
	s_mov_b32 s20, 0xcf800000
	v_fma_f32 v5, v5, s20, |v4|
	v_cvt_u32_f32_e32 v5, v5
	v_ashrrev_i32_e32 v4, 31, v4
	v_xor_b32_e32 v5, v5, v4
	v_sub_u32_e32 v4, v5, v4
.LBB22_2046:
	s_or_b64 exec, exec, s[16:17]
.LBB22_2047:
	s_mov_b64 s[16:17], -1
.LBB22_2048:
	s_mov_b64 s[20:21], 0
.LBB22_2049:
	s_and_b64 vcc, exec, s[20:21]
	s_cbranch_vccz .LBB22_2080
; %bb.2050:
	s_cmp_gt_i32 s23, 22
	s_cbranch_scc0 .LBB22_2058
; %bb.2051:
	s_cmp_lt_i32 s23, 24
	s_cbranch_scc1 .LBB22_2061
; %bb.2052:
	s_cmp_gt_i32 s23, 24
	s_cbranch_scc0 .LBB22_2062
; %bb.2053:
	global_load_ubyte v5, v[6:7], off
	s_movk_i32 s14, 0x7f
	s_mov_b64 s[16:17], 0
	s_waitcnt vmcnt(0)
	v_cmp_lt_i16_e32 vcc, s14, v5
	s_and_saveexec_b64 s[14:15], vcc
	s_xor_b64 s[14:15], exec, s[14:15]
	s_cbranch_execz .LBB22_2074
; %bb.2054:
	s_movk_i32 s16, 0x80
	v_cmp_ne_u16_e32 vcc, s16, v5
	s_and_b64 s[16:17], vcc, exec
	s_andn2_saveexec_b64 s[14:15], s[14:15]
	s_cbranch_execnz .LBB22_2075
.LBB22_2055:
	s_or_b64 exec, exec, s[14:15]
	v_mov_b32_e32 v4, 0
	s_and_saveexec_b64 s[14:15], s[16:17]
	s_cbranch_execz .LBB22_2057
.LBB22_2056:
	v_lshlrev_b32_e32 v4, 24, v5
	v_and_b32_e32 v5, 0xffff, v5
	v_and_b32_e32 v10, 3, v5
	v_ffbh_u32_e32 v13, v10
	v_min_u32_e32 v13, 32, v13
	v_subrev_u32_e32 v14, 29, v13
	v_bfe_u32 v12, v5, 2, 5
	v_lshlrev_b32_e32 v5, v14, v5
	v_sub_u32_e32 v13, 30, v13
	v_and_b32_e32 v5, 3, v5
	v_cmp_eq_u32_e32 vcc, 0, v12
	v_cndmask_b32_e32 v12, v12, v13, vcc
	v_cndmask_b32_e32 v5, v10, v5, vcc
	v_mov_b32_e32 v10, 0x37800000
	v_lshlrev_b32_e32 v5, 21, v5
	v_and_b32_e32 v4, 0x80000000, v4
	v_lshl_add_u32 v10, v12, 23, v10
	v_or3_b32 v4, v4, v10, v5
	v_trunc_f32_e32 v4, v4
	s_mov_b32 s16, 0x2f800000
	v_mul_f32_e64 v5, |v4|, s16
	v_floor_f32_e32 v5, v5
	s_mov_b32 s16, 0xcf800000
	v_fma_f32 v5, v5, s16, |v4|
	v_cvt_u32_f32_e32 v5, v5
	v_ashrrev_i32_e32 v4, 31, v4
	v_xor_b32_e32 v5, v5, v4
	v_sub_u32_e32 v4, v5, v4
.LBB22_2057:
	s_or_b64 exec, exec, s[14:15]
	s_mov_b64 s[14:15], 0
	s_branch .LBB22_2063
.LBB22_2058:
	s_mov_b64 s[14:15], -1
                                        ; implicit-def: $vgpr4
	s_branch .LBB22_2069
.LBB22_2059:
	s_andn2_saveexec_b64 s[16:17], s[16:17]
	s_cbranch_execz .LBB22_2044
.LBB22_2060:
	v_cmp_ne_u16_e32 vcc, 0, v5
	s_andn2_b64 s[20:21], s[20:21], exec
	s_and_b64 s[26:27], vcc, exec
	s_or_b64 s[20:21], s[20:21], s[26:27]
	s_or_b64 exec, exec, s[16:17]
	v_mov_b32_e32 v4, 0
	s_and_saveexec_b64 s[16:17], s[20:21]
	s_cbranch_execnz .LBB22_2045
	s_branch .LBB22_2046
.LBB22_2061:
	s_mov_b64 s[14:15], -1
                                        ; implicit-def: $vgpr4
	s_branch .LBB22_2066
.LBB22_2062:
	s_mov_b64 s[14:15], -1
                                        ; implicit-def: $vgpr4
.LBB22_2063:
	s_and_b64 vcc, exec, s[14:15]
	s_cbranch_vccz .LBB22_2065
; %bb.2064:
	global_load_ubyte v4, v[6:7], off
	s_mov_b32 s14, 0x7f800000
	s_brev_b32 s15, 1
	s_mov_b32 s16, 0x2f800000
	s_waitcnt vmcnt(0)
	v_lshlrev_b32_e32 v4, 24, v4
	v_and_b32_e32 v5, 0x7f000000, v4
	v_ffbh_u32_e32 v10, v5
	v_min_u32_e32 v10, 32, v10
	v_sub_u32_e64 v10, v10, 4 clamp
	v_lshlrev_b32_e32 v13, v10, v5
	v_lshlrev_b32_e32 v10, 23, v10
	v_lshrrev_b32_e32 v13, 4, v13
	v_add_u32_e32 v12, 0x1000000, v5
	v_sub_u32_e32 v10, v13, v10
	v_ashrrev_i32_e32 v12, 8, v12
	v_add_u32_e32 v10, 0x3c000000, v10
	v_and_or_b32 v10, v12, s14, v10
	v_cmp_ne_u32_e32 vcc, 0, v5
	v_cndmask_b32_e32 v5, 0, v10, vcc
	v_and_or_b32 v4, v4, s15, v5
	v_trunc_f32_e32 v4, v4
	v_mul_f32_e64 v5, |v4|, s16
	v_floor_f32_e32 v5, v5
	s_mov_b32 s14, 0xcf800000
	v_fma_f32 v5, v5, s14, |v4|
	v_cvt_u32_f32_e32 v5, v5
	v_ashrrev_i32_e32 v4, 31, v4
	v_xor_b32_e32 v5, v5, v4
	v_sub_u32_e32 v4, v5, v4
.LBB22_2065:
	s_mov_b64 s[14:15], 0
.LBB22_2066:
	s_andn2_b64 vcc, exec, s[14:15]
	s_cbranch_vccnz .LBB22_2068
; %bb.2067:
	global_load_ubyte v4, v[6:7], off
	s_movk_i32 s14, 0x7f00
	s_brev_b32 s15, 16
	s_brev_b32 s16, 1
	s_mov_b32 s17, 0x2f800000
	s_waitcnt vmcnt(0)
	v_lshlrev_b16_e32 v5, 8, v4
	v_lshlrev_b32_e32 v4, 25, v4
	v_lshrrev_b32_e32 v10, 4, v4
	v_and_or_b32 v12, v5, s14, 0.5
	v_or_b32_e32 v10, 0x70000000, v10
	v_add_f32_e32 v12, -0.5, v12
	v_mul_f32_e32 v10, 0x7800000, v10
	v_cmp_gt_u32_e32 vcc, s15, v4
	v_bfe_i32 v5, v5, 0, 16
	v_cndmask_b32_e32 v4, v10, v12, vcc
	v_and_or_b32 v4, v5, s16, v4
	v_trunc_f32_e32 v4, v4
	v_mul_f32_e64 v5, |v4|, s17
	v_floor_f32_e32 v5, v5
	s_mov_b32 s14, 0xcf800000
	v_fma_f32 v5, v5, s14, |v4|
	v_cvt_u32_f32_e32 v5, v5
	v_ashrrev_i32_e32 v4, 31, v4
	v_xor_b32_e32 v5, v5, v4
	v_sub_u32_e32 v4, v5, v4
.LBB22_2068:
	s_mov_b64 s[14:15], 0
	s_mov_b64 s[16:17], -1
.LBB22_2069:
	s_andn2_b64 vcc, exec, s[14:15]
	s_mov_b64 s[14:15], 0
	s_cbranch_vccnz .LBB22_2080
; %bb.2070:
	s_cmp_gt_i32 s23, 14
	s_cbranch_scc0 .LBB22_2073
; %bb.2071:
	s_cmp_eq_u32 s23, 15
	s_cbranch_scc0 .LBB22_2076
; %bb.2072:
	global_load_ushort v4, v[6:7], off
	s_mov_b32 s0, 0x2f800000
	s_mov_b32 s1, 0xcf800000
	s_mov_b64 s[16:17], -1
	s_waitcnt vmcnt(0)
	v_lshlrev_b32_e32 v4, 16, v4
	v_trunc_f32_e32 v4, v4
	v_mul_f32_e64 v5, |v4|, s0
	v_floor_f32_e32 v5, v5
	v_fma_f32 v5, v5, s1, |v4|
	v_cvt_u32_f32_e32 v5, v5
	v_ashrrev_i32_e32 v4, 31, v4
	s_mov_b64 s[0:1], 0
	v_xor_b32_e32 v5, v5, v4
	v_sub_u32_e32 v4, v5, v4
	s_branch .LBB22_2077
.LBB22_2073:
	s_mov_b64 s[20:21], -1
                                        ; implicit-def: $vgpr4
	s_branch .LBB22_2078
.LBB22_2074:
	s_andn2_saveexec_b64 s[14:15], s[14:15]
	s_cbranch_execz .LBB22_2055
.LBB22_2075:
	v_cmp_ne_u16_e32 vcc, 0, v5
	s_andn2_b64 s[16:17], s[16:17], exec
	s_and_b64 s[20:21], vcc, exec
	s_or_b64 s[16:17], s[16:17], s[20:21]
	s_or_b64 exec, exec, s[14:15]
	v_mov_b32_e32 v4, 0
	s_and_saveexec_b64 s[14:15], s[16:17]
	s_cbranch_execnz .LBB22_2056
	s_branch .LBB22_2057
.LBB22_2076:
	s_mov_b64 s[0:1], -1
                                        ; implicit-def: $vgpr4
.LBB22_2077:
	s_mov_b64 s[20:21], 0
.LBB22_2078:
	s_and_b64 vcc, exec, s[20:21]
	s_cbranch_vccz .LBB22_2080
; %bb.2079:
	s_cmp_lg_u32 s23, 11
	s_mov_b64 s[14:15], -1
	s_cselect_b64 s[0:1], -1, 0
.LBB22_2080:
	s_and_b64 vcc, exec, s[0:1]
	s_cbranch_vccnz .LBB22_2145
; %bb.2081:
	s_andn2_b64 vcc, exec, s[14:15]
	s_cbranch_vccnz .LBB22_2083
.LBB22_2082:
	global_load_ubyte v4, v[6:7], off
	s_mov_b64 s[16:17], -1
	s_waitcnt vmcnt(0)
	v_cmp_ne_u16_e32 vcc, 0, v4
	v_cndmask_b32_e64 v4, 0, 1, vcc
.LBB22_2083:
	s_mov_b64 s[0:1], 0
.LBB22_2084:
	s_and_b64 vcc, exec, s[0:1]
	s_cbranch_vccz .LBB22_2133
; %bb.2085:
	s_and_b32 s14, 0xffff, s24
	s_cmp_lt_i32 s14, 5
	s_cbranch_scc1 .LBB22_2090
; %bb.2086:
	s_cmp_lt_i32 s14, 8
	s_cbranch_scc1 .LBB22_2091
; %bb.2087:
	;; [unrolled: 3-line block ×3, first 2 shown]
	s_cmp_gt_i32 s14, 9
	s_cbranch_scc0 .LBB22_2093
; %bb.2089:
	global_load_dwordx2 v[4:5], v[6:7], off
	s_movk_i32 s0, 0xffe0
	s_waitcnt vmcnt(0)
	v_trunc_f64_e32 v[4:5], v[4:5]
	v_ldexp_f64 v[12:13], v[4:5], s0
	s_mov_b32 s0, 0
	s_mov_b32 s1, 0xc1f00000
	v_floor_f64_e32 v[12:13], v[12:13]
	v_fma_f64 v[4:5], v[12:13], s[0:1], v[4:5]
	s_mov_b64 s[0:1], 0
	v_cvt_u32_f64_e32 v4, v[4:5]
	s_branch .LBB22_2094
.LBB22_2090:
	s_mov_b64 s[0:1], -1
                                        ; implicit-def: $vgpr4
	s_branch .LBB22_2112
.LBB22_2091:
	s_mov_b64 s[0:1], -1
                                        ; implicit-def: $vgpr4
	s_branch .LBB22_2100
.LBB22_2092:
	s_mov_b64 s[0:1], -1
                                        ; implicit-def: $vgpr4
	s_branch .LBB22_2097
.LBB22_2093:
	s_mov_b64 s[0:1], -1
                                        ; implicit-def: $vgpr4
.LBB22_2094:
	s_andn2_b64 vcc, exec, s[0:1]
	s_cbranch_vccnz .LBB22_2096
; %bb.2095:
	global_load_dword v4, v[6:7], off
	s_mov_b32 s0, 0x2f800000
	s_waitcnt vmcnt(0)
	v_trunc_f32_e32 v4, v4
	v_mul_f32_e64 v5, |v4|, s0
	v_floor_f32_e32 v5, v5
	s_mov_b32 s0, 0xcf800000
	v_fma_f32 v5, v5, s0, |v4|
	v_cvt_u32_f32_e32 v5, v5
	v_ashrrev_i32_e32 v4, 31, v4
	v_xor_b32_e32 v5, v5, v4
	v_sub_u32_e32 v4, v5, v4
.LBB22_2096:
	s_mov_b64 s[0:1], 0
.LBB22_2097:
	s_andn2_b64 vcc, exec, s[0:1]
	s_cbranch_vccnz .LBB22_2099
; %bb.2098:
	global_load_dword v4, v[6:7], off
	s_waitcnt vmcnt(0)
	v_cvt_f32_f16_e32 v4, v4
	v_cvt_i32_f32_e32 v4, v4
.LBB22_2099:
	s_mov_b64 s[0:1], 0
.LBB22_2100:
	s_andn2_b64 vcc, exec, s[0:1]
	s_cbranch_vccnz .LBB22_2111
; %bb.2101:
	s_cmp_lt_i32 s14, 6
	s_cbranch_scc1 .LBB22_2104
; %bb.2102:
	s_cmp_gt_i32 s14, 6
	s_cbranch_scc0 .LBB22_2105
; %bb.2103:
	global_load_dwordx2 v[4:5], v[6:7], off
	s_movk_i32 s0, 0xffe0
	s_waitcnt vmcnt(0)
	v_trunc_f64_e32 v[4:5], v[4:5]
	v_ldexp_f64 v[12:13], v[4:5], s0
	s_mov_b32 s0, 0
	s_mov_b32 s1, 0xc1f00000
	v_floor_f64_e32 v[12:13], v[12:13]
	v_fma_f64 v[4:5], v[12:13], s[0:1], v[4:5]
	s_mov_b64 s[0:1], 0
	v_cvt_u32_f64_e32 v4, v[4:5]
	s_branch .LBB22_2106
.LBB22_2104:
	s_mov_b64 s[0:1], -1
                                        ; implicit-def: $vgpr4
	s_branch .LBB22_2109
.LBB22_2105:
	s_mov_b64 s[0:1], -1
                                        ; implicit-def: $vgpr4
.LBB22_2106:
	s_andn2_b64 vcc, exec, s[0:1]
	s_cbranch_vccnz .LBB22_2108
; %bb.2107:
	global_load_dword v4, v[6:7], off
	s_mov_b32 s0, 0x2f800000
	s_waitcnt vmcnt(0)
	v_trunc_f32_e32 v4, v4
	v_mul_f32_e64 v5, |v4|, s0
	v_floor_f32_e32 v5, v5
	s_mov_b32 s0, 0xcf800000
	v_fma_f32 v5, v5, s0, |v4|
	v_cvt_u32_f32_e32 v5, v5
	v_ashrrev_i32_e32 v4, 31, v4
	v_xor_b32_e32 v5, v5, v4
	v_sub_u32_e32 v4, v5, v4
.LBB22_2108:
	s_mov_b64 s[0:1], 0
.LBB22_2109:
	s_andn2_b64 vcc, exec, s[0:1]
	s_cbranch_vccnz .LBB22_2111
; %bb.2110:
	global_load_ushort v4, v[6:7], off
	s_waitcnt vmcnt(0)
	v_cvt_f32_f16_e32 v4, v4
	v_cvt_i32_f32_e32 v4, v4
.LBB22_2111:
	s_mov_b64 s[0:1], 0
.LBB22_2112:
	s_andn2_b64 vcc, exec, s[0:1]
	s_cbranch_vccnz .LBB22_2132
; %bb.2113:
	s_cmp_lt_i32 s14, 2
	s_cbranch_scc1 .LBB22_2117
; %bb.2114:
	s_cmp_lt_i32 s14, 3
	s_cbranch_scc1 .LBB22_2118
; %bb.2115:
	s_cmp_gt_i32 s14, 3
	s_cbranch_scc0 .LBB22_2119
; %bb.2116:
	global_load_dwordx2 v[4:5], v[6:7], off
	s_mov_b64 s[0:1], 0
	s_branch .LBB22_2120
.LBB22_2117:
	s_mov_b64 s[0:1], -1
                                        ; implicit-def: $vgpr4
	s_branch .LBB22_2126
.LBB22_2118:
	s_mov_b64 s[0:1], -1
                                        ; implicit-def: $vgpr4
	s_branch .LBB22_2123
.LBB22_2119:
	s_mov_b64 s[0:1], -1
                                        ; implicit-def: $vgpr4
.LBB22_2120:
	s_andn2_b64 vcc, exec, s[0:1]
	s_cbranch_vccnz .LBB22_2122
; %bb.2121:
	global_load_dword v4, v[6:7], off
.LBB22_2122:
	s_mov_b64 s[0:1], 0
.LBB22_2123:
	s_andn2_b64 vcc, exec, s[0:1]
	s_cbranch_vccnz .LBB22_2125
; %bb.2124:
	global_load_ushort v4, v[6:7], off
.LBB22_2125:
	s_mov_b64 s[0:1], 0
.LBB22_2126:
	s_andn2_b64 vcc, exec, s[0:1]
	s_cbranch_vccnz .LBB22_2132
; %bb.2127:
	s_cmp_gt_i32 s14, 0
	s_cbranch_scc0 .LBB22_2129
; %bb.2128:
	global_load_ubyte v4, v[6:7], off
	s_mov_b64 s[0:1], 0
	s_branch .LBB22_2130
.LBB22_2129:
	s_mov_b64 s[0:1], -1
                                        ; implicit-def: $vgpr4
.LBB22_2130:
	s_andn2_b64 vcc, exec, s[0:1]
	s_cbranch_vccnz .LBB22_2132
; %bb.2131:
	global_load_ubyte v4, v[6:7], off
.LBB22_2132:
	s_mov_b64 s[16:17], -1
.LBB22_2133:
	s_andn2_b64 vcc, exec, s[16:17]
	s_cbranch_vccnz .LBB22_2947
; %bb.2134:
	v_add_u32_e32 v10, s22, v8
	s_waitcnt vmcnt(0)
	v_ashrrev_i32_e32 v5, 31, v10
	v_mov_b32_e32 v6, s3
	v_add_co_u32_e32 v7, vcc, s2, v10
	s_cmp_lt_i32 s25, 11
	v_addc_co_u32_e32 v8, vcc, v6, v5, vcc
	s_cbranch_scc1 .LBB22_2141
; %bb.2135:
	s_and_b32 s23, 0xffff, s25
	s_cmp_gt_i32 s23, 25
	s_mov_b64 s[14:15], 0
	s_cbranch_scc0 .LBB22_2142
; %bb.2136:
	s_cmp_gt_i32 s23, 28
	s_cbranch_scc0 .LBB22_2143
; %bb.2137:
	s_cmp_gt_i32 s23, 43
	;; [unrolled: 3-line block ×3, first 2 shown]
	s_cbranch_scc0 .LBB22_2146
; %bb.2139:
	s_cmp_eq_u32 s23, 46
	s_mov_b64 s[20:21], 0
	s_cbranch_scc0 .LBB22_2149
; %bb.2140:
	global_load_dword v5, v[7:8], off
	s_mov_b32 s0, 0x2f800000
	s_mov_b32 s1, 0xcf800000
	s_mov_b64 s[16:17], -1
	s_waitcnt vmcnt(0)
	v_lshlrev_b32_e32 v5, 16, v5
	v_trunc_f32_e32 v5, v5
	v_mul_f32_e64 v6, |v5|, s0
	v_floor_f32_e32 v6, v6
	v_fma_f32 v6, v6, s1, |v5|
	v_cvt_u32_f32_e32 v6, v6
	v_ashrrev_i32_e32 v5, 31, v5
	s_mov_b64 s[0:1], 0
	v_xor_b32_e32 v6, v6, v5
	v_sub_u32_e32 v5, v6, v5
	s_branch .LBB22_2150
.LBB22_2141:
	s_mov_b64 s[0:1], -1
	s_mov_b64 s[16:17], 0
                                        ; implicit-def: $vgpr5
	s_branch .LBB22_2212
.LBB22_2142:
	s_mov_b64 s[20:21], -1
	s_mov_b64 s[16:17], 0
	s_mov_b64 s[0:1], 0
                                        ; implicit-def: $vgpr5
	s_branch .LBB22_2177
.LBB22_2143:
	s_mov_b64 s[20:21], -1
	s_mov_b64 s[16:17], 0
	s_mov_b64 s[0:1], 0
                                        ; implicit-def: $vgpr5
	s_branch .LBB22_2160
.LBB22_2144:
	s_mov_b64 s[20:21], -1
	s_mov_b64 s[16:17], 0
	s_mov_b64 s[0:1], 0
                                        ; implicit-def: $vgpr5
	s_branch .LBB22_2155
.LBB22_2145:
	s_trap 2
	s_or_b64 s[18:19], s[18:19], exec
	s_cbranch_execz .LBB22_2082
	s_branch .LBB22_2083
.LBB22_2146:
	s_mov_b64 s[20:21], -1
	s_mov_b64 s[16:17], 0
	s_mov_b64 s[0:1], 0
                                        ; implicit-def: $vgpr5
	s_branch .LBB22_2150
.LBB22_2147:
	s_andn2_saveexec_b64 s[44:45], s[44:45]
	s_cbranch_execz .LBB22_1061
.LBB22_2148:
	v_add_f32_e32 v3, 0x42800000, v4
	v_and_b32_e32 v3, 0xff, v3
	v_cmp_ne_u32_e32 vcc, 0, v3
	s_andn2_b64 s[42:43], s[42:43], exec
	s_and_b64 s[50:51], vcc, exec
	s_or_b64 s[42:43], s[42:43], s[50:51]
	s_or_b64 exec, exec, s[44:45]
	v_mov_b32_e32 v5, 0
	s_and_saveexec_b64 s[44:45], s[42:43]
	s_cbranch_execnz .LBB22_1062
	s_branch .LBB22_1063
.LBB22_2149:
	s_mov_b64 s[0:1], -1
                                        ; implicit-def: $vgpr5
	s_mov_b64 s[16:17], 0
.LBB22_2150:
	s_and_b64 vcc, exec, s[20:21]
	s_cbranch_vccz .LBB22_2154
; %bb.2151:
	s_cmp_eq_u32 s23, 44
	s_cbranch_scc0 .LBB22_2153
; %bb.2152:
	global_load_ubyte v5, v[7:8], off
	s_mov_b32 s0, 0x2f800000
	s_mov_b32 s1, 0xcf800000
	s_mov_b64 s[16:17], -1
	s_waitcnt vmcnt(0)
	v_lshlrev_b32_e32 v6, 23, v5
	v_trunc_f32_e32 v6, v6
	v_mul_f32_e64 v12, |v6|, s0
	v_floor_f32_e32 v12, v12
	v_fma_f32 v12, v12, s1, |v6|
	v_cvt_u32_f32_e32 v12, v12
	v_ashrrev_i32_e32 v6, 31, v6
	v_cmp_ne_u32_e32 vcc, 0, v5
	s_mov_b64 s[0:1], 0
	v_xor_b32_e32 v12, v12, v6
	v_sub_u32_e32 v6, v12, v6
	v_cndmask_b32_e32 v5, 0, v6, vcc
	s_branch .LBB22_2154
.LBB22_2153:
	s_mov_b64 s[0:1], -1
                                        ; implicit-def: $vgpr5
.LBB22_2154:
	s_mov_b64 s[20:21], 0
.LBB22_2155:
	s_and_b64 vcc, exec, s[20:21]
	s_cbranch_vccz .LBB22_2159
; %bb.2156:
	s_cmp_eq_u32 s23, 29
	s_cbranch_scc0 .LBB22_2158
; %bb.2157:
	global_load_dwordx2 v[5:6], v[7:8], off
	s_mov_b64 s[0:1], 0
	s_mov_b64 s[16:17], -1
	s_branch .LBB22_2159
.LBB22_2158:
	s_mov_b64 s[0:1], -1
                                        ; implicit-def: $vgpr5
.LBB22_2159:
	s_mov_b64 s[20:21], 0
.LBB22_2160:
	s_and_b64 vcc, exec, s[20:21]
	s_cbranch_vccz .LBB22_2176
; %bb.2161:
	s_cmp_lt_i32 s23, 27
	s_cbranch_scc1 .LBB22_2164
; %bb.2162:
	s_cmp_gt_i32 s23, 27
	s_cbranch_scc0 .LBB22_2165
; %bb.2163:
	global_load_dword v5, v[7:8], off
	s_mov_b64 s[16:17], 0
	s_branch .LBB22_2166
.LBB22_2164:
	s_mov_b64 s[16:17], -1
                                        ; implicit-def: $vgpr5
	s_branch .LBB22_2169
.LBB22_2165:
	s_mov_b64 s[16:17], -1
                                        ; implicit-def: $vgpr5
.LBB22_2166:
	s_andn2_b64 vcc, exec, s[16:17]
	s_cbranch_vccnz .LBB22_2168
; %bb.2167:
	global_load_ushort v5, v[7:8], off
.LBB22_2168:
	s_mov_b64 s[16:17], 0
.LBB22_2169:
	s_andn2_b64 vcc, exec, s[16:17]
	s_cbranch_vccnz .LBB22_2175
; %bb.2170:
	global_load_ubyte v6, v[7:8], off
	s_movk_i32 s16, 0x7f
	s_mov_b64 s[20:21], 0
	s_waitcnt vmcnt(0)
	v_cmp_lt_i16_e32 vcc, s16, v6
	s_and_saveexec_b64 s[16:17], vcc
	s_xor_b64 s[16:17], exec, s[16:17]
	s_cbranch_execz .LBB22_2187
; %bb.2171:
	s_movk_i32 s20, 0x80
	v_cmp_ne_u16_e32 vcc, s20, v6
	s_and_b64 s[20:21], vcc, exec
	s_andn2_saveexec_b64 s[16:17], s[16:17]
	s_cbranch_execnz .LBB22_2188
.LBB22_2172:
	s_or_b64 exec, exec, s[16:17]
	v_mov_b32_e32 v5, 0
	s_and_saveexec_b64 s[16:17], s[20:21]
	s_cbranch_execz .LBB22_2174
.LBB22_2173:
	v_lshlrev_b32_e32 v5, 24, v6
	v_and_b32_e32 v6, 0xffff, v6
	v_and_b32_e32 v12, 7, v6
	v_ffbh_u32_e32 v14, v12
	v_min_u32_e32 v14, 32, v14
	v_subrev_u32_e32 v15, 28, v14
	v_bfe_u32 v13, v6, 3, 4
	v_lshlrev_b32_e32 v6, v15, v6
	v_sub_u32_e32 v14, 29, v14
	v_and_b32_e32 v6, 7, v6
	v_cmp_eq_u32_e32 vcc, 0, v13
	v_cndmask_b32_e32 v13, v13, v14, vcc
	v_cndmask_b32_e32 v6, v12, v6, vcc
	v_mov_b32_e32 v12, 0x3b800000
	v_lshlrev_b32_e32 v6, 20, v6
	v_and_b32_e32 v5, 0x80000000, v5
	v_lshl_add_u32 v12, v13, 23, v12
	v_or3_b32 v5, v5, v12, v6
	v_trunc_f32_e32 v5, v5
	s_mov_b32 s20, 0x2f800000
	v_mul_f32_e64 v6, |v5|, s20
	v_floor_f32_e32 v6, v6
	s_mov_b32 s20, 0xcf800000
	v_fma_f32 v6, v6, s20, |v5|
	v_cvt_u32_f32_e32 v6, v6
	v_ashrrev_i32_e32 v5, 31, v5
	v_xor_b32_e32 v6, v6, v5
	v_sub_u32_e32 v5, v6, v5
.LBB22_2174:
	s_or_b64 exec, exec, s[16:17]
.LBB22_2175:
	s_mov_b64 s[16:17], -1
.LBB22_2176:
	s_mov_b64 s[20:21], 0
.LBB22_2177:
	s_and_b64 vcc, exec, s[20:21]
	s_cbranch_vccz .LBB22_2208
; %bb.2178:
	s_cmp_gt_i32 s23, 22
	s_cbranch_scc0 .LBB22_2186
; %bb.2179:
	s_cmp_lt_i32 s23, 24
	s_cbranch_scc1 .LBB22_2189
; %bb.2180:
	s_cmp_gt_i32 s23, 24
	s_cbranch_scc0 .LBB22_2190
; %bb.2181:
	global_load_ubyte v6, v[7:8], off
	s_movk_i32 s14, 0x7f
	s_mov_b64 s[16:17], 0
	s_waitcnt vmcnt(0)
	v_cmp_lt_i16_e32 vcc, s14, v6
	s_and_saveexec_b64 s[14:15], vcc
	s_xor_b64 s[14:15], exec, s[14:15]
	s_cbranch_execz .LBB22_2202
; %bb.2182:
	s_movk_i32 s16, 0x80
	v_cmp_ne_u16_e32 vcc, s16, v6
	s_and_b64 s[16:17], vcc, exec
	s_andn2_saveexec_b64 s[14:15], s[14:15]
	s_cbranch_execnz .LBB22_2203
.LBB22_2183:
	s_or_b64 exec, exec, s[14:15]
	v_mov_b32_e32 v5, 0
	s_and_saveexec_b64 s[14:15], s[16:17]
	s_cbranch_execz .LBB22_2185
.LBB22_2184:
	v_lshlrev_b32_e32 v5, 24, v6
	v_and_b32_e32 v6, 0xffff, v6
	v_and_b32_e32 v12, 3, v6
	v_ffbh_u32_e32 v14, v12
	v_min_u32_e32 v14, 32, v14
	v_subrev_u32_e32 v15, 29, v14
	v_bfe_u32 v13, v6, 2, 5
	v_lshlrev_b32_e32 v6, v15, v6
	v_sub_u32_e32 v14, 30, v14
	v_and_b32_e32 v6, 3, v6
	v_cmp_eq_u32_e32 vcc, 0, v13
	v_cndmask_b32_e32 v13, v13, v14, vcc
	v_cndmask_b32_e32 v6, v12, v6, vcc
	v_mov_b32_e32 v12, 0x37800000
	v_lshlrev_b32_e32 v6, 21, v6
	v_and_b32_e32 v5, 0x80000000, v5
	v_lshl_add_u32 v12, v13, 23, v12
	v_or3_b32 v5, v5, v12, v6
	v_trunc_f32_e32 v5, v5
	s_mov_b32 s16, 0x2f800000
	v_mul_f32_e64 v6, |v5|, s16
	v_floor_f32_e32 v6, v6
	s_mov_b32 s16, 0xcf800000
	v_fma_f32 v6, v6, s16, |v5|
	v_cvt_u32_f32_e32 v6, v6
	v_ashrrev_i32_e32 v5, 31, v5
	v_xor_b32_e32 v6, v6, v5
	v_sub_u32_e32 v5, v6, v5
.LBB22_2185:
	s_or_b64 exec, exec, s[14:15]
	s_mov_b64 s[14:15], 0
	s_branch .LBB22_2191
.LBB22_2186:
	s_mov_b64 s[14:15], -1
                                        ; implicit-def: $vgpr5
	s_branch .LBB22_2197
.LBB22_2187:
	s_andn2_saveexec_b64 s[16:17], s[16:17]
	s_cbranch_execz .LBB22_2172
.LBB22_2188:
	v_cmp_ne_u16_e32 vcc, 0, v6
	s_andn2_b64 s[20:21], s[20:21], exec
	s_and_b64 s[26:27], vcc, exec
	s_or_b64 s[20:21], s[20:21], s[26:27]
	s_or_b64 exec, exec, s[16:17]
	v_mov_b32_e32 v5, 0
	s_and_saveexec_b64 s[16:17], s[20:21]
	s_cbranch_execnz .LBB22_2173
	s_branch .LBB22_2174
.LBB22_2189:
	s_mov_b64 s[14:15], -1
                                        ; implicit-def: $vgpr5
	s_branch .LBB22_2194
.LBB22_2190:
	s_mov_b64 s[14:15], -1
                                        ; implicit-def: $vgpr5
.LBB22_2191:
	s_and_b64 vcc, exec, s[14:15]
	s_cbranch_vccz .LBB22_2193
; %bb.2192:
	global_load_ubyte v5, v[7:8], off
	s_mov_b32 s14, 0x7f800000
	s_brev_b32 s15, 1
	s_mov_b32 s16, 0x2f800000
	s_waitcnt vmcnt(0)
	v_lshlrev_b32_e32 v5, 24, v5
	v_and_b32_e32 v6, 0x7f000000, v5
	v_ffbh_u32_e32 v12, v6
	v_min_u32_e32 v12, 32, v12
	v_sub_u32_e64 v12, v12, 4 clamp
	v_lshlrev_b32_e32 v14, v12, v6
	v_lshlrev_b32_e32 v12, 23, v12
	v_lshrrev_b32_e32 v14, 4, v14
	v_add_u32_e32 v13, 0x1000000, v6
	v_sub_u32_e32 v12, v14, v12
	v_ashrrev_i32_e32 v13, 8, v13
	v_add_u32_e32 v12, 0x3c000000, v12
	v_and_or_b32 v12, v13, s14, v12
	v_cmp_ne_u32_e32 vcc, 0, v6
	v_cndmask_b32_e32 v6, 0, v12, vcc
	v_and_or_b32 v5, v5, s15, v6
	v_trunc_f32_e32 v5, v5
	v_mul_f32_e64 v6, |v5|, s16
	v_floor_f32_e32 v6, v6
	s_mov_b32 s14, 0xcf800000
	v_fma_f32 v6, v6, s14, |v5|
	v_cvt_u32_f32_e32 v6, v6
	v_ashrrev_i32_e32 v5, 31, v5
	v_xor_b32_e32 v6, v6, v5
	v_sub_u32_e32 v5, v6, v5
.LBB22_2193:
	s_mov_b64 s[14:15], 0
.LBB22_2194:
	s_andn2_b64 vcc, exec, s[14:15]
	s_cbranch_vccnz .LBB22_2196
; %bb.2195:
	global_load_ubyte v5, v[7:8], off
	s_movk_i32 s14, 0x7f00
	s_brev_b32 s15, 16
	s_brev_b32 s16, 1
	s_mov_b32 s17, 0x2f800000
	s_waitcnt vmcnt(0)
	v_lshlrev_b16_e32 v6, 8, v5
	v_lshlrev_b32_e32 v5, 25, v5
	v_lshrrev_b32_e32 v12, 4, v5
	v_and_or_b32 v13, v6, s14, 0.5
	v_or_b32_e32 v12, 0x70000000, v12
	v_add_f32_e32 v13, -0.5, v13
	v_mul_f32_e32 v12, 0x7800000, v12
	v_cmp_gt_u32_e32 vcc, s15, v5
	v_bfe_i32 v6, v6, 0, 16
	v_cndmask_b32_e32 v5, v12, v13, vcc
	v_and_or_b32 v5, v6, s16, v5
	v_trunc_f32_e32 v5, v5
	v_mul_f32_e64 v6, |v5|, s17
	v_floor_f32_e32 v6, v6
	s_mov_b32 s14, 0xcf800000
	v_fma_f32 v6, v6, s14, |v5|
	v_cvt_u32_f32_e32 v6, v6
	v_ashrrev_i32_e32 v5, 31, v5
	v_xor_b32_e32 v6, v6, v5
	v_sub_u32_e32 v5, v6, v5
.LBB22_2196:
	s_mov_b64 s[14:15], 0
	s_mov_b64 s[16:17], -1
.LBB22_2197:
	s_andn2_b64 vcc, exec, s[14:15]
	s_mov_b64 s[14:15], 0
	s_cbranch_vccnz .LBB22_2208
; %bb.2198:
	s_cmp_gt_i32 s23, 14
	s_cbranch_scc0 .LBB22_2201
; %bb.2199:
	s_cmp_eq_u32 s23, 15
	s_cbranch_scc0 .LBB22_2204
; %bb.2200:
	global_load_ushort v5, v[7:8], off
	s_mov_b32 s0, 0x2f800000
	s_mov_b32 s1, 0xcf800000
	s_mov_b64 s[16:17], -1
	s_waitcnt vmcnt(0)
	v_lshlrev_b32_e32 v5, 16, v5
	v_trunc_f32_e32 v5, v5
	v_mul_f32_e64 v6, |v5|, s0
	v_floor_f32_e32 v6, v6
	v_fma_f32 v6, v6, s1, |v5|
	v_cvt_u32_f32_e32 v6, v6
	v_ashrrev_i32_e32 v5, 31, v5
	s_mov_b64 s[0:1], 0
	v_xor_b32_e32 v6, v6, v5
	v_sub_u32_e32 v5, v6, v5
	s_branch .LBB22_2205
.LBB22_2201:
	s_mov_b64 s[20:21], -1
                                        ; implicit-def: $vgpr5
	s_branch .LBB22_2206
.LBB22_2202:
	s_andn2_saveexec_b64 s[14:15], s[14:15]
	s_cbranch_execz .LBB22_2183
.LBB22_2203:
	v_cmp_ne_u16_e32 vcc, 0, v6
	s_andn2_b64 s[16:17], s[16:17], exec
	s_and_b64 s[20:21], vcc, exec
	s_or_b64 s[16:17], s[16:17], s[20:21]
	s_or_b64 exec, exec, s[14:15]
	v_mov_b32_e32 v5, 0
	s_and_saveexec_b64 s[14:15], s[16:17]
	s_cbranch_execnz .LBB22_2184
	s_branch .LBB22_2185
.LBB22_2204:
	s_mov_b64 s[0:1], -1
                                        ; implicit-def: $vgpr5
.LBB22_2205:
	s_mov_b64 s[20:21], 0
.LBB22_2206:
	s_and_b64 vcc, exec, s[20:21]
	s_cbranch_vccz .LBB22_2208
; %bb.2207:
	s_cmp_lg_u32 s23, 11
	s_mov_b64 s[14:15], -1
	s_cselect_b64 s[0:1], -1, 0
.LBB22_2208:
	s_and_b64 vcc, exec, s[0:1]
	s_cbranch_vccnz .LBB22_2273
; %bb.2209:
	s_andn2_b64 vcc, exec, s[14:15]
	s_cbranch_vccnz .LBB22_2211
.LBB22_2210:
	global_load_ubyte v5, v[7:8], off
	s_mov_b64 s[16:17], -1
	s_waitcnt vmcnt(0)
	v_cmp_ne_u16_e32 vcc, 0, v5
	v_cndmask_b32_e64 v5, 0, 1, vcc
.LBB22_2211:
	s_mov_b64 s[0:1], 0
.LBB22_2212:
	s_and_b64 vcc, exec, s[0:1]
	s_cbranch_vccz .LBB22_2261
; %bb.2213:
	s_and_b32 s14, 0xffff, s25
	s_cmp_lt_i32 s14, 5
	s_cbranch_scc1 .LBB22_2218
; %bb.2214:
	s_cmp_lt_i32 s14, 8
	s_cbranch_scc1 .LBB22_2219
; %bb.2215:
	;; [unrolled: 3-line block ×3, first 2 shown]
	s_cmp_gt_i32 s14, 9
	s_cbranch_scc0 .LBB22_2221
; %bb.2217:
	global_load_dwordx2 v[5:6], v[7:8], off
	s_movk_i32 s0, 0xffe0
	s_waitcnt vmcnt(0)
	v_trunc_f64_e32 v[5:6], v[5:6]
	v_ldexp_f64 v[12:13], v[5:6], s0
	s_mov_b32 s0, 0
	s_mov_b32 s1, 0xc1f00000
	v_floor_f64_e32 v[12:13], v[12:13]
	v_fma_f64 v[5:6], v[12:13], s[0:1], v[5:6]
	s_mov_b64 s[0:1], 0
	v_cvt_u32_f64_e32 v5, v[5:6]
	s_branch .LBB22_2222
.LBB22_2218:
	s_mov_b64 s[0:1], -1
                                        ; implicit-def: $vgpr5
	s_branch .LBB22_2240
.LBB22_2219:
	s_mov_b64 s[0:1], -1
                                        ; implicit-def: $vgpr5
	s_branch .LBB22_2228
.LBB22_2220:
	s_mov_b64 s[0:1], -1
                                        ; implicit-def: $vgpr5
	s_branch .LBB22_2225
.LBB22_2221:
	s_mov_b64 s[0:1], -1
                                        ; implicit-def: $vgpr5
.LBB22_2222:
	s_andn2_b64 vcc, exec, s[0:1]
	s_cbranch_vccnz .LBB22_2224
; %bb.2223:
	global_load_dword v5, v[7:8], off
	s_mov_b32 s0, 0x2f800000
	s_waitcnt vmcnt(0)
	v_trunc_f32_e32 v5, v5
	v_mul_f32_e64 v6, |v5|, s0
	v_floor_f32_e32 v6, v6
	s_mov_b32 s0, 0xcf800000
	v_fma_f32 v6, v6, s0, |v5|
	v_cvt_u32_f32_e32 v6, v6
	v_ashrrev_i32_e32 v5, 31, v5
	v_xor_b32_e32 v6, v6, v5
	v_sub_u32_e32 v5, v6, v5
.LBB22_2224:
	s_mov_b64 s[0:1], 0
.LBB22_2225:
	s_andn2_b64 vcc, exec, s[0:1]
	s_cbranch_vccnz .LBB22_2227
; %bb.2226:
	global_load_dword v5, v[7:8], off
	s_waitcnt vmcnt(0)
	v_cvt_f32_f16_e32 v5, v5
	v_cvt_i32_f32_e32 v5, v5
.LBB22_2227:
	s_mov_b64 s[0:1], 0
.LBB22_2228:
	s_andn2_b64 vcc, exec, s[0:1]
	s_cbranch_vccnz .LBB22_2239
; %bb.2229:
	s_cmp_lt_i32 s14, 6
	s_cbranch_scc1 .LBB22_2232
; %bb.2230:
	s_cmp_gt_i32 s14, 6
	s_cbranch_scc0 .LBB22_2233
; %bb.2231:
	global_load_dwordx2 v[5:6], v[7:8], off
	s_movk_i32 s0, 0xffe0
	s_waitcnt vmcnt(0)
	v_trunc_f64_e32 v[5:6], v[5:6]
	v_ldexp_f64 v[12:13], v[5:6], s0
	s_mov_b32 s0, 0
	s_mov_b32 s1, 0xc1f00000
	v_floor_f64_e32 v[12:13], v[12:13]
	v_fma_f64 v[5:6], v[12:13], s[0:1], v[5:6]
	s_mov_b64 s[0:1], 0
	v_cvt_u32_f64_e32 v5, v[5:6]
	s_branch .LBB22_2234
.LBB22_2232:
	s_mov_b64 s[0:1], -1
                                        ; implicit-def: $vgpr5
	s_branch .LBB22_2237
.LBB22_2233:
	s_mov_b64 s[0:1], -1
                                        ; implicit-def: $vgpr5
.LBB22_2234:
	s_andn2_b64 vcc, exec, s[0:1]
	s_cbranch_vccnz .LBB22_2236
; %bb.2235:
	global_load_dword v5, v[7:8], off
	s_mov_b32 s0, 0x2f800000
	s_waitcnt vmcnt(0)
	v_trunc_f32_e32 v5, v5
	v_mul_f32_e64 v6, |v5|, s0
	v_floor_f32_e32 v6, v6
	s_mov_b32 s0, 0xcf800000
	v_fma_f32 v6, v6, s0, |v5|
	v_cvt_u32_f32_e32 v6, v6
	v_ashrrev_i32_e32 v5, 31, v5
	v_xor_b32_e32 v6, v6, v5
	v_sub_u32_e32 v5, v6, v5
.LBB22_2236:
	s_mov_b64 s[0:1], 0
.LBB22_2237:
	s_andn2_b64 vcc, exec, s[0:1]
	s_cbranch_vccnz .LBB22_2239
; %bb.2238:
	global_load_ushort v5, v[7:8], off
	s_waitcnt vmcnt(0)
	v_cvt_f32_f16_e32 v5, v5
	v_cvt_i32_f32_e32 v5, v5
.LBB22_2239:
	s_mov_b64 s[0:1], 0
.LBB22_2240:
	s_andn2_b64 vcc, exec, s[0:1]
	s_cbranch_vccnz .LBB22_2260
; %bb.2241:
	s_cmp_lt_i32 s14, 2
	s_cbranch_scc1 .LBB22_2245
; %bb.2242:
	s_cmp_lt_i32 s14, 3
	s_cbranch_scc1 .LBB22_2246
; %bb.2243:
	s_cmp_gt_i32 s14, 3
	s_cbranch_scc0 .LBB22_2247
; %bb.2244:
	global_load_dwordx2 v[5:6], v[7:8], off
	s_mov_b64 s[0:1], 0
	s_branch .LBB22_2248
.LBB22_2245:
	s_mov_b64 s[0:1], -1
                                        ; implicit-def: $vgpr5
	s_branch .LBB22_2254
.LBB22_2246:
	s_mov_b64 s[0:1], -1
                                        ; implicit-def: $vgpr5
	s_branch .LBB22_2251
.LBB22_2247:
	s_mov_b64 s[0:1], -1
                                        ; implicit-def: $vgpr5
.LBB22_2248:
	s_andn2_b64 vcc, exec, s[0:1]
	s_cbranch_vccnz .LBB22_2250
; %bb.2249:
	global_load_dword v5, v[7:8], off
.LBB22_2250:
	s_mov_b64 s[0:1], 0
.LBB22_2251:
	s_andn2_b64 vcc, exec, s[0:1]
	s_cbranch_vccnz .LBB22_2253
; %bb.2252:
	global_load_ushort v5, v[7:8], off
.LBB22_2253:
	s_mov_b64 s[0:1], 0
.LBB22_2254:
	s_andn2_b64 vcc, exec, s[0:1]
	s_cbranch_vccnz .LBB22_2260
; %bb.2255:
	s_cmp_gt_i32 s14, 0
	s_cbranch_scc0 .LBB22_2257
; %bb.2256:
	global_load_ubyte v5, v[7:8], off
	s_mov_b64 s[0:1], 0
	s_branch .LBB22_2258
.LBB22_2257:
	s_mov_b64 s[0:1], -1
                                        ; implicit-def: $vgpr5
.LBB22_2258:
	s_andn2_b64 vcc, exec, s[0:1]
	s_cbranch_vccnz .LBB22_2260
; %bb.2259:
	global_load_ubyte v5, v[7:8], off
.LBB22_2260:
	s_mov_b64 s[16:17], -1
.LBB22_2261:
	s_andn2_b64 vcc, exec, s[16:17]
	s_cbranch_vccnz .LBB22_2947
; %bb.2262:
	s_waitcnt vmcnt(0)
	v_add_u32_e32 v6, s13, v9
	v_ashrrev_i32_e32 v7, 31, v6
	v_mov_b32_e32 v9, s11
	v_add_co_u32_e32 v8, vcc, s10, v6
	s_cmp_lt_i32 s24, 11
	v_addc_co_u32_e32 v9, vcc, v9, v7, vcc
	s_cbranch_scc1 .LBB22_2269
; %bb.2263:
	s_and_b32 s13, 0xffff, s24
	s_cmp_gt_i32 s13, 25
	s_mov_b64 s[10:11], 0
	s_cbranch_scc0 .LBB22_2270
; %bb.2264:
	s_cmp_gt_i32 s13, 28
	s_cbranch_scc0 .LBB22_2271
; %bb.2265:
	s_cmp_gt_i32 s13, 43
	;; [unrolled: 3-line block ×3, first 2 shown]
	s_cbranch_scc0 .LBB22_2274
; %bb.2267:
	s_cmp_eq_u32 s13, 46
	s_mov_b64 s[16:17], 0
	s_cbranch_scc0 .LBB22_2275
; %bb.2268:
	global_load_dword v6, v[8:9], off
	s_mov_b32 s0, 0x2f800000
	s_mov_b32 s1, 0xcf800000
	s_mov_b64 s[14:15], -1
	s_waitcnt vmcnt(0)
	v_lshlrev_b32_e32 v6, 16, v6
	v_trunc_f32_e32 v6, v6
	v_mul_f32_e64 v7, |v6|, s0
	v_floor_f32_e32 v7, v7
	v_fma_f32 v7, v7, s1, |v6|
	v_cvt_u32_f32_e32 v7, v7
	v_ashrrev_i32_e32 v6, 31, v6
	s_mov_b64 s[0:1], 0
	v_xor_b32_e32 v7, v7, v6
	v_sub_u32_e32 v6, v7, v6
	s_branch .LBB22_2276
.LBB22_2269:
	s_mov_b64 s[0:1], -1
	s_mov_b64 s[14:15], 0
                                        ; implicit-def: $vgpr6
	s_branch .LBB22_2338
.LBB22_2270:
	s_mov_b64 s[16:17], -1
	s_mov_b64 s[14:15], 0
	s_mov_b64 s[0:1], 0
                                        ; implicit-def: $vgpr6
	s_branch .LBB22_2303
.LBB22_2271:
	s_mov_b64 s[16:17], -1
	s_mov_b64 s[14:15], 0
	s_mov_b64 s[0:1], 0
                                        ; implicit-def: $vgpr6
	s_branch .LBB22_2286
.LBB22_2272:
	s_mov_b64 s[16:17], -1
	s_mov_b64 s[14:15], 0
	s_mov_b64 s[0:1], 0
                                        ; implicit-def: $vgpr6
	s_branch .LBB22_2281
.LBB22_2273:
	s_trap 2
	s_or_b64 s[18:19], s[18:19], exec
	s_cbranch_execz .LBB22_2210
	s_branch .LBB22_2211
.LBB22_2274:
	s_mov_b64 s[16:17], -1
	s_mov_b64 s[14:15], 0
	s_mov_b64 s[0:1], 0
                                        ; implicit-def: $vgpr6
	s_branch .LBB22_2276
.LBB22_2275:
	s_mov_b64 s[0:1], -1
                                        ; implicit-def: $vgpr6
	s_mov_b64 s[14:15], 0
.LBB22_2276:
	s_and_b64 vcc, exec, s[16:17]
	s_cbranch_vccz .LBB22_2280
; %bb.2277:
	s_cmp_eq_u32 s13, 44
	s_cbranch_scc0 .LBB22_2279
; %bb.2278:
	global_load_ubyte v6, v[8:9], off
	s_mov_b32 s0, 0x2f800000
	s_mov_b32 s1, 0xcf800000
	s_mov_b64 s[14:15], -1
	s_waitcnt vmcnt(0)
	v_lshlrev_b32_e32 v7, 23, v6
	v_trunc_f32_e32 v7, v7
	v_mul_f32_e64 v12, |v7|, s0
	v_floor_f32_e32 v12, v12
	v_fma_f32 v12, v12, s1, |v7|
	v_cvt_u32_f32_e32 v12, v12
	v_ashrrev_i32_e32 v7, 31, v7
	v_cmp_ne_u32_e32 vcc, 0, v6
	s_mov_b64 s[0:1], 0
	v_xor_b32_e32 v12, v12, v7
	v_sub_u32_e32 v7, v12, v7
	v_cndmask_b32_e32 v6, 0, v7, vcc
	s_branch .LBB22_2280
.LBB22_2279:
	s_mov_b64 s[0:1], -1
                                        ; implicit-def: $vgpr6
.LBB22_2280:
	s_mov_b64 s[16:17], 0
.LBB22_2281:
	s_and_b64 vcc, exec, s[16:17]
	s_cbranch_vccz .LBB22_2285
; %bb.2282:
	s_cmp_eq_u32 s13, 29
	s_cbranch_scc0 .LBB22_2284
; %bb.2283:
	global_load_dwordx2 v[6:7], v[8:9], off
	s_mov_b64 s[0:1], 0
	s_mov_b64 s[14:15], -1
	s_branch .LBB22_2285
.LBB22_2284:
	s_mov_b64 s[0:1], -1
                                        ; implicit-def: $vgpr6
.LBB22_2285:
	s_mov_b64 s[16:17], 0
.LBB22_2286:
	s_and_b64 vcc, exec, s[16:17]
	s_cbranch_vccz .LBB22_2302
; %bb.2287:
	s_cmp_lt_i32 s13, 27
	s_cbranch_scc1 .LBB22_2290
; %bb.2288:
	s_cmp_gt_i32 s13, 27
	s_cbranch_scc0 .LBB22_2291
; %bb.2289:
	global_load_dword v6, v[8:9], off
	s_mov_b64 s[14:15], 0
	s_branch .LBB22_2292
.LBB22_2290:
	s_mov_b64 s[14:15], -1
                                        ; implicit-def: $vgpr6
	s_branch .LBB22_2295
.LBB22_2291:
	s_mov_b64 s[14:15], -1
                                        ; implicit-def: $vgpr6
.LBB22_2292:
	s_andn2_b64 vcc, exec, s[14:15]
	s_cbranch_vccnz .LBB22_2294
; %bb.2293:
	global_load_ushort v6, v[8:9], off
.LBB22_2294:
	s_mov_b64 s[14:15], 0
.LBB22_2295:
	s_andn2_b64 vcc, exec, s[14:15]
	s_cbranch_vccnz .LBB22_2301
; %bb.2296:
	global_load_ubyte v7, v[8:9], off
	s_movk_i32 s14, 0x7f
	s_mov_b64 s[16:17], 0
	s_waitcnt vmcnt(0)
	v_cmp_lt_i16_e32 vcc, s14, v7
	s_and_saveexec_b64 s[14:15], vcc
	s_xor_b64 s[14:15], exec, s[14:15]
	s_cbranch_execz .LBB22_2313
; %bb.2297:
	s_movk_i32 s16, 0x80
	v_cmp_ne_u16_e32 vcc, s16, v7
	s_and_b64 s[16:17], vcc, exec
	s_andn2_saveexec_b64 s[14:15], s[14:15]
	s_cbranch_execnz .LBB22_2314
.LBB22_2298:
	s_or_b64 exec, exec, s[14:15]
	v_mov_b32_e32 v6, 0
	s_and_saveexec_b64 s[14:15], s[16:17]
	s_cbranch_execz .LBB22_2300
.LBB22_2299:
	v_lshlrev_b32_e32 v6, 24, v7
	v_and_b32_e32 v7, 0xffff, v7
	v_and_b32_e32 v12, 7, v7
	v_ffbh_u32_e32 v14, v12
	v_min_u32_e32 v14, 32, v14
	v_subrev_u32_e32 v15, 28, v14
	v_bfe_u32 v13, v7, 3, 4
	v_lshlrev_b32_e32 v7, v15, v7
	v_sub_u32_e32 v14, 29, v14
	v_and_b32_e32 v7, 7, v7
	v_cmp_eq_u32_e32 vcc, 0, v13
	v_cndmask_b32_e32 v13, v13, v14, vcc
	v_cndmask_b32_e32 v7, v12, v7, vcc
	v_mov_b32_e32 v12, 0x3b800000
	v_lshlrev_b32_e32 v7, 20, v7
	v_and_b32_e32 v6, 0x80000000, v6
	v_lshl_add_u32 v12, v13, 23, v12
	v_or3_b32 v6, v6, v12, v7
	v_trunc_f32_e32 v6, v6
	s_mov_b32 s16, 0x2f800000
	v_mul_f32_e64 v7, |v6|, s16
	v_floor_f32_e32 v7, v7
	s_mov_b32 s16, 0xcf800000
	v_fma_f32 v7, v7, s16, |v6|
	v_cvt_u32_f32_e32 v7, v7
	v_ashrrev_i32_e32 v6, 31, v6
	v_xor_b32_e32 v7, v7, v6
	v_sub_u32_e32 v6, v7, v6
.LBB22_2300:
	s_or_b64 exec, exec, s[14:15]
.LBB22_2301:
	s_mov_b64 s[14:15], -1
.LBB22_2302:
	s_mov_b64 s[16:17], 0
.LBB22_2303:
	s_and_b64 vcc, exec, s[16:17]
	s_cbranch_vccz .LBB22_2334
; %bb.2304:
	s_cmp_gt_i32 s13, 22
	s_cbranch_scc0 .LBB22_2312
; %bb.2305:
	s_cmp_lt_i32 s13, 24
	s_cbranch_scc1 .LBB22_2315
; %bb.2306:
	s_cmp_gt_i32 s13, 24
	s_cbranch_scc0 .LBB22_2316
; %bb.2307:
	global_load_ubyte v7, v[8:9], off
	s_movk_i32 s10, 0x7f
	s_mov_b64 s[14:15], 0
	s_waitcnt vmcnt(0)
	v_cmp_lt_i16_e32 vcc, s10, v7
	s_and_saveexec_b64 s[10:11], vcc
	s_xor_b64 s[10:11], exec, s[10:11]
	s_cbranch_execz .LBB22_2328
; %bb.2308:
	s_movk_i32 s14, 0x80
	v_cmp_ne_u16_e32 vcc, s14, v7
	s_and_b64 s[14:15], vcc, exec
	s_andn2_saveexec_b64 s[10:11], s[10:11]
	s_cbranch_execnz .LBB22_2329
.LBB22_2309:
	s_or_b64 exec, exec, s[10:11]
	v_mov_b32_e32 v6, 0
	s_and_saveexec_b64 s[10:11], s[14:15]
	s_cbranch_execz .LBB22_2311
.LBB22_2310:
	v_lshlrev_b32_e32 v6, 24, v7
	v_and_b32_e32 v7, 0xffff, v7
	v_and_b32_e32 v12, 3, v7
	v_ffbh_u32_e32 v14, v12
	v_min_u32_e32 v14, 32, v14
	v_subrev_u32_e32 v15, 29, v14
	v_bfe_u32 v13, v7, 2, 5
	v_lshlrev_b32_e32 v7, v15, v7
	v_sub_u32_e32 v14, 30, v14
	v_and_b32_e32 v7, 3, v7
	v_cmp_eq_u32_e32 vcc, 0, v13
	v_cndmask_b32_e32 v13, v13, v14, vcc
	v_cndmask_b32_e32 v7, v12, v7, vcc
	v_mov_b32_e32 v12, 0x37800000
	v_lshlrev_b32_e32 v7, 21, v7
	v_and_b32_e32 v6, 0x80000000, v6
	v_lshl_add_u32 v12, v13, 23, v12
	v_or3_b32 v6, v6, v12, v7
	v_trunc_f32_e32 v6, v6
	s_mov_b32 s14, 0x2f800000
	v_mul_f32_e64 v7, |v6|, s14
	v_floor_f32_e32 v7, v7
	s_mov_b32 s14, 0xcf800000
	v_fma_f32 v7, v7, s14, |v6|
	v_cvt_u32_f32_e32 v7, v7
	v_ashrrev_i32_e32 v6, 31, v6
	v_xor_b32_e32 v7, v7, v6
	v_sub_u32_e32 v6, v7, v6
.LBB22_2311:
	s_or_b64 exec, exec, s[10:11]
	s_mov_b64 s[10:11], 0
	s_branch .LBB22_2317
.LBB22_2312:
	s_mov_b64 s[10:11], -1
                                        ; implicit-def: $vgpr6
	s_branch .LBB22_2323
.LBB22_2313:
	s_andn2_saveexec_b64 s[14:15], s[14:15]
	s_cbranch_execz .LBB22_2298
.LBB22_2314:
	v_cmp_ne_u16_e32 vcc, 0, v7
	s_andn2_b64 s[16:17], s[16:17], exec
	s_and_b64 s[20:21], vcc, exec
	s_or_b64 s[16:17], s[16:17], s[20:21]
	s_or_b64 exec, exec, s[14:15]
	v_mov_b32_e32 v6, 0
	s_and_saveexec_b64 s[14:15], s[16:17]
	s_cbranch_execnz .LBB22_2299
	s_branch .LBB22_2300
.LBB22_2315:
	s_mov_b64 s[10:11], -1
                                        ; implicit-def: $vgpr6
	s_branch .LBB22_2320
.LBB22_2316:
	s_mov_b64 s[10:11], -1
                                        ; implicit-def: $vgpr6
.LBB22_2317:
	s_and_b64 vcc, exec, s[10:11]
	s_cbranch_vccz .LBB22_2319
; %bb.2318:
	global_load_ubyte v6, v[8:9], off
	s_mov_b32 s10, 0x7f800000
	s_brev_b32 s11, 1
	s_mov_b32 s14, 0x2f800000
	s_waitcnt vmcnt(0)
	v_lshlrev_b32_e32 v6, 24, v6
	v_and_b32_e32 v7, 0x7f000000, v6
	v_ffbh_u32_e32 v12, v7
	v_min_u32_e32 v12, 32, v12
	v_sub_u32_e64 v12, v12, 4 clamp
	v_lshlrev_b32_e32 v14, v12, v7
	v_lshlrev_b32_e32 v12, 23, v12
	v_lshrrev_b32_e32 v14, 4, v14
	v_add_u32_e32 v13, 0x1000000, v7
	v_sub_u32_e32 v12, v14, v12
	v_ashrrev_i32_e32 v13, 8, v13
	v_add_u32_e32 v12, 0x3c000000, v12
	v_and_or_b32 v12, v13, s10, v12
	v_cmp_ne_u32_e32 vcc, 0, v7
	v_cndmask_b32_e32 v7, 0, v12, vcc
	v_and_or_b32 v6, v6, s11, v7
	v_trunc_f32_e32 v6, v6
	v_mul_f32_e64 v7, |v6|, s14
	v_floor_f32_e32 v7, v7
	s_mov_b32 s10, 0xcf800000
	v_fma_f32 v7, v7, s10, |v6|
	v_cvt_u32_f32_e32 v7, v7
	v_ashrrev_i32_e32 v6, 31, v6
	v_xor_b32_e32 v7, v7, v6
	v_sub_u32_e32 v6, v7, v6
.LBB22_2319:
	s_mov_b64 s[10:11], 0
.LBB22_2320:
	s_andn2_b64 vcc, exec, s[10:11]
	s_cbranch_vccnz .LBB22_2322
; %bb.2321:
	global_load_ubyte v6, v[8:9], off
	s_movk_i32 s10, 0x7f00
	s_brev_b32 s11, 16
	s_brev_b32 s14, 1
	s_mov_b32 s15, 0x2f800000
	s_waitcnt vmcnt(0)
	v_lshlrev_b16_e32 v7, 8, v6
	v_lshlrev_b32_e32 v6, 25, v6
	v_lshrrev_b32_e32 v12, 4, v6
	v_and_or_b32 v13, v7, s10, 0.5
	v_or_b32_e32 v12, 0x70000000, v12
	v_add_f32_e32 v13, -0.5, v13
	v_mul_f32_e32 v12, 0x7800000, v12
	v_cmp_gt_u32_e32 vcc, s11, v6
	v_bfe_i32 v7, v7, 0, 16
	v_cndmask_b32_e32 v6, v12, v13, vcc
	v_and_or_b32 v6, v7, s14, v6
	v_trunc_f32_e32 v6, v6
	v_mul_f32_e64 v7, |v6|, s15
	v_floor_f32_e32 v7, v7
	s_mov_b32 s10, 0xcf800000
	v_fma_f32 v7, v7, s10, |v6|
	v_cvt_u32_f32_e32 v7, v7
	v_ashrrev_i32_e32 v6, 31, v6
	v_xor_b32_e32 v7, v7, v6
	v_sub_u32_e32 v6, v7, v6
.LBB22_2322:
	s_mov_b64 s[10:11], 0
	s_mov_b64 s[14:15], -1
.LBB22_2323:
	s_andn2_b64 vcc, exec, s[10:11]
	s_mov_b64 s[10:11], 0
	s_cbranch_vccnz .LBB22_2334
; %bb.2324:
	s_cmp_gt_i32 s13, 14
	s_cbranch_scc0 .LBB22_2327
; %bb.2325:
	s_cmp_eq_u32 s13, 15
	s_cbranch_scc0 .LBB22_2330
; %bb.2326:
	global_load_ushort v6, v[8:9], off
	s_mov_b32 s0, 0x2f800000
	s_mov_b32 s1, 0xcf800000
	s_mov_b64 s[14:15], -1
	s_waitcnt vmcnt(0)
	v_lshlrev_b32_e32 v6, 16, v6
	v_trunc_f32_e32 v6, v6
	v_mul_f32_e64 v7, |v6|, s0
	v_floor_f32_e32 v7, v7
	v_fma_f32 v7, v7, s1, |v6|
	v_cvt_u32_f32_e32 v7, v7
	v_ashrrev_i32_e32 v6, 31, v6
	s_mov_b64 s[0:1], 0
	v_xor_b32_e32 v7, v7, v6
	v_sub_u32_e32 v6, v7, v6
	s_branch .LBB22_2331
.LBB22_2327:
	s_mov_b64 s[16:17], -1
                                        ; implicit-def: $vgpr6
	s_branch .LBB22_2332
.LBB22_2328:
	s_andn2_saveexec_b64 s[10:11], s[10:11]
	s_cbranch_execz .LBB22_2309
.LBB22_2329:
	v_cmp_ne_u16_e32 vcc, 0, v7
	s_andn2_b64 s[14:15], s[14:15], exec
	s_and_b64 s[16:17], vcc, exec
	s_or_b64 s[14:15], s[14:15], s[16:17]
	s_or_b64 exec, exec, s[10:11]
	v_mov_b32_e32 v6, 0
	s_and_saveexec_b64 s[10:11], s[14:15]
	s_cbranch_execnz .LBB22_2310
	s_branch .LBB22_2311
.LBB22_2330:
	s_mov_b64 s[0:1], -1
                                        ; implicit-def: $vgpr6
.LBB22_2331:
	s_mov_b64 s[16:17], 0
.LBB22_2332:
	s_and_b64 vcc, exec, s[16:17]
	s_cbranch_vccz .LBB22_2334
; %bb.2333:
	s_cmp_lg_u32 s13, 11
	s_mov_b64 s[10:11], -1
	s_cselect_b64 s[0:1], -1, 0
.LBB22_2334:
	s_and_b64 vcc, exec, s[0:1]
	s_cbranch_vccnz .LBB22_2399
; %bb.2335:
	s_andn2_b64 vcc, exec, s[10:11]
	s_cbranch_vccnz .LBB22_2337
.LBB22_2336:
	global_load_ubyte v6, v[8:9], off
	s_mov_b64 s[14:15], -1
	s_waitcnt vmcnt(0)
	v_cmp_ne_u16_e32 vcc, 0, v6
	v_cndmask_b32_e64 v6, 0, 1, vcc
.LBB22_2337:
	s_mov_b64 s[0:1], 0
.LBB22_2338:
	s_and_b64 vcc, exec, s[0:1]
	s_cbranch_vccz .LBB22_2387
; %bb.2339:
	s_and_b32 s10, 0xffff, s24
	s_cmp_lt_i32 s10, 5
	s_cbranch_scc1 .LBB22_2344
; %bb.2340:
	s_cmp_lt_i32 s10, 8
	s_cbranch_scc1 .LBB22_2345
; %bb.2341:
	s_cmp_lt_i32 s10, 9
	s_cbranch_scc1 .LBB22_2346
; %bb.2342:
	s_cmp_gt_i32 s10, 9
	s_cbranch_scc0 .LBB22_2347
; %bb.2343:
	global_load_dwordx2 v[6:7], v[8:9], off
	s_movk_i32 s0, 0xffe0
	s_waitcnt vmcnt(0)
	v_trunc_f64_e32 v[6:7], v[6:7]
	v_ldexp_f64 v[12:13], v[6:7], s0
	s_mov_b32 s0, 0
	s_mov_b32 s1, 0xc1f00000
	v_floor_f64_e32 v[12:13], v[12:13]
	v_fma_f64 v[6:7], v[12:13], s[0:1], v[6:7]
	s_mov_b64 s[0:1], 0
	v_cvt_u32_f64_e32 v6, v[6:7]
	s_branch .LBB22_2348
.LBB22_2344:
	s_mov_b64 s[0:1], -1
                                        ; implicit-def: $vgpr6
	s_branch .LBB22_2366
.LBB22_2345:
	s_mov_b64 s[0:1], -1
                                        ; implicit-def: $vgpr6
	s_branch .LBB22_2354
.LBB22_2346:
	s_mov_b64 s[0:1], -1
                                        ; implicit-def: $vgpr6
	s_branch .LBB22_2351
.LBB22_2347:
	s_mov_b64 s[0:1], -1
                                        ; implicit-def: $vgpr6
.LBB22_2348:
	s_andn2_b64 vcc, exec, s[0:1]
	s_cbranch_vccnz .LBB22_2350
; %bb.2349:
	global_load_dword v6, v[8:9], off
	s_mov_b32 s0, 0x2f800000
	s_waitcnt vmcnt(0)
	v_trunc_f32_e32 v6, v6
	v_mul_f32_e64 v7, |v6|, s0
	v_floor_f32_e32 v7, v7
	s_mov_b32 s0, 0xcf800000
	v_fma_f32 v7, v7, s0, |v6|
	v_cvt_u32_f32_e32 v7, v7
	v_ashrrev_i32_e32 v6, 31, v6
	v_xor_b32_e32 v7, v7, v6
	v_sub_u32_e32 v6, v7, v6
.LBB22_2350:
	s_mov_b64 s[0:1], 0
.LBB22_2351:
	s_andn2_b64 vcc, exec, s[0:1]
	s_cbranch_vccnz .LBB22_2353
; %bb.2352:
	global_load_dword v6, v[8:9], off
	s_waitcnt vmcnt(0)
	v_cvt_f32_f16_e32 v6, v6
	v_cvt_i32_f32_e32 v6, v6
.LBB22_2353:
	s_mov_b64 s[0:1], 0
.LBB22_2354:
	s_andn2_b64 vcc, exec, s[0:1]
	s_cbranch_vccnz .LBB22_2365
; %bb.2355:
	s_cmp_lt_i32 s10, 6
	s_cbranch_scc1 .LBB22_2358
; %bb.2356:
	s_cmp_gt_i32 s10, 6
	s_cbranch_scc0 .LBB22_2359
; %bb.2357:
	global_load_dwordx2 v[6:7], v[8:9], off
	s_movk_i32 s0, 0xffe0
	s_waitcnt vmcnt(0)
	v_trunc_f64_e32 v[6:7], v[6:7]
	v_ldexp_f64 v[12:13], v[6:7], s0
	s_mov_b32 s0, 0
	s_mov_b32 s1, 0xc1f00000
	v_floor_f64_e32 v[12:13], v[12:13]
	v_fma_f64 v[6:7], v[12:13], s[0:1], v[6:7]
	s_mov_b64 s[0:1], 0
	v_cvt_u32_f64_e32 v6, v[6:7]
	s_branch .LBB22_2360
.LBB22_2358:
	s_mov_b64 s[0:1], -1
                                        ; implicit-def: $vgpr6
	s_branch .LBB22_2363
.LBB22_2359:
	s_mov_b64 s[0:1], -1
                                        ; implicit-def: $vgpr6
.LBB22_2360:
	s_andn2_b64 vcc, exec, s[0:1]
	s_cbranch_vccnz .LBB22_2362
; %bb.2361:
	global_load_dword v6, v[8:9], off
	s_mov_b32 s0, 0x2f800000
	s_waitcnt vmcnt(0)
	v_trunc_f32_e32 v6, v6
	v_mul_f32_e64 v7, |v6|, s0
	v_floor_f32_e32 v7, v7
	s_mov_b32 s0, 0xcf800000
	v_fma_f32 v7, v7, s0, |v6|
	v_cvt_u32_f32_e32 v7, v7
	v_ashrrev_i32_e32 v6, 31, v6
	v_xor_b32_e32 v7, v7, v6
	v_sub_u32_e32 v6, v7, v6
.LBB22_2362:
	s_mov_b64 s[0:1], 0
.LBB22_2363:
	s_andn2_b64 vcc, exec, s[0:1]
	s_cbranch_vccnz .LBB22_2365
; %bb.2364:
	global_load_ushort v6, v[8:9], off
	s_waitcnt vmcnt(0)
	v_cvt_f32_f16_e32 v6, v6
	v_cvt_i32_f32_e32 v6, v6
.LBB22_2365:
	s_mov_b64 s[0:1], 0
.LBB22_2366:
	s_andn2_b64 vcc, exec, s[0:1]
	s_cbranch_vccnz .LBB22_2386
; %bb.2367:
	s_cmp_lt_i32 s10, 2
	s_cbranch_scc1 .LBB22_2371
; %bb.2368:
	s_cmp_lt_i32 s10, 3
	s_cbranch_scc1 .LBB22_2372
; %bb.2369:
	s_cmp_gt_i32 s10, 3
	s_cbranch_scc0 .LBB22_2373
; %bb.2370:
	global_load_dwordx2 v[6:7], v[8:9], off
	s_mov_b64 s[0:1], 0
	s_branch .LBB22_2374
.LBB22_2371:
	s_mov_b64 s[0:1], -1
                                        ; implicit-def: $vgpr6
	s_branch .LBB22_2380
.LBB22_2372:
	s_mov_b64 s[0:1], -1
                                        ; implicit-def: $vgpr6
	s_branch .LBB22_2377
.LBB22_2373:
	s_mov_b64 s[0:1], -1
                                        ; implicit-def: $vgpr6
.LBB22_2374:
	s_andn2_b64 vcc, exec, s[0:1]
	s_cbranch_vccnz .LBB22_2376
; %bb.2375:
	global_load_dword v6, v[8:9], off
.LBB22_2376:
	s_mov_b64 s[0:1], 0
.LBB22_2377:
	s_andn2_b64 vcc, exec, s[0:1]
	s_cbranch_vccnz .LBB22_2379
; %bb.2378:
	global_load_ushort v6, v[8:9], off
.LBB22_2379:
	s_mov_b64 s[0:1], 0
.LBB22_2380:
	s_andn2_b64 vcc, exec, s[0:1]
	s_cbranch_vccnz .LBB22_2386
; %bb.2381:
	s_cmp_gt_i32 s10, 0
	s_cbranch_scc0 .LBB22_2383
; %bb.2382:
	global_load_ubyte v6, v[8:9], off
	s_mov_b64 s[0:1], 0
	s_branch .LBB22_2384
.LBB22_2383:
	s_mov_b64 s[0:1], -1
                                        ; implicit-def: $vgpr6
.LBB22_2384:
	s_andn2_b64 vcc, exec, s[0:1]
	s_cbranch_vccnz .LBB22_2386
; %bb.2385:
	global_load_ubyte v6, v[8:9], off
.LBB22_2386:
	s_mov_b64 s[14:15], -1
.LBB22_2387:
	s_andn2_b64 vcc, exec, s[14:15]
	s_cbranch_vccnz .LBB22_2947
; %bb.2388:
	s_waitcnt vmcnt(0)
	v_add_u32_e32 v7, s22, v10
	v_ashrrev_i32_e32 v8, 31, v7
	v_mov_b32_e32 v10, s3
	v_add_co_u32_e32 v9, vcc, s2, v7
	s_cmp_lt_i32 s25, 11
	v_addc_co_u32_e32 v10, vcc, v10, v8, vcc
	s_cbranch_scc1 .LBB22_2395
; %bb.2389:
	s_and_b32 s13, 0xffff, s25
	s_cmp_gt_i32 s13, 25
	s_mov_b64 s[2:3], 0
	s_cbranch_scc0 .LBB22_2396
; %bb.2390:
	s_cmp_gt_i32 s13, 28
	s_cbranch_scc0 .LBB22_2397
; %bb.2391:
	s_cmp_gt_i32 s13, 43
	;; [unrolled: 3-line block ×3, first 2 shown]
	s_cbranch_scc0 .LBB22_2400
; %bb.2393:
	s_cmp_eq_u32 s13, 46
	s_mov_b64 s[14:15], 0
	s_cbranch_scc0 .LBB22_2401
; %bb.2394:
	global_load_dword v7, v[9:10], off
	s_mov_b32 s0, 0x2f800000
	s_mov_b32 s1, 0xcf800000
	s_mov_b64 s[10:11], -1
	s_waitcnt vmcnt(0)
	v_lshlrev_b32_e32 v7, 16, v7
	v_trunc_f32_e32 v7, v7
	v_mul_f32_e64 v8, |v7|, s0
	v_floor_f32_e32 v8, v8
	v_fma_f32 v8, v8, s1, |v7|
	v_cvt_u32_f32_e32 v8, v8
	v_ashrrev_i32_e32 v7, 31, v7
	s_mov_b64 s[0:1], 0
	v_xor_b32_e32 v8, v8, v7
	v_sub_u32_e32 v7, v8, v7
	s_branch .LBB22_2402
.LBB22_2395:
	s_mov_b64 s[0:1], -1
	s_mov_b64 s[10:11], 0
                                        ; implicit-def: $vgpr7
	s_branch .LBB22_2464
.LBB22_2396:
	s_mov_b64 s[14:15], -1
	s_mov_b64 s[10:11], 0
	s_mov_b64 s[0:1], 0
                                        ; implicit-def: $vgpr7
	s_branch .LBB22_2429
.LBB22_2397:
	s_mov_b64 s[14:15], -1
	s_mov_b64 s[10:11], 0
	s_mov_b64 s[0:1], 0
                                        ; implicit-def: $vgpr7
	s_branch .LBB22_2412
.LBB22_2398:
	s_mov_b64 s[14:15], -1
	s_mov_b64 s[10:11], 0
	s_mov_b64 s[0:1], 0
                                        ; implicit-def: $vgpr7
	s_branch .LBB22_2407
.LBB22_2399:
	s_trap 2
	s_or_b64 s[18:19], s[18:19], exec
	s_cbranch_execz .LBB22_2336
	s_branch .LBB22_2337
.LBB22_2400:
	s_mov_b64 s[14:15], -1
	s_mov_b64 s[10:11], 0
	s_mov_b64 s[0:1], 0
                                        ; implicit-def: $vgpr7
	s_branch .LBB22_2402
.LBB22_2401:
	s_mov_b64 s[0:1], -1
                                        ; implicit-def: $vgpr7
	s_mov_b64 s[10:11], 0
.LBB22_2402:
	s_and_b64 vcc, exec, s[14:15]
	s_cbranch_vccz .LBB22_2406
; %bb.2403:
	s_cmp_eq_u32 s13, 44
	s_cbranch_scc0 .LBB22_2405
; %bb.2404:
	global_load_ubyte v7, v[9:10], off
	s_mov_b32 s0, 0x2f800000
	s_mov_b32 s1, 0xcf800000
	s_mov_b64 s[10:11], -1
	s_waitcnt vmcnt(0)
	v_lshlrev_b32_e32 v8, 23, v7
	v_trunc_f32_e32 v8, v8
	v_mul_f32_e64 v12, |v8|, s0
	v_floor_f32_e32 v12, v12
	v_fma_f32 v12, v12, s1, |v8|
	v_cvt_u32_f32_e32 v12, v12
	v_ashrrev_i32_e32 v8, 31, v8
	v_cmp_ne_u32_e32 vcc, 0, v7
	s_mov_b64 s[0:1], 0
	v_xor_b32_e32 v12, v12, v8
	v_sub_u32_e32 v8, v12, v8
	v_cndmask_b32_e32 v7, 0, v8, vcc
	s_branch .LBB22_2406
.LBB22_2405:
	s_mov_b64 s[0:1], -1
                                        ; implicit-def: $vgpr7
.LBB22_2406:
	s_mov_b64 s[14:15], 0
.LBB22_2407:
	s_and_b64 vcc, exec, s[14:15]
	s_cbranch_vccz .LBB22_2411
; %bb.2408:
	s_cmp_eq_u32 s13, 29
	s_cbranch_scc0 .LBB22_2410
; %bb.2409:
	global_load_dwordx2 v[7:8], v[9:10], off
	s_mov_b64 s[0:1], 0
	s_mov_b64 s[10:11], -1
	s_branch .LBB22_2411
.LBB22_2410:
	s_mov_b64 s[0:1], -1
                                        ; implicit-def: $vgpr7
.LBB22_2411:
	s_mov_b64 s[14:15], 0
.LBB22_2412:
	s_and_b64 vcc, exec, s[14:15]
	s_cbranch_vccz .LBB22_2428
; %bb.2413:
	s_cmp_lt_i32 s13, 27
	s_cbranch_scc1 .LBB22_2416
; %bb.2414:
	s_cmp_gt_i32 s13, 27
	s_cbranch_scc0 .LBB22_2417
; %bb.2415:
	global_load_dword v7, v[9:10], off
	s_mov_b64 s[10:11], 0
	s_branch .LBB22_2418
.LBB22_2416:
	s_mov_b64 s[10:11], -1
                                        ; implicit-def: $vgpr7
	s_branch .LBB22_2421
.LBB22_2417:
	s_mov_b64 s[10:11], -1
                                        ; implicit-def: $vgpr7
.LBB22_2418:
	s_andn2_b64 vcc, exec, s[10:11]
	s_cbranch_vccnz .LBB22_2420
; %bb.2419:
	global_load_ushort v7, v[9:10], off
.LBB22_2420:
	s_mov_b64 s[10:11], 0
.LBB22_2421:
	s_andn2_b64 vcc, exec, s[10:11]
	s_cbranch_vccnz .LBB22_2427
; %bb.2422:
	global_load_ubyte v8, v[9:10], off
	s_movk_i32 s10, 0x7f
	s_mov_b64 s[14:15], 0
	s_waitcnt vmcnt(0)
	v_cmp_lt_i16_e32 vcc, s10, v8
	s_and_saveexec_b64 s[10:11], vcc
	s_xor_b64 s[10:11], exec, s[10:11]
	s_cbranch_execz .LBB22_2439
; %bb.2423:
	s_movk_i32 s14, 0x80
	v_cmp_ne_u16_e32 vcc, s14, v8
	s_and_b64 s[14:15], vcc, exec
	s_andn2_saveexec_b64 s[10:11], s[10:11]
	s_cbranch_execnz .LBB22_2440
.LBB22_2424:
	s_or_b64 exec, exec, s[10:11]
	v_mov_b32_e32 v7, 0
	s_and_saveexec_b64 s[10:11], s[14:15]
	s_cbranch_execz .LBB22_2426
.LBB22_2425:
	v_lshlrev_b32_e32 v7, 24, v8
	v_and_b32_e32 v8, 0xffff, v8
	v_and_b32_e32 v12, 7, v8
	v_ffbh_u32_e32 v14, v12
	v_min_u32_e32 v14, 32, v14
	v_subrev_u32_e32 v15, 28, v14
	v_bfe_u32 v13, v8, 3, 4
	v_lshlrev_b32_e32 v8, v15, v8
	v_sub_u32_e32 v14, 29, v14
	v_and_b32_e32 v8, 7, v8
	v_cmp_eq_u32_e32 vcc, 0, v13
	v_cndmask_b32_e32 v13, v13, v14, vcc
	v_cndmask_b32_e32 v8, v12, v8, vcc
	v_mov_b32_e32 v12, 0x3b800000
	v_lshlrev_b32_e32 v8, 20, v8
	v_and_b32_e32 v7, 0x80000000, v7
	v_lshl_add_u32 v12, v13, 23, v12
	v_or3_b32 v7, v7, v12, v8
	v_trunc_f32_e32 v7, v7
	s_mov_b32 s14, 0x2f800000
	v_mul_f32_e64 v8, |v7|, s14
	v_floor_f32_e32 v8, v8
	s_mov_b32 s14, 0xcf800000
	v_fma_f32 v8, v8, s14, |v7|
	v_cvt_u32_f32_e32 v8, v8
	v_ashrrev_i32_e32 v7, 31, v7
	v_xor_b32_e32 v8, v8, v7
	v_sub_u32_e32 v7, v8, v7
.LBB22_2426:
	s_or_b64 exec, exec, s[10:11]
.LBB22_2427:
	s_mov_b64 s[10:11], -1
.LBB22_2428:
	s_mov_b64 s[14:15], 0
.LBB22_2429:
	s_and_b64 vcc, exec, s[14:15]
	s_cbranch_vccz .LBB22_2460
; %bb.2430:
	s_cmp_gt_i32 s13, 22
	s_cbranch_scc0 .LBB22_2438
; %bb.2431:
	s_cmp_lt_i32 s13, 24
	s_cbranch_scc1 .LBB22_2441
; %bb.2432:
	s_cmp_gt_i32 s13, 24
	s_cbranch_scc0 .LBB22_2442
; %bb.2433:
	global_load_ubyte v8, v[9:10], off
	s_movk_i32 s2, 0x7f
	s_mov_b64 s[10:11], 0
	s_waitcnt vmcnt(0)
	v_cmp_lt_i16_e32 vcc, s2, v8
	s_and_saveexec_b64 s[2:3], vcc
	s_xor_b64 s[2:3], exec, s[2:3]
	s_cbranch_execz .LBB22_2454
; %bb.2434:
	s_movk_i32 s10, 0x80
	v_cmp_ne_u16_e32 vcc, s10, v8
	s_and_b64 s[10:11], vcc, exec
	s_andn2_saveexec_b64 s[2:3], s[2:3]
	s_cbranch_execnz .LBB22_2455
.LBB22_2435:
	s_or_b64 exec, exec, s[2:3]
	v_mov_b32_e32 v7, 0
	s_and_saveexec_b64 s[2:3], s[10:11]
	s_cbranch_execz .LBB22_2437
.LBB22_2436:
	v_lshlrev_b32_e32 v7, 24, v8
	v_and_b32_e32 v8, 0xffff, v8
	v_and_b32_e32 v12, 3, v8
	v_ffbh_u32_e32 v14, v12
	v_min_u32_e32 v14, 32, v14
	v_subrev_u32_e32 v15, 29, v14
	v_bfe_u32 v13, v8, 2, 5
	v_lshlrev_b32_e32 v8, v15, v8
	v_sub_u32_e32 v14, 30, v14
	v_and_b32_e32 v8, 3, v8
	v_cmp_eq_u32_e32 vcc, 0, v13
	v_cndmask_b32_e32 v13, v13, v14, vcc
	v_cndmask_b32_e32 v8, v12, v8, vcc
	v_mov_b32_e32 v12, 0x37800000
	v_lshlrev_b32_e32 v8, 21, v8
	v_and_b32_e32 v7, 0x80000000, v7
	v_lshl_add_u32 v12, v13, 23, v12
	v_or3_b32 v7, v7, v12, v8
	v_trunc_f32_e32 v7, v7
	s_mov_b32 s10, 0x2f800000
	v_mul_f32_e64 v8, |v7|, s10
	v_floor_f32_e32 v8, v8
	s_mov_b32 s10, 0xcf800000
	v_fma_f32 v8, v8, s10, |v7|
	v_cvt_u32_f32_e32 v8, v8
	v_ashrrev_i32_e32 v7, 31, v7
	v_xor_b32_e32 v8, v8, v7
	v_sub_u32_e32 v7, v8, v7
.LBB22_2437:
	s_or_b64 exec, exec, s[2:3]
	s_mov_b64 s[2:3], 0
	s_branch .LBB22_2443
.LBB22_2438:
	s_mov_b64 s[2:3], -1
                                        ; implicit-def: $vgpr7
	s_branch .LBB22_2449
.LBB22_2439:
	s_andn2_saveexec_b64 s[10:11], s[10:11]
	s_cbranch_execz .LBB22_2424
.LBB22_2440:
	v_cmp_ne_u16_e32 vcc, 0, v8
	s_andn2_b64 s[14:15], s[14:15], exec
	s_and_b64 s[16:17], vcc, exec
	s_or_b64 s[14:15], s[14:15], s[16:17]
	s_or_b64 exec, exec, s[10:11]
	v_mov_b32_e32 v7, 0
	s_and_saveexec_b64 s[10:11], s[14:15]
	s_cbranch_execnz .LBB22_2425
	s_branch .LBB22_2426
.LBB22_2441:
	s_mov_b64 s[2:3], -1
                                        ; implicit-def: $vgpr7
	s_branch .LBB22_2446
.LBB22_2442:
	s_mov_b64 s[2:3], -1
                                        ; implicit-def: $vgpr7
.LBB22_2443:
	s_and_b64 vcc, exec, s[2:3]
	s_cbranch_vccz .LBB22_2445
; %bb.2444:
	global_load_ubyte v7, v[9:10], off
	s_mov_b32 s2, 0x7f800000
	s_brev_b32 s3, 1
	s_mov_b32 s10, 0x2f800000
	s_waitcnt vmcnt(0)
	v_lshlrev_b32_e32 v7, 24, v7
	v_and_b32_e32 v8, 0x7f000000, v7
	v_ffbh_u32_e32 v12, v8
	v_min_u32_e32 v12, 32, v12
	v_sub_u32_e64 v12, v12, 4 clamp
	v_lshlrev_b32_e32 v14, v12, v8
	v_lshlrev_b32_e32 v12, 23, v12
	v_lshrrev_b32_e32 v14, 4, v14
	v_add_u32_e32 v13, 0x1000000, v8
	v_sub_u32_e32 v12, v14, v12
	v_ashrrev_i32_e32 v13, 8, v13
	v_add_u32_e32 v12, 0x3c000000, v12
	v_and_or_b32 v12, v13, s2, v12
	v_cmp_ne_u32_e32 vcc, 0, v8
	v_cndmask_b32_e32 v8, 0, v12, vcc
	v_and_or_b32 v7, v7, s3, v8
	v_trunc_f32_e32 v7, v7
	v_mul_f32_e64 v8, |v7|, s10
	v_floor_f32_e32 v8, v8
	s_mov_b32 s2, 0xcf800000
	v_fma_f32 v8, v8, s2, |v7|
	v_cvt_u32_f32_e32 v8, v8
	v_ashrrev_i32_e32 v7, 31, v7
	v_xor_b32_e32 v8, v8, v7
	v_sub_u32_e32 v7, v8, v7
.LBB22_2445:
	s_mov_b64 s[2:3], 0
.LBB22_2446:
	s_andn2_b64 vcc, exec, s[2:3]
	s_cbranch_vccnz .LBB22_2448
; %bb.2447:
	global_load_ubyte v7, v[9:10], off
	s_movk_i32 s2, 0x7f00
	s_brev_b32 s3, 16
	s_brev_b32 s10, 1
	s_mov_b32 s11, 0x2f800000
	s_waitcnt vmcnt(0)
	v_lshlrev_b16_e32 v8, 8, v7
	v_lshlrev_b32_e32 v7, 25, v7
	v_lshrrev_b32_e32 v12, 4, v7
	v_and_or_b32 v13, v8, s2, 0.5
	v_or_b32_e32 v12, 0x70000000, v12
	v_add_f32_e32 v13, -0.5, v13
	v_mul_f32_e32 v12, 0x7800000, v12
	v_cmp_gt_u32_e32 vcc, s3, v7
	v_bfe_i32 v8, v8, 0, 16
	v_cndmask_b32_e32 v7, v12, v13, vcc
	v_and_or_b32 v7, v8, s10, v7
	v_trunc_f32_e32 v7, v7
	v_mul_f32_e64 v8, |v7|, s11
	v_floor_f32_e32 v8, v8
	s_mov_b32 s2, 0xcf800000
	v_fma_f32 v8, v8, s2, |v7|
	v_cvt_u32_f32_e32 v8, v8
	v_ashrrev_i32_e32 v7, 31, v7
	v_xor_b32_e32 v8, v8, v7
	v_sub_u32_e32 v7, v8, v7
.LBB22_2448:
	s_mov_b64 s[2:3], 0
	s_mov_b64 s[10:11], -1
.LBB22_2449:
	s_andn2_b64 vcc, exec, s[2:3]
	s_mov_b64 s[2:3], 0
	s_cbranch_vccnz .LBB22_2460
; %bb.2450:
	s_cmp_gt_i32 s13, 14
	s_cbranch_scc0 .LBB22_2453
; %bb.2451:
	s_cmp_eq_u32 s13, 15
	s_cbranch_scc0 .LBB22_2456
; %bb.2452:
	global_load_ushort v7, v[9:10], off
	s_mov_b32 s0, 0x2f800000
	s_mov_b32 s1, 0xcf800000
	s_mov_b64 s[10:11], -1
	s_waitcnt vmcnt(0)
	v_lshlrev_b32_e32 v7, 16, v7
	v_trunc_f32_e32 v7, v7
	v_mul_f32_e64 v8, |v7|, s0
	v_floor_f32_e32 v8, v8
	v_fma_f32 v8, v8, s1, |v7|
	v_cvt_u32_f32_e32 v8, v8
	v_ashrrev_i32_e32 v7, 31, v7
	s_mov_b64 s[0:1], 0
	v_xor_b32_e32 v8, v8, v7
	v_sub_u32_e32 v7, v8, v7
	s_branch .LBB22_2457
.LBB22_2453:
	s_mov_b64 s[14:15], -1
                                        ; implicit-def: $vgpr7
	s_branch .LBB22_2458
.LBB22_2454:
	s_andn2_saveexec_b64 s[2:3], s[2:3]
	s_cbranch_execz .LBB22_2435
.LBB22_2455:
	v_cmp_ne_u16_e32 vcc, 0, v8
	s_andn2_b64 s[10:11], s[10:11], exec
	s_and_b64 s[14:15], vcc, exec
	s_or_b64 s[10:11], s[10:11], s[14:15]
	s_or_b64 exec, exec, s[2:3]
	v_mov_b32_e32 v7, 0
	s_and_saveexec_b64 s[2:3], s[10:11]
	s_cbranch_execnz .LBB22_2436
	s_branch .LBB22_2437
.LBB22_2456:
	s_mov_b64 s[0:1], -1
                                        ; implicit-def: $vgpr7
.LBB22_2457:
	s_mov_b64 s[14:15], 0
.LBB22_2458:
	s_and_b64 vcc, exec, s[14:15]
	s_cbranch_vccz .LBB22_2460
; %bb.2459:
	s_cmp_lg_u32 s13, 11
	s_mov_b64 s[2:3], -1
	s_cselect_b64 s[0:1], -1, 0
.LBB22_2460:
	s_and_b64 vcc, exec, s[0:1]
	s_cbranch_vccnz .LBB22_2993
; %bb.2461:
	s_andn2_b64 vcc, exec, s[2:3]
	s_cbranch_vccnz .LBB22_2463
.LBB22_2462:
	global_load_ubyte v7, v[9:10], off
	s_mov_b64 s[10:11], -1
	s_waitcnt vmcnt(0)
	v_cmp_ne_u16_e32 vcc, 0, v7
	v_cndmask_b32_e64 v7, 0, 1, vcc
.LBB22_2463:
	s_mov_b64 s[0:1], 0
.LBB22_2464:
	s_and_b64 vcc, exec, s[0:1]
	s_cbranch_vccz .LBB22_2513
; %bb.2465:
	s_and_b32 s2, 0xffff, s25
	s_cmp_lt_i32 s2, 5
	s_cbranch_scc1 .LBB22_2470
; %bb.2466:
	s_cmp_lt_i32 s2, 8
	s_cbranch_scc1 .LBB22_2471
; %bb.2467:
	s_cmp_lt_i32 s2, 9
	s_cbranch_scc1 .LBB22_2472
; %bb.2468:
	s_cmp_gt_i32 s2, 9
	s_cbranch_scc0 .LBB22_2473
; %bb.2469:
	global_load_dwordx2 v[7:8], v[9:10], off
	s_movk_i32 s0, 0xffe0
	s_waitcnt vmcnt(0)
	v_trunc_f64_e32 v[7:8], v[7:8]
	v_ldexp_f64 v[12:13], v[7:8], s0
	s_mov_b32 s0, 0
	s_mov_b32 s1, 0xc1f00000
	v_floor_f64_e32 v[12:13], v[12:13]
	v_fma_f64 v[7:8], v[12:13], s[0:1], v[7:8]
	s_mov_b64 s[0:1], 0
	v_cvt_u32_f64_e32 v7, v[7:8]
	s_branch .LBB22_2474
.LBB22_2470:
	s_mov_b64 s[0:1], -1
                                        ; implicit-def: $vgpr7
	s_branch .LBB22_2492
.LBB22_2471:
	s_mov_b64 s[0:1], -1
                                        ; implicit-def: $vgpr7
	s_branch .LBB22_2480
.LBB22_2472:
	s_mov_b64 s[0:1], -1
                                        ; implicit-def: $vgpr7
	s_branch .LBB22_2477
.LBB22_2473:
	s_mov_b64 s[0:1], -1
                                        ; implicit-def: $vgpr7
.LBB22_2474:
	s_andn2_b64 vcc, exec, s[0:1]
	s_cbranch_vccnz .LBB22_2476
; %bb.2475:
	global_load_dword v7, v[9:10], off
	s_mov_b32 s0, 0x2f800000
	s_waitcnt vmcnt(0)
	v_trunc_f32_e32 v7, v7
	v_mul_f32_e64 v8, |v7|, s0
	v_floor_f32_e32 v8, v8
	s_mov_b32 s0, 0xcf800000
	v_fma_f32 v8, v8, s0, |v7|
	v_cvt_u32_f32_e32 v8, v8
	v_ashrrev_i32_e32 v7, 31, v7
	v_xor_b32_e32 v8, v8, v7
	v_sub_u32_e32 v7, v8, v7
.LBB22_2476:
	s_mov_b64 s[0:1], 0
.LBB22_2477:
	s_andn2_b64 vcc, exec, s[0:1]
	s_cbranch_vccnz .LBB22_2479
; %bb.2478:
	global_load_dword v7, v[9:10], off
	s_waitcnt vmcnt(0)
	v_cvt_f32_f16_e32 v7, v7
	v_cvt_i32_f32_e32 v7, v7
.LBB22_2479:
	s_mov_b64 s[0:1], 0
.LBB22_2480:
	s_andn2_b64 vcc, exec, s[0:1]
	s_cbranch_vccnz .LBB22_2491
; %bb.2481:
	s_cmp_lt_i32 s2, 6
	s_cbranch_scc1 .LBB22_2484
; %bb.2482:
	s_cmp_gt_i32 s2, 6
	s_cbranch_scc0 .LBB22_2485
; %bb.2483:
	global_load_dwordx2 v[7:8], v[9:10], off
	s_movk_i32 s0, 0xffe0
	s_waitcnt vmcnt(0)
	v_trunc_f64_e32 v[7:8], v[7:8]
	v_ldexp_f64 v[12:13], v[7:8], s0
	s_mov_b32 s0, 0
	s_mov_b32 s1, 0xc1f00000
	v_floor_f64_e32 v[12:13], v[12:13]
	v_fma_f64 v[7:8], v[12:13], s[0:1], v[7:8]
	s_mov_b64 s[0:1], 0
	v_cvt_u32_f64_e32 v7, v[7:8]
	s_branch .LBB22_2486
.LBB22_2484:
	s_mov_b64 s[0:1], -1
                                        ; implicit-def: $vgpr7
	s_branch .LBB22_2489
.LBB22_2485:
	s_mov_b64 s[0:1], -1
                                        ; implicit-def: $vgpr7
.LBB22_2486:
	s_andn2_b64 vcc, exec, s[0:1]
	s_cbranch_vccnz .LBB22_2488
; %bb.2487:
	global_load_dword v7, v[9:10], off
	s_mov_b32 s0, 0x2f800000
	s_waitcnt vmcnt(0)
	v_trunc_f32_e32 v7, v7
	v_mul_f32_e64 v8, |v7|, s0
	v_floor_f32_e32 v8, v8
	s_mov_b32 s0, 0xcf800000
	v_fma_f32 v8, v8, s0, |v7|
	v_cvt_u32_f32_e32 v8, v8
	v_ashrrev_i32_e32 v7, 31, v7
	v_xor_b32_e32 v8, v8, v7
	v_sub_u32_e32 v7, v8, v7
.LBB22_2488:
	s_mov_b64 s[0:1], 0
.LBB22_2489:
	s_andn2_b64 vcc, exec, s[0:1]
	s_cbranch_vccnz .LBB22_2491
; %bb.2490:
	global_load_ushort v7, v[9:10], off
	s_waitcnt vmcnt(0)
	v_cvt_f32_f16_e32 v7, v7
	v_cvt_i32_f32_e32 v7, v7
.LBB22_2491:
	s_mov_b64 s[0:1], 0
.LBB22_2492:
	s_andn2_b64 vcc, exec, s[0:1]
	s_cbranch_vccnz .LBB22_2512
; %bb.2493:
	s_cmp_lt_i32 s2, 2
	s_cbranch_scc1 .LBB22_2497
; %bb.2494:
	s_cmp_lt_i32 s2, 3
	s_cbranch_scc1 .LBB22_2498
; %bb.2495:
	s_cmp_gt_i32 s2, 3
	s_cbranch_scc0 .LBB22_2499
; %bb.2496:
	global_load_dwordx2 v[7:8], v[9:10], off
	s_mov_b64 s[0:1], 0
	s_branch .LBB22_2500
.LBB22_2497:
	s_mov_b64 s[0:1], -1
                                        ; implicit-def: $vgpr7
	s_branch .LBB22_2506
.LBB22_2498:
	s_mov_b64 s[0:1], -1
                                        ; implicit-def: $vgpr7
	s_branch .LBB22_2503
.LBB22_2499:
	s_mov_b64 s[0:1], -1
                                        ; implicit-def: $vgpr7
.LBB22_2500:
	s_andn2_b64 vcc, exec, s[0:1]
	s_cbranch_vccnz .LBB22_2502
; %bb.2501:
	global_load_dword v7, v[9:10], off
.LBB22_2502:
	s_mov_b64 s[0:1], 0
.LBB22_2503:
	s_andn2_b64 vcc, exec, s[0:1]
	s_cbranch_vccnz .LBB22_2505
; %bb.2504:
	global_load_ushort v7, v[9:10], off
.LBB22_2505:
	s_mov_b64 s[0:1], 0
.LBB22_2506:
	s_andn2_b64 vcc, exec, s[0:1]
	s_cbranch_vccnz .LBB22_2512
; %bb.2507:
	s_cmp_gt_i32 s2, 0
	s_cbranch_scc0 .LBB22_2509
; %bb.2508:
	global_load_ubyte v7, v[9:10], off
	s_mov_b64 s[0:1], 0
	s_branch .LBB22_2510
.LBB22_2509:
	s_mov_b64 s[0:1], -1
                                        ; implicit-def: $vgpr7
.LBB22_2510:
	s_andn2_b64 vcc, exec, s[0:1]
	s_cbranch_vccnz .LBB22_2512
; %bb.2511:
	global_load_ubyte v7, v[9:10], off
.LBB22_2512:
	s_mov_b64 s[10:11], -1
.LBB22_2513:
	s_andn2_b64 vcc, exec, s[10:11]
	s_cbranch_vccnz .LBB22_2947
; %bb.2514:
	s_waitcnt vmcnt(0)
	v_mul_lo_u32 v8, s12, v11
	v_mov_b32_e32 v9, 8
	v_lshlrev_b32_e32 v0, v1, v0
	v_cmp_lt_u16_sdwa vcc, v1, v9 src0_sel:BYTE_0 src1_sel:DWORD
	v_cndmask_b32_e32 v9, 0, v0, vcc
	v_ashrrev_i32_e32 v1, 31, v8
	v_mov_b32_e32 v10, s9
	s_and_b32 s20, s33, 0xff
	v_add_co_u32_e32 v0, vcc, s8, v8
	s_cmp_lt_i32 s20, 11
	v_addc_co_u32_e32 v1, vcc, v10, v1, vcc
	s_cbranch_scc1 .LBB22_2592
; %bb.2515:
	s_and_b32 s13, 0xffff, s20
	s_mov_b64 s[14:15], -1
	s_mov_b64 s[2:3], 0
	s_cmp_gt_i32 s13, 25
	s_mov_b64 s[10:11], 0
	s_mov_b64 s[0:1], 0
	s_cbranch_scc0 .LBB22_2548
; %bb.2516:
	s_cmp_gt_i32 s13, 28
	s_cbranch_scc0 .LBB22_2531
; %bb.2517:
	s_cmp_gt_i32 s13, 43
	;; [unrolled: 3-line block ×3, first 2 shown]
	s_cbranch_scc0 .LBB22_2521
; %bb.2519:
	s_mov_b64 s[0:1], -1
	s_mov_b64 s[14:15], 0
	s_cmp_eq_u32 s13, 46
	s_cbranch_scc0 .LBB22_2521
; %bb.2520:
	v_cvt_f32_ubyte0_e32 v10, v9
	v_bfe_u32 v11, v10, 16, 1
	s_movk_i32 s0, 0x7fff
	v_add3_u32 v10, v10, v11, s0
	v_lshrrev_b32_e32 v10, 16, v10
	global_store_dword v[0:1], v10, off
	s_mov_b64 s[0:1], 0
	s_mov_b64 s[10:11], -1
.LBB22_2521:
	s_and_b64 vcc, exec, s[14:15]
	s_cbranch_vccz .LBB22_2526
; %bb.2522:
	s_cmp_eq_u32 s13, 44
	s_mov_b64 s[0:1], -1
	s_cbranch_scc0 .LBB22_2526
; %bb.2523:
	v_cvt_f32_ubyte0_e32 v11, v9
	v_lshrrev_b32_e32 v10, 23, v11
	s_movk_i32 s0, 0xff
	v_cmp_ne_u32_e32 vcc, s0, v10
	v_mov_b32_e32 v12, 0xff
	s_and_saveexec_b64 s[10:11], vcc
; %bb.2524:
	s_mov_b32 s0, 0x3fffff
	v_and_b32_e32 v12, 0x400000, v11
	v_and_or_b32 v11, v11, s0, v10
	v_cmp_ne_u32_e32 vcc, 0, v12
	v_cmp_ne_u32_e64 s[0:1], 0, v11
	s_and_b64 s[0:1], vcc, s[0:1]
	v_cndmask_b32_e64 v11, 0, 1, s[0:1]
	v_add_u32_e32 v12, v10, v11
; %bb.2525:
	s_or_b64 exec, exec, s[10:11]
	s_mov_b64 s[0:1], 0
	s_mov_b64 s[10:11], -1
	global_store_byte v[0:1], v12, off
.LBB22_2526:
	s_mov_b64 s[14:15], 0
.LBB22_2527:
	s_and_b64 vcc, exec, s[14:15]
	s_cbranch_vccz .LBB22_2530
; %bb.2528:
	s_cmp_eq_u32 s13, 29
	s_mov_b64 s[0:1], -1
	s_cbranch_scc0 .LBB22_2530
; %bb.2529:
	v_and_b32_e32 v10, 0xff, v9
	v_mov_b32_e32 v11, 0
	global_store_dwordx2 v[0:1], v[10:11], off
	s_mov_b64 s[0:1], 0
	s_mov_b64 s[10:11], -1
.LBB22_2530:
	s_mov_b64 s[14:15], 0
.LBB22_2531:
	s_and_b64 vcc, exec, s[14:15]
	s_cbranch_vccz .LBB22_2547
; %bb.2532:
	s_cmp_lt_i32 s13, 27
	s_mov_b64 s[10:11], -1
	s_cbranch_scc1 .LBB22_2538
; %bb.2533:
	s_cmp_gt_i32 s13, 27
	s_cbranch_scc0 .LBB22_2535
; %bb.2534:
	v_and_b32_e32 v10, 0xff, v9
	s_mov_b64 s[10:11], 0
	global_store_dword v[0:1], v10, off
.LBB22_2535:
	s_andn2_b64 vcc, exec, s[10:11]
	s_cbranch_vccnz .LBB22_2537
; %bb.2536:
	v_and_b32_e32 v10, 0xff, v9
	global_store_short v[0:1], v10, off
.LBB22_2537:
	s_mov_b64 s[10:11], 0
.LBB22_2538:
	s_andn2_b64 vcc, exec, s[10:11]
	s_cbranch_vccnz .LBB22_2546
; %bb.2539:
	v_cvt_f32_ubyte0_e32 v11, v9
	s_mov_b32 s10, 0x43800000
	v_cmp_gt_u32_e32 vcc, s10, v11
	v_mov_b32_e32 v12, 0x80
	s_and_saveexec_b64 s[10:11], vcc
	s_cbranch_execz .LBB22_2545
; %bb.2540:
	s_mov_b32 s14, 0x3bffffff
	v_cmp_lt_u32_e32 vcc, s14, v11
	s_mov_b64 s[14:15], 0
                                        ; implicit-def: $vgpr10
	s_and_saveexec_b64 s[16:17], vcc
	s_xor_b64 s[16:17], exec, s[16:17]
	s_cbranch_execz .LBB22_2994
; %bb.2541:
	v_bfe_u32 v10, v11, 20, 1
	s_mov_b32 s21, 0x487ffff
	v_add3_u32 v10, v11, v10, s21
	s_mov_b64 s[14:15], exec
	v_lshrrev_b32_e32 v10, 20, v10
                                        ; implicit-def: $vgpr11
	s_andn2_saveexec_b64 s[16:17], s[16:17]
	s_cbranch_execnz .LBB22_2995
.LBB22_2542:
	s_or_b64 exec, exec, s[16:17]
	v_mov_b32_e32 v12, 0
	s_and_saveexec_b64 s[16:17], s[14:15]
.LBB22_2543:
	v_mov_b32_e32 v12, v10
.LBB22_2544:
	s_or_b64 exec, exec, s[16:17]
.LBB22_2545:
	s_or_b64 exec, exec, s[10:11]
	global_store_byte v[0:1], v12, off
.LBB22_2546:
	s_mov_b64 s[10:11], -1
.LBB22_2547:
	s_mov_b64 s[14:15], 0
.LBB22_2548:
	s_and_b64 vcc, exec, s[14:15]
	s_cbranch_vccz .LBB22_2588
; %bb.2549:
	s_cmp_gt_i32 s13, 22
	s_mov_b64 s[2:3], -1
	s_cbranch_scc0 .LBB22_2581
; %bb.2550:
	s_cmp_lt_i32 s13, 24
	s_cbranch_scc1 .LBB22_2570
; %bb.2551:
	s_cmp_gt_i32 s13, 24
	s_cbranch_scc0 .LBB22_2559
; %bb.2552:
	v_cvt_f32_ubyte0_e32 v11, v9
	s_mov_b32 s2, 0x47800000
	v_cmp_gt_u32_e32 vcc, s2, v11
	v_mov_b32_e32 v12, 0x80
	s_and_saveexec_b64 s[2:3], vcc
	s_cbranch_execz .LBB22_2558
; %bb.2553:
	s_mov_b32 s10, 0x37ffffff
	v_cmp_lt_u32_e32 vcc, s10, v11
	s_mov_b64 s[10:11], 0
                                        ; implicit-def: $vgpr10
	s_and_saveexec_b64 s[14:15], vcc
	s_xor_b64 s[14:15], exec, s[14:15]
	s_cbranch_execz .LBB22_2997
; %bb.2554:
	v_bfe_u32 v10, v11, 21, 1
	s_mov_b32 s16, 0x88fffff
	v_add3_u32 v10, v11, v10, s16
	s_mov_b64 s[10:11], exec
	v_lshrrev_b32_e32 v10, 21, v10
                                        ; implicit-def: $vgpr11
	s_andn2_saveexec_b64 s[14:15], s[14:15]
	s_cbranch_execnz .LBB22_2998
.LBB22_2555:
	s_or_b64 exec, exec, s[14:15]
	v_mov_b32_e32 v12, 0
	s_and_saveexec_b64 s[14:15], s[10:11]
.LBB22_2556:
	v_mov_b32_e32 v12, v10
.LBB22_2557:
	s_or_b64 exec, exec, s[14:15]
.LBB22_2558:
	s_or_b64 exec, exec, s[2:3]
	s_mov_b64 s[2:3], 0
	global_store_byte v[0:1], v12, off
.LBB22_2559:
	s_and_b64 vcc, exec, s[2:3]
	s_cbranch_vccz .LBB22_2569
; %bb.2560:
	v_cvt_f32_ubyte0_e32 v10, v9
	s_mov_b32 s2, 0x43f00000
	v_cmp_gt_u32_e32 vcc, s2, v10
                                        ; implicit-def: $vgpr11
	s_and_saveexec_b64 s[2:3], vcc
	s_xor_b64 s[2:3], exec, s[2:3]
	s_cbranch_execz .LBB22_2566
; %bb.2561:
	s_mov_b32 s10, 0x3c7fffff
	v_cmp_lt_u32_e32 vcc, s10, v10
                                        ; implicit-def: $vgpr11
	s_and_saveexec_b64 s[10:11], vcc
	s_xor_b64 s[10:11], exec, s[10:11]
; %bb.2562:
	v_bfe_u32 v11, v10, 20, 1
	s_mov_b32 s14, 0x407ffff
	v_add3_u32 v10, v10, v11, s14
	v_lshrrev_b32_e32 v11, 20, v10
	v_and_b32_e32 v10, 0xff00000, v10
	s_mov_b32 s14, 0x7f00000
	v_mov_b32_e32 v12, 0x7e
	v_cmp_ne_u32_e32 vcc, s14, v10
	v_cndmask_b32_e32 v11, v12, v11, vcc
                                        ; implicit-def: $vgpr10
; %bb.2563:
	s_andn2_saveexec_b64 s[10:11], s[10:11]
; %bb.2564:
	v_add_f32_e32 v11, 0x46800000, v10
; %bb.2565:
	s_or_b64 exec, exec, s[10:11]
                                        ; implicit-def: $vgpr10
.LBB22_2566:
	s_andn2_saveexec_b64 s[2:3], s[2:3]
; %bb.2567:
	s_mov_b32 s10, 0x7f800000
	v_mov_b32_e32 v11, 0x7e
	v_mov_b32_e32 v12, 0x7f
	v_cmp_lt_u32_e32 vcc, s10, v10
	v_cndmask_b32_e32 v11, v11, v12, vcc
; %bb.2568:
	s_or_b64 exec, exec, s[2:3]
	global_store_byte v[0:1], v11, off
.LBB22_2569:
	s_mov_b64 s[2:3], 0
.LBB22_2570:
	s_andn2_b64 vcc, exec, s[2:3]
	s_cbranch_vccnz .LBB22_2580
; %bb.2571:
	v_cvt_f32_ubyte0_e32 v10, v9
	s_mov_b32 s2, 0x47800000
	v_cmp_gt_u32_e32 vcc, s2, v10
                                        ; implicit-def: $vgpr11
	s_and_saveexec_b64 s[2:3], vcc
	s_xor_b64 s[2:3], exec, s[2:3]
	s_cbranch_execz .LBB22_2577
; %bb.2572:
	s_mov_b32 s10, 0x387fffff
	v_cmp_lt_u32_e32 vcc, s10, v10
                                        ; implicit-def: $vgpr11
	s_and_saveexec_b64 s[10:11], vcc
	s_xor_b64 s[10:11], exec, s[10:11]
; %bb.2573:
	v_bfe_u32 v11, v10, 21, 1
	s_mov_b32 s14, 0x80fffff
	v_add3_u32 v10, v10, v11, s14
	v_lshrrev_b32_e32 v11, 21, v10
                                        ; implicit-def: $vgpr10
; %bb.2574:
	s_andn2_saveexec_b64 s[10:11], s[10:11]
; %bb.2575:
	v_add_f32_e32 v11, 0x43000000, v10
; %bb.2576:
	s_or_b64 exec, exec, s[10:11]
                                        ; implicit-def: $vgpr10
.LBB22_2577:
	s_andn2_saveexec_b64 s[2:3], s[2:3]
; %bb.2578:
	s_mov_b32 s10, 0x7f800000
	v_mov_b32_e32 v11, 0x7c
	v_mov_b32_e32 v12, 0x7f
	v_cmp_lt_u32_e32 vcc, s10, v10
	v_cndmask_b32_e32 v11, v11, v12, vcc
; %bb.2579:
	s_or_b64 exec, exec, s[2:3]
	global_store_byte v[0:1], v11, off
.LBB22_2580:
	s_mov_b64 s[2:3], 0
	s_mov_b64 s[10:11], -1
.LBB22_2581:
	s_andn2_b64 vcc, exec, s[2:3]
	s_mov_b64 s[2:3], 0
	s_cbranch_vccnz .LBB22_2588
; %bb.2582:
	s_cmp_gt_i32 s13, 14
	s_mov_b64 s[14:15], -1
	s_cbranch_scc0 .LBB22_2586
; %bb.2583:
	s_cmp_eq_u32 s13, 15
	s_mov_b64 s[0:1], -1
	s_cbranch_scc0 .LBB22_2585
; %bb.2584:
	v_cvt_f32_ubyte0_e32 v10, v9
	v_bfe_u32 v11, v10, 16, 1
	s_movk_i32 s0, 0x7fff
	v_add3_u32 v10, v10, v11, s0
	global_store_short_d16_hi v[0:1], v10, off
	s_mov_b64 s[0:1], 0
	s_mov_b64 s[10:11], -1
.LBB22_2585:
	s_mov_b64 s[14:15], 0
.LBB22_2586:
	s_and_b64 vcc, exec, s[14:15]
	s_cbranch_vccz .LBB22_2588
; %bb.2587:
	s_cmp_lg_u32 s13, 11
	s_mov_b64 s[2:3], -1
	s_cselect_b64 s[0:1], -1, 0
.LBB22_2588:
	s_and_b64 vcc, exec, s[0:1]
	s_cbranch_vccnz .LBB22_2996
; %bb.2589:
	s_andn2_b64 vcc, exec, s[2:3]
	s_cbranch_vccnz .LBB22_2591
.LBB22_2590:
	v_mov_b32_e32 v10, 0
	v_cmp_ne_u16_sdwa s[0:1], v9, v10 src0_sel:BYTE_0 src1_sel:DWORD
	v_cndmask_b32_e64 v10, 0, 1, s[0:1]
	s_mov_b64 s[10:11], -1
	global_store_byte v[0:1], v10, off
.LBB22_2591:
	s_mov_b64 s[0:1], 0
	s_branch .LBB22_2593
.LBB22_2592:
	s_mov_b64 s[0:1], -1
	s_mov_b64 s[10:11], 0
.LBB22_2593:
	s_and_b64 vcc, exec, s[0:1]
	s_cbranch_vccz .LBB22_2632
; %bb.2594:
	s_and_b32 s2, 0xffff, s20
	s_cmp_lt_i32 s2, 5
	s_mov_b64 s[0:1], -1
	s_cbranch_scc1 .LBB22_2615
; %bb.2595:
	s_cmp_lt_i32 s2, 8
	s_cbranch_scc1 .LBB22_2605
; %bb.2596:
	s_cmp_lt_i32 s2, 9
	s_cbranch_scc1 .LBB22_2602
; %bb.2597:
	s_cmp_gt_i32 s2, 9
	s_cbranch_scc0 .LBB22_2599
; %bb.2598:
	s_mov_b32 s0, 0xffff
	v_and_b32_sdwa v10, s0, v9 dst_sel:DWORD dst_unused:UNUSED_PAD src0_sel:DWORD src1_sel:BYTE_0
	v_cvt_f64_u32_e32 v[10:11], v10
	v_mov_b32_e32 v12, 0
	v_mov_b32_e32 v13, v12
	s_mov_b64 s[0:1], 0
	global_store_dwordx4 v[0:1], v[10:13], off
.LBB22_2599:
	s_andn2_b64 vcc, exec, s[0:1]
	s_cbranch_vccnz .LBB22_2601
; %bb.2600:
	v_cvt_f32_ubyte0_e32 v10, v9
	v_mov_b32_e32 v11, 0
	global_store_dwordx2 v[0:1], v[10:11], off
.LBB22_2601:
	s_mov_b64 s[0:1], 0
.LBB22_2602:
	s_andn2_b64 vcc, exec, s[0:1]
	s_cbranch_vccnz .LBB22_2604
; %bb.2603:
	v_cvt_f16_u16_sdwa v10, v9 dst_sel:DWORD dst_unused:UNUSED_PAD src0_sel:BYTE_0
	global_store_dword v[0:1], v10, off
.LBB22_2604:
	s_mov_b64 s[0:1], 0
.LBB22_2605:
	s_andn2_b64 vcc, exec, s[0:1]
	s_cbranch_vccnz .LBB22_2614
; %bb.2606:
	s_cmp_lt_i32 s2, 6
	s_mov_b64 s[0:1], -1
	s_cbranch_scc1 .LBB22_2612
; %bb.2607:
	s_cmp_gt_i32 s2, 6
	s_cbranch_scc0 .LBB22_2609
; %bb.2608:
	s_mov_b32 s0, 0xffff
	v_and_b32_sdwa v10, s0, v9 dst_sel:DWORD dst_unused:UNUSED_PAD src0_sel:DWORD src1_sel:BYTE_0
	v_cvt_f64_u32_e32 v[10:11], v10
	s_mov_b64 s[0:1], 0
	global_store_dwordx2 v[0:1], v[10:11], off
.LBB22_2609:
	s_andn2_b64 vcc, exec, s[0:1]
	s_cbranch_vccnz .LBB22_2611
; %bb.2610:
	v_cvt_f32_ubyte0_e32 v10, v9
	global_store_dword v[0:1], v10, off
.LBB22_2611:
	s_mov_b64 s[0:1], 0
.LBB22_2612:
	s_andn2_b64 vcc, exec, s[0:1]
	s_cbranch_vccnz .LBB22_2614
; %bb.2613:
	v_cvt_f16_u16_sdwa v10, v9 dst_sel:DWORD dst_unused:UNUSED_PAD src0_sel:BYTE_0
	global_store_short v[0:1], v10, off
.LBB22_2614:
	s_mov_b64 s[0:1], 0
.LBB22_2615:
	s_andn2_b64 vcc, exec, s[0:1]
	s_cbranch_vccnz .LBB22_2631
; %bb.2616:
	s_cmp_lt_i32 s2, 2
	s_mov_b64 s[0:1], -1
	s_cbranch_scc1 .LBB22_2626
; %bb.2617:
	s_cmp_lt_i32 s2, 3
	s_cbranch_scc1 .LBB22_2623
; %bb.2618:
	s_cmp_gt_i32 s2, 3
	s_cbranch_scc0 .LBB22_2620
; %bb.2619:
	v_and_b32_e32 v10, 0xff, v9
	v_mov_b32_e32 v11, 0
	global_store_dwordx2 v[0:1], v[10:11], off
	s_mov_b64 s[0:1], 0
.LBB22_2620:
	s_andn2_b64 vcc, exec, s[0:1]
	s_cbranch_vccnz .LBB22_2622
; %bb.2621:
	v_and_b32_e32 v10, 0xff, v9
	global_store_dword v[0:1], v10, off
.LBB22_2622:
	s_mov_b64 s[0:1], 0
.LBB22_2623:
	s_andn2_b64 vcc, exec, s[0:1]
	s_cbranch_vccnz .LBB22_2625
; %bb.2624:
	v_and_b32_e32 v10, 0xff, v9
	global_store_short v[0:1], v10, off
.LBB22_2625:
	s_mov_b64 s[0:1], 0
.LBB22_2626:
	s_andn2_b64 vcc, exec, s[0:1]
	s_cbranch_vccnz .LBB22_2631
; %bb.2627:
	s_cmp_gt_i32 s2, 0
	s_mov_b64 s[0:1], -1
	s_cbranch_scc0 .LBB22_2629
; %bb.2628:
	global_store_byte v[0:1], v9, off
	s_mov_b64 s[0:1], 0
.LBB22_2629:
	s_andn2_b64 vcc, exec, s[0:1]
	s_cbranch_vccnz .LBB22_2631
; %bb.2630:
	global_store_byte v[0:1], v9, off
.LBB22_2631:
	s_mov_b64 s[10:11], -1
.LBB22_2632:
	s_andn2_b64 vcc, exec, s[10:11]
	s_cbranch_vccnz .LBB22_2947
; %bb.2633:
	v_mov_b32_e32 v1, 8
	s_lshl_b32 s16, s12, 7
	v_lshlrev_b32_e32 v0, v3, v2
	v_cmp_lt_u16_sdwa vcc, v3, v1 src0_sel:BYTE_0 src1_sel:DWORD
	v_add_u32_e32 v2, s16, v8
	v_cndmask_b32_e32 v3, 0, v0, vcc
	v_ashrrev_i32_e32 v1, 31, v2
	v_mov_b32_e32 v8, s9
	v_add_co_u32_e32 v0, vcc, s8, v2
	s_cmp_lt_i32 s20, 11
	v_addc_co_u32_e32 v1, vcc, v8, v1, vcc
	s_cbranch_scc1 .LBB22_2711
; %bb.2634:
	s_and_b32 s17, 0xffff, s20
	s_mov_b64 s[12:13], -1
	s_mov_b64 s[2:3], 0
	s_cmp_gt_i32 s17, 25
	s_mov_b64 s[10:11], 0
	s_mov_b64 s[0:1], 0
	s_cbranch_scc0 .LBB22_2667
; %bb.2635:
	s_cmp_gt_i32 s17, 28
	s_cbranch_scc0 .LBB22_2650
; %bb.2636:
	s_cmp_gt_i32 s17, 43
	;; [unrolled: 3-line block ×3, first 2 shown]
	s_cbranch_scc0 .LBB22_2640
; %bb.2638:
	s_mov_b64 s[0:1], -1
	s_mov_b64 s[12:13], 0
	s_cmp_eq_u32 s17, 46
	s_cbranch_scc0 .LBB22_2640
; %bb.2639:
	v_cvt_f32_ubyte0_e32 v8, v3
	v_bfe_u32 v9, v8, 16, 1
	s_movk_i32 s0, 0x7fff
	v_add3_u32 v8, v8, v9, s0
	v_lshrrev_b32_e32 v8, 16, v8
	global_store_dword v[0:1], v8, off
	s_mov_b64 s[0:1], 0
	s_mov_b64 s[10:11], -1
.LBB22_2640:
	s_and_b64 vcc, exec, s[12:13]
	s_cbranch_vccz .LBB22_2645
; %bb.2641:
	s_cmp_eq_u32 s17, 44
	s_mov_b64 s[0:1], -1
	s_cbranch_scc0 .LBB22_2645
; %bb.2642:
	v_cvt_f32_ubyte0_e32 v9, v3
	v_lshrrev_b32_e32 v8, 23, v9
	s_movk_i32 s0, 0xff
	v_cmp_ne_u32_e32 vcc, s0, v8
	v_mov_b32_e32 v10, 0xff
	s_and_saveexec_b64 s[10:11], vcc
; %bb.2643:
	s_mov_b32 s0, 0x3fffff
	v_and_b32_e32 v10, 0x400000, v9
	v_and_or_b32 v9, v9, s0, v8
	v_cmp_ne_u32_e32 vcc, 0, v10
	v_cmp_ne_u32_e64 s[0:1], 0, v9
	s_and_b64 s[0:1], vcc, s[0:1]
	v_cndmask_b32_e64 v9, 0, 1, s[0:1]
	v_add_u32_e32 v10, v8, v9
; %bb.2644:
	s_or_b64 exec, exec, s[10:11]
	s_mov_b64 s[0:1], 0
	s_mov_b64 s[10:11], -1
	global_store_byte v[0:1], v10, off
.LBB22_2645:
	s_mov_b64 s[12:13], 0
.LBB22_2646:
	s_and_b64 vcc, exec, s[12:13]
	s_cbranch_vccz .LBB22_2649
; %bb.2647:
	s_cmp_eq_u32 s17, 29
	s_mov_b64 s[0:1], -1
	s_cbranch_scc0 .LBB22_2649
; %bb.2648:
	v_and_b32_e32 v8, 0xff, v3
	v_mov_b32_e32 v9, 0
	global_store_dwordx2 v[0:1], v[8:9], off
	s_mov_b64 s[0:1], 0
	s_mov_b64 s[10:11], -1
.LBB22_2649:
	s_mov_b64 s[12:13], 0
.LBB22_2650:
	s_and_b64 vcc, exec, s[12:13]
	s_cbranch_vccz .LBB22_2666
; %bb.2651:
	s_cmp_lt_i32 s17, 27
	s_mov_b64 s[10:11], -1
	s_cbranch_scc1 .LBB22_2657
; %bb.2652:
	s_cmp_gt_i32 s17, 27
	s_cbranch_scc0 .LBB22_2654
; %bb.2653:
	v_and_b32_e32 v8, 0xff, v3
	s_mov_b64 s[10:11], 0
	global_store_dword v[0:1], v8, off
.LBB22_2654:
	s_andn2_b64 vcc, exec, s[10:11]
	s_cbranch_vccnz .LBB22_2656
; %bb.2655:
	v_and_b32_e32 v8, 0xff, v3
	global_store_short v[0:1], v8, off
.LBB22_2656:
	s_mov_b64 s[10:11], 0
.LBB22_2657:
	s_andn2_b64 vcc, exec, s[10:11]
	s_cbranch_vccnz .LBB22_2665
; %bb.2658:
	v_cvt_f32_ubyte0_e32 v9, v3
	s_mov_b32 s10, 0x43800000
	v_cmp_gt_u32_e32 vcc, s10, v9
	v_mov_b32_e32 v10, 0x80
	s_and_saveexec_b64 s[10:11], vcc
	s_cbranch_execz .LBB22_2664
; %bb.2659:
	s_mov_b32 s12, 0x3bffffff
	v_cmp_lt_u32_e32 vcc, s12, v9
	s_mov_b64 s[12:13], 0
                                        ; implicit-def: $vgpr8
	s_and_saveexec_b64 s[14:15], vcc
	s_xor_b64 s[14:15], exec, s[14:15]
	s_cbranch_execz .LBB22_2999
; %bb.2660:
	v_bfe_u32 v8, v9, 20, 1
	s_mov_b32 s21, 0x487ffff
	v_add3_u32 v8, v9, v8, s21
	s_mov_b64 s[12:13], exec
	v_lshrrev_b32_e32 v8, 20, v8
                                        ; implicit-def: $vgpr9
	s_andn2_saveexec_b64 s[14:15], s[14:15]
	s_cbranch_execnz .LBB22_3000
.LBB22_2661:
	s_or_b64 exec, exec, s[14:15]
	v_mov_b32_e32 v10, 0
	s_and_saveexec_b64 s[14:15], s[12:13]
.LBB22_2662:
	v_mov_b32_e32 v10, v8
.LBB22_2663:
	s_or_b64 exec, exec, s[14:15]
.LBB22_2664:
	s_or_b64 exec, exec, s[10:11]
	global_store_byte v[0:1], v10, off
.LBB22_2665:
	s_mov_b64 s[10:11], -1
.LBB22_2666:
	s_mov_b64 s[12:13], 0
.LBB22_2667:
	s_and_b64 vcc, exec, s[12:13]
	s_cbranch_vccz .LBB22_2707
; %bb.2668:
	s_cmp_gt_i32 s17, 22
	s_mov_b64 s[2:3], -1
	s_cbranch_scc0 .LBB22_2700
; %bb.2669:
	s_cmp_lt_i32 s17, 24
	s_cbranch_scc1 .LBB22_2689
; %bb.2670:
	s_cmp_gt_i32 s17, 24
	s_cbranch_scc0 .LBB22_2678
; %bb.2671:
	v_cvt_f32_ubyte0_e32 v9, v3
	s_mov_b32 s2, 0x47800000
	v_cmp_gt_u32_e32 vcc, s2, v9
	v_mov_b32_e32 v10, 0x80
	s_and_saveexec_b64 s[2:3], vcc
	s_cbranch_execz .LBB22_2677
; %bb.2672:
	s_mov_b32 s10, 0x37ffffff
	v_cmp_lt_u32_e32 vcc, s10, v9
	s_mov_b64 s[10:11], 0
                                        ; implicit-def: $vgpr8
	s_and_saveexec_b64 s[12:13], vcc
	s_xor_b64 s[12:13], exec, s[12:13]
	s_cbranch_execz .LBB22_3002
; %bb.2673:
	v_bfe_u32 v8, v9, 21, 1
	s_mov_b32 s14, 0x88fffff
	v_add3_u32 v8, v9, v8, s14
	s_mov_b64 s[10:11], exec
	v_lshrrev_b32_e32 v8, 21, v8
                                        ; implicit-def: $vgpr9
	s_andn2_saveexec_b64 s[12:13], s[12:13]
	s_cbranch_execnz .LBB22_3003
.LBB22_2674:
	s_or_b64 exec, exec, s[12:13]
	v_mov_b32_e32 v10, 0
	s_and_saveexec_b64 s[12:13], s[10:11]
.LBB22_2675:
	v_mov_b32_e32 v10, v8
.LBB22_2676:
	s_or_b64 exec, exec, s[12:13]
.LBB22_2677:
	s_or_b64 exec, exec, s[2:3]
	s_mov_b64 s[2:3], 0
	global_store_byte v[0:1], v10, off
.LBB22_2678:
	s_and_b64 vcc, exec, s[2:3]
	s_cbranch_vccz .LBB22_2688
; %bb.2679:
	v_cvt_f32_ubyte0_e32 v8, v3
	s_mov_b32 s2, 0x43f00000
	v_cmp_gt_u32_e32 vcc, s2, v8
                                        ; implicit-def: $vgpr9
	s_and_saveexec_b64 s[2:3], vcc
	s_xor_b64 s[2:3], exec, s[2:3]
	s_cbranch_execz .LBB22_2685
; %bb.2680:
	s_mov_b32 s10, 0x3c7fffff
	v_cmp_lt_u32_e32 vcc, s10, v8
                                        ; implicit-def: $vgpr9
	s_and_saveexec_b64 s[10:11], vcc
	s_xor_b64 s[10:11], exec, s[10:11]
; %bb.2681:
	v_bfe_u32 v9, v8, 20, 1
	s_mov_b32 s12, 0x407ffff
	v_add3_u32 v8, v8, v9, s12
	v_lshrrev_b32_e32 v9, 20, v8
	v_and_b32_e32 v8, 0xff00000, v8
	s_mov_b32 s12, 0x7f00000
	v_mov_b32_e32 v10, 0x7e
	v_cmp_ne_u32_e32 vcc, s12, v8
	v_cndmask_b32_e32 v9, v10, v9, vcc
                                        ; implicit-def: $vgpr8
; %bb.2682:
	s_andn2_saveexec_b64 s[10:11], s[10:11]
; %bb.2683:
	v_add_f32_e32 v9, 0x46800000, v8
; %bb.2684:
	s_or_b64 exec, exec, s[10:11]
                                        ; implicit-def: $vgpr8
.LBB22_2685:
	s_andn2_saveexec_b64 s[2:3], s[2:3]
; %bb.2686:
	s_mov_b32 s10, 0x7f800000
	v_mov_b32_e32 v9, 0x7e
	v_mov_b32_e32 v10, 0x7f
	v_cmp_lt_u32_e32 vcc, s10, v8
	v_cndmask_b32_e32 v9, v9, v10, vcc
; %bb.2687:
	s_or_b64 exec, exec, s[2:3]
	global_store_byte v[0:1], v9, off
.LBB22_2688:
	s_mov_b64 s[2:3], 0
.LBB22_2689:
	s_andn2_b64 vcc, exec, s[2:3]
	s_cbranch_vccnz .LBB22_2699
; %bb.2690:
	v_cvt_f32_ubyte0_e32 v8, v3
	s_mov_b32 s2, 0x47800000
	v_cmp_gt_u32_e32 vcc, s2, v8
                                        ; implicit-def: $vgpr9
	s_and_saveexec_b64 s[2:3], vcc
	s_xor_b64 s[2:3], exec, s[2:3]
	s_cbranch_execz .LBB22_2696
; %bb.2691:
	s_mov_b32 s10, 0x387fffff
	v_cmp_lt_u32_e32 vcc, s10, v8
                                        ; implicit-def: $vgpr9
	s_and_saveexec_b64 s[10:11], vcc
	s_xor_b64 s[10:11], exec, s[10:11]
; %bb.2692:
	v_bfe_u32 v9, v8, 21, 1
	s_mov_b32 s12, 0x80fffff
	v_add3_u32 v8, v8, v9, s12
	v_lshrrev_b32_e32 v9, 21, v8
                                        ; implicit-def: $vgpr8
; %bb.2693:
	s_andn2_saveexec_b64 s[10:11], s[10:11]
; %bb.2694:
	v_add_f32_e32 v9, 0x43000000, v8
; %bb.2695:
	s_or_b64 exec, exec, s[10:11]
                                        ; implicit-def: $vgpr8
.LBB22_2696:
	s_andn2_saveexec_b64 s[2:3], s[2:3]
; %bb.2697:
	s_mov_b32 s10, 0x7f800000
	v_mov_b32_e32 v9, 0x7c
	v_mov_b32_e32 v10, 0x7f
	v_cmp_lt_u32_e32 vcc, s10, v8
	v_cndmask_b32_e32 v9, v9, v10, vcc
; %bb.2698:
	s_or_b64 exec, exec, s[2:3]
	global_store_byte v[0:1], v9, off
.LBB22_2699:
	s_mov_b64 s[2:3], 0
	s_mov_b64 s[10:11], -1
.LBB22_2700:
	s_andn2_b64 vcc, exec, s[2:3]
	s_mov_b64 s[2:3], 0
	s_cbranch_vccnz .LBB22_2707
; %bb.2701:
	s_cmp_gt_i32 s17, 14
	s_mov_b64 s[12:13], -1
	s_cbranch_scc0 .LBB22_2705
; %bb.2702:
	s_cmp_eq_u32 s17, 15
	s_mov_b64 s[0:1], -1
	s_cbranch_scc0 .LBB22_2704
; %bb.2703:
	v_cvt_f32_ubyte0_e32 v8, v3
	v_bfe_u32 v9, v8, 16, 1
	s_movk_i32 s0, 0x7fff
	v_add3_u32 v8, v8, v9, s0
	global_store_short_d16_hi v[0:1], v8, off
	s_mov_b64 s[0:1], 0
	s_mov_b64 s[10:11], -1
.LBB22_2704:
	s_mov_b64 s[12:13], 0
.LBB22_2705:
	s_and_b64 vcc, exec, s[12:13]
	s_cbranch_vccz .LBB22_2707
; %bb.2706:
	s_cmp_lg_u32 s17, 11
	s_mov_b64 s[2:3], -1
	s_cselect_b64 s[0:1], -1, 0
.LBB22_2707:
	s_and_b64 vcc, exec, s[0:1]
	s_cbranch_vccnz .LBB22_3001
; %bb.2708:
	s_andn2_b64 vcc, exec, s[2:3]
	s_cbranch_vccnz .LBB22_2710
.LBB22_2709:
	v_mov_b32_e32 v8, 0
	v_cmp_ne_u16_sdwa s[0:1], v3, v8 src0_sel:BYTE_0 src1_sel:DWORD
	v_cndmask_b32_e64 v8, 0, 1, s[0:1]
	s_mov_b64 s[10:11], -1
	global_store_byte v[0:1], v8, off
.LBB22_2710:
	s_mov_b64 s[0:1], 0
	s_branch .LBB22_2712
.LBB22_2711:
	s_mov_b64 s[0:1], -1
	s_mov_b64 s[10:11], 0
.LBB22_2712:
	s_and_b64 vcc, exec, s[0:1]
	s_cbranch_vccz .LBB22_2751
; %bb.2713:
	s_and_b32 s2, 0xffff, s20
	s_cmp_lt_i32 s2, 5
	s_mov_b64 s[0:1], -1
	s_cbranch_scc1 .LBB22_2734
; %bb.2714:
	s_cmp_lt_i32 s2, 8
	s_cbranch_scc1 .LBB22_2724
; %bb.2715:
	s_cmp_lt_i32 s2, 9
	s_cbranch_scc1 .LBB22_2721
; %bb.2716:
	s_cmp_gt_i32 s2, 9
	s_cbranch_scc0 .LBB22_2718
; %bb.2717:
	s_mov_b32 s0, 0xffff
	v_and_b32_sdwa v8, s0, v3 dst_sel:DWORD dst_unused:UNUSED_PAD src0_sel:DWORD src1_sel:BYTE_0
	v_cvt_f64_u32_e32 v[8:9], v8
	v_mov_b32_e32 v10, 0
	v_mov_b32_e32 v11, v10
	s_mov_b64 s[0:1], 0
	global_store_dwordx4 v[0:1], v[8:11], off
.LBB22_2718:
	s_andn2_b64 vcc, exec, s[0:1]
	s_cbranch_vccnz .LBB22_2720
; %bb.2719:
	v_cvt_f32_ubyte0_e32 v8, v3
	v_mov_b32_e32 v9, 0
	global_store_dwordx2 v[0:1], v[8:9], off
.LBB22_2720:
	s_mov_b64 s[0:1], 0
.LBB22_2721:
	s_andn2_b64 vcc, exec, s[0:1]
	s_cbranch_vccnz .LBB22_2723
; %bb.2722:
	v_cvt_f16_u16_sdwa v8, v3 dst_sel:DWORD dst_unused:UNUSED_PAD src0_sel:BYTE_0
	global_store_dword v[0:1], v8, off
.LBB22_2723:
	s_mov_b64 s[0:1], 0
.LBB22_2724:
	s_andn2_b64 vcc, exec, s[0:1]
	s_cbranch_vccnz .LBB22_2733
; %bb.2725:
	s_cmp_lt_i32 s2, 6
	s_mov_b64 s[0:1], -1
	s_cbranch_scc1 .LBB22_2731
; %bb.2726:
	s_cmp_gt_i32 s2, 6
	s_cbranch_scc0 .LBB22_2728
; %bb.2727:
	s_mov_b32 s0, 0xffff
	v_and_b32_sdwa v8, s0, v3 dst_sel:DWORD dst_unused:UNUSED_PAD src0_sel:DWORD src1_sel:BYTE_0
	v_cvt_f64_u32_e32 v[8:9], v8
	s_mov_b64 s[0:1], 0
	global_store_dwordx2 v[0:1], v[8:9], off
.LBB22_2728:
	s_andn2_b64 vcc, exec, s[0:1]
	s_cbranch_vccnz .LBB22_2730
; %bb.2729:
	v_cvt_f32_ubyte0_e32 v8, v3
	global_store_dword v[0:1], v8, off
.LBB22_2730:
	s_mov_b64 s[0:1], 0
.LBB22_2731:
	s_andn2_b64 vcc, exec, s[0:1]
	s_cbranch_vccnz .LBB22_2733
; %bb.2732:
	v_cvt_f16_u16_sdwa v8, v3 dst_sel:DWORD dst_unused:UNUSED_PAD src0_sel:BYTE_0
	global_store_short v[0:1], v8, off
.LBB22_2733:
	s_mov_b64 s[0:1], 0
.LBB22_2734:
	s_andn2_b64 vcc, exec, s[0:1]
	s_cbranch_vccnz .LBB22_2750
; %bb.2735:
	s_cmp_lt_i32 s2, 2
	s_mov_b64 s[0:1], -1
	s_cbranch_scc1 .LBB22_2745
; %bb.2736:
	s_cmp_lt_i32 s2, 3
	s_cbranch_scc1 .LBB22_2742
; %bb.2737:
	s_cmp_gt_i32 s2, 3
	s_cbranch_scc0 .LBB22_2739
; %bb.2738:
	v_and_b32_e32 v8, 0xff, v3
	v_mov_b32_e32 v9, 0
	global_store_dwordx2 v[0:1], v[8:9], off
	s_mov_b64 s[0:1], 0
.LBB22_2739:
	s_andn2_b64 vcc, exec, s[0:1]
	s_cbranch_vccnz .LBB22_2741
; %bb.2740:
	v_and_b32_e32 v8, 0xff, v3
	global_store_dword v[0:1], v8, off
.LBB22_2741:
	s_mov_b64 s[0:1], 0
.LBB22_2742:
	s_andn2_b64 vcc, exec, s[0:1]
	s_cbranch_vccnz .LBB22_2744
; %bb.2743:
	v_and_b32_e32 v8, 0xff, v3
	global_store_short v[0:1], v8, off
.LBB22_2744:
	s_mov_b64 s[0:1], 0
.LBB22_2745:
	s_andn2_b64 vcc, exec, s[0:1]
	s_cbranch_vccnz .LBB22_2750
; %bb.2746:
	s_cmp_gt_i32 s2, 0
	s_mov_b64 s[0:1], -1
	s_cbranch_scc0 .LBB22_2748
; %bb.2747:
	global_store_byte v[0:1], v3, off
	s_mov_b64 s[0:1], 0
.LBB22_2748:
	s_andn2_b64 vcc, exec, s[0:1]
	s_cbranch_vccnz .LBB22_2750
; %bb.2749:
	global_store_byte v[0:1], v3, off
.LBB22_2750:
	s_mov_b64 s[10:11], -1
.LBB22_2751:
	s_andn2_b64 vcc, exec, s[10:11]
	s_cbranch_vccnz .LBB22_2947
; %bb.2752:
	v_mov_b32_e32 v1, 8
	v_lshlrev_b32_e32 v0, v5, v4
	v_cmp_lt_u16_sdwa vcc, v5, v1 src0_sel:BYTE_0 src1_sel:DWORD
	v_add_u32_e32 v3, s16, v2
	v_cndmask_b32_e32 v4, 0, v0, vcc
	v_ashrrev_i32_e32 v1, 31, v3
	v_mov_b32_e32 v2, s9
	v_add_co_u32_e32 v0, vcc, s8, v3
	s_cmp_lt_i32 s20, 11
	v_addc_co_u32_e32 v1, vcc, v2, v1, vcc
	s_cbranch_scc1 .LBB22_2830
; %bb.2753:
	s_and_b32 s17, 0xffff, s20
	s_mov_b64 s[12:13], -1
	s_mov_b64 s[2:3], 0
	s_cmp_gt_i32 s17, 25
	s_mov_b64 s[10:11], 0
	s_mov_b64 s[0:1], 0
	s_cbranch_scc0 .LBB22_2786
; %bb.2754:
	s_cmp_gt_i32 s17, 28
	s_cbranch_scc0 .LBB22_2769
; %bb.2755:
	s_cmp_gt_i32 s17, 43
	;; [unrolled: 3-line block ×3, first 2 shown]
	s_cbranch_scc0 .LBB22_2759
; %bb.2757:
	s_mov_b64 s[0:1], -1
	s_mov_b64 s[12:13], 0
	s_cmp_eq_u32 s17, 46
	s_cbranch_scc0 .LBB22_2759
; %bb.2758:
	v_cvt_f32_ubyte0_e32 v2, v4
	v_bfe_u32 v5, v2, 16, 1
	s_movk_i32 s0, 0x7fff
	v_add3_u32 v2, v2, v5, s0
	v_lshrrev_b32_e32 v2, 16, v2
	global_store_dword v[0:1], v2, off
	s_mov_b64 s[0:1], 0
	s_mov_b64 s[10:11], -1
.LBB22_2759:
	s_and_b64 vcc, exec, s[12:13]
	s_cbranch_vccz .LBB22_2764
; %bb.2760:
	s_cmp_eq_u32 s17, 44
	s_mov_b64 s[0:1], -1
	s_cbranch_scc0 .LBB22_2764
; %bb.2761:
	v_cvt_f32_ubyte0_e32 v5, v4
	v_lshrrev_b32_e32 v2, 23, v5
	s_movk_i32 s0, 0xff
	v_cmp_ne_u32_e32 vcc, s0, v2
	v_mov_b32_e32 v8, 0xff
	s_and_saveexec_b64 s[10:11], vcc
; %bb.2762:
	s_mov_b32 s0, 0x3fffff
	v_and_b32_e32 v8, 0x400000, v5
	v_and_or_b32 v5, v5, s0, v2
	v_cmp_ne_u32_e32 vcc, 0, v8
	v_cmp_ne_u32_e64 s[0:1], 0, v5
	s_and_b64 s[0:1], vcc, s[0:1]
	v_cndmask_b32_e64 v5, 0, 1, s[0:1]
	v_add_u32_e32 v8, v2, v5
; %bb.2763:
	s_or_b64 exec, exec, s[10:11]
	s_mov_b64 s[0:1], 0
	s_mov_b64 s[10:11], -1
	global_store_byte v[0:1], v8, off
.LBB22_2764:
	s_mov_b64 s[12:13], 0
.LBB22_2765:
	s_and_b64 vcc, exec, s[12:13]
	s_cbranch_vccz .LBB22_2768
; %bb.2766:
	s_cmp_eq_u32 s17, 29
	s_mov_b64 s[0:1], -1
	s_cbranch_scc0 .LBB22_2768
; %bb.2767:
	v_and_b32_e32 v8, 0xff, v4
	v_mov_b32_e32 v9, 0
	global_store_dwordx2 v[0:1], v[8:9], off
	s_mov_b64 s[0:1], 0
	s_mov_b64 s[10:11], -1
.LBB22_2768:
	s_mov_b64 s[12:13], 0
.LBB22_2769:
	s_and_b64 vcc, exec, s[12:13]
	s_cbranch_vccz .LBB22_2785
; %bb.2770:
	s_cmp_lt_i32 s17, 27
	s_mov_b64 s[10:11], -1
	s_cbranch_scc1 .LBB22_2776
; %bb.2771:
	s_cmp_gt_i32 s17, 27
	s_cbranch_scc0 .LBB22_2773
; %bb.2772:
	v_and_b32_e32 v2, 0xff, v4
	s_mov_b64 s[10:11], 0
	global_store_dword v[0:1], v2, off
.LBB22_2773:
	s_andn2_b64 vcc, exec, s[10:11]
	s_cbranch_vccnz .LBB22_2775
; %bb.2774:
	v_and_b32_e32 v2, 0xff, v4
	global_store_short v[0:1], v2, off
.LBB22_2775:
	s_mov_b64 s[10:11], 0
.LBB22_2776:
	s_andn2_b64 vcc, exec, s[10:11]
	s_cbranch_vccnz .LBB22_2784
; %bb.2777:
	v_cvt_f32_ubyte0_e32 v5, v4
	s_mov_b32 s10, 0x43800000
	v_cmp_gt_u32_e32 vcc, s10, v5
	v_mov_b32_e32 v8, 0x80
	s_and_saveexec_b64 s[10:11], vcc
	s_cbranch_execz .LBB22_2783
; %bb.2778:
	s_mov_b32 s12, 0x3bffffff
	v_cmp_lt_u32_e32 vcc, s12, v5
	s_mov_b64 s[12:13], 0
                                        ; implicit-def: $vgpr2
	s_and_saveexec_b64 s[14:15], vcc
	s_xor_b64 s[14:15], exec, s[14:15]
	s_cbranch_execz .LBB22_3004
; %bb.2779:
	v_bfe_u32 v2, v5, 20, 1
	s_mov_b32 s21, 0x487ffff
	v_add3_u32 v2, v5, v2, s21
	s_mov_b64 s[12:13], exec
	v_lshrrev_b32_e32 v2, 20, v2
                                        ; implicit-def: $vgpr5
	s_andn2_saveexec_b64 s[14:15], s[14:15]
	s_cbranch_execnz .LBB22_3005
.LBB22_2780:
	s_or_b64 exec, exec, s[14:15]
	v_mov_b32_e32 v8, 0
	s_and_saveexec_b64 s[14:15], s[12:13]
.LBB22_2781:
	v_mov_b32_e32 v8, v2
.LBB22_2782:
	s_or_b64 exec, exec, s[14:15]
.LBB22_2783:
	s_or_b64 exec, exec, s[10:11]
	global_store_byte v[0:1], v8, off
.LBB22_2784:
	s_mov_b64 s[10:11], -1
.LBB22_2785:
	s_mov_b64 s[12:13], 0
.LBB22_2786:
	s_and_b64 vcc, exec, s[12:13]
	s_cbranch_vccz .LBB22_2826
; %bb.2787:
	s_cmp_gt_i32 s17, 22
	s_mov_b64 s[2:3], -1
	s_cbranch_scc0 .LBB22_2819
; %bb.2788:
	s_cmp_lt_i32 s17, 24
	s_cbranch_scc1 .LBB22_2808
; %bb.2789:
	s_cmp_gt_i32 s17, 24
	s_cbranch_scc0 .LBB22_2797
; %bb.2790:
	v_cvt_f32_ubyte0_e32 v5, v4
	s_mov_b32 s2, 0x47800000
	v_cmp_gt_u32_e32 vcc, s2, v5
	v_mov_b32_e32 v8, 0x80
	s_and_saveexec_b64 s[2:3], vcc
	s_cbranch_execz .LBB22_2796
; %bb.2791:
	s_mov_b32 s10, 0x37ffffff
	v_cmp_lt_u32_e32 vcc, s10, v5
	s_mov_b64 s[10:11], 0
                                        ; implicit-def: $vgpr2
	s_and_saveexec_b64 s[12:13], vcc
	s_xor_b64 s[12:13], exec, s[12:13]
	s_cbranch_execz .LBB22_3007
; %bb.2792:
	v_bfe_u32 v2, v5, 21, 1
	s_mov_b32 s14, 0x88fffff
	v_add3_u32 v2, v5, v2, s14
	s_mov_b64 s[10:11], exec
	v_lshrrev_b32_e32 v2, 21, v2
                                        ; implicit-def: $vgpr5
	s_andn2_saveexec_b64 s[12:13], s[12:13]
	s_cbranch_execnz .LBB22_3008
.LBB22_2793:
	s_or_b64 exec, exec, s[12:13]
	v_mov_b32_e32 v8, 0
	s_and_saveexec_b64 s[12:13], s[10:11]
.LBB22_2794:
	v_mov_b32_e32 v8, v2
.LBB22_2795:
	s_or_b64 exec, exec, s[12:13]
.LBB22_2796:
	s_or_b64 exec, exec, s[2:3]
	s_mov_b64 s[2:3], 0
	global_store_byte v[0:1], v8, off
.LBB22_2797:
	s_and_b64 vcc, exec, s[2:3]
	s_cbranch_vccz .LBB22_2807
; %bb.2798:
	v_cvt_f32_ubyte0_e32 v2, v4
	s_mov_b32 s2, 0x43f00000
	v_cmp_gt_u32_e32 vcc, s2, v2
                                        ; implicit-def: $vgpr5
	s_and_saveexec_b64 s[2:3], vcc
	s_xor_b64 s[2:3], exec, s[2:3]
	s_cbranch_execz .LBB22_2804
; %bb.2799:
	s_mov_b32 s10, 0x3c7fffff
	v_cmp_lt_u32_e32 vcc, s10, v2
                                        ; implicit-def: $vgpr5
	s_and_saveexec_b64 s[10:11], vcc
	s_xor_b64 s[10:11], exec, s[10:11]
; %bb.2800:
	v_bfe_u32 v5, v2, 20, 1
	s_mov_b32 s12, 0x407ffff
	v_add3_u32 v2, v2, v5, s12
	v_lshrrev_b32_e32 v5, 20, v2
	v_and_b32_e32 v2, 0xff00000, v2
	s_mov_b32 s12, 0x7f00000
	v_mov_b32_e32 v8, 0x7e
	v_cmp_ne_u32_e32 vcc, s12, v2
	v_cndmask_b32_e32 v5, v8, v5, vcc
                                        ; implicit-def: $vgpr2
; %bb.2801:
	s_andn2_saveexec_b64 s[10:11], s[10:11]
; %bb.2802:
	v_add_f32_e32 v5, 0x46800000, v2
; %bb.2803:
	s_or_b64 exec, exec, s[10:11]
                                        ; implicit-def: $vgpr2
.LBB22_2804:
	s_andn2_saveexec_b64 s[2:3], s[2:3]
; %bb.2805:
	s_mov_b32 s10, 0x7f800000
	v_mov_b32_e32 v5, 0x7e
	v_mov_b32_e32 v8, 0x7f
	v_cmp_lt_u32_e32 vcc, s10, v2
	v_cndmask_b32_e32 v5, v5, v8, vcc
; %bb.2806:
	s_or_b64 exec, exec, s[2:3]
	global_store_byte v[0:1], v5, off
.LBB22_2807:
	s_mov_b64 s[2:3], 0
.LBB22_2808:
	s_andn2_b64 vcc, exec, s[2:3]
	s_cbranch_vccnz .LBB22_2818
; %bb.2809:
	v_cvt_f32_ubyte0_e32 v2, v4
	s_mov_b32 s2, 0x47800000
	v_cmp_gt_u32_e32 vcc, s2, v2
                                        ; implicit-def: $vgpr5
	s_and_saveexec_b64 s[2:3], vcc
	s_xor_b64 s[2:3], exec, s[2:3]
	s_cbranch_execz .LBB22_2815
; %bb.2810:
	s_mov_b32 s10, 0x387fffff
	v_cmp_lt_u32_e32 vcc, s10, v2
                                        ; implicit-def: $vgpr5
	s_and_saveexec_b64 s[10:11], vcc
	s_xor_b64 s[10:11], exec, s[10:11]
; %bb.2811:
	v_bfe_u32 v5, v2, 21, 1
	s_mov_b32 s12, 0x80fffff
	v_add3_u32 v2, v2, v5, s12
	v_lshrrev_b32_e32 v5, 21, v2
                                        ; implicit-def: $vgpr2
; %bb.2812:
	s_andn2_saveexec_b64 s[10:11], s[10:11]
; %bb.2813:
	v_add_f32_e32 v5, 0x43000000, v2
; %bb.2814:
	s_or_b64 exec, exec, s[10:11]
                                        ; implicit-def: $vgpr2
.LBB22_2815:
	s_andn2_saveexec_b64 s[2:3], s[2:3]
; %bb.2816:
	s_mov_b32 s10, 0x7f800000
	v_mov_b32_e32 v5, 0x7c
	v_mov_b32_e32 v8, 0x7f
	v_cmp_lt_u32_e32 vcc, s10, v2
	v_cndmask_b32_e32 v5, v5, v8, vcc
; %bb.2817:
	s_or_b64 exec, exec, s[2:3]
	global_store_byte v[0:1], v5, off
.LBB22_2818:
	s_mov_b64 s[2:3], 0
	s_mov_b64 s[10:11], -1
.LBB22_2819:
	s_andn2_b64 vcc, exec, s[2:3]
	s_mov_b64 s[2:3], 0
	s_cbranch_vccnz .LBB22_2826
; %bb.2820:
	s_cmp_gt_i32 s17, 14
	s_mov_b64 s[12:13], -1
	s_cbranch_scc0 .LBB22_2824
; %bb.2821:
	s_cmp_eq_u32 s17, 15
	s_mov_b64 s[0:1], -1
	s_cbranch_scc0 .LBB22_2823
; %bb.2822:
	v_cvt_f32_ubyte0_e32 v2, v4
	v_bfe_u32 v5, v2, 16, 1
	s_movk_i32 s0, 0x7fff
	v_add3_u32 v2, v2, v5, s0
	global_store_short_d16_hi v[0:1], v2, off
	s_mov_b64 s[0:1], 0
	s_mov_b64 s[10:11], -1
.LBB22_2823:
	s_mov_b64 s[12:13], 0
.LBB22_2824:
	s_and_b64 vcc, exec, s[12:13]
	s_cbranch_vccz .LBB22_2826
; %bb.2825:
	s_cmp_lg_u32 s17, 11
	s_mov_b64 s[2:3], -1
	s_cselect_b64 s[0:1], -1, 0
.LBB22_2826:
	s_and_b64 vcc, exec, s[0:1]
	s_cbranch_vccnz .LBB22_3006
; %bb.2827:
	s_andn2_b64 vcc, exec, s[2:3]
	s_cbranch_vccnz .LBB22_2829
.LBB22_2828:
	v_mov_b32_e32 v2, 0
	v_cmp_ne_u16_sdwa s[0:1], v4, v2 src0_sel:BYTE_0 src1_sel:DWORD
	v_cndmask_b32_e64 v2, 0, 1, s[0:1]
	s_mov_b64 s[10:11], -1
	global_store_byte v[0:1], v2, off
.LBB22_2829:
	s_mov_b64 s[0:1], 0
	s_branch .LBB22_2831
.LBB22_2830:
	s_mov_b64 s[0:1], -1
	s_mov_b64 s[10:11], 0
.LBB22_2831:
	s_and_b64 vcc, exec, s[0:1]
	s_cbranch_vccz .LBB22_2870
; %bb.2832:
	s_and_b32 s2, 0xffff, s20
	s_cmp_lt_i32 s2, 5
	s_mov_b64 s[0:1], -1
	s_cbranch_scc1 .LBB22_2853
; %bb.2833:
	s_cmp_lt_i32 s2, 8
	s_cbranch_scc1 .LBB22_2843
; %bb.2834:
	s_cmp_lt_i32 s2, 9
	s_cbranch_scc1 .LBB22_2840
; %bb.2835:
	s_cmp_gt_i32 s2, 9
	s_cbranch_scc0 .LBB22_2837
; %bb.2836:
	s_mov_b32 s0, 0xffff
	v_and_b32_sdwa v2, s0, v4 dst_sel:DWORD dst_unused:UNUSED_PAD src0_sel:DWORD src1_sel:BYTE_0
	v_cvt_f64_u32_e32 v[8:9], v2
	v_mov_b32_e32 v10, 0
	v_mov_b32_e32 v11, v10
	s_mov_b64 s[0:1], 0
	global_store_dwordx4 v[0:1], v[8:11], off
.LBB22_2837:
	s_andn2_b64 vcc, exec, s[0:1]
	s_cbranch_vccnz .LBB22_2839
; %bb.2838:
	v_cvt_f32_ubyte0_e32 v8, v4
	v_mov_b32_e32 v9, 0
	global_store_dwordx2 v[0:1], v[8:9], off
.LBB22_2839:
	s_mov_b64 s[0:1], 0
.LBB22_2840:
	s_andn2_b64 vcc, exec, s[0:1]
	s_cbranch_vccnz .LBB22_2842
; %bb.2841:
	v_cvt_f16_u16_sdwa v2, v4 dst_sel:DWORD dst_unused:UNUSED_PAD src0_sel:BYTE_0
	global_store_dword v[0:1], v2, off
.LBB22_2842:
	s_mov_b64 s[0:1], 0
.LBB22_2843:
	s_andn2_b64 vcc, exec, s[0:1]
	s_cbranch_vccnz .LBB22_2852
; %bb.2844:
	s_cmp_lt_i32 s2, 6
	s_mov_b64 s[0:1], -1
	s_cbranch_scc1 .LBB22_2850
; %bb.2845:
	s_cmp_gt_i32 s2, 6
	s_cbranch_scc0 .LBB22_2847
; %bb.2846:
	s_mov_b32 s0, 0xffff
	v_and_b32_sdwa v2, s0, v4 dst_sel:DWORD dst_unused:UNUSED_PAD src0_sel:DWORD src1_sel:BYTE_0
	v_cvt_f64_u32_e32 v[8:9], v2
	s_mov_b64 s[0:1], 0
	global_store_dwordx2 v[0:1], v[8:9], off
.LBB22_2847:
	s_andn2_b64 vcc, exec, s[0:1]
	s_cbranch_vccnz .LBB22_2849
; %bb.2848:
	v_cvt_f32_ubyte0_e32 v2, v4
	global_store_dword v[0:1], v2, off
.LBB22_2849:
	s_mov_b64 s[0:1], 0
.LBB22_2850:
	s_andn2_b64 vcc, exec, s[0:1]
	s_cbranch_vccnz .LBB22_2852
; %bb.2851:
	v_cvt_f16_u16_sdwa v2, v4 dst_sel:DWORD dst_unused:UNUSED_PAD src0_sel:BYTE_0
	global_store_short v[0:1], v2, off
.LBB22_2852:
	s_mov_b64 s[0:1], 0
.LBB22_2853:
	s_andn2_b64 vcc, exec, s[0:1]
	s_cbranch_vccnz .LBB22_2869
; %bb.2854:
	s_cmp_lt_i32 s2, 2
	s_mov_b64 s[0:1], -1
	s_cbranch_scc1 .LBB22_2864
; %bb.2855:
	s_cmp_lt_i32 s2, 3
	s_cbranch_scc1 .LBB22_2861
; %bb.2856:
	s_cmp_gt_i32 s2, 3
	s_cbranch_scc0 .LBB22_2858
; %bb.2857:
	v_and_b32_e32 v8, 0xff, v4
	v_mov_b32_e32 v9, 0
	global_store_dwordx2 v[0:1], v[8:9], off
	s_mov_b64 s[0:1], 0
.LBB22_2858:
	s_andn2_b64 vcc, exec, s[0:1]
	s_cbranch_vccnz .LBB22_2860
; %bb.2859:
	v_and_b32_e32 v2, 0xff, v4
	global_store_dword v[0:1], v2, off
.LBB22_2860:
	s_mov_b64 s[0:1], 0
.LBB22_2861:
	s_andn2_b64 vcc, exec, s[0:1]
	s_cbranch_vccnz .LBB22_2863
; %bb.2862:
	v_and_b32_e32 v2, 0xff, v4
	global_store_short v[0:1], v2, off
.LBB22_2863:
	s_mov_b64 s[0:1], 0
.LBB22_2864:
	s_andn2_b64 vcc, exec, s[0:1]
	s_cbranch_vccnz .LBB22_2869
; %bb.2865:
	s_cmp_gt_i32 s2, 0
	s_mov_b64 s[0:1], -1
	s_cbranch_scc0 .LBB22_2867
; %bb.2866:
	global_store_byte v[0:1], v4, off
	s_mov_b64 s[0:1], 0
.LBB22_2867:
	s_andn2_b64 vcc, exec, s[0:1]
	s_cbranch_vccnz .LBB22_2869
; %bb.2868:
	global_store_byte v[0:1], v4, off
.LBB22_2869:
	s_mov_b64 s[10:11], -1
.LBB22_2870:
	s_andn2_b64 vcc, exec, s[10:11]
	s_cbranch_vccnz .LBB22_2947
; %bb.2871:
	v_mov_b32_e32 v1, 8
	v_lshlrev_b32_e32 v0, v7, v6
	v_cmp_lt_u16_sdwa vcc, v7, v1 src0_sel:BYTE_0 src1_sel:DWORD
	v_cndmask_b32_e32 v2, 0, v0, vcc
	v_add_u32_e32 v0, s16, v3
	v_ashrrev_i32_e32 v1, 31, v0
	v_mov_b32_e32 v3, s9
	v_add_co_u32_e32 v0, vcc, s8, v0
	s_cmp_lt_i32 s20, 11
	v_addc_co_u32_e32 v1, vcc, v3, v1, vcc
	s_cbranch_scc1 .LBB22_2992
; %bb.2872:
	s_and_b32 s14, 0xffff, s20
	s_mov_b64 s[8:9], -1
	s_mov_b64 s[2:3], 0
	s_cmp_gt_i32 s14, 25
	s_mov_b64 s[0:1], 0
	s_cbranch_scc0 .LBB22_2905
; %bb.2873:
	s_cmp_gt_i32 s14, 28
	s_cbranch_scc0 .LBB22_2889
; %bb.2874:
	s_cmp_gt_i32 s14, 43
	;; [unrolled: 3-line block ×3, first 2 shown]
	s_cbranch_scc0 .LBB22_2879
; %bb.2876:
	s_cmp_eq_u32 s14, 46
	s_mov_b64 s[0:1], -1
	s_cbranch_scc0 .LBB22_2878
; %bb.2877:
	v_cvt_f32_ubyte0_e32 v3, v2
	v_bfe_u32 v4, v3, 16, 1
	s_movk_i32 s0, 0x7fff
	v_add3_u32 v3, v3, v4, s0
	v_lshrrev_b32_e32 v3, 16, v3
	global_store_dword v[0:1], v3, off
	s_mov_b64 s[0:1], 0
.LBB22_2878:
	s_mov_b64 s[8:9], 0
.LBB22_2879:
	s_and_b64 vcc, exec, s[8:9]
	s_cbranch_vccz .LBB22_2884
; %bb.2880:
	s_cmp_eq_u32 s14, 44
	s_mov_b64 s[0:1], -1
	s_cbranch_scc0 .LBB22_2884
; %bb.2881:
	v_cvt_f32_ubyte0_e32 v4, v2
	v_lshrrev_b32_e32 v3, 23, v4
	s_movk_i32 s0, 0xff
	v_cmp_ne_u32_e32 vcc, s0, v3
	v_mov_b32_e32 v5, 0xff
	s_and_saveexec_b64 s[8:9], vcc
; %bb.2882:
	s_mov_b32 s0, 0x3fffff
	v_and_b32_e32 v5, 0x400000, v4
	v_and_or_b32 v4, v4, s0, v3
	v_cmp_ne_u32_e32 vcc, 0, v5
	v_cmp_ne_u32_e64 s[0:1], 0, v4
	s_and_b64 s[0:1], vcc, s[0:1]
	v_cndmask_b32_e64 v4, 0, 1, s[0:1]
	v_add_u32_e32 v5, v3, v4
; %bb.2883:
	s_or_b64 exec, exec, s[8:9]
	s_mov_b64 s[0:1], 0
	global_store_byte v[0:1], v5, off
.LBB22_2884:
	s_mov_b64 s[8:9], 0
.LBB22_2885:
	s_and_b64 vcc, exec, s[8:9]
	s_cbranch_vccz .LBB22_2888
; %bb.2886:
	s_cmp_eq_u32 s14, 29
	s_mov_b64 s[0:1], -1
	s_cbranch_scc0 .LBB22_2888
; %bb.2887:
	v_and_b32_e32 v3, 0xff, v2
	v_mov_b32_e32 v4, 0
	global_store_dwordx2 v[0:1], v[3:4], off
	s_mov_b64 s[0:1], 0
.LBB22_2888:
	s_mov_b64 s[8:9], 0
.LBB22_2889:
	s_and_b64 vcc, exec, s[8:9]
	s_cbranch_vccz .LBB22_2904
; %bb.2890:
	s_cmp_lt_i32 s14, 27
	s_mov_b64 s[8:9], -1
	s_cbranch_scc1 .LBB22_2896
; %bb.2891:
	s_cmp_gt_i32 s14, 27
	s_cbranch_scc0 .LBB22_2893
; %bb.2892:
	v_and_b32_e32 v3, 0xff, v2
	global_store_dword v[0:1], v3, off
	s_mov_b64 s[8:9], 0
.LBB22_2893:
	s_andn2_b64 vcc, exec, s[8:9]
	s_cbranch_vccnz .LBB22_2895
; %bb.2894:
	v_and_b32_e32 v3, 0xff, v2
	global_store_short v[0:1], v3, off
.LBB22_2895:
	s_mov_b64 s[8:9], 0
.LBB22_2896:
	s_andn2_b64 vcc, exec, s[8:9]
	s_cbranch_vccnz .LBB22_2904
; %bb.2897:
	v_cvt_f32_ubyte0_e32 v4, v2
	s_mov_b32 s8, 0x43800000
	v_cmp_gt_u32_e32 vcc, s8, v4
	v_mov_b32_e32 v5, 0x80
	s_and_saveexec_b64 s[8:9], vcc
	s_cbranch_execz .LBB22_2903
; %bb.2898:
	s_mov_b32 s10, 0x3bffffff
	v_cmp_lt_u32_e32 vcc, s10, v4
	s_mov_b64 s[10:11], 0
                                        ; implicit-def: $vgpr3
	s_and_saveexec_b64 s[12:13], vcc
	s_xor_b64 s[12:13], exec, s[12:13]
	s_cbranch_execz .LBB22_3009
; %bb.2899:
	v_bfe_u32 v3, v4, 20, 1
	s_mov_b32 s15, 0x487ffff
	v_add3_u32 v3, v4, v3, s15
	s_mov_b64 s[10:11], exec
	v_lshrrev_b32_e32 v3, 20, v3
                                        ; implicit-def: $vgpr4
	s_andn2_saveexec_b64 s[12:13], s[12:13]
	s_cbranch_execnz .LBB22_3010
.LBB22_2900:
	s_or_b64 exec, exec, s[12:13]
	v_mov_b32_e32 v5, 0
	s_and_saveexec_b64 s[12:13], s[10:11]
.LBB22_2901:
	v_mov_b32_e32 v5, v3
.LBB22_2902:
	s_or_b64 exec, exec, s[12:13]
.LBB22_2903:
	s_or_b64 exec, exec, s[8:9]
	global_store_byte v[0:1], v5, off
.LBB22_2904:
	s_mov_b64 s[8:9], 0
.LBB22_2905:
	s_and_b64 vcc, exec, s[8:9]
	s_cbranch_vccz .LBB22_2945
; %bb.2906:
	s_cmp_gt_i32 s14, 22
	s_mov_b64 s[2:3], -1
	s_cbranch_scc0 .LBB22_2938
; %bb.2907:
	s_cmp_lt_i32 s14, 24
	s_cbranch_scc1 .LBB22_2927
; %bb.2908:
	s_cmp_gt_i32 s14, 24
	s_cbranch_scc0 .LBB22_2916
; %bb.2909:
	v_cvt_f32_ubyte0_e32 v4, v2
	s_mov_b32 s2, 0x47800000
	v_cmp_gt_u32_e32 vcc, s2, v4
	v_mov_b32_e32 v5, 0x80
	s_and_saveexec_b64 s[2:3], vcc
	s_cbranch_execz .LBB22_2915
; %bb.2910:
	s_mov_b32 s8, 0x37ffffff
	v_cmp_lt_u32_e32 vcc, s8, v4
	s_mov_b64 s[8:9], 0
                                        ; implicit-def: $vgpr3
	s_and_saveexec_b64 s[10:11], vcc
	s_xor_b64 s[10:11], exec, s[10:11]
	s_cbranch_execz .LBB22_3012
; %bb.2911:
	v_bfe_u32 v3, v4, 21, 1
	s_mov_b32 s12, 0x88fffff
	v_add3_u32 v3, v4, v3, s12
	s_mov_b64 s[8:9], exec
	v_lshrrev_b32_e32 v3, 21, v3
                                        ; implicit-def: $vgpr4
	s_andn2_saveexec_b64 s[10:11], s[10:11]
	s_cbranch_execnz .LBB22_3013
.LBB22_2912:
	s_or_b64 exec, exec, s[10:11]
	v_mov_b32_e32 v5, 0
	s_and_saveexec_b64 s[10:11], s[8:9]
.LBB22_2913:
	v_mov_b32_e32 v5, v3
.LBB22_2914:
	s_or_b64 exec, exec, s[10:11]
.LBB22_2915:
	s_or_b64 exec, exec, s[2:3]
	s_mov_b64 s[2:3], 0
	global_store_byte v[0:1], v5, off
.LBB22_2916:
	s_and_b64 vcc, exec, s[2:3]
	s_cbranch_vccz .LBB22_2926
; %bb.2917:
	v_cvt_f32_ubyte0_e32 v3, v2
	s_mov_b32 s2, 0x43f00000
	v_cmp_gt_u32_e32 vcc, s2, v3
                                        ; implicit-def: $vgpr4
	s_and_saveexec_b64 s[2:3], vcc
	s_xor_b64 s[2:3], exec, s[2:3]
	s_cbranch_execz .LBB22_2923
; %bb.2918:
	s_mov_b32 s8, 0x3c7fffff
	v_cmp_lt_u32_e32 vcc, s8, v3
                                        ; implicit-def: $vgpr4
	s_and_saveexec_b64 s[8:9], vcc
	s_xor_b64 s[8:9], exec, s[8:9]
; %bb.2919:
	v_bfe_u32 v4, v3, 20, 1
	s_mov_b32 s10, 0x407ffff
	v_add3_u32 v3, v3, v4, s10
	v_lshrrev_b32_e32 v4, 20, v3
	v_and_b32_e32 v3, 0xff00000, v3
	s_mov_b32 s10, 0x7f00000
	v_mov_b32_e32 v5, 0x7e
	v_cmp_ne_u32_e32 vcc, s10, v3
	v_cndmask_b32_e32 v4, v5, v4, vcc
                                        ; implicit-def: $vgpr3
; %bb.2920:
	s_andn2_saveexec_b64 s[8:9], s[8:9]
; %bb.2921:
	v_add_f32_e32 v4, 0x46800000, v3
; %bb.2922:
	s_or_b64 exec, exec, s[8:9]
                                        ; implicit-def: $vgpr3
.LBB22_2923:
	s_andn2_saveexec_b64 s[2:3], s[2:3]
; %bb.2924:
	s_mov_b32 s8, 0x7f800000
	v_mov_b32_e32 v4, 0x7e
	v_mov_b32_e32 v5, 0x7f
	v_cmp_lt_u32_e32 vcc, s8, v3
	v_cndmask_b32_e32 v4, v4, v5, vcc
; %bb.2925:
	s_or_b64 exec, exec, s[2:3]
	global_store_byte v[0:1], v4, off
.LBB22_2926:
	s_mov_b64 s[2:3], 0
.LBB22_2927:
	s_andn2_b64 vcc, exec, s[2:3]
	s_cbranch_vccnz .LBB22_2937
; %bb.2928:
	v_cvt_f32_ubyte0_e32 v3, v2
	s_mov_b32 s2, 0x47800000
	v_cmp_gt_u32_e32 vcc, s2, v3
                                        ; implicit-def: $vgpr4
	s_and_saveexec_b64 s[2:3], vcc
	s_xor_b64 s[2:3], exec, s[2:3]
	s_cbranch_execz .LBB22_2934
; %bb.2929:
	s_mov_b32 s8, 0x387fffff
	v_cmp_lt_u32_e32 vcc, s8, v3
                                        ; implicit-def: $vgpr4
	s_and_saveexec_b64 s[8:9], vcc
	s_xor_b64 s[8:9], exec, s[8:9]
; %bb.2930:
	v_bfe_u32 v4, v3, 21, 1
	s_mov_b32 s10, 0x80fffff
	v_add3_u32 v3, v3, v4, s10
	v_lshrrev_b32_e32 v4, 21, v3
                                        ; implicit-def: $vgpr3
; %bb.2931:
	s_andn2_saveexec_b64 s[8:9], s[8:9]
; %bb.2932:
	v_add_f32_e32 v4, 0x43000000, v3
; %bb.2933:
	s_or_b64 exec, exec, s[8:9]
                                        ; implicit-def: $vgpr3
.LBB22_2934:
	s_andn2_saveexec_b64 s[2:3], s[2:3]
; %bb.2935:
	s_mov_b32 s8, 0x7f800000
	v_mov_b32_e32 v4, 0x7c
	v_mov_b32_e32 v5, 0x7f
	v_cmp_lt_u32_e32 vcc, s8, v3
	v_cndmask_b32_e32 v4, v4, v5, vcc
; %bb.2936:
	s_or_b64 exec, exec, s[2:3]
	global_store_byte v[0:1], v4, off
.LBB22_2937:
	s_mov_b64 s[2:3], 0
.LBB22_2938:
	s_andn2_b64 vcc, exec, s[2:3]
	s_mov_b64 s[2:3], 0
	s_cbranch_vccnz .LBB22_2945
; %bb.2939:
	s_cmp_gt_i32 s14, 14
	s_mov_b64 s[8:9], -1
	s_cbranch_scc0 .LBB22_2943
; %bb.2940:
	s_cmp_eq_u32 s14, 15
	s_mov_b64 s[0:1], -1
	s_cbranch_scc0 .LBB22_2942
; %bb.2941:
	v_cvt_f32_ubyte0_e32 v3, v2
	v_bfe_u32 v4, v3, 16, 1
	s_movk_i32 s0, 0x7fff
	v_add3_u32 v3, v3, v4, s0
	global_store_short_d16_hi v[0:1], v3, off
	s_mov_b64 s[0:1], 0
.LBB22_2942:
	s_mov_b64 s[8:9], 0
.LBB22_2943:
	s_and_b64 vcc, exec, s[8:9]
	s_cbranch_vccz .LBB22_2945
; %bb.2944:
	s_cmp_lg_u32 s14, 11
	s_mov_b64 s[2:3], -1
	s_cselect_b64 s[0:1], -1, 0
.LBB22_2945:
	s_and_b64 vcc, exec, s[0:1]
	s_cbranch_vccnz .LBB22_3011
.LBB22_2946:
	s_mov_b64 s[0:1], 0
	s_branch .LBB22_2948
.LBB22_2947:
	s_mov_b64 s[0:1], 0
	s_mov_b64 s[2:3], 0
                                        ; implicit-def: $sgpr20
                                        ; implicit-def: $vgpr0_vgpr1
                                        ; implicit-def: $vgpr2
.LBB22_2948:
	s_and_b64 s[16:17], s[2:3], exec
	s_andn2_b64 s[2:3], s[6:7], exec
	s_and_b64 s[6:7], s[18:19], exec
	s_and_b64 s[0:1], s[0:1], exec
	s_or_b64 s[6:7], s[2:3], s[6:7]
.LBB22_2949:
	s_or_b64 exec, exec, s[4:5]
	s_and_saveexec_b64 s[2:3], s[6:7]
	s_cbranch_execz .LBB22_2952
; %bb.2950:
	; divergent unreachable
	s_or_b64 exec, exec, s[2:3]
	s_and_saveexec_b64 s[2:3], s[16:17]
	s_xor_b64 s[2:3], exec, s[2:3]
	s_cbranch_execnz .LBB22_2953
.LBB22_2951:
	s_or_b64 exec, exec, s[2:3]
	s_and_saveexec_b64 s[2:3], s[0:1]
	s_cbranch_execnz .LBB22_2954
	s_branch .LBB22_2991
.LBB22_2952:
	s_or_b64 exec, exec, s[2:3]
	s_and_saveexec_b64 s[2:3], s[16:17]
	s_xor_b64 s[2:3], exec, s[2:3]
	s_cbranch_execz .LBB22_2951
.LBB22_2953:
	s_waitcnt vmcnt(0)
	v_mov_b32_e32 v3, 0
	v_cmp_ne_u16_sdwa s[4:5], v2, v3 src0_sel:BYTE_0 src1_sel:DWORD
	v_cndmask_b32_e64 v3, 0, 1, s[4:5]
	global_store_byte v[0:1], v3, off
	s_or_b64 exec, exec, s[2:3]
	s_and_saveexec_b64 s[2:3], s[0:1]
	s_cbranch_execz .LBB22_2991
.LBB22_2954:
	s_sext_i32_i16 s2, s20
	s_cmp_lt_i32 s2, 5
	s_mov_b64 s[0:1], -1
	s_cbranch_scc1 .LBB22_2975
; %bb.2955:
	s_cmp_lt_i32 s2, 8
	s_cbranch_scc1 .LBB22_2965
; %bb.2956:
	s_cmp_lt_i32 s2, 9
	s_cbranch_scc1 .LBB22_2962
; %bb.2957:
	s_cmp_gt_i32 s2, 9
	s_cbranch_scc0 .LBB22_2959
; %bb.2958:
	s_mov_b32 s0, 0xffff
	s_waitcnt vmcnt(0)
	v_and_b32_sdwa v3, s0, v2 dst_sel:DWORD dst_unused:UNUSED_PAD src0_sel:DWORD src1_sel:BYTE_0
	v_cvt_f64_u32_e32 v[3:4], v3
	v_mov_b32_e32 v5, 0
	v_mov_b32_e32 v6, v5
	s_mov_b64 s[0:1], 0
	global_store_dwordx4 v[0:1], v[3:6], off
.LBB22_2959:
	s_andn2_b64 vcc, exec, s[0:1]
	s_cbranch_vccnz .LBB22_2961
; %bb.2960:
	s_waitcnt vmcnt(0)
	v_cvt_f32_ubyte0_e32 v3, v2
	v_mov_b32_e32 v4, 0
	global_store_dwordx2 v[0:1], v[3:4], off
.LBB22_2961:
	s_mov_b64 s[0:1], 0
.LBB22_2962:
	s_andn2_b64 vcc, exec, s[0:1]
	s_cbranch_vccnz .LBB22_2964
; %bb.2963:
	s_waitcnt vmcnt(0)
	v_cvt_f16_u16_sdwa v3, v2 dst_sel:DWORD dst_unused:UNUSED_PAD src0_sel:BYTE_0
	global_store_dword v[0:1], v3, off
.LBB22_2964:
	s_mov_b64 s[0:1], 0
.LBB22_2965:
	s_andn2_b64 vcc, exec, s[0:1]
	s_cbranch_vccnz .LBB22_2974
; %bb.2966:
	s_sext_i32_i16 s2, s20
	s_cmp_lt_i32 s2, 6
	s_mov_b64 s[0:1], -1
	s_cbranch_scc1 .LBB22_2972
; %bb.2967:
	s_cmp_gt_i32 s2, 6
	s_cbranch_scc0 .LBB22_2969
; %bb.2968:
	s_mov_b32 s0, 0xffff
	s_waitcnt vmcnt(0)
	v_and_b32_sdwa v3, s0, v2 dst_sel:DWORD dst_unused:UNUSED_PAD src0_sel:DWORD src1_sel:BYTE_0
	v_cvt_f64_u32_e32 v[3:4], v3
	s_mov_b64 s[0:1], 0
	global_store_dwordx2 v[0:1], v[3:4], off
.LBB22_2969:
	s_andn2_b64 vcc, exec, s[0:1]
	s_cbranch_vccnz .LBB22_2971
; %bb.2970:
	s_waitcnt vmcnt(0)
	v_cvt_f32_ubyte0_e32 v3, v2
	global_store_dword v[0:1], v3, off
.LBB22_2971:
	s_mov_b64 s[0:1], 0
.LBB22_2972:
	s_andn2_b64 vcc, exec, s[0:1]
	s_cbranch_vccnz .LBB22_2974
; %bb.2973:
	s_waitcnt vmcnt(0)
	v_cvt_f16_u16_sdwa v3, v2 dst_sel:DWORD dst_unused:UNUSED_PAD src0_sel:BYTE_0
	global_store_short v[0:1], v3, off
.LBB22_2974:
	s_mov_b64 s[0:1], 0
.LBB22_2975:
	s_andn2_b64 vcc, exec, s[0:1]
	s_cbranch_vccnz .LBB22_2991
; %bb.2976:
	s_sext_i32_i16 s2, s20
	s_cmp_lt_i32 s2, 2
	s_mov_b64 s[0:1], -1
	s_cbranch_scc1 .LBB22_2986
; %bb.2977:
	s_cmp_lt_i32 s2, 3
	s_cbranch_scc1 .LBB22_2983
; %bb.2978:
	s_cmp_gt_i32 s2, 3
	s_cbranch_scc0 .LBB22_2980
; %bb.2979:
	s_waitcnt vmcnt(0)
	v_and_b32_e32 v3, 0xff, v2
	v_mov_b32_e32 v4, 0
	global_store_dwordx2 v[0:1], v[3:4], off
	s_mov_b64 s[0:1], 0
.LBB22_2980:
	s_andn2_b64 vcc, exec, s[0:1]
	s_cbranch_vccnz .LBB22_2982
; %bb.2981:
	s_waitcnt vmcnt(0)
	v_and_b32_e32 v3, 0xff, v2
	global_store_dword v[0:1], v3, off
.LBB22_2982:
	s_mov_b64 s[0:1], 0
.LBB22_2983:
	s_andn2_b64 vcc, exec, s[0:1]
	s_cbranch_vccnz .LBB22_2985
; %bb.2984:
	s_waitcnt vmcnt(0)
	v_and_b32_e32 v3, 0xff, v2
	global_store_short v[0:1], v3, off
.LBB22_2985:
	s_mov_b64 s[0:1], 0
.LBB22_2986:
	s_andn2_b64 vcc, exec, s[0:1]
	s_cbranch_vccnz .LBB22_2991
; %bb.2987:
	s_sext_i32_i16 s0, s20
	s_cmp_gt_i32 s0, 0
	s_mov_b64 s[0:1], -1
	s_cbranch_scc0 .LBB22_2989
; %bb.2988:
	s_waitcnt vmcnt(0)
	global_store_byte v[0:1], v2, off
	s_mov_b64 s[0:1], 0
.LBB22_2989:
	s_andn2_b64 vcc, exec, s[0:1]
	s_cbranch_vccnz .LBB22_2991
; %bb.2990:
	s_waitcnt vmcnt(0)
	global_store_byte v[0:1], v2, off
	s_endpgm
.LBB22_2991:
	s_endpgm
.LBB22_2992:
	s_mov_b64 s[2:3], 0
	s_mov_b64 s[0:1], -1
	s_branch .LBB22_2948
.LBB22_2993:
	s_trap 2
	s_or_b64 s[18:19], s[18:19], exec
	s_cbranch_execz .LBB22_2462
	s_branch .LBB22_2463
.LBB22_2994:
	s_andn2_saveexec_b64 s[16:17], s[16:17]
	s_cbranch_execz .LBB22_2542
.LBB22_2995:
	v_add_f32_e32 v10, 0x46000000, v11
	v_and_b32_e32 v10, 0xff, v10
	v_cmp_ne_u32_e32 vcc, 0, v10
	s_andn2_b64 s[14:15], s[14:15], exec
	s_and_b64 s[22:23], vcc, exec
	s_or_b64 s[14:15], s[14:15], s[22:23]
	s_or_b64 exec, exec, s[16:17]
	v_mov_b32_e32 v12, 0
	s_and_saveexec_b64 s[16:17], s[14:15]
	s_cbranch_execnz .LBB22_2543
	s_branch .LBB22_2544
.LBB22_2996:
	s_trap 2
	s_or_b64 s[18:19], s[18:19], exec
	s_cbranch_execz .LBB22_2590
	s_branch .LBB22_2591
.LBB22_2997:
	s_andn2_saveexec_b64 s[14:15], s[14:15]
	s_cbranch_execz .LBB22_2555
.LBB22_2998:
	v_add_f32_e32 v10, 0x42800000, v11
	v_and_b32_e32 v10, 0xff, v10
	v_cmp_ne_u32_e32 vcc, 0, v10
	s_andn2_b64 s[10:11], s[10:11], exec
	s_and_b64 s[16:17], vcc, exec
	s_or_b64 s[10:11], s[10:11], s[16:17]
	s_or_b64 exec, exec, s[14:15]
	v_mov_b32_e32 v12, 0
	s_and_saveexec_b64 s[14:15], s[10:11]
	s_cbranch_execnz .LBB22_2556
	s_branch .LBB22_2557
.LBB22_2999:
	s_andn2_saveexec_b64 s[14:15], s[14:15]
	s_cbranch_execz .LBB22_2661
.LBB22_3000:
	v_add_f32_e32 v8, 0x46000000, v9
	v_and_b32_e32 v8, 0xff, v8
	v_cmp_ne_u32_e32 vcc, 0, v8
	s_andn2_b64 s[12:13], s[12:13], exec
	s_and_b64 s[22:23], vcc, exec
	s_or_b64 s[12:13], s[12:13], s[22:23]
	s_or_b64 exec, exec, s[14:15]
	v_mov_b32_e32 v10, 0
	s_and_saveexec_b64 s[14:15], s[12:13]
	s_cbranch_execnz .LBB22_2662
	s_branch .LBB22_2663
.LBB22_3001:
	s_trap 2
	s_or_b64 s[18:19], s[18:19], exec
	s_cbranch_execz .LBB22_2709
	s_branch .LBB22_2710
.LBB22_3002:
	s_andn2_saveexec_b64 s[12:13], s[12:13]
	s_cbranch_execz .LBB22_2674
.LBB22_3003:
	v_add_f32_e32 v8, 0x42800000, v9
	v_and_b32_e32 v8, 0xff, v8
	v_cmp_ne_u32_e32 vcc, 0, v8
	s_andn2_b64 s[10:11], s[10:11], exec
	s_and_b64 s[14:15], vcc, exec
	s_or_b64 s[10:11], s[10:11], s[14:15]
	s_or_b64 exec, exec, s[12:13]
	v_mov_b32_e32 v10, 0
	s_and_saveexec_b64 s[12:13], s[10:11]
	s_cbranch_execnz .LBB22_2675
	s_branch .LBB22_2676
.LBB22_3004:
	s_andn2_saveexec_b64 s[14:15], s[14:15]
	s_cbranch_execz .LBB22_2780
.LBB22_3005:
	v_add_f32_e32 v2, 0x46000000, v5
	v_and_b32_e32 v2, 0xff, v2
	v_cmp_ne_u32_e32 vcc, 0, v2
	s_andn2_b64 s[12:13], s[12:13], exec
	s_and_b64 s[22:23], vcc, exec
	s_or_b64 s[12:13], s[12:13], s[22:23]
	s_or_b64 exec, exec, s[14:15]
	v_mov_b32_e32 v8, 0
	s_and_saveexec_b64 s[14:15], s[12:13]
	s_cbranch_execnz .LBB22_2781
	s_branch .LBB22_2782
.LBB22_3006:
	s_trap 2
	s_or_b64 s[18:19], s[18:19], exec
	s_cbranch_execz .LBB22_2828
	s_branch .LBB22_2829
.LBB22_3007:
	s_andn2_saveexec_b64 s[12:13], s[12:13]
	s_cbranch_execz .LBB22_2793
.LBB22_3008:
	v_add_f32_e32 v2, 0x42800000, v5
	v_and_b32_e32 v2, 0xff, v2
	v_cmp_ne_u32_e32 vcc, 0, v2
	s_andn2_b64 s[10:11], s[10:11], exec
	s_and_b64 s[14:15], vcc, exec
	s_or_b64 s[10:11], s[10:11], s[14:15]
	s_or_b64 exec, exec, s[12:13]
	v_mov_b32_e32 v8, 0
	s_and_saveexec_b64 s[12:13], s[10:11]
	s_cbranch_execnz .LBB22_2794
	s_branch .LBB22_2795
.LBB22_3009:
	s_andn2_saveexec_b64 s[12:13], s[12:13]
	s_cbranch_execz .LBB22_2900
.LBB22_3010:
	v_add_f32_e32 v3, 0x46000000, v4
	v_and_b32_e32 v3, 0xff, v3
	v_cmp_ne_u32_e32 vcc, 0, v3
	s_andn2_b64 s[10:11], s[10:11], exec
	s_and_b64 s[16:17], vcc, exec
	s_or_b64 s[10:11], s[10:11], s[16:17]
	s_or_b64 exec, exec, s[12:13]
	v_mov_b32_e32 v5, 0
	s_and_saveexec_b64 s[12:13], s[10:11]
	s_cbranch_execnz .LBB22_2901
	s_branch .LBB22_2902
.LBB22_3011:
	s_mov_b64 s[2:3], 0
	s_or_b64 s[18:19], s[18:19], exec
	s_trap 2
	s_branch .LBB22_2946
.LBB22_3012:
	s_andn2_saveexec_b64 s[10:11], s[10:11]
	s_cbranch_execz .LBB22_2912
.LBB22_3013:
	v_add_f32_e32 v3, 0x42800000, v4
	v_and_b32_e32 v3, 0xff, v3
	v_cmp_ne_u32_e32 vcc, 0, v3
	s_andn2_b64 s[8:9], s[8:9], exec
	s_and_b64 s[12:13], vcc, exec
	s_or_b64 s[8:9], s[8:9], s[12:13]
	s_or_b64 exec, exec, s[10:11]
	v_mov_b32_e32 v5, 0
	s_and_saveexec_b64 s[10:11], s[8:9]
	s_cbranch_execnz .LBB22_2913
	s_branch .LBB22_2914
	.section	.rodata,"a",@progbits
	.p2align	6, 0x0
	.amdhsa_kernel _ZN2at6native32elementwise_kernel_manual_unrollILi128ELi4EZNS0_15gpu_kernel_implINS0_13BinaryFunctorIhhhZZZNS0_18lshift_kernel_cudaERNS_18TensorIteratorBaseEENKUlvE_clEvENKUlvE_clEvEUlhhE_EEEEvS5_RKT_EUlibE_EEviT1_
		.amdhsa_group_segment_fixed_size 0
		.amdhsa_private_segment_fixed_size 0
		.amdhsa_kernarg_size 48
		.amdhsa_user_sgpr_count 6
		.amdhsa_user_sgpr_private_segment_buffer 1
		.amdhsa_user_sgpr_dispatch_ptr 0
		.amdhsa_user_sgpr_queue_ptr 0
		.amdhsa_user_sgpr_kernarg_segment_ptr 1
		.amdhsa_user_sgpr_dispatch_id 0
		.amdhsa_user_sgpr_flat_scratch_init 0
		.amdhsa_user_sgpr_private_segment_size 0
		.amdhsa_uses_dynamic_stack 0
		.amdhsa_system_sgpr_private_segment_wavefront_offset 0
		.amdhsa_system_sgpr_workgroup_id_x 1
		.amdhsa_system_sgpr_workgroup_id_y 0
		.amdhsa_system_sgpr_workgroup_id_z 0
		.amdhsa_system_sgpr_workgroup_info 0
		.amdhsa_system_vgpr_workitem_id 0
		.amdhsa_next_free_vgpr 16
		.amdhsa_next_free_sgpr 56
		.amdhsa_reserve_vcc 1
		.amdhsa_reserve_flat_scratch 0
		.amdhsa_float_round_mode_32 0
		.amdhsa_float_round_mode_16_64 0
		.amdhsa_float_denorm_mode_32 3
		.amdhsa_float_denorm_mode_16_64 3
		.amdhsa_dx10_clamp 1
		.amdhsa_ieee_mode 1
		.amdhsa_fp16_overflow 0
		.amdhsa_exception_fp_ieee_invalid_op 0
		.amdhsa_exception_fp_denorm_src 0
		.amdhsa_exception_fp_ieee_div_zero 0
		.amdhsa_exception_fp_ieee_overflow 0
		.amdhsa_exception_fp_ieee_underflow 0
		.amdhsa_exception_fp_ieee_inexact 0
		.amdhsa_exception_int_div_zero 0
	.end_amdhsa_kernel
	.section	.text._ZN2at6native32elementwise_kernel_manual_unrollILi128ELi4EZNS0_15gpu_kernel_implINS0_13BinaryFunctorIhhhZZZNS0_18lshift_kernel_cudaERNS_18TensorIteratorBaseEENKUlvE_clEvENKUlvE_clEvEUlhhE_EEEEvS5_RKT_EUlibE_EEviT1_,"axG",@progbits,_ZN2at6native32elementwise_kernel_manual_unrollILi128ELi4EZNS0_15gpu_kernel_implINS0_13BinaryFunctorIhhhZZZNS0_18lshift_kernel_cudaERNS_18TensorIteratorBaseEENKUlvE_clEvENKUlvE_clEvEUlhhE_EEEEvS5_RKT_EUlibE_EEviT1_,comdat
.Lfunc_end22:
	.size	_ZN2at6native32elementwise_kernel_manual_unrollILi128ELi4EZNS0_15gpu_kernel_implINS0_13BinaryFunctorIhhhZZZNS0_18lshift_kernel_cudaERNS_18TensorIteratorBaseEENKUlvE_clEvENKUlvE_clEvEUlhhE_EEEEvS5_RKT_EUlibE_EEviT1_, .Lfunc_end22-_ZN2at6native32elementwise_kernel_manual_unrollILi128ELi4EZNS0_15gpu_kernel_implINS0_13BinaryFunctorIhhhZZZNS0_18lshift_kernel_cudaERNS_18TensorIteratorBaseEENKUlvE_clEvENKUlvE_clEvEUlhhE_EEEEvS5_RKT_EUlibE_EEviT1_
                                        ; -- End function
	.set _ZN2at6native32elementwise_kernel_manual_unrollILi128ELi4EZNS0_15gpu_kernel_implINS0_13BinaryFunctorIhhhZZZNS0_18lshift_kernel_cudaERNS_18TensorIteratorBaseEENKUlvE_clEvENKUlvE_clEvEUlhhE_EEEEvS5_RKT_EUlibE_EEviT1_.num_vgpr, 16
	.set _ZN2at6native32elementwise_kernel_manual_unrollILi128ELi4EZNS0_15gpu_kernel_implINS0_13BinaryFunctorIhhhZZZNS0_18lshift_kernel_cudaERNS_18TensorIteratorBaseEENKUlvE_clEvENKUlvE_clEvEUlhhE_EEEEvS5_RKT_EUlibE_EEviT1_.num_agpr, 0
	.set _ZN2at6native32elementwise_kernel_manual_unrollILi128ELi4EZNS0_15gpu_kernel_implINS0_13BinaryFunctorIhhhZZZNS0_18lshift_kernel_cudaERNS_18TensorIteratorBaseEENKUlvE_clEvENKUlvE_clEvEUlhhE_EEEEvS5_RKT_EUlibE_EEviT1_.numbered_sgpr, 56
	.set _ZN2at6native32elementwise_kernel_manual_unrollILi128ELi4EZNS0_15gpu_kernel_implINS0_13BinaryFunctorIhhhZZZNS0_18lshift_kernel_cudaERNS_18TensorIteratorBaseEENKUlvE_clEvENKUlvE_clEvEUlhhE_EEEEvS5_RKT_EUlibE_EEviT1_.num_named_barrier, 0
	.set _ZN2at6native32elementwise_kernel_manual_unrollILi128ELi4EZNS0_15gpu_kernel_implINS0_13BinaryFunctorIhhhZZZNS0_18lshift_kernel_cudaERNS_18TensorIteratorBaseEENKUlvE_clEvENKUlvE_clEvEUlhhE_EEEEvS5_RKT_EUlibE_EEviT1_.private_seg_size, 0
	.set _ZN2at6native32elementwise_kernel_manual_unrollILi128ELi4EZNS0_15gpu_kernel_implINS0_13BinaryFunctorIhhhZZZNS0_18lshift_kernel_cudaERNS_18TensorIteratorBaseEENKUlvE_clEvENKUlvE_clEvEUlhhE_EEEEvS5_RKT_EUlibE_EEviT1_.uses_vcc, 1
	.set _ZN2at6native32elementwise_kernel_manual_unrollILi128ELi4EZNS0_15gpu_kernel_implINS0_13BinaryFunctorIhhhZZZNS0_18lshift_kernel_cudaERNS_18TensorIteratorBaseEENKUlvE_clEvENKUlvE_clEvEUlhhE_EEEEvS5_RKT_EUlibE_EEviT1_.uses_flat_scratch, 0
	.set _ZN2at6native32elementwise_kernel_manual_unrollILi128ELi4EZNS0_15gpu_kernel_implINS0_13BinaryFunctorIhhhZZZNS0_18lshift_kernel_cudaERNS_18TensorIteratorBaseEENKUlvE_clEvENKUlvE_clEvEUlhhE_EEEEvS5_RKT_EUlibE_EEviT1_.has_dyn_sized_stack, 0
	.set _ZN2at6native32elementwise_kernel_manual_unrollILi128ELi4EZNS0_15gpu_kernel_implINS0_13BinaryFunctorIhhhZZZNS0_18lshift_kernel_cudaERNS_18TensorIteratorBaseEENKUlvE_clEvENKUlvE_clEvEUlhhE_EEEEvS5_RKT_EUlibE_EEviT1_.has_recursion, 0
	.set _ZN2at6native32elementwise_kernel_manual_unrollILi128ELi4EZNS0_15gpu_kernel_implINS0_13BinaryFunctorIhhhZZZNS0_18lshift_kernel_cudaERNS_18TensorIteratorBaseEENKUlvE_clEvENKUlvE_clEvEUlhhE_EEEEvS5_RKT_EUlibE_EEviT1_.has_indirect_call, 0
	.section	.AMDGPU.csdata,"",@progbits
; Kernel info:
; codeLenInByte = 52252
; TotalNumSgprs: 60
; NumVgprs: 16
; ScratchSize: 0
; MemoryBound: 1
; FloatMode: 240
; IeeeMode: 1
; LDSByteSize: 0 bytes/workgroup (compile time only)
; SGPRBlocks: 7
; VGPRBlocks: 3
; NumSGPRsForWavesPerEU: 60
; NumVGPRsForWavesPerEU: 16
; Occupancy: 10
; WaveLimiterHint : 0
; COMPUTE_PGM_RSRC2:SCRATCH_EN: 0
; COMPUTE_PGM_RSRC2:USER_SGPR: 6
; COMPUTE_PGM_RSRC2:TRAP_HANDLER: 0
; COMPUTE_PGM_RSRC2:TGID_X_EN: 1
; COMPUTE_PGM_RSRC2:TGID_Y_EN: 0
; COMPUTE_PGM_RSRC2:TGID_Z_EN: 0
; COMPUTE_PGM_RSRC2:TIDIG_COMP_CNT: 0
	.section	.text._ZN2at6native32elementwise_kernel_manual_unrollILi128ELi4EZNS0_15gpu_kernel_implINS0_13BinaryFunctorIhhhZZZNS0_18lshift_kernel_cudaERNS_18TensorIteratorBaseEENKUlvE_clEvENKUlvE_clEvEUlhhE_EEEEvS5_RKT_EUlibE0_EEviT1_,"axG",@progbits,_ZN2at6native32elementwise_kernel_manual_unrollILi128ELi4EZNS0_15gpu_kernel_implINS0_13BinaryFunctorIhhhZZZNS0_18lshift_kernel_cudaERNS_18TensorIteratorBaseEENKUlvE_clEvENKUlvE_clEvEUlhhE_EEEEvS5_RKT_EUlibE0_EEviT1_,comdat
	.globl	_ZN2at6native32elementwise_kernel_manual_unrollILi128ELi4EZNS0_15gpu_kernel_implINS0_13BinaryFunctorIhhhZZZNS0_18lshift_kernel_cudaERNS_18TensorIteratorBaseEENKUlvE_clEvENKUlvE_clEvEUlhhE_EEEEvS5_RKT_EUlibE0_EEviT1_ ; -- Begin function _ZN2at6native32elementwise_kernel_manual_unrollILi128ELi4EZNS0_15gpu_kernel_implINS0_13BinaryFunctorIhhhZZZNS0_18lshift_kernel_cudaERNS_18TensorIteratorBaseEENKUlvE_clEvENKUlvE_clEvEUlhhE_EEEEvS5_RKT_EUlibE0_EEviT1_
	.p2align	8
	.type	_ZN2at6native32elementwise_kernel_manual_unrollILi128ELi4EZNS0_15gpu_kernel_implINS0_13BinaryFunctorIhhhZZZNS0_18lshift_kernel_cudaERNS_18TensorIteratorBaseEENKUlvE_clEvENKUlvE_clEvEUlhhE_EEEEvS5_RKT_EUlibE0_EEviT1_,@function
_ZN2at6native32elementwise_kernel_manual_unrollILi128ELi4EZNS0_15gpu_kernel_implINS0_13BinaryFunctorIhhhZZZNS0_18lshift_kernel_cudaERNS_18TensorIteratorBaseEENKUlvE_clEvENKUlvE_clEvEUlhhE_EEEEvS5_RKT_EUlibE0_EEviT1_: ; @_ZN2at6native32elementwise_kernel_manual_unrollILi128ELi4EZNS0_15gpu_kernel_implINS0_13BinaryFunctorIhhhZZZNS0_18lshift_kernel_cudaERNS_18TensorIteratorBaseEENKUlvE_clEvENKUlvE_clEvEUlhhE_EEEEvS5_RKT_EUlibE0_EEviT1_
; %bb.0:
	s_load_dword s66, s[4:5], 0x0
	s_load_dword s33, s[4:5], 0x8
	s_add_u32 s2, s4, 8
	s_addc_u32 s3, s5, 0
	v_lshl_or_b32 v10, s6, 9, v0
	v_or_b32_e32 v20, 0x180, v10
	s_waitcnt lgkmcnt(0)
	s_add_i32 s68, s33, -1
	s_cmp_gt_u32 s68, 1
	v_cmp_le_i32_e32 vcc, s66, v20
	s_cselect_b64 s[20:21], -1, 0
	s_mov_b64 s[6:7], 0
	s_mov_b64 s[12:13], 0
	s_and_saveexec_b64 s[0:1], vcc
	s_xor_b64 s[22:23], exec, s[0:1]
	s_cbranch_execz .LBB23_1557
; %bb.1:
	v_mov_b32_e32 v0, 0
	global_load_ushort v1, v0, s[2:3] offset:417
	global_load_sbyte v2, v0, s[2:3] offset:419
	s_load_dwordx4 s[16:19], s[2:3], 0x4
	s_load_dwordx2 s[28:29], s[2:3], 0x14
	s_load_dwordx4 s[12:15], s[2:3], 0xc4
	s_load_dwordx2 s[26:27], s[2:3], 0xd4
	s_load_dwordx2 s[24:25], s[2:3], 0x198
	s_load_dwordx4 s[8:11], s[2:3], 0x188
	s_cmp_lg_u32 s33, 0
	s_cselect_b64 s[34:35], -1, 0
	s_min_u32 s72, s68, 15
	s_cmp_gt_u32 s33, 1
	v_cmp_gt_i32_e32 vcc, s66, v10
	s_mov_b64 s[0:1], -1
	s_mov_b64 s[46:47], 0
	s_mov_b64 s[40:41], 0
	;; [unrolled: 1-line block ×3, first 2 shown]
	s_cselect_b64 s[30:31], -1, 0
	s_mov_b64 s[36:37], 0
	s_waitcnt vmcnt(1)
	v_readfirstlane_b32 s69, v1
	s_waitcnt vmcnt(0)
	v_readfirstlane_b32 s70, v2
	s_lshr_b32 s71, s69, 8
	s_and_saveexec_b64 s[42:43], vcc
	s_cbranch_execz .LBB23_386
; %bb.2:
	s_andn2_b64 vcc, exec, s[20:21]
	s_cbranch_vccnz .LBB23_8
; %bb.3:
	s_andn2_b64 vcc, exec, s[34:35]
	s_cbranch_vccnz .LBB23_9
; %bb.4:
	s_add_i32 s0, s72, 1
	s_and_b32 s36, s0, 30
	s_add_u32 s0, s2, 0xffffffe8
	s_addc_u32 s1, s3, -1
	v_mov_b32_e32 v3, 0
	v_mov_b32_e32 v5, 0
	;; [unrolled: 1-line block ×4, first 2 shown]
.LBB23_5:                               ; =>This Inner Loop Header: Depth=1
	s_load_dwordx4 s[48:51], s[0:1], 0x1c
	s_load_dwordx2 s[38:39], s[0:1], 0x2c
	s_load_dwordx2 s[40:41], s[0:1], 0xec
	s_load_dwordx4 s[52:55], s[0:1], 0xdc
	s_add_u32 s0, s0, 24
	s_waitcnt lgkmcnt(0)
	v_mul_hi_u32 v2, s49, v1
	s_addc_u32 s1, s1, 0
	s_add_i32 s36, s36, -2
	s_cmp_lg_u32 s36, 0
	v_add_u32_e32 v2, v1, v2
	v_lshrrev_b32_e32 v2, s50, v2
	v_mul_lo_u32 v4, v2, s48
	v_mul_hi_u32 v6, s38, v2
	v_sub_u32_e32 v4, v1, v4
	v_add_u32_e32 v1, v2, v6
	v_lshrrev_b32_e32 v1, s39, v1
	v_mul_lo_u32 v8, v1, s51
	v_mul_lo_u32 v6, v4, s52
	;; [unrolled: 1-line block ×4, first 2 shown]
	v_sub_u32_e32 v2, v2, v8
	v_mul_lo_u32 v8, v2, s55
	v_mul_lo_u32 v9, v2, s40
	;; [unrolled: 1-line block ×3, first 2 shown]
	v_add3_u32 v0, v6, v0, v8
	v_add3_u32 v5, v7, v5, v9
	;; [unrolled: 1-line block ×3, first 2 shown]
	s_cbranch_scc1 .LBB23_5
; %bb.6:
	s_bitcmp1_b32 s72, 0
	s_cselect_b64 s[36:37], -1, 0
	s_and_b64 vcc, exec, s[36:37]
	s_cbranch_vccnz .LBB23_10
; %bb.7:
	s_load_dwordx2 s[36:37], s[0:1], 0x1c
	s_load_dword s40, s[0:1], 0x24
	s_load_dwordx2 s[38:39], s[0:1], 0xdc
	s_waitcnt lgkmcnt(0)
	v_mul_hi_u32 v2, s37, v1
	v_add_u32_e32 v2, v1, v2
	v_lshrrev_b32_e32 v2, s40, v2
	v_mul_lo_u32 v2, v2, s36
	s_load_dword s36, s[0:1], 0xe4
	v_sub_u32_e32 v2, v1, v2
	v_mad_u64_u32 v[0:1], s[0:1], v2, s38, v[0:1]
	v_mad_u64_u32 v[5:6], s[0:1], v2, s39, v[5:6]
	s_waitcnt lgkmcnt(0)
	v_mad_u64_u32 v[3:4], s[0:1], v2, s36, v[3:4]
	s_cbranch_execz .LBB23_11
	s_branch .LBB23_13
.LBB23_8:
                                        ; implicit-def: $vgpr0
                                        ; implicit-def: $vgpr5
                                        ; implicit-def: $vgpr3
	s_andn2_b64 vcc, exec, s[0:1]
	s_cbranch_vccz .LBB23_11
	s_branch .LBB23_13
.LBB23_9:
	v_mov_b32_e32 v0, 0
	v_mov_b32_e32 v5, 0
	;; [unrolled: 1-line block ×3, first 2 shown]
.LBB23_10:
	s_cbranch_execnz .LBB23_13
.LBB23_11:
	s_waitcnt lgkmcnt(0)
	v_mul_hi_u32 v0, s17, v10
	s_andn2_b64 vcc, exec, s[30:31]
	v_add_u32_e32 v0, v10, v0
	v_lshrrev_b32_e32 v1, s18, v0
	v_mul_lo_u32 v0, v1, s16
	v_sub_u32_e32 v2, v10, v0
	v_mul_lo_u32 v0, v2, s12
	v_mul_lo_u32 v5, v2, s13
	;; [unrolled: 1-line block ×3, first 2 shown]
	s_cbranch_vccnz .LBB23_13
; %bb.12:
	v_mul_hi_u32 v2, s28, v1
	v_add_u32_e32 v2, v1, v2
	v_lshrrev_b32_e32 v2, s29, v2
	v_mul_lo_u32 v2, v2, s19
	v_sub_u32_e32 v2, v1, v2
	v_mad_u64_u32 v[0:1], s[0:1], v2, s15, v[0:1]
	v_mad_u64_u32 v[5:6], s[0:1], v2, s26, v[5:6]
	;; [unrolled: 1-line block ×3, first 2 shown]
.LBB23_13:
	s_waitcnt lgkmcnt(0)
	v_mov_b32_e32 v1, s11
	s_and_b32 s38, s71, 0xff
	v_add_co_u32_e32 v4, vcc, s10, v5
	s_cmp_lt_i32 s38, 11
	v_addc_co_u32_e32 v5, vcc, 0, v1, vcc
	s_cbranch_scc1 .LBB23_20
; %bb.14:
	s_and_b32 s39, 0xffff, s38
	s_cmp_gt_i32 s39, 25
	s_cbranch_scc0 .LBB23_29
; %bb.15:
	s_cmp_gt_i32 s39, 28
	s_cbranch_scc0 .LBB23_39
; %bb.16:
	;; [unrolled: 3-line block ×4, first 2 shown]
	s_cmp_eq_u32 s39, 46
	s_mov_b64 s[36:37], 0
	s_cbranch_scc0 .LBB23_48
; %bb.19:
	global_load_dword v1, v[4:5], off
	s_mov_b32 s0, 0x2f800000
	s_mov_b32 s1, 0xcf800000
	s_mov_b64 s[40:41], 0
	s_waitcnt vmcnt(0)
	v_lshlrev_b32_e32 v1, 16, v1
	v_trunc_f32_e32 v1, v1
	v_mul_f32_e64 v2, |v1|, s0
	v_floor_f32_e32 v2, v2
	v_fma_f32 v2, v2, s1, |v1|
	v_cvt_u32_f32_e32 v2, v2
	v_ashrrev_i32_e32 v1, 31, v1
	s_mov_b64 s[0:1], -1
	v_xor_b32_e32 v2, v2, v1
	v_sub_u32_e32 v1, v2, v1
	s_branch .LBB23_50
.LBB23_20:
	s_mov_b64 s[40:41], 0
                                        ; implicit-def: $vgpr1
	s_mov_b64 s[0:1], 0
	s_cbranch_execnz .LBB23_112
.LBB23_21:
	s_andn2_b64 vcc, exec, s[0:1]
	s_cbranch_vccnz .LBB23_159
.LBB23_22:
	v_mov_b32_e32 v4, s25
	s_and_b32 s44, s70, 0xff
	s_waitcnt vmcnt(0)
	v_add_co_u32_e32 v2, vcc, s24, v3
	s_cmp_lt_i32 s44, 11
	v_addc_co_u32_e32 v3, vcc, 0, v4, vcc
	s_cbranch_scc1 .LBB23_30
; %bb.23:
	s_and_b32 s45, 0xffff, s44
	s_cmp_gt_i32 s45, 25
	s_cbranch_scc0 .LBB23_40
; %bb.24:
	s_cmp_gt_i32 s45, 28
	s_cbranch_scc0 .LBB23_43
; %bb.25:
	;; [unrolled: 3-line block ×4, first 2 shown]
	s_cmp_eq_u32 s45, 46
	s_mov_b64 s[36:37], 0
	s_cbranch_scc0 .LBB23_160
; %bb.28:
	global_load_dword v4, v[2:3], off
	s_mov_b32 s0, 0x2f800000
	s_mov_b32 s1, 0xcf800000
	s_mov_b64 s[38:39], 0
	s_waitcnt vmcnt(0)
	v_lshlrev_b32_e32 v4, 16, v4
	v_trunc_f32_e32 v4, v4
	v_mul_f32_e64 v5, |v4|, s0
	v_floor_f32_e32 v5, v5
	v_fma_f32 v5, v5, s1, |v4|
	v_cvt_u32_f32_e32 v5, v5
	v_ashrrev_i32_e32 v4, 31, v4
	s_mov_b64 s[0:1], -1
	v_xor_b32_e32 v5, v5, v4
	v_sub_u32_e32 v4, v5, v4
	s_branch .LBB23_162
.LBB23_29:
	s_mov_b64 s[40:41], 0
	s_mov_b64 s[0:1], 0
                                        ; implicit-def: $vgpr1
	s_cbranch_execnz .LBB23_79
	s_branch .LBB23_111
.LBB23_30:
	s_mov_b64 s[38:39], 0
                                        ; implicit-def: $vgpr4
	s_mov_b64 s[0:1], 0
	s_cbranch_execnz .LBB23_335
.LBB23_31:
	s_andn2_b64 vcc, exec, s[0:1]
	s_cbranch_vccnz .LBB23_383
.LBB23_32:
	v_mov_b32_e32 v2, 8
	s_waitcnt vmcnt(0)
	v_lshlrev_b32_e32 v1, v4, v1
	v_cmp_lt_u16_sdwa vcc, v4, v2 src0_sel:BYTE_0 src1_sel:DWORD
	v_cndmask_b32_e32 v2, 0, v1, vcc
	v_mov_b32_e32 v1, s9
	s_and_b32 s50, s69, 0xff
	v_add_co_u32_e32 v0, vcc, s8, v0
	s_cmp_lt_i32 s50, 11
	v_addc_co_u32_e32 v1, vcc, 0, v1, vcc
	s_cbranch_scc1 .LBB23_41
; %bb.33:
	s_and_b32 s51, 0xffff, s50
	s_cmp_gt_i32 s51, 25
	s_cbranch_scc0 .LBB23_44
; %bb.34:
	s_cmp_gt_i32 s51, 28
	s_cbranch_scc0 .LBB23_47
; %bb.35:
	;; [unrolled: 3-line block ×4, first 2 shown]
	s_mov_b64 s[44:45], 0
	s_mov_b64 s[0:1], -1
	s_cmp_eq_u32 s51, 46
	s_mov_b64 s[36:37], 0
	s_cbranch_scc0 .LBB23_166
; %bb.38:
	v_cvt_f32_ubyte0_e32 v3, v2
	v_bfe_u32 v4, v3, 16, 1
	s_movk_i32 s0, 0x7fff
	v_add3_u32 v3, v3, v4, s0
	v_lshrrev_b32_e32 v3, 16, v3
	global_store_dword v[0:1], v3, off
	s_mov_b64 s[36:37], -1
	s_mov_b64 s[0:1], 0
	s_branch .LBB23_166
.LBB23_39:
	s_mov_b64 s[36:37], -1
	s_mov_b64 s[40:41], 0
	s_mov_b64 s[0:1], 0
                                        ; implicit-def: $vgpr1
	s_branch .LBB23_62
.LBB23_40:
	s_mov_b64 s[36:37], -1
	s_mov_b64 s[38:39], 0
	s_mov_b64 s[0:1], 0
                                        ; implicit-def: $vgpr4
	s_branch .LBB23_301
.LBB23_41:
	s_mov_b64 s[44:45], -1
	s_mov_b64 s[0:1], 0
	s_mov_b64 s[36:37], 0
	s_branch .LBB23_235
.LBB23_42:
	s_mov_b64 s[36:37], -1
	s_mov_b64 s[40:41], 0
	s_mov_b64 s[0:1], 0
                                        ; implicit-def: $vgpr1
	s_branch .LBB23_57
.LBB23_43:
	s_mov_b64 s[36:37], -1
	s_mov_b64 s[38:39], 0
	s_mov_b64 s[0:1], 0
                                        ; implicit-def: $vgpr4
	s_branch .LBB23_284
.LBB23_44:
	s_mov_b64 s[44:45], -1
	s_mov_b64 s[0:1], 0
	s_mov_b64 s[36:37], 0
	s_branch .LBB23_193
.LBB23_45:
	s_mov_b64 s[36:37], -1
	s_mov_b64 s[40:41], 0
	s_branch .LBB23_49
.LBB23_46:
	s_mov_b64 s[36:37], -1
	s_mov_b64 s[38:39], 0
	s_mov_b64 s[0:1], 0
                                        ; implicit-def: $vgpr4
	s_branch .LBB23_279
.LBB23_47:
	s_mov_b64 s[44:45], -1
	s_mov_b64 s[0:1], 0
	s_mov_b64 s[36:37], 0
	s_branch .LBB23_176
.LBB23_48:
	s_mov_b64 s[40:41], -1
.LBB23_49:
	s_mov_b64 s[0:1], 0
                                        ; implicit-def: $vgpr1
.LBB23_50:
	s_and_b64 vcc, exec, s[36:37]
	s_cbranch_vccz .LBB23_56
; %bb.51:
	s_cmp_eq_u32 s39, 44
	s_cbranch_scc0 .LBB23_55
; %bb.52:
	global_load_ubyte v1, v[4:5], off
	s_mov_b32 s0, 0x2f800000
	s_mov_b32 s1, 0xcf800000
	s_mov_b64 s[40:41], 0
	s_waitcnt vmcnt(0)
	v_lshlrev_b32_e32 v2, 23, v1
	v_trunc_f32_e32 v2, v2
	v_mul_f32_e64 v6, |v2|, s0
	v_floor_f32_e32 v6, v6
	v_fma_f32 v6, v6, s1, |v2|
	v_cvt_u32_f32_e32 v6, v6
	v_ashrrev_i32_e32 v2, 31, v2
	v_cmp_ne_u32_e32 vcc, 0, v1
	s_mov_b64 s[0:1], -1
	v_xor_b32_e32 v6, v6, v2
	v_sub_u32_e32 v2, v6, v2
	v_cndmask_b32_e32 v1, 0, v2, vcc
	s_branch .LBB23_56
.LBB23_53:
	s_mov_b64 s[36:37], -1
	s_mov_b64 s[38:39], 0
	s_branch .LBB23_161
.LBB23_54:
	s_mov_b64 s[44:45], -1
	s_mov_b64 s[0:1], 0
	s_mov_b64 s[36:37], 0
	s_branch .LBB23_172
.LBB23_55:
	s_mov_b64 s[40:41], -1
                                        ; implicit-def: $vgpr1
.LBB23_56:
	s_mov_b64 s[36:37], 0
.LBB23_57:
	s_and_b64 vcc, exec, s[36:37]
	s_cbranch_vccz .LBB23_61
; %bb.58:
	s_cmp_eq_u32 s39, 29
	s_cbranch_scc0 .LBB23_60
; %bb.59:
	global_load_dwordx2 v[1:2], v[4:5], off
	s_mov_b64 s[0:1], -1
	s_mov_b64 s[40:41], 0
	s_branch .LBB23_61
.LBB23_60:
	s_mov_b64 s[40:41], -1
                                        ; implicit-def: $vgpr1
.LBB23_61:
	s_mov_b64 s[36:37], 0
.LBB23_62:
	s_and_b64 vcc, exec, s[36:37]
	s_cbranch_vccz .LBB23_78
; %bb.63:
	s_cmp_lt_i32 s39, 27
	s_cbranch_scc1 .LBB23_66
; %bb.64:
	s_cmp_gt_i32 s39, 27
	s_cbranch_scc0 .LBB23_67
; %bb.65:
	global_load_dword v1, v[4:5], off
	s_mov_b64 s[0:1], 0
	s_branch .LBB23_68
.LBB23_66:
	s_mov_b64 s[0:1], -1
                                        ; implicit-def: $vgpr1
	s_branch .LBB23_71
.LBB23_67:
	s_mov_b64 s[0:1], -1
                                        ; implicit-def: $vgpr1
.LBB23_68:
	s_andn2_b64 vcc, exec, s[0:1]
	s_cbranch_vccnz .LBB23_70
; %bb.69:
	global_load_ushort v1, v[4:5], off
.LBB23_70:
	s_mov_b64 s[0:1], 0
.LBB23_71:
	s_andn2_b64 vcc, exec, s[0:1]
	s_cbranch_vccnz .LBB23_77
; %bb.72:
	global_load_ubyte v2, v[4:5], off
	s_movk_i32 s0, 0x7f
	s_mov_b64 s[36:37], 0
	s_waitcnt vmcnt(0)
	v_cmp_lt_i16_e32 vcc, s0, v2
	s_and_saveexec_b64 s[0:1], vcc
	s_xor_b64 s[0:1], exec, s[0:1]
	s_cbranch_execz .LBB23_88
; %bb.73:
	s_movk_i32 s36, 0x80
	v_cmp_ne_u16_e32 vcc, s36, v2
	s_and_b64 s[36:37], vcc, exec
	s_andn2_saveexec_b64 s[0:1], s[0:1]
	s_cbranch_execnz .LBB23_89
.LBB23_74:
	s_or_b64 exec, exec, s[0:1]
	v_mov_b32_e32 v1, 0
	s_and_saveexec_b64 s[0:1], s[36:37]
	s_cbranch_execz .LBB23_76
.LBB23_75:
	v_lshlrev_b32_e32 v1, 24, v2
	v_and_b32_e32 v2, 0xffff, v2
	v_and_b32_e32 v6, 7, v2
	v_ffbh_u32_e32 v8, v6
	v_min_u32_e32 v8, 32, v8
	v_subrev_u32_e32 v9, 28, v8
	v_bfe_u32 v7, v2, 3, 4
	v_lshlrev_b32_e32 v2, v9, v2
	v_sub_u32_e32 v8, 29, v8
	v_and_b32_e32 v2, 7, v2
	v_cmp_eq_u32_e32 vcc, 0, v7
	v_cndmask_b32_e32 v7, v7, v8, vcc
	v_cndmask_b32_e32 v2, v6, v2, vcc
	v_mov_b32_e32 v6, 0x3b800000
	v_lshlrev_b32_e32 v2, 20, v2
	v_and_b32_e32 v1, 0x80000000, v1
	v_lshl_add_u32 v6, v7, 23, v6
	v_or3_b32 v1, v1, v6, v2
	v_trunc_f32_e32 v1, v1
	s_mov_b32 s36, 0x2f800000
	v_mul_f32_e64 v2, |v1|, s36
	v_floor_f32_e32 v2, v2
	s_mov_b32 s36, 0xcf800000
	v_fma_f32 v2, v2, s36, |v1|
	v_cvt_u32_f32_e32 v2, v2
	v_ashrrev_i32_e32 v1, 31, v1
	v_xor_b32_e32 v2, v2, v1
	v_sub_u32_e32 v1, v2, v1
.LBB23_76:
	s_or_b64 exec, exec, s[0:1]
.LBB23_77:
	s_mov_b64 s[0:1], -1
.LBB23_78:
	s_branch .LBB23_111
.LBB23_79:
	s_cmp_gt_i32 s39, 22
	s_cbranch_scc0 .LBB23_87
; %bb.80:
	s_cmp_lt_i32 s39, 24
	s_cbranch_scc1 .LBB23_90
; %bb.81:
	s_cmp_gt_i32 s39, 24
	s_cbranch_scc0 .LBB23_91
; %bb.82:
	global_load_ubyte v2, v[4:5], off
	s_movk_i32 s0, 0x7f
	s_mov_b64 s[36:37], 0
	s_waitcnt vmcnt(0)
	v_cmp_lt_i16_e32 vcc, s0, v2
	s_and_saveexec_b64 s[0:1], vcc
	s_xor_b64 s[0:1], exec, s[0:1]
	s_cbranch_execz .LBB23_103
; %bb.83:
	s_movk_i32 s36, 0x80
	v_cmp_ne_u16_e32 vcc, s36, v2
	s_and_b64 s[36:37], vcc, exec
	s_andn2_saveexec_b64 s[0:1], s[0:1]
	s_cbranch_execnz .LBB23_104
.LBB23_84:
	s_or_b64 exec, exec, s[0:1]
	v_mov_b32_e32 v1, 0
	s_and_saveexec_b64 s[0:1], s[36:37]
	s_cbranch_execz .LBB23_86
.LBB23_85:
	v_lshlrev_b32_e32 v1, 24, v2
	v_and_b32_e32 v2, 0xffff, v2
	v_and_b32_e32 v6, 3, v2
	v_ffbh_u32_e32 v8, v6
	v_min_u32_e32 v8, 32, v8
	v_subrev_u32_e32 v9, 29, v8
	v_bfe_u32 v7, v2, 2, 5
	v_lshlrev_b32_e32 v2, v9, v2
	v_sub_u32_e32 v8, 30, v8
	v_and_b32_e32 v2, 3, v2
	v_cmp_eq_u32_e32 vcc, 0, v7
	v_cndmask_b32_e32 v7, v7, v8, vcc
	v_cndmask_b32_e32 v2, v6, v2, vcc
	v_mov_b32_e32 v6, 0x37800000
	v_lshlrev_b32_e32 v2, 21, v2
	v_and_b32_e32 v1, 0x80000000, v1
	v_lshl_add_u32 v6, v7, 23, v6
	v_or3_b32 v1, v1, v6, v2
	v_trunc_f32_e32 v1, v1
	s_mov_b32 s36, 0x2f800000
	v_mul_f32_e64 v2, |v1|, s36
	v_floor_f32_e32 v2, v2
	s_mov_b32 s36, 0xcf800000
	v_fma_f32 v2, v2, s36, |v1|
	v_cvt_u32_f32_e32 v2, v2
	v_ashrrev_i32_e32 v1, 31, v1
	v_xor_b32_e32 v2, v2, v1
	v_sub_u32_e32 v1, v2, v1
.LBB23_86:
	s_or_b64 exec, exec, s[0:1]
	s_mov_b64 s[0:1], 0
	s_branch .LBB23_92
.LBB23_87:
	s_mov_b64 s[36:37], -1
                                        ; implicit-def: $vgpr1
	s_branch .LBB23_98
.LBB23_88:
	s_andn2_saveexec_b64 s[0:1], s[0:1]
	s_cbranch_execz .LBB23_74
.LBB23_89:
	v_cmp_ne_u16_e32 vcc, 0, v2
	s_andn2_b64 s[36:37], s[36:37], exec
	s_and_b64 s[44:45], vcc, exec
	s_or_b64 s[36:37], s[36:37], s[44:45]
	s_or_b64 exec, exec, s[0:1]
	v_mov_b32_e32 v1, 0
	s_and_saveexec_b64 s[0:1], s[36:37]
	s_cbranch_execnz .LBB23_75
	s_branch .LBB23_76
.LBB23_90:
	s_mov_b64 s[0:1], -1
                                        ; implicit-def: $vgpr1
	s_branch .LBB23_95
.LBB23_91:
	s_mov_b64 s[0:1], -1
                                        ; implicit-def: $vgpr1
.LBB23_92:
	s_and_b64 vcc, exec, s[0:1]
	s_cbranch_vccz .LBB23_94
; %bb.93:
	global_load_ubyte v1, v[4:5], off
	s_mov_b32 s0, 0x7f800000
	s_brev_b32 s1, 1
	s_mov_b32 s36, 0x2f800000
	s_waitcnt vmcnt(0)
	v_lshlrev_b32_e32 v1, 24, v1
	v_and_b32_e32 v2, 0x7f000000, v1
	v_ffbh_u32_e32 v6, v2
	v_min_u32_e32 v6, 32, v6
	v_sub_u32_e64 v6, v6, 4 clamp
	v_lshlrev_b32_e32 v8, v6, v2
	v_lshlrev_b32_e32 v6, 23, v6
	v_lshrrev_b32_e32 v8, 4, v8
	v_add_u32_e32 v7, 0x1000000, v2
	v_sub_u32_e32 v6, v8, v6
	v_ashrrev_i32_e32 v7, 8, v7
	v_add_u32_e32 v6, 0x3c000000, v6
	v_and_or_b32 v6, v7, s0, v6
	v_cmp_ne_u32_e32 vcc, 0, v2
	v_cndmask_b32_e32 v2, 0, v6, vcc
	v_and_or_b32 v1, v1, s1, v2
	v_trunc_f32_e32 v1, v1
	v_mul_f32_e64 v2, |v1|, s36
	v_floor_f32_e32 v2, v2
	s_mov_b32 s0, 0xcf800000
	v_fma_f32 v2, v2, s0, |v1|
	v_cvt_u32_f32_e32 v2, v2
	v_ashrrev_i32_e32 v1, 31, v1
	v_xor_b32_e32 v2, v2, v1
	v_sub_u32_e32 v1, v2, v1
.LBB23_94:
	s_mov_b64 s[0:1], 0
.LBB23_95:
	s_andn2_b64 vcc, exec, s[0:1]
	s_cbranch_vccnz .LBB23_97
; %bb.96:
	global_load_ubyte v1, v[4:5], off
	s_movk_i32 s0, 0x7f00
	s_brev_b32 s1, 16
	s_brev_b32 s36, 1
	s_mov_b32 s37, 0x2f800000
	s_waitcnt vmcnt(0)
	v_lshlrev_b16_e32 v2, 8, v1
	v_lshlrev_b32_e32 v1, 25, v1
	v_lshrrev_b32_e32 v6, 4, v1
	v_and_or_b32 v7, v2, s0, 0.5
	v_or_b32_e32 v6, 0x70000000, v6
	v_add_f32_e32 v7, -0.5, v7
	v_mul_f32_e32 v6, 0x7800000, v6
	v_cmp_gt_u32_e32 vcc, s1, v1
	v_bfe_i32 v2, v2, 0, 16
	v_cndmask_b32_e32 v1, v6, v7, vcc
	v_and_or_b32 v1, v2, s36, v1
	v_trunc_f32_e32 v1, v1
	v_mul_f32_e64 v2, |v1|, s37
	v_floor_f32_e32 v2, v2
	s_mov_b32 s0, 0xcf800000
	v_fma_f32 v2, v2, s0, |v1|
	v_cvt_u32_f32_e32 v2, v2
	v_ashrrev_i32_e32 v1, 31, v1
	v_xor_b32_e32 v2, v2, v1
	v_sub_u32_e32 v1, v2, v1
.LBB23_97:
	s_mov_b64 s[36:37], 0
	s_mov_b64 s[0:1], -1
.LBB23_98:
	s_andn2_b64 vcc, exec, s[36:37]
	s_cbranch_vccnz .LBB23_111
; %bb.99:
	s_cmp_gt_i32 s39, 14
	s_cbranch_scc0 .LBB23_102
; %bb.100:
	s_cmp_eq_u32 s39, 15
	s_cbranch_scc0 .LBB23_105
; %bb.101:
	global_load_ushort v1, v[4:5], off
	s_mov_b32 s0, 0x2f800000
	s_mov_b32 s1, 0xcf800000
	s_mov_b64 s[40:41], 0
	s_waitcnt vmcnt(0)
	v_lshlrev_b32_e32 v1, 16, v1
	v_trunc_f32_e32 v1, v1
	v_mul_f32_e64 v2, |v1|, s0
	v_floor_f32_e32 v2, v2
	v_fma_f32 v2, v2, s1, |v1|
	v_cvt_u32_f32_e32 v2, v2
	v_ashrrev_i32_e32 v1, 31, v1
	s_mov_b64 s[0:1], -1
	v_xor_b32_e32 v2, v2, v1
	v_sub_u32_e32 v1, v2, v1
	s_branch .LBB23_106
.LBB23_102:
	s_mov_b64 s[36:37], -1
                                        ; implicit-def: $vgpr1
	s_branch .LBB23_107
.LBB23_103:
	s_andn2_saveexec_b64 s[0:1], s[0:1]
	s_cbranch_execz .LBB23_84
.LBB23_104:
	v_cmp_ne_u16_e32 vcc, 0, v2
	s_andn2_b64 s[36:37], s[36:37], exec
	s_and_b64 s[44:45], vcc, exec
	s_or_b64 s[36:37], s[36:37], s[44:45]
	s_or_b64 exec, exec, s[0:1]
	v_mov_b32_e32 v1, 0
	s_and_saveexec_b64 s[0:1], s[36:37]
	s_cbranch_execnz .LBB23_85
	s_branch .LBB23_86
.LBB23_105:
	s_mov_b64 s[40:41], -1
                                        ; implicit-def: $vgpr1
.LBB23_106:
	s_mov_b64 s[36:37], 0
.LBB23_107:
	s_and_b64 vcc, exec, s[36:37]
	s_cbranch_vccz .LBB23_111
; %bb.108:
	s_cmp_eq_u32 s39, 11
	s_cbranch_scc0 .LBB23_110
; %bb.109:
	global_load_ubyte v1, v[4:5], off
	s_mov_b64 s[0:1], -1
	s_mov_b64 s[40:41], 0
	s_waitcnt vmcnt(0)
	v_cmp_ne_u16_e32 vcc, 0, v1
	v_cndmask_b32_e64 v1, 0, 1, vcc
	s_branch .LBB23_111
.LBB23_110:
	s_mov_b64 s[40:41], -1
                                        ; implicit-def: $vgpr1
.LBB23_111:
	s_branch .LBB23_21
.LBB23_112:
	s_and_b32 s36, 0xffff, s38
	s_cmp_lt_i32 s36, 5
	s_cbranch_scc1 .LBB23_117
; %bb.113:
	s_cmp_lt_i32 s36, 8
	s_cbranch_scc1 .LBB23_118
; %bb.114:
	;; [unrolled: 3-line block ×3, first 2 shown]
	s_cmp_gt_i32 s36, 9
	s_cbranch_scc0 .LBB23_120
; %bb.116:
	global_load_dwordx2 v[1:2], v[4:5], off
	s_movk_i32 s0, 0xffe0
	s_waitcnt vmcnt(0)
	v_trunc_f64_e32 v[1:2], v[1:2]
	v_ldexp_f64 v[6:7], v[1:2], s0
	s_mov_b32 s0, 0
	s_mov_b32 s1, 0xc1f00000
	v_floor_f64_e32 v[6:7], v[6:7]
	v_fma_f64 v[1:2], v[6:7], s[0:1], v[1:2]
	s_mov_b64 s[0:1], 0
	v_cvt_u32_f64_e32 v1, v[1:2]
	s_branch .LBB23_121
.LBB23_117:
                                        ; implicit-def: $vgpr1
	s_branch .LBB23_139
.LBB23_118:
	s_mov_b64 s[0:1], -1
                                        ; implicit-def: $vgpr1
	s_branch .LBB23_127
.LBB23_119:
	s_mov_b64 s[0:1], -1
                                        ; implicit-def: $vgpr1
	s_branch .LBB23_124
.LBB23_120:
	s_mov_b64 s[0:1], -1
                                        ; implicit-def: $vgpr1
.LBB23_121:
	s_andn2_b64 vcc, exec, s[0:1]
	s_cbranch_vccnz .LBB23_123
; %bb.122:
	global_load_dword v1, v[4:5], off
	s_mov_b32 s0, 0x2f800000
	s_waitcnt vmcnt(0)
	v_trunc_f32_e32 v1, v1
	v_mul_f32_e64 v2, |v1|, s0
	v_floor_f32_e32 v2, v2
	s_mov_b32 s0, 0xcf800000
	v_fma_f32 v2, v2, s0, |v1|
	v_cvt_u32_f32_e32 v2, v2
	v_ashrrev_i32_e32 v1, 31, v1
	v_xor_b32_e32 v2, v2, v1
	v_sub_u32_e32 v1, v2, v1
.LBB23_123:
	s_mov_b64 s[0:1], 0
.LBB23_124:
	s_andn2_b64 vcc, exec, s[0:1]
	s_cbranch_vccnz .LBB23_126
; %bb.125:
	global_load_dword v1, v[4:5], off
	s_waitcnt vmcnt(0)
	v_cvt_f32_f16_e32 v1, v1
	v_cvt_i32_f32_e32 v1, v1
.LBB23_126:
	s_mov_b64 s[0:1], 0
.LBB23_127:
	s_andn2_b64 vcc, exec, s[0:1]
	s_cbranch_vccnz .LBB23_138
; %bb.128:
	s_cmp_lt_i32 s36, 6
	s_cbranch_scc1 .LBB23_131
; %bb.129:
	s_cmp_gt_i32 s36, 6
	s_cbranch_scc0 .LBB23_132
; %bb.130:
	global_load_dwordx2 v[1:2], v[4:5], off
	s_movk_i32 s0, 0xffe0
	s_waitcnt vmcnt(0)
	v_trunc_f64_e32 v[1:2], v[1:2]
	v_ldexp_f64 v[6:7], v[1:2], s0
	s_mov_b32 s0, 0
	s_mov_b32 s1, 0xc1f00000
	v_floor_f64_e32 v[6:7], v[6:7]
	v_fma_f64 v[1:2], v[6:7], s[0:1], v[1:2]
	s_mov_b64 s[0:1], 0
	v_cvt_u32_f64_e32 v1, v[1:2]
	s_branch .LBB23_133
.LBB23_131:
	s_mov_b64 s[0:1], -1
                                        ; implicit-def: $vgpr1
	s_branch .LBB23_136
.LBB23_132:
	s_mov_b64 s[0:1], -1
                                        ; implicit-def: $vgpr1
.LBB23_133:
	s_andn2_b64 vcc, exec, s[0:1]
	s_cbranch_vccnz .LBB23_135
; %bb.134:
	global_load_dword v1, v[4:5], off
	s_mov_b32 s0, 0x2f800000
	s_waitcnt vmcnt(0)
	v_trunc_f32_e32 v1, v1
	v_mul_f32_e64 v2, |v1|, s0
	v_floor_f32_e32 v2, v2
	s_mov_b32 s0, 0xcf800000
	v_fma_f32 v2, v2, s0, |v1|
	v_cvt_u32_f32_e32 v2, v2
	v_ashrrev_i32_e32 v1, 31, v1
	v_xor_b32_e32 v2, v2, v1
	v_sub_u32_e32 v1, v2, v1
.LBB23_135:
	s_mov_b64 s[0:1], 0
.LBB23_136:
	s_andn2_b64 vcc, exec, s[0:1]
	s_cbranch_vccnz .LBB23_138
; %bb.137:
	global_load_ushort v1, v[4:5], off
	s_waitcnt vmcnt(0)
	v_cvt_f32_f16_e32 v1, v1
	v_cvt_i32_f32_e32 v1, v1
.LBB23_138:
	s_cbranch_execnz .LBB23_158
.LBB23_139:
	s_cmp_lt_i32 s36, 2
	s_cbranch_scc1 .LBB23_143
; %bb.140:
	s_cmp_lt_i32 s36, 3
	s_cbranch_scc1 .LBB23_144
; %bb.141:
	s_cmp_gt_i32 s36, 3
	s_cbranch_scc0 .LBB23_145
; %bb.142:
	global_load_dwordx2 v[1:2], v[4:5], off
	s_mov_b64 s[0:1], 0
	s_branch .LBB23_146
.LBB23_143:
	s_mov_b64 s[0:1], -1
                                        ; implicit-def: $vgpr1
	s_branch .LBB23_152
.LBB23_144:
	s_mov_b64 s[0:1], -1
                                        ; implicit-def: $vgpr1
	s_branch .LBB23_149
.LBB23_145:
	s_mov_b64 s[0:1], -1
                                        ; implicit-def: $vgpr1
.LBB23_146:
	s_andn2_b64 vcc, exec, s[0:1]
	s_cbranch_vccnz .LBB23_148
; %bb.147:
	global_load_dword v1, v[4:5], off
.LBB23_148:
	s_mov_b64 s[0:1], 0
.LBB23_149:
	s_andn2_b64 vcc, exec, s[0:1]
	s_cbranch_vccnz .LBB23_151
; %bb.150:
	global_load_ushort v1, v[4:5], off
.LBB23_151:
	s_mov_b64 s[0:1], 0
.LBB23_152:
	s_andn2_b64 vcc, exec, s[0:1]
	s_cbranch_vccnz .LBB23_158
; %bb.153:
	s_cmp_gt_i32 s36, 0
	s_cbranch_scc0 .LBB23_155
; %bb.154:
	global_load_ubyte v1, v[4:5], off
	s_mov_b64 s[0:1], 0
	s_branch .LBB23_156
.LBB23_155:
	s_mov_b64 s[0:1], -1
                                        ; implicit-def: $vgpr1
.LBB23_156:
	s_andn2_b64 vcc, exec, s[0:1]
	s_cbranch_vccnz .LBB23_158
; %bb.157:
	global_load_ubyte v1, v[4:5], off
.LBB23_158:
	s_branch .LBB23_22
.LBB23_159:
	s_mov_b64 s[0:1], 0
	s_mov_b64 s[38:39], 0
	s_branch .LBB23_384
.LBB23_160:
	s_mov_b64 s[38:39], -1
.LBB23_161:
	s_mov_b64 s[0:1], 0
                                        ; implicit-def: $vgpr4
.LBB23_162:
	s_and_b64 vcc, exec, s[36:37]
	s_cbranch_vccz .LBB23_278
; %bb.163:
	s_cmp_eq_u32 s45, 44
	s_cbranch_scc0 .LBB23_277
; %bb.164:
	global_load_ubyte v4, v[2:3], off
	s_mov_b32 s0, 0x2f800000
	s_mov_b32 s1, 0xcf800000
	s_mov_b64 s[38:39], 0
	s_waitcnt vmcnt(0)
	v_lshlrev_b32_e32 v5, 23, v4
	v_trunc_f32_e32 v5, v5
	v_mul_f32_e64 v6, |v5|, s0
	v_floor_f32_e32 v6, v6
	v_fma_f32 v6, v6, s1, |v5|
	v_cvt_u32_f32_e32 v6, v6
	v_ashrrev_i32_e32 v5, 31, v5
	v_cmp_ne_u32_e32 vcc, 0, v4
	s_mov_b64 s[0:1], -1
	v_xor_b32_e32 v6, v6, v5
	v_sub_u32_e32 v5, v6, v5
	v_cndmask_b32_e32 v4, 0, v5, vcc
	s_branch .LBB23_278
.LBB23_165:
	s_mov_b64 s[44:45], -1
	s_mov_b64 s[0:1], 0
	s_mov_b64 s[36:37], 0
.LBB23_166:
	s_and_b64 vcc, exec, s[44:45]
	s_cbranch_vccz .LBB23_171
; %bb.167:
	s_cmp_eq_u32 s51, 44
	s_mov_b64 s[0:1], -1
	s_cbranch_scc0 .LBB23_171
; %bb.168:
	v_cvt_f32_ubyte0_e32 v4, v2
	v_lshrrev_b32_e32 v3, 23, v4
	s_movk_i32 s0, 0xff
	v_cmp_ne_u32_e32 vcc, s0, v3
	v_mov_b32_e32 v5, 0xff
	s_and_saveexec_b64 s[36:37], vcc
; %bb.169:
	s_mov_b32 s0, 0x3fffff
	v_and_b32_e32 v5, 0x400000, v4
	v_and_or_b32 v4, v4, s0, v3
	v_cmp_ne_u32_e32 vcc, 0, v5
	v_cmp_ne_u32_e64 s[0:1], 0, v4
	s_and_b64 s[0:1], vcc, s[0:1]
	v_cndmask_b32_e64 v4, 0, 1, s[0:1]
	v_add_u32_e32 v5, v3, v4
; %bb.170:
	s_or_b64 exec, exec, s[36:37]
	s_mov_b64 s[36:37], -1
	s_mov_b64 s[0:1], 0
	global_store_byte v[0:1], v5, off
.LBB23_171:
	s_mov_b64 s[44:45], 0
.LBB23_172:
	s_and_b64 vcc, exec, s[44:45]
	s_cbranch_vccz .LBB23_175
; %bb.173:
	s_cmp_eq_u32 s51, 29
	s_mov_b64 s[0:1], -1
	s_cbranch_scc0 .LBB23_175
; %bb.174:
	v_and_b32_e32 v3, 0xff, v2
	v_mov_b32_e32 v4, 0
	global_store_dwordx2 v[0:1], v[3:4], off
	s_mov_b64 s[36:37], -1
	s_mov_b64 s[0:1], 0
.LBB23_175:
	s_mov_b64 s[44:45], 0
.LBB23_176:
	s_and_b64 vcc, exec, s[44:45]
	s_cbranch_vccz .LBB23_192
; %bb.177:
	s_cmp_lt_i32 s51, 27
	s_mov_b64 s[36:37], -1
	s_cbranch_scc1 .LBB23_183
; %bb.178:
	s_cmp_gt_i32 s51, 27
	s_cbranch_scc0 .LBB23_180
; %bb.179:
	v_and_b32_e32 v3, 0xff, v2
	s_mov_b64 s[36:37], 0
	global_store_dword v[0:1], v3, off
.LBB23_180:
	s_andn2_b64 vcc, exec, s[36:37]
	s_cbranch_vccnz .LBB23_182
; %bb.181:
	v_and_b32_e32 v3, 0xff, v2
	global_store_short v[0:1], v3, off
.LBB23_182:
	s_mov_b64 s[36:37], 0
.LBB23_183:
	s_andn2_b64 vcc, exec, s[36:37]
	s_cbranch_vccnz .LBB23_191
; %bb.184:
	v_cvt_f32_ubyte0_e32 v4, v2
	s_mov_b32 s36, 0x43800000
	v_cmp_gt_u32_e32 vcc, s36, v4
	v_mov_b32_e32 v5, 0x80
	s_and_saveexec_b64 s[36:37], vcc
	s_cbranch_execz .LBB23_190
; %bb.185:
	s_mov_b32 s44, 0x3bffffff
	v_cmp_lt_u32_e32 vcc, s44, v4
	s_mov_b64 s[44:45], 0
                                        ; implicit-def: $vgpr3
	s_and_saveexec_b64 s[48:49], vcc
	s_xor_b64 s[48:49], exec, s[48:49]
	s_cbranch_execz .LBB23_426
; %bb.186:
	v_bfe_u32 v3, v4, 20, 1
	s_mov_b32 s52, 0x487ffff
	v_add3_u32 v3, v4, v3, s52
	s_mov_b64 s[44:45], exec
	v_lshrrev_b32_e32 v3, 20, v3
                                        ; implicit-def: $vgpr4
	s_andn2_saveexec_b64 s[48:49], s[48:49]
	s_cbranch_execnz .LBB23_427
.LBB23_187:
	s_or_b64 exec, exec, s[48:49]
	v_mov_b32_e32 v5, 0
	s_and_saveexec_b64 s[48:49], s[44:45]
.LBB23_188:
	v_mov_b32_e32 v5, v3
.LBB23_189:
	s_or_b64 exec, exec, s[48:49]
.LBB23_190:
	s_or_b64 exec, exec, s[36:37]
	global_store_byte v[0:1], v5, off
.LBB23_191:
	s_mov_b64 s[36:37], -1
.LBB23_192:
	s_mov_b64 s[44:45], 0
.LBB23_193:
	s_and_b64 vcc, exec, s[44:45]
	s_cbranch_vccz .LBB23_234
; %bb.194:
	s_cmp_gt_i32 s51, 22
	s_mov_b64 s[44:45], -1
	s_cbranch_scc0 .LBB23_226
; %bb.195:
	s_cmp_lt_i32 s51, 24
	s_mov_b64 s[36:37], -1
	s_cbranch_scc1 .LBB23_215
; %bb.196:
	s_cmp_gt_i32 s51, 24
	s_cbranch_scc0 .LBB23_204
; %bb.197:
	v_cvt_f32_ubyte0_e32 v4, v2
	s_mov_b32 s36, 0x47800000
	v_cmp_gt_u32_e32 vcc, s36, v4
	v_mov_b32_e32 v5, 0x80
	s_and_saveexec_b64 s[36:37], vcc
	s_cbranch_execz .LBB23_203
; %bb.198:
	s_mov_b32 s44, 0x37ffffff
	v_cmp_lt_u32_e32 vcc, s44, v4
	s_mov_b64 s[44:45], 0
                                        ; implicit-def: $vgpr3
	s_and_saveexec_b64 s[48:49], vcc
	s_xor_b64 s[48:49], exec, s[48:49]
	s_cbranch_execz .LBB23_541
; %bb.199:
	v_bfe_u32 v3, v4, 21, 1
	s_mov_b32 s52, 0x88fffff
	v_add3_u32 v3, v4, v3, s52
	s_mov_b64 s[44:45], exec
	v_lshrrev_b32_e32 v3, 21, v3
                                        ; implicit-def: $vgpr4
	s_andn2_saveexec_b64 s[48:49], s[48:49]
	s_cbranch_execnz .LBB23_542
.LBB23_200:
	s_or_b64 exec, exec, s[48:49]
	v_mov_b32_e32 v5, 0
	s_and_saveexec_b64 s[48:49], s[44:45]
.LBB23_201:
	v_mov_b32_e32 v5, v3
.LBB23_202:
	s_or_b64 exec, exec, s[48:49]
.LBB23_203:
	s_or_b64 exec, exec, s[36:37]
	s_mov_b64 s[36:37], 0
	global_store_byte v[0:1], v5, off
.LBB23_204:
	s_and_b64 vcc, exec, s[36:37]
	s_cbranch_vccz .LBB23_214
; %bb.205:
	v_cvt_f32_ubyte0_e32 v3, v2
	s_mov_b32 s36, 0x43f00000
	v_cmp_gt_u32_e32 vcc, s36, v3
                                        ; implicit-def: $vgpr4
	s_and_saveexec_b64 s[36:37], vcc
	s_xor_b64 s[36:37], exec, s[36:37]
	s_cbranch_execz .LBB23_211
; %bb.206:
	s_mov_b32 s44, 0x3c7fffff
	v_cmp_lt_u32_e32 vcc, s44, v3
                                        ; implicit-def: $vgpr4
	s_and_saveexec_b64 s[44:45], vcc
	s_xor_b64 s[44:45], exec, s[44:45]
; %bb.207:
	v_bfe_u32 v4, v3, 20, 1
	s_mov_b32 s48, 0x407ffff
	v_add3_u32 v3, v3, v4, s48
	v_lshrrev_b32_e32 v4, 20, v3
	v_and_b32_e32 v3, 0xff00000, v3
	s_mov_b32 s48, 0x7f00000
	v_mov_b32_e32 v5, 0x7e
	v_cmp_ne_u32_e32 vcc, s48, v3
	v_cndmask_b32_e32 v4, v5, v4, vcc
                                        ; implicit-def: $vgpr3
; %bb.208:
	s_andn2_saveexec_b64 s[44:45], s[44:45]
; %bb.209:
	v_add_f32_e32 v4, 0x46800000, v3
; %bb.210:
	s_or_b64 exec, exec, s[44:45]
                                        ; implicit-def: $vgpr3
.LBB23_211:
	s_andn2_saveexec_b64 s[36:37], s[36:37]
; %bb.212:
	s_mov_b32 s44, 0x7f800000
	v_mov_b32_e32 v4, 0x7e
	v_mov_b32_e32 v5, 0x7f
	v_cmp_lt_u32_e32 vcc, s44, v3
	v_cndmask_b32_e32 v4, v4, v5, vcc
; %bb.213:
	s_or_b64 exec, exec, s[36:37]
	global_store_byte v[0:1], v4, off
.LBB23_214:
	s_mov_b64 s[36:37], 0
.LBB23_215:
	s_andn2_b64 vcc, exec, s[36:37]
	s_cbranch_vccnz .LBB23_225
; %bb.216:
	v_cvt_f32_ubyte0_e32 v3, v2
	s_mov_b32 s36, 0x47800000
	v_cmp_gt_u32_e32 vcc, s36, v3
                                        ; implicit-def: $vgpr4
	s_and_saveexec_b64 s[36:37], vcc
	s_xor_b64 s[36:37], exec, s[36:37]
	s_cbranch_execz .LBB23_222
; %bb.217:
	s_mov_b32 s44, 0x387fffff
	v_cmp_lt_u32_e32 vcc, s44, v3
                                        ; implicit-def: $vgpr4
	s_and_saveexec_b64 s[44:45], vcc
	s_xor_b64 s[44:45], exec, s[44:45]
; %bb.218:
	v_bfe_u32 v4, v3, 21, 1
	s_mov_b32 s48, 0x80fffff
	v_add3_u32 v3, v3, v4, s48
	v_lshrrev_b32_e32 v4, 21, v3
                                        ; implicit-def: $vgpr3
; %bb.219:
	s_andn2_saveexec_b64 s[44:45], s[44:45]
; %bb.220:
	v_add_f32_e32 v4, 0x43000000, v3
; %bb.221:
	s_or_b64 exec, exec, s[44:45]
                                        ; implicit-def: $vgpr3
.LBB23_222:
	s_andn2_saveexec_b64 s[36:37], s[36:37]
; %bb.223:
	s_mov_b32 s44, 0x7f800000
	v_mov_b32_e32 v4, 0x7c
	v_mov_b32_e32 v5, 0x7f
	v_cmp_lt_u32_e32 vcc, s44, v3
	v_cndmask_b32_e32 v4, v4, v5, vcc
; %bb.224:
	s_or_b64 exec, exec, s[36:37]
	global_store_byte v[0:1], v4, off
.LBB23_225:
	s_mov_b64 s[44:45], 0
	s_mov_b64 s[36:37], -1
.LBB23_226:
	s_andn2_b64 vcc, exec, s[44:45]
	s_cbranch_vccnz .LBB23_234
; %bb.227:
	s_cmp_gt_i32 s51, 14
	s_mov_b64 s[44:45], -1
	s_cbranch_scc0 .LBB23_231
; %bb.228:
	s_cmp_eq_u32 s51, 15
	s_mov_b64 s[0:1], -1
	s_cbranch_scc0 .LBB23_230
; %bb.229:
	v_cvt_f32_ubyte0_e32 v3, v2
	v_bfe_u32 v4, v3, 16, 1
	s_movk_i32 s0, 0x7fff
	v_add3_u32 v3, v3, v4, s0
	global_store_short_d16_hi v[0:1], v3, off
	s_mov_b64 s[36:37], -1
	s_mov_b64 s[0:1], 0
.LBB23_230:
	s_mov_b64 s[44:45], 0
.LBB23_231:
	s_and_b64 vcc, exec, s[44:45]
	s_cbranch_vccz .LBB23_234
; %bb.232:
	s_cmp_eq_u32 s51, 11
	s_mov_b64 s[0:1], -1
	s_cbranch_scc0 .LBB23_234
; %bb.233:
	v_mov_b32_e32 v3, 0
	v_cmp_ne_u16_sdwa s[0:1], v2, v3 src0_sel:BYTE_0 src1_sel:DWORD
	v_cndmask_b32_e64 v3, 0, 1, s[0:1]
	s_mov_b64 s[36:37], -1
	s_mov_b64 s[0:1], 0
	global_store_byte v[0:1], v3, off
.LBB23_234:
	s_mov_b64 s[44:45], 0
.LBB23_235:
	s_and_b64 vcc, exec, s[44:45]
	s_cbranch_vccz .LBB23_274
; %bb.236:
	s_and_b32 s44, 0xffff, s50
	s_cmp_lt_i32 s44, 5
	s_mov_b64 s[36:37], -1
	s_cbranch_scc1 .LBB23_257
; %bb.237:
	s_cmp_lt_i32 s44, 8
	s_cbranch_scc1 .LBB23_247
; %bb.238:
	s_cmp_lt_i32 s44, 9
	s_cbranch_scc1 .LBB23_244
; %bb.239:
	s_cmp_gt_i32 s44, 9
	s_cbranch_scc0 .LBB23_241
; %bb.240:
	s_mov_b32 s36, 0xffff
	v_and_b32_sdwa v3, s36, v2 dst_sel:DWORD dst_unused:UNUSED_PAD src0_sel:DWORD src1_sel:BYTE_0
	v_cvt_f64_u32_e32 v[3:4], v3
	v_mov_b32_e32 v5, 0
	v_mov_b32_e32 v6, v5
	s_mov_b64 s[36:37], 0
	global_store_dwordx4 v[0:1], v[3:6], off
.LBB23_241:
	s_andn2_b64 vcc, exec, s[36:37]
	s_cbranch_vccnz .LBB23_243
; %bb.242:
	v_cvt_f32_ubyte0_e32 v3, v2
	v_mov_b32_e32 v4, 0
	global_store_dwordx2 v[0:1], v[3:4], off
.LBB23_243:
	s_mov_b64 s[36:37], 0
.LBB23_244:
	s_andn2_b64 vcc, exec, s[36:37]
	s_cbranch_vccnz .LBB23_246
; %bb.245:
	v_cvt_f16_u16_sdwa v3, v2 dst_sel:DWORD dst_unused:UNUSED_PAD src0_sel:BYTE_0
	global_store_dword v[0:1], v3, off
.LBB23_246:
	s_mov_b64 s[36:37], 0
.LBB23_247:
	s_andn2_b64 vcc, exec, s[36:37]
	s_cbranch_vccnz .LBB23_256
; %bb.248:
	s_cmp_lt_i32 s44, 6
	s_mov_b64 s[36:37], -1
	s_cbranch_scc1 .LBB23_254
; %bb.249:
	s_cmp_gt_i32 s44, 6
	s_cbranch_scc0 .LBB23_251
; %bb.250:
	s_mov_b32 s36, 0xffff
	v_and_b32_sdwa v3, s36, v2 dst_sel:DWORD dst_unused:UNUSED_PAD src0_sel:DWORD src1_sel:BYTE_0
	v_cvt_f64_u32_e32 v[3:4], v3
	s_mov_b64 s[36:37], 0
	global_store_dwordx2 v[0:1], v[3:4], off
.LBB23_251:
	s_andn2_b64 vcc, exec, s[36:37]
	s_cbranch_vccnz .LBB23_253
; %bb.252:
	v_cvt_f32_ubyte0_e32 v3, v2
	global_store_dword v[0:1], v3, off
.LBB23_253:
	s_mov_b64 s[36:37], 0
.LBB23_254:
	s_andn2_b64 vcc, exec, s[36:37]
	s_cbranch_vccnz .LBB23_256
; %bb.255:
	v_cvt_f16_u16_sdwa v3, v2 dst_sel:DWORD dst_unused:UNUSED_PAD src0_sel:BYTE_0
	global_store_short v[0:1], v3, off
.LBB23_256:
	s_mov_b64 s[36:37], 0
.LBB23_257:
	s_andn2_b64 vcc, exec, s[36:37]
	s_cbranch_vccnz .LBB23_273
; %bb.258:
	s_cmp_lt_i32 s44, 2
	s_mov_b64 s[36:37], -1
	s_cbranch_scc1 .LBB23_268
; %bb.259:
	s_cmp_lt_i32 s44, 3
	s_cbranch_scc1 .LBB23_265
; %bb.260:
	s_cmp_gt_i32 s44, 3
	s_cbranch_scc0 .LBB23_262
; %bb.261:
	v_and_b32_e32 v3, 0xff, v2
	v_mov_b32_e32 v4, 0
	global_store_dwordx2 v[0:1], v[3:4], off
	s_mov_b64 s[36:37], 0
.LBB23_262:
	s_andn2_b64 vcc, exec, s[36:37]
	s_cbranch_vccnz .LBB23_264
; %bb.263:
	v_and_b32_e32 v3, 0xff, v2
	global_store_dword v[0:1], v3, off
.LBB23_264:
	s_mov_b64 s[36:37], 0
.LBB23_265:
	s_andn2_b64 vcc, exec, s[36:37]
	s_cbranch_vccnz .LBB23_267
; %bb.266:
	v_and_b32_e32 v3, 0xff, v2
	global_store_short v[0:1], v3, off
.LBB23_267:
	s_mov_b64 s[36:37], 0
.LBB23_268:
	s_andn2_b64 vcc, exec, s[36:37]
	s_cbranch_vccnz .LBB23_273
; %bb.269:
	s_cmp_gt_i32 s44, 0
	s_mov_b64 s[36:37], -1
	s_cbranch_scc0 .LBB23_271
; %bb.270:
	global_store_byte v[0:1], v2, off
	s_mov_b64 s[36:37], 0
.LBB23_271:
	s_andn2_b64 vcc, exec, s[36:37]
	s_cbranch_vccnz .LBB23_273
; %bb.272:
	global_store_byte v[0:1], v2, off
.LBB23_273:
	s_mov_b64 s[36:37], -1
.LBB23_274:
	s_andn2_b64 vcc, exec, s[36:37]
	s_cbranch_vccnz .LBB23_276
; %bb.275:
	v_add_u32_e32 v10, 0x80, v10
	s_mov_b64 s[44:45], -1
	s_branch .LBB23_385
.LBB23_276:
	s_mov_b64 s[44:45], 0
                                        ; implicit-def: $vgpr10
	s_branch .LBB23_385
.LBB23_277:
	s_mov_b64 s[38:39], -1
                                        ; implicit-def: $vgpr4
.LBB23_278:
	s_mov_b64 s[36:37], 0
.LBB23_279:
	s_and_b64 vcc, exec, s[36:37]
	s_cbranch_vccz .LBB23_283
; %bb.280:
	s_cmp_eq_u32 s45, 29
	s_cbranch_scc0 .LBB23_282
; %bb.281:
	global_load_dwordx2 v[4:5], v[2:3], off
	s_mov_b64 s[0:1], -1
	s_mov_b64 s[38:39], 0
	s_branch .LBB23_283
.LBB23_282:
	s_mov_b64 s[38:39], -1
                                        ; implicit-def: $vgpr4
.LBB23_283:
	s_mov_b64 s[36:37], 0
.LBB23_284:
	s_and_b64 vcc, exec, s[36:37]
	s_cbranch_vccz .LBB23_300
; %bb.285:
	s_cmp_lt_i32 s45, 27
	s_cbranch_scc1 .LBB23_288
; %bb.286:
	s_cmp_gt_i32 s45, 27
	s_cbranch_scc0 .LBB23_289
; %bb.287:
	global_load_dword v4, v[2:3], off
	s_mov_b64 s[0:1], 0
	s_branch .LBB23_290
.LBB23_288:
	s_mov_b64 s[0:1], -1
                                        ; implicit-def: $vgpr4
	s_branch .LBB23_293
.LBB23_289:
	s_mov_b64 s[0:1], -1
                                        ; implicit-def: $vgpr4
.LBB23_290:
	s_andn2_b64 vcc, exec, s[0:1]
	s_cbranch_vccnz .LBB23_292
; %bb.291:
	global_load_ushort v4, v[2:3], off
.LBB23_292:
	s_mov_b64 s[0:1], 0
.LBB23_293:
	s_andn2_b64 vcc, exec, s[0:1]
	s_cbranch_vccnz .LBB23_299
; %bb.294:
	global_load_ubyte v5, v[2:3], off
	s_movk_i32 s0, 0x7f
	s_mov_b64 s[36:37], 0
	s_waitcnt vmcnt(0)
	v_cmp_lt_i16_e32 vcc, s0, v5
	s_and_saveexec_b64 s[0:1], vcc
	s_xor_b64 s[0:1], exec, s[0:1]
	s_cbranch_execz .LBB23_311
; %bb.295:
	s_movk_i32 s36, 0x80
	v_cmp_ne_u16_e32 vcc, s36, v5
	s_and_b64 s[36:37], vcc, exec
	s_andn2_saveexec_b64 s[0:1], s[0:1]
	s_cbranch_execnz .LBB23_312
.LBB23_296:
	s_or_b64 exec, exec, s[0:1]
	v_mov_b32_e32 v4, 0
	s_and_saveexec_b64 s[0:1], s[36:37]
	s_cbranch_execz .LBB23_298
.LBB23_297:
	v_lshlrev_b32_e32 v4, 24, v5
	v_and_b32_e32 v5, 0xffff, v5
	v_and_b32_e32 v6, 7, v5
	v_ffbh_u32_e32 v8, v6
	v_min_u32_e32 v8, 32, v8
	v_subrev_u32_e32 v9, 28, v8
	v_bfe_u32 v7, v5, 3, 4
	v_lshlrev_b32_e32 v5, v9, v5
	v_sub_u32_e32 v8, 29, v8
	v_and_b32_e32 v5, 7, v5
	v_cmp_eq_u32_e32 vcc, 0, v7
	v_cndmask_b32_e32 v7, v7, v8, vcc
	v_cndmask_b32_e32 v5, v6, v5, vcc
	v_mov_b32_e32 v6, 0x3b800000
	v_lshlrev_b32_e32 v5, 20, v5
	v_and_b32_e32 v4, 0x80000000, v4
	v_lshl_add_u32 v6, v7, 23, v6
	v_or3_b32 v4, v4, v6, v5
	v_trunc_f32_e32 v4, v4
	s_mov_b32 s36, 0x2f800000
	v_mul_f32_e64 v5, |v4|, s36
	v_floor_f32_e32 v5, v5
	s_mov_b32 s36, 0xcf800000
	v_fma_f32 v5, v5, s36, |v4|
	v_cvt_u32_f32_e32 v5, v5
	v_ashrrev_i32_e32 v4, 31, v4
	v_xor_b32_e32 v5, v5, v4
	v_sub_u32_e32 v4, v5, v4
.LBB23_298:
	s_or_b64 exec, exec, s[0:1]
.LBB23_299:
	s_mov_b64 s[0:1], -1
.LBB23_300:
	s_mov_b64 s[36:37], 0
.LBB23_301:
	s_and_b64 vcc, exec, s[36:37]
	s_cbranch_vccz .LBB23_334
; %bb.302:
	s_cmp_gt_i32 s45, 22
	s_cbranch_scc0 .LBB23_310
; %bb.303:
	s_cmp_lt_i32 s45, 24
	s_cbranch_scc1 .LBB23_313
; %bb.304:
	s_cmp_gt_i32 s45, 24
	s_cbranch_scc0 .LBB23_314
; %bb.305:
	global_load_ubyte v5, v[2:3], off
	s_movk_i32 s0, 0x7f
	s_mov_b64 s[36:37], 0
	s_waitcnt vmcnt(0)
	v_cmp_lt_i16_e32 vcc, s0, v5
	s_and_saveexec_b64 s[0:1], vcc
	s_xor_b64 s[0:1], exec, s[0:1]
	s_cbranch_execz .LBB23_326
; %bb.306:
	s_movk_i32 s36, 0x80
	v_cmp_ne_u16_e32 vcc, s36, v5
	s_and_b64 s[36:37], vcc, exec
	s_andn2_saveexec_b64 s[0:1], s[0:1]
	s_cbranch_execnz .LBB23_327
.LBB23_307:
	s_or_b64 exec, exec, s[0:1]
	v_mov_b32_e32 v4, 0
	s_and_saveexec_b64 s[0:1], s[36:37]
	s_cbranch_execz .LBB23_309
.LBB23_308:
	v_lshlrev_b32_e32 v4, 24, v5
	v_and_b32_e32 v5, 0xffff, v5
	v_and_b32_e32 v6, 3, v5
	v_ffbh_u32_e32 v8, v6
	v_min_u32_e32 v8, 32, v8
	v_subrev_u32_e32 v9, 29, v8
	v_bfe_u32 v7, v5, 2, 5
	v_lshlrev_b32_e32 v5, v9, v5
	v_sub_u32_e32 v8, 30, v8
	v_and_b32_e32 v5, 3, v5
	v_cmp_eq_u32_e32 vcc, 0, v7
	v_cndmask_b32_e32 v7, v7, v8, vcc
	v_cndmask_b32_e32 v5, v6, v5, vcc
	v_mov_b32_e32 v6, 0x37800000
	v_lshlrev_b32_e32 v5, 21, v5
	v_and_b32_e32 v4, 0x80000000, v4
	v_lshl_add_u32 v6, v7, 23, v6
	v_or3_b32 v4, v4, v6, v5
	v_trunc_f32_e32 v4, v4
	s_mov_b32 s36, 0x2f800000
	v_mul_f32_e64 v5, |v4|, s36
	v_floor_f32_e32 v5, v5
	s_mov_b32 s36, 0xcf800000
	v_fma_f32 v5, v5, s36, |v4|
	v_cvt_u32_f32_e32 v5, v5
	v_ashrrev_i32_e32 v4, 31, v4
	v_xor_b32_e32 v5, v5, v4
	v_sub_u32_e32 v4, v5, v4
.LBB23_309:
	s_or_b64 exec, exec, s[0:1]
	s_mov_b64 s[0:1], 0
	s_branch .LBB23_315
.LBB23_310:
	s_mov_b64 s[36:37], -1
                                        ; implicit-def: $vgpr4
	s_branch .LBB23_321
.LBB23_311:
	s_andn2_saveexec_b64 s[0:1], s[0:1]
	s_cbranch_execz .LBB23_296
.LBB23_312:
	v_cmp_ne_u16_e32 vcc, 0, v5
	s_andn2_b64 s[36:37], s[36:37], exec
	s_and_b64 s[48:49], vcc, exec
	s_or_b64 s[36:37], s[36:37], s[48:49]
	s_or_b64 exec, exec, s[0:1]
	v_mov_b32_e32 v4, 0
	s_and_saveexec_b64 s[0:1], s[36:37]
	s_cbranch_execnz .LBB23_297
	s_branch .LBB23_298
.LBB23_313:
	s_mov_b64 s[0:1], -1
                                        ; implicit-def: $vgpr4
	s_branch .LBB23_318
.LBB23_314:
	s_mov_b64 s[0:1], -1
                                        ; implicit-def: $vgpr4
.LBB23_315:
	s_and_b64 vcc, exec, s[0:1]
	s_cbranch_vccz .LBB23_317
; %bb.316:
	global_load_ubyte v4, v[2:3], off
	s_mov_b32 s0, 0x7f800000
	s_brev_b32 s1, 1
	s_mov_b32 s36, 0x2f800000
	s_waitcnt vmcnt(0)
	v_lshlrev_b32_e32 v4, 24, v4
	v_and_b32_e32 v5, 0x7f000000, v4
	v_ffbh_u32_e32 v6, v5
	v_min_u32_e32 v6, 32, v6
	v_sub_u32_e64 v6, v6, 4 clamp
	v_lshlrev_b32_e32 v8, v6, v5
	v_lshlrev_b32_e32 v6, 23, v6
	v_lshrrev_b32_e32 v8, 4, v8
	v_add_u32_e32 v7, 0x1000000, v5
	v_sub_u32_e32 v6, v8, v6
	v_ashrrev_i32_e32 v7, 8, v7
	v_add_u32_e32 v6, 0x3c000000, v6
	v_and_or_b32 v6, v7, s0, v6
	v_cmp_ne_u32_e32 vcc, 0, v5
	v_cndmask_b32_e32 v5, 0, v6, vcc
	v_and_or_b32 v4, v4, s1, v5
	v_trunc_f32_e32 v4, v4
	v_mul_f32_e64 v5, |v4|, s36
	v_floor_f32_e32 v5, v5
	s_mov_b32 s0, 0xcf800000
	v_fma_f32 v5, v5, s0, |v4|
	v_cvt_u32_f32_e32 v5, v5
	v_ashrrev_i32_e32 v4, 31, v4
	v_xor_b32_e32 v5, v5, v4
	v_sub_u32_e32 v4, v5, v4
.LBB23_317:
	s_mov_b64 s[0:1], 0
.LBB23_318:
	s_andn2_b64 vcc, exec, s[0:1]
	s_cbranch_vccnz .LBB23_320
; %bb.319:
	global_load_ubyte v4, v[2:3], off
	s_movk_i32 s0, 0x7f00
	s_brev_b32 s1, 16
	s_brev_b32 s36, 1
	s_mov_b32 s37, 0x2f800000
	s_waitcnt vmcnt(0)
	v_lshlrev_b16_e32 v5, 8, v4
	v_lshlrev_b32_e32 v4, 25, v4
	v_lshrrev_b32_e32 v6, 4, v4
	v_and_or_b32 v7, v5, s0, 0.5
	v_or_b32_e32 v6, 0x70000000, v6
	v_add_f32_e32 v7, -0.5, v7
	v_mul_f32_e32 v6, 0x7800000, v6
	v_cmp_gt_u32_e32 vcc, s1, v4
	v_bfe_i32 v5, v5, 0, 16
	v_cndmask_b32_e32 v4, v6, v7, vcc
	v_and_or_b32 v4, v5, s36, v4
	v_trunc_f32_e32 v4, v4
	v_mul_f32_e64 v5, |v4|, s37
	v_floor_f32_e32 v5, v5
	s_mov_b32 s0, 0xcf800000
	v_fma_f32 v5, v5, s0, |v4|
	v_cvt_u32_f32_e32 v5, v5
	v_ashrrev_i32_e32 v4, 31, v4
	v_xor_b32_e32 v5, v5, v4
	v_sub_u32_e32 v4, v5, v4
.LBB23_320:
	s_mov_b64 s[36:37], 0
	s_mov_b64 s[0:1], -1
.LBB23_321:
	s_andn2_b64 vcc, exec, s[36:37]
	s_cbranch_vccnz .LBB23_334
; %bb.322:
	s_cmp_gt_i32 s45, 14
	s_cbranch_scc0 .LBB23_325
; %bb.323:
	s_cmp_eq_u32 s45, 15
	s_cbranch_scc0 .LBB23_328
; %bb.324:
	global_load_ushort v4, v[2:3], off
	s_mov_b32 s0, 0x2f800000
	s_mov_b32 s1, 0xcf800000
	s_mov_b64 s[38:39], 0
	s_waitcnt vmcnt(0)
	v_lshlrev_b32_e32 v4, 16, v4
	v_trunc_f32_e32 v4, v4
	v_mul_f32_e64 v5, |v4|, s0
	v_floor_f32_e32 v5, v5
	v_fma_f32 v5, v5, s1, |v4|
	v_cvt_u32_f32_e32 v5, v5
	v_ashrrev_i32_e32 v4, 31, v4
	s_mov_b64 s[0:1], -1
	v_xor_b32_e32 v5, v5, v4
	v_sub_u32_e32 v4, v5, v4
	s_branch .LBB23_329
.LBB23_325:
	s_mov_b64 s[36:37], -1
                                        ; implicit-def: $vgpr4
	s_branch .LBB23_330
.LBB23_326:
	s_andn2_saveexec_b64 s[0:1], s[0:1]
	s_cbranch_execz .LBB23_307
.LBB23_327:
	v_cmp_ne_u16_e32 vcc, 0, v5
	s_andn2_b64 s[36:37], s[36:37], exec
	s_and_b64 s[48:49], vcc, exec
	s_or_b64 s[36:37], s[36:37], s[48:49]
	s_or_b64 exec, exec, s[0:1]
	v_mov_b32_e32 v4, 0
	s_and_saveexec_b64 s[0:1], s[36:37]
	s_cbranch_execnz .LBB23_308
	s_branch .LBB23_309
.LBB23_328:
	s_mov_b64 s[38:39], -1
                                        ; implicit-def: $vgpr4
.LBB23_329:
	s_mov_b64 s[36:37], 0
.LBB23_330:
	s_and_b64 vcc, exec, s[36:37]
	s_cbranch_vccz .LBB23_334
; %bb.331:
	s_cmp_eq_u32 s45, 11
	s_cbranch_scc0 .LBB23_333
; %bb.332:
	global_load_ubyte v4, v[2:3], off
	s_mov_b64 s[0:1], -1
	s_mov_b64 s[38:39], 0
	s_waitcnt vmcnt(0)
	v_cmp_ne_u16_e32 vcc, 0, v4
	v_cndmask_b32_e64 v4, 0, 1, vcc
	s_branch .LBB23_334
.LBB23_333:
	s_mov_b64 s[38:39], -1
                                        ; implicit-def: $vgpr4
.LBB23_334:
	s_branch .LBB23_31
.LBB23_335:
	s_and_b32 s36, 0xffff, s44
	s_cmp_lt_i32 s36, 5
	s_cbranch_scc1 .LBB23_340
; %bb.336:
	s_cmp_lt_i32 s36, 8
	s_cbranch_scc1 .LBB23_341
; %bb.337:
	;; [unrolled: 3-line block ×3, first 2 shown]
	s_cmp_gt_i32 s36, 9
	s_cbranch_scc0 .LBB23_343
; %bb.339:
	global_load_dwordx2 v[4:5], v[2:3], off
	s_movk_i32 s0, 0xffe0
	s_waitcnt vmcnt(0)
	v_trunc_f64_e32 v[4:5], v[4:5]
	v_ldexp_f64 v[6:7], v[4:5], s0
	s_mov_b32 s0, 0
	s_mov_b32 s1, 0xc1f00000
	v_floor_f64_e32 v[6:7], v[6:7]
	v_fma_f64 v[4:5], v[6:7], s[0:1], v[4:5]
	s_mov_b64 s[0:1], 0
	v_cvt_u32_f64_e32 v4, v[4:5]
	s_branch .LBB23_344
.LBB23_340:
	s_mov_b64 s[0:1], -1
                                        ; implicit-def: $vgpr4
	s_branch .LBB23_362
.LBB23_341:
	s_mov_b64 s[0:1], -1
                                        ; implicit-def: $vgpr4
	s_branch .LBB23_350
.LBB23_342:
	s_mov_b64 s[0:1], -1
                                        ; implicit-def: $vgpr4
	s_branch .LBB23_347
.LBB23_343:
	s_mov_b64 s[0:1], -1
                                        ; implicit-def: $vgpr4
.LBB23_344:
	s_andn2_b64 vcc, exec, s[0:1]
	s_cbranch_vccnz .LBB23_346
; %bb.345:
	global_load_dword v4, v[2:3], off
	s_mov_b32 s0, 0x2f800000
	s_waitcnt vmcnt(0)
	v_trunc_f32_e32 v4, v4
	v_mul_f32_e64 v5, |v4|, s0
	v_floor_f32_e32 v5, v5
	s_mov_b32 s0, 0xcf800000
	v_fma_f32 v5, v5, s0, |v4|
	v_cvt_u32_f32_e32 v5, v5
	v_ashrrev_i32_e32 v4, 31, v4
	v_xor_b32_e32 v5, v5, v4
	v_sub_u32_e32 v4, v5, v4
.LBB23_346:
	s_mov_b64 s[0:1], 0
.LBB23_347:
	s_andn2_b64 vcc, exec, s[0:1]
	s_cbranch_vccnz .LBB23_349
; %bb.348:
	global_load_dword v4, v[2:3], off
	s_waitcnt vmcnt(0)
	v_cvt_f32_f16_e32 v4, v4
	v_cvt_i32_f32_e32 v4, v4
.LBB23_349:
	s_mov_b64 s[0:1], 0
.LBB23_350:
	s_andn2_b64 vcc, exec, s[0:1]
	s_cbranch_vccnz .LBB23_361
; %bb.351:
	s_cmp_lt_i32 s36, 6
	s_cbranch_scc1 .LBB23_354
; %bb.352:
	s_cmp_gt_i32 s36, 6
	s_cbranch_scc0 .LBB23_355
; %bb.353:
	global_load_dwordx2 v[4:5], v[2:3], off
	s_movk_i32 s0, 0xffe0
	s_waitcnt vmcnt(0)
	v_trunc_f64_e32 v[4:5], v[4:5]
	v_ldexp_f64 v[6:7], v[4:5], s0
	s_mov_b32 s0, 0
	s_mov_b32 s1, 0xc1f00000
	v_floor_f64_e32 v[6:7], v[6:7]
	v_fma_f64 v[4:5], v[6:7], s[0:1], v[4:5]
	s_mov_b64 s[0:1], 0
	v_cvt_u32_f64_e32 v4, v[4:5]
	s_branch .LBB23_356
.LBB23_354:
	s_mov_b64 s[0:1], -1
                                        ; implicit-def: $vgpr4
	s_branch .LBB23_359
.LBB23_355:
	s_mov_b64 s[0:1], -1
                                        ; implicit-def: $vgpr4
.LBB23_356:
	s_andn2_b64 vcc, exec, s[0:1]
	s_cbranch_vccnz .LBB23_358
; %bb.357:
	global_load_dword v4, v[2:3], off
	s_mov_b32 s0, 0x2f800000
	s_waitcnt vmcnt(0)
	v_trunc_f32_e32 v4, v4
	v_mul_f32_e64 v5, |v4|, s0
	v_floor_f32_e32 v5, v5
	s_mov_b32 s0, 0xcf800000
	v_fma_f32 v5, v5, s0, |v4|
	v_cvt_u32_f32_e32 v5, v5
	v_ashrrev_i32_e32 v4, 31, v4
	v_xor_b32_e32 v5, v5, v4
	v_sub_u32_e32 v4, v5, v4
.LBB23_358:
	s_mov_b64 s[0:1], 0
.LBB23_359:
	s_andn2_b64 vcc, exec, s[0:1]
	s_cbranch_vccnz .LBB23_361
; %bb.360:
	global_load_ushort v4, v[2:3], off
	s_waitcnt vmcnt(0)
	v_cvt_f32_f16_e32 v4, v4
	v_cvt_i32_f32_e32 v4, v4
.LBB23_361:
	s_mov_b64 s[0:1], 0
.LBB23_362:
	s_andn2_b64 vcc, exec, s[0:1]
	s_cbranch_vccnz .LBB23_382
; %bb.363:
	s_cmp_lt_i32 s36, 2
	s_cbranch_scc1 .LBB23_367
; %bb.364:
	s_cmp_lt_i32 s36, 3
	s_cbranch_scc1 .LBB23_368
; %bb.365:
	s_cmp_gt_i32 s36, 3
	s_cbranch_scc0 .LBB23_369
; %bb.366:
	global_load_dwordx2 v[4:5], v[2:3], off
	s_mov_b64 s[0:1], 0
	s_branch .LBB23_370
.LBB23_367:
	s_mov_b64 s[0:1], -1
                                        ; implicit-def: $vgpr4
	s_branch .LBB23_376
.LBB23_368:
	s_mov_b64 s[0:1], -1
                                        ; implicit-def: $vgpr4
	s_branch .LBB23_373
.LBB23_369:
	s_mov_b64 s[0:1], -1
                                        ; implicit-def: $vgpr4
.LBB23_370:
	s_andn2_b64 vcc, exec, s[0:1]
	s_cbranch_vccnz .LBB23_372
; %bb.371:
	global_load_dword v4, v[2:3], off
.LBB23_372:
	s_mov_b64 s[0:1], 0
.LBB23_373:
	s_andn2_b64 vcc, exec, s[0:1]
	s_cbranch_vccnz .LBB23_375
; %bb.374:
	global_load_ushort v4, v[2:3], off
.LBB23_375:
	s_mov_b64 s[0:1], 0
.LBB23_376:
	s_andn2_b64 vcc, exec, s[0:1]
	s_cbranch_vccnz .LBB23_382
; %bb.377:
	s_cmp_gt_i32 s36, 0
	s_cbranch_scc0 .LBB23_379
; %bb.378:
	global_load_ubyte v4, v[2:3], off
	s_mov_b64 s[0:1], 0
	s_branch .LBB23_380
.LBB23_379:
	s_mov_b64 s[0:1], -1
                                        ; implicit-def: $vgpr4
.LBB23_380:
	s_andn2_b64 vcc, exec, s[0:1]
	s_cbranch_vccnz .LBB23_382
; %bb.381:
	global_load_ubyte v4, v[2:3], off
.LBB23_382:
	s_branch .LBB23_32
.LBB23_383:
	s_mov_b64 s[0:1], 0
.LBB23_384:
                                        ; implicit-def: $vgpr10
	s_mov_b64 s[44:45], 0
.LBB23_385:
	s_and_b64 s[36:37], s[0:1], exec
	s_and_b64 s[38:39], s[38:39], exec
	;; [unrolled: 1-line block ×3, first 2 shown]
	s_orn2_b64 s[0:1], s[44:45], exec
.LBB23_386:
	s_or_b64 exec, exec, s[42:43]
	s_mov_b64 s[50:51], 0
	s_mov_b64 s[48:49], 0
                                        ; implicit-def: $sgpr73
                                        ; implicit-def: $vgpr4_vgpr5
                                        ; implicit-def: $vgpr0
                                        ; implicit-def: $vgpr3
                                        ; implicit-def: $vgpr1
	s_and_saveexec_b64 s[42:43], s[0:1]
	s_cbranch_execz .LBB23_394
; %bb.387:
	v_cmp_gt_i32_e32 vcc, s66, v10
	s_mov_b64 s[0:1], -1
	s_mov_b64 s[44:45], s[40:41]
	s_mov_b64 s[46:47], s[38:39]
	;; [unrolled: 1-line block ×3, first 2 shown]
	s_and_saveexec_b64 s[50:51], vcc
	s_cbranch_execz .LBB23_779
; %bb.388:
	s_andn2_b64 vcc, exec, s[20:21]
	s_cbranch_vccnz .LBB23_397
; %bb.389:
	s_andn2_b64 vcc, exec, s[34:35]
	s_cbranch_vccnz .LBB23_398
; %bb.390:
	s_add_i32 s0, s72, 1
	s_and_b32 s44, s0, 30
	s_add_u32 s0, s2, 0xffffffe8
	s_addc_u32 s1, s3, -1
	v_mov_b32_e32 v3, 0
	s_waitcnt vmcnt(0)
	v_mov_b32_e32 v5, 0
	v_mov_b32_e32 v0, 0
	;; [unrolled: 1-line block ×3, first 2 shown]
.LBB23_391:                             ; =>This Inner Loop Header: Depth=1
	s_load_dwordx4 s[52:55], s[0:1], 0x1c
	s_load_dwordx2 s[46:47], s[0:1], 0x2c
	s_load_dwordx2 s[48:49], s[0:1], 0xec
	s_load_dwordx4 s[56:59], s[0:1], 0xdc
	s_add_u32 s0, s0, 24
	s_waitcnt lgkmcnt(0)
	v_mul_hi_u32 v2, s53, v1
	s_addc_u32 s1, s1, 0
	s_add_i32 s44, s44, -2
	s_cmp_eq_u32 s44, 0
	v_add_u32_e32 v2, v1, v2
	v_lshrrev_b32_e32 v2, s54, v2
	v_mul_lo_u32 v4, v2, s52
	v_mul_hi_u32 v6, s46, v2
	v_sub_u32_e32 v4, v1, v4
	v_add_u32_e32 v1, v2, v6
	v_lshrrev_b32_e32 v1, s47, v1
	v_mul_lo_u32 v8, v1, s55
	v_mul_lo_u32 v6, v4, s56
	;; [unrolled: 1-line block ×4, first 2 shown]
	v_sub_u32_e32 v2, v2, v8
	v_mul_lo_u32 v8, v2, s59
	v_mul_lo_u32 v9, v2, s48
	;; [unrolled: 1-line block ×3, first 2 shown]
	v_add3_u32 v0, v6, v0, v8
	v_add3_u32 v5, v7, v5, v9
	;; [unrolled: 1-line block ×3, first 2 shown]
	s_cbranch_scc0 .LBB23_391
; %bb.392:
	s_bitcmp1_b32 s72, 0
	s_cselect_b64 s[44:45], -1, 0
	s_and_b64 vcc, exec, s[44:45]
	s_cbranch_vccnz .LBB23_399
; %bb.393:
	s_load_dwordx2 s[44:45], s[0:1], 0x1c
	s_load_dword s48, s[0:1], 0x24
	s_load_dwordx2 s[46:47], s[0:1], 0xdc
	s_waitcnt lgkmcnt(0)
	v_mul_hi_u32 v2, s45, v1
	v_add_u32_e32 v2, v1, v2
	v_lshrrev_b32_e32 v2, s48, v2
	v_mul_lo_u32 v2, v2, s44
	s_load_dword s44, s[0:1], 0xe4
	v_sub_u32_e32 v2, v1, v2
	v_mad_u64_u32 v[0:1], s[0:1], v2, s46, v[0:1]
	v_mad_u64_u32 v[5:6], s[0:1], v2, s47, v[5:6]
	s_waitcnt lgkmcnt(0)
	v_mad_u64_u32 v[3:4], s[0:1], v2, s44, v[3:4]
	s_branch .LBB23_399
.LBB23_394:
	s_or_b64 exec, exec, s[42:43]
	s_waitcnt lgkmcnt(0)
	s_mov_b64 s[10:11], 0
	s_and_saveexec_b64 s[0:1], s[40:41]
	s_cbranch_execnz .LBB23_1265
.LBB23_395:
	s_or_b64 exec, exec, s[0:1]
	s_and_saveexec_b64 s[0:1], s[46:47]
	s_xor_b64 s[0:1], exec, s[0:1]
	s_cbranch_execz .LBB23_1266
.LBB23_396:
	s_waitcnt vmcnt(0)
	global_load_ubyte v1, v[4:5], off
	s_or_b64 s[48:49], s[48:49], exec
	s_waitcnt vmcnt(0)
	v_cmp_ne_u16_e32 vcc, 0, v1
	v_cndmask_b32_e64 v1, 0, 1, vcc
	s_or_b64 exec, exec, s[0:1]
	s_and_saveexec_b64 s[0:1], s[50:51]
	s_cbranch_execz .LBB23_1312
	s_branch .LBB23_1267
.LBB23_397:
                                        ; implicit-def: $vgpr0
                                        ; implicit-def: $vgpr5
                                        ; implicit-def: $vgpr3
	s_andn2_b64 vcc, exec, s[0:1]
	s_cbranch_vccz .LBB23_400
	s_branch .LBB23_402
.LBB23_398:
	v_mov_b32_e32 v0, 0
	s_waitcnt vmcnt(0)
	v_mov_b32_e32 v5, 0
	v_mov_b32_e32 v3, 0
.LBB23_399:
	s_cbranch_execnz .LBB23_402
.LBB23_400:
	s_waitcnt lgkmcnt(0)
	v_mul_hi_u32 v0, s17, v10
	s_andn2_b64 vcc, exec, s[30:31]
	v_add_u32_e32 v0, v10, v0
	s_waitcnt vmcnt(0)
	v_lshrrev_b32_e32 v1, s18, v0
	v_mul_lo_u32 v0, v1, s16
	v_sub_u32_e32 v2, v10, v0
	v_mul_lo_u32 v0, v2, s12
	v_mul_lo_u32 v5, v2, s13
	;; [unrolled: 1-line block ×3, first 2 shown]
	s_cbranch_vccnz .LBB23_402
; %bb.401:
	v_mul_hi_u32 v2, s28, v1
	v_add_u32_e32 v2, v1, v2
	v_lshrrev_b32_e32 v2, s29, v2
	v_mul_lo_u32 v2, v2, s19
	v_sub_u32_e32 v2, v1, v2
	v_mad_u64_u32 v[0:1], s[0:1], v2, s15, v[0:1]
	v_mad_u64_u32 v[5:6], s[0:1], v2, s26, v[5:6]
	;; [unrolled: 1-line block ×3, first 2 shown]
.LBB23_402:
	s_waitcnt vmcnt(0) lgkmcnt(0)
	v_mov_b32_e32 v1, s11
	s_and_b32 s48, s71, 0xff
	v_add_co_u32_e32 v4, vcc, s10, v5
	s_cmp_lt_i32 s48, 11
	v_addc_co_u32_e32 v5, vcc, 0, v1, vcc
	s_cbranch_scc1 .LBB23_409
; %bb.403:
	s_and_b32 s49, 0xffff, s48
	s_cmp_gt_i32 s49, 25
	s_cbranch_scc0 .LBB23_418
; %bb.404:
	s_cmp_gt_i32 s49, 28
	s_cbranch_scc0 .LBB23_420
; %bb.405:
	s_cmp_gt_i32 s49, 43
	s_cbranch_scc0 .LBB23_422
; %bb.406:
	s_cmp_gt_i32 s49, 45
	s_cbranch_scc0 .LBB23_424
; %bb.407:
	s_cmp_eq_u32 s49, 46
	s_mov_b64 s[46:47], 0
	s_cbranch_scc0 .LBB23_428
; %bb.408:
	global_load_dword v1, v[4:5], off
	s_mov_b32 s0, 0x2f800000
	s_mov_b32 s1, 0xcf800000
	s_mov_b64 s[44:45], 0
	s_waitcnt vmcnt(0)
	v_lshlrev_b32_e32 v1, 16, v1
	v_trunc_f32_e32 v1, v1
	v_mul_f32_e64 v2, |v1|, s0
	v_floor_f32_e32 v2, v2
	v_fma_f32 v2, v2, s1, |v1|
	v_cvt_u32_f32_e32 v2, v2
	v_ashrrev_i32_e32 v1, 31, v1
	s_mov_b64 s[0:1], -1
	v_xor_b32_e32 v2, v2, v1
	v_sub_u32_e32 v1, v2, v1
	s_branch .LBB23_429
.LBB23_409:
	s_mov_b64 s[0:1], 0
                                        ; implicit-def: $vgpr1
	s_mov_b64 s[44:45], s[40:41]
	s_cbranch_execnz .LBB23_491
.LBB23_410:
	s_andn2_b64 vcc, exec, s[0:1]
	s_cbranch_vccnz .LBB23_539
.LBB23_411:
	v_mov_b32_e32 v4, s25
	s_and_b32 s52, s70, 0xff
	s_waitcnt vmcnt(0)
	v_add_co_u32_e32 v2, vcc, s24, v3
	s_cmp_lt_i32 s52, 11
	v_addc_co_u32_e32 v3, vcc, 0, v4, vcc
	s_cbranch_scc1 .LBB23_419
; %bb.412:
	s_and_b32 s53, 0xffff, s52
	s_cmp_gt_i32 s53, 25
	s_cbranch_scc0 .LBB23_421
; %bb.413:
	s_cmp_gt_i32 s53, 28
	s_cbranch_scc0 .LBB23_423
; %bb.414:
	;; [unrolled: 3-line block ×4, first 2 shown]
	s_cmp_eq_u32 s53, 46
	s_mov_b64 s[48:49], 0
	s_cbranch_scc0 .LBB23_543
; %bb.417:
	global_load_dword v4, v[2:3], off
	s_mov_b32 s0, 0x2f800000
	s_mov_b32 s1, 0xcf800000
	s_mov_b64 s[46:47], 0
	s_waitcnt vmcnt(0)
	v_lshlrev_b32_e32 v4, 16, v4
	v_trunc_f32_e32 v4, v4
	v_mul_f32_e64 v5, |v4|, s0
	v_floor_f32_e32 v5, v5
	v_fma_f32 v5, v5, s1, |v4|
	v_cvt_u32_f32_e32 v5, v5
	v_ashrrev_i32_e32 v4, 31, v4
	s_mov_b64 s[0:1], -1
	v_xor_b32_e32 v5, v5, v4
	v_sub_u32_e32 v4, v5, v4
	s_branch .LBB23_544
.LBB23_418:
	s_mov_b64 s[46:47], -1
	s_mov_b64 s[0:1], 0
	s_mov_b64 s[44:45], s[40:41]
                                        ; implicit-def: $vgpr1
	s_branch .LBB23_457
.LBB23_419:
	s_mov_b64 s[48:49], -1
	s_mov_b64 s[0:1], 0
                                        ; implicit-def: $vgpr4
	s_mov_b64 s[46:47], s[38:39]
	s_branch .LBB23_605
.LBB23_420:
	s_mov_b64 s[46:47], -1
	s_mov_b64 s[0:1], 0
	s_mov_b64 s[44:45], s[40:41]
                                        ; implicit-def: $vgpr1
	s_branch .LBB23_440
.LBB23_421:
	s_mov_b64 s[48:49], -1
	s_mov_b64 s[0:1], 0
	s_mov_b64 s[46:47], s[38:39]
                                        ; implicit-def: $vgpr4
	s_branch .LBB23_571
.LBB23_422:
	s_mov_b64 s[46:47], -1
	s_mov_b64 s[0:1], 0
	s_mov_b64 s[44:45], s[40:41]
                                        ; implicit-def: $vgpr1
	s_branch .LBB23_435
.LBB23_423:
	s_mov_b64 s[48:49], -1
	s_mov_b64 s[0:1], 0
	s_mov_b64 s[46:47], s[38:39]
                                        ; implicit-def: $vgpr4
	s_branch .LBB23_554
.LBB23_424:
	s_mov_b64 s[46:47], -1
	s_mov_b64 s[0:1], 0
	s_mov_b64 s[44:45], s[40:41]
                                        ; implicit-def: $vgpr1
	s_branch .LBB23_429
.LBB23_425:
	s_mov_b64 s[48:49], -1
	s_mov_b64 s[0:1], 0
	s_mov_b64 s[46:47], s[38:39]
                                        ; implicit-def: $vgpr4
	s_branch .LBB23_549
.LBB23_426:
	s_andn2_saveexec_b64 s[48:49], s[48:49]
	s_cbranch_execz .LBB23_187
.LBB23_427:
	v_add_f32_e32 v3, 0x46000000, v4
	v_and_b32_e32 v3, 0xff, v3
	v_cmp_ne_u32_e32 vcc, 0, v3
	s_andn2_b64 s[44:45], s[44:45], exec
	s_and_b64 s[52:53], vcc, exec
	s_or_b64 s[44:45], s[44:45], s[52:53]
	s_or_b64 exec, exec, s[48:49]
	v_mov_b32_e32 v5, 0
	s_and_saveexec_b64 s[48:49], s[44:45]
	s_cbranch_execnz .LBB23_188
	s_branch .LBB23_189
.LBB23_428:
	s_mov_b64 s[44:45], -1
                                        ; implicit-def: $vgpr1
	s_mov_b64 s[0:1], 0
.LBB23_429:
	s_and_b64 vcc, exec, s[46:47]
	s_cbranch_vccz .LBB23_434
; %bb.430:
	s_cmp_eq_u32 s49, 44
	s_cbranch_scc0 .LBB23_433
; %bb.431:
	global_load_ubyte v1, v[4:5], off
	s_mov_b32 s0, 0x2f800000
	s_mov_b32 s1, 0xcf800000
	s_mov_b64 s[44:45], 0
	s_waitcnt vmcnt(0)
	v_lshlrev_b32_e32 v2, 23, v1
	v_trunc_f32_e32 v2, v2
	v_mul_f32_e64 v6, |v2|, s0
	v_floor_f32_e32 v6, v6
	v_fma_f32 v6, v6, s1, |v2|
	v_cvt_u32_f32_e32 v6, v6
	v_ashrrev_i32_e32 v2, 31, v2
	v_cmp_ne_u32_e32 vcc, 0, v1
	s_mov_b64 s[0:1], -1
	v_xor_b32_e32 v6, v6, v2
	v_sub_u32_e32 v2, v6, v2
	v_cndmask_b32_e32 v1, 0, v2, vcc
	s_branch .LBB23_434
.LBB23_432:
	s_mov_b64 s[48:49], -1
	s_mov_b64 s[0:1], 0
	s_mov_b64 s[46:47], s[38:39]
                                        ; implicit-def: $vgpr4
	s_branch .LBB23_544
.LBB23_433:
	s_mov_b64 s[44:45], -1
                                        ; implicit-def: $vgpr1
.LBB23_434:
	s_mov_b64 s[46:47], 0
.LBB23_435:
	s_and_b64 vcc, exec, s[46:47]
	s_cbranch_vccz .LBB23_439
; %bb.436:
	s_cmp_eq_u32 s49, 29
	s_cbranch_scc0 .LBB23_438
; %bb.437:
	global_load_dwordx2 v[1:2], v[4:5], off
	s_mov_b64 s[0:1], -1
	s_mov_b64 s[44:45], 0
	s_branch .LBB23_439
.LBB23_438:
	s_mov_b64 s[44:45], -1
                                        ; implicit-def: $vgpr1
.LBB23_439:
	s_mov_b64 s[46:47], 0
.LBB23_440:
	s_and_b64 vcc, exec, s[46:47]
	s_cbranch_vccz .LBB23_456
; %bb.441:
	s_cmp_lt_i32 s49, 27
	s_cbranch_scc1 .LBB23_444
; %bb.442:
	s_cmp_gt_i32 s49, 27
	s_cbranch_scc0 .LBB23_445
; %bb.443:
	global_load_dword v1, v[4:5], off
	s_mov_b64 s[0:1], 0
	s_branch .LBB23_446
.LBB23_444:
	s_mov_b64 s[0:1], -1
                                        ; implicit-def: $vgpr1
	s_branch .LBB23_449
.LBB23_445:
	s_mov_b64 s[0:1], -1
                                        ; implicit-def: $vgpr1
.LBB23_446:
	s_andn2_b64 vcc, exec, s[0:1]
	s_cbranch_vccnz .LBB23_448
; %bb.447:
	global_load_ushort v1, v[4:5], off
.LBB23_448:
	s_mov_b64 s[0:1], 0
.LBB23_449:
	s_andn2_b64 vcc, exec, s[0:1]
	s_cbranch_vccnz .LBB23_455
; %bb.450:
	global_load_ubyte v2, v[4:5], off
	s_movk_i32 s0, 0x7f
	s_mov_b64 s[46:47], 0
	s_waitcnt vmcnt(0)
	v_cmp_lt_i16_e32 vcc, s0, v2
	s_and_saveexec_b64 s[0:1], vcc
	s_xor_b64 s[0:1], exec, s[0:1]
	s_cbranch_execz .LBB23_467
; %bb.451:
	s_movk_i32 s46, 0x80
	v_cmp_ne_u16_e32 vcc, s46, v2
	s_and_b64 s[46:47], vcc, exec
	s_andn2_saveexec_b64 s[0:1], s[0:1]
	s_cbranch_execnz .LBB23_468
.LBB23_452:
	s_or_b64 exec, exec, s[0:1]
	v_mov_b32_e32 v1, 0
	s_and_saveexec_b64 s[0:1], s[46:47]
	s_cbranch_execz .LBB23_454
.LBB23_453:
	v_lshlrev_b32_e32 v1, 24, v2
	v_and_b32_e32 v2, 0xffff, v2
	v_and_b32_e32 v6, 7, v2
	v_ffbh_u32_e32 v8, v6
	v_min_u32_e32 v8, 32, v8
	v_subrev_u32_e32 v9, 28, v8
	v_bfe_u32 v7, v2, 3, 4
	v_lshlrev_b32_e32 v2, v9, v2
	v_sub_u32_e32 v8, 29, v8
	v_and_b32_e32 v2, 7, v2
	v_cmp_eq_u32_e32 vcc, 0, v7
	v_cndmask_b32_e32 v7, v7, v8, vcc
	v_cndmask_b32_e32 v2, v6, v2, vcc
	v_mov_b32_e32 v6, 0x3b800000
	v_lshlrev_b32_e32 v2, 20, v2
	v_and_b32_e32 v1, 0x80000000, v1
	v_lshl_add_u32 v6, v7, 23, v6
	v_or3_b32 v1, v1, v6, v2
	v_trunc_f32_e32 v1, v1
	s_mov_b32 s46, 0x2f800000
	v_mul_f32_e64 v2, |v1|, s46
	v_floor_f32_e32 v2, v2
	s_mov_b32 s46, 0xcf800000
	v_fma_f32 v2, v2, s46, |v1|
	v_cvt_u32_f32_e32 v2, v2
	v_ashrrev_i32_e32 v1, 31, v1
	v_xor_b32_e32 v2, v2, v1
	v_sub_u32_e32 v1, v2, v1
.LBB23_454:
	s_or_b64 exec, exec, s[0:1]
.LBB23_455:
	s_mov_b64 s[0:1], -1
.LBB23_456:
	s_mov_b64 s[46:47], 0
.LBB23_457:
	s_and_b64 vcc, exec, s[46:47]
	s_cbranch_vccz .LBB23_490
; %bb.458:
	s_cmp_gt_i32 s49, 22
	s_cbranch_scc0 .LBB23_466
; %bb.459:
	s_cmp_lt_i32 s49, 24
	s_cbranch_scc1 .LBB23_469
; %bb.460:
	s_cmp_gt_i32 s49, 24
	s_cbranch_scc0 .LBB23_470
; %bb.461:
	global_load_ubyte v2, v[4:5], off
	s_movk_i32 s0, 0x7f
	s_mov_b64 s[46:47], 0
	s_waitcnt vmcnt(0)
	v_cmp_lt_i16_e32 vcc, s0, v2
	s_and_saveexec_b64 s[0:1], vcc
	s_xor_b64 s[0:1], exec, s[0:1]
	s_cbranch_execz .LBB23_482
; %bb.462:
	s_movk_i32 s46, 0x80
	v_cmp_ne_u16_e32 vcc, s46, v2
	s_and_b64 s[46:47], vcc, exec
	s_andn2_saveexec_b64 s[0:1], s[0:1]
	s_cbranch_execnz .LBB23_483
.LBB23_463:
	s_or_b64 exec, exec, s[0:1]
	v_mov_b32_e32 v1, 0
	s_and_saveexec_b64 s[0:1], s[46:47]
	s_cbranch_execz .LBB23_465
.LBB23_464:
	v_lshlrev_b32_e32 v1, 24, v2
	v_and_b32_e32 v2, 0xffff, v2
	v_and_b32_e32 v6, 3, v2
	v_ffbh_u32_e32 v8, v6
	v_min_u32_e32 v8, 32, v8
	v_subrev_u32_e32 v9, 29, v8
	v_bfe_u32 v7, v2, 2, 5
	v_lshlrev_b32_e32 v2, v9, v2
	v_sub_u32_e32 v8, 30, v8
	v_and_b32_e32 v2, 3, v2
	v_cmp_eq_u32_e32 vcc, 0, v7
	v_cndmask_b32_e32 v7, v7, v8, vcc
	v_cndmask_b32_e32 v2, v6, v2, vcc
	v_mov_b32_e32 v6, 0x37800000
	v_lshlrev_b32_e32 v2, 21, v2
	v_and_b32_e32 v1, 0x80000000, v1
	v_lshl_add_u32 v6, v7, 23, v6
	v_or3_b32 v1, v1, v6, v2
	v_trunc_f32_e32 v1, v1
	s_mov_b32 s46, 0x2f800000
	v_mul_f32_e64 v2, |v1|, s46
	v_floor_f32_e32 v2, v2
	s_mov_b32 s46, 0xcf800000
	v_fma_f32 v2, v2, s46, |v1|
	v_cvt_u32_f32_e32 v2, v2
	v_ashrrev_i32_e32 v1, 31, v1
	v_xor_b32_e32 v2, v2, v1
	v_sub_u32_e32 v1, v2, v1
.LBB23_465:
	s_or_b64 exec, exec, s[0:1]
	s_mov_b64 s[0:1], 0
	s_branch .LBB23_471
.LBB23_466:
	s_mov_b64 s[46:47], -1
                                        ; implicit-def: $vgpr1
	s_branch .LBB23_477
.LBB23_467:
	s_andn2_saveexec_b64 s[0:1], s[0:1]
	s_cbranch_execz .LBB23_452
.LBB23_468:
	v_cmp_ne_u16_e32 vcc, 0, v2
	s_andn2_b64 s[46:47], s[46:47], exec
	s_and_b64 s[52:53], vcc, exec
	s_or_b64 s[46:47], s[46:47], s[52:53]
	s_or_b64 exec, exec, s[0:1]
	v_mov_b32_e32 v1, 0
	s_and_saveexec_b64 s[0:1], s[46:47]
	s_cbranch_execnz .LBB23_453
	s_branch .LBB23_454
.LBB23_469:
	s_mov_b64 s[0:1], -1
                                        ; implicit-def: $vgpr1
	s_branch .LBB23_474
.LBB23_470:
	s_mov_b64 s[0:1], -1
                                        ; implicit-def: $vgpr1
.LBB23_471:
	s_and_b64 vcc, exec, s[0:1]
	s_cbranch_vccz .LBB23_473
; %bb.472:
	global_load_ubyte v1, v[4:5], off
	s_mov_b32 s0, 0x7f800000
	s_brev_b32 s1, 1
	s_mov_b32 s46, 0x2f800000
	s_waitcnt vmcnt(0)
	v_lshlrev_b32_e32 v1, 24, v1
	v_and_b32_e32 v2, 0x7f000000, v1
	v_ffbh_u32_e32 v6, v2
	v_min_u32_e32 v6, 32, v6
	v_sub_u32_e64 v6, v6, 4 clamp
	v_lshlrev_b32_e32 v8, v6, v2
	v_lshlrev_b32_e32 v6, 23, v6
	v_lshrrev_b32_e32 v8, 4, v8
	v_add_u32_e32 v7, 0x1000000, v2
	v_sub_u32_e32 v6, v8, v6
	v_ashrrev_i32_e32 v7, 8, v7
	v_add_u32_e32 v6, 0x3c000000, v6
	v_and_or_b32 v6, v7, s0, v6
	v_cmp_ne_u32_e32 vcc, 0, v2
	v_cndmask_b32_e32 v2, 0, v6, vcc
	v_and_or_b32 v1, v1, s1, v2
	v_trunc_f32_e32 v1, v1
	v_mul_f32_e64 v2, |v1|, s46
	v_floor_f32_e32 v2, v2
	s_mov_b32 s0, 0xcf800000
	v_fma_f32 v2, v2, s0, |v1|
	v_cvt_u32_f32_e32 v2, v2
	v_ashrrev_i32_e32 v1, 31, v1
	v_xor_b32_e32 v2, v2, v1
	v_sub_u32_e32 v1, v2, v1
.LBB23_473:
	s_mov_b64 s[0:1], 0
.LBB23_474:
	s_andn2_b64 vcc, exec, s[0:1]
	s_cbranch_vccnz .LBB23_476
; %bb.475:
	global_load_ubyte v1, v[4:5], off
	s_movk_i32 s0, 0x7f00
	s_brev_b32 s1, 16
	s_brev_b32 s46, 1
	s_mov_b32 s47, 0x2f800000
	s_waitcnt vmcnt(0)
	v_lshlrev_b16_e32 v2, 8, v1
	v_lshlrev_b32_e32 v1, 25, v1
	v_lshrrev_b32_e32 v6, 4, v1
	v_and_or_b32 v7, v2, s0, 0.5
	v_or_b32_e32 v6, 0x70000000, v6
	v_add_f32_e32 v7, -0.5, v7
	v_mul_f32_e32 v6, 0x7800000, v6
	v_cmp_gt_u32_e32 vcc, s1, v1
	v_bfe_i32 v2, v2, 0, 16
	v_cndmask_b32_e32 v1, v6, v7, vcc
	v_and_or_b32 v1, v2, s46, v1
	v_trunc_f32_e32 v1, v1
	v_mul_f32_e64 v2, |v1|, s47
	v_floor_f32_e32 v2, v2
	s_mov_b32 s0, 0xcf800000
	v_fma_f32 v2, v2, s0, |v1|
	v_cvt_u32_f32_e32 v2, v2
	v_ashrrev_i32_e32 v1, 31, v1
	v_xor_b32_e32 v2, v2, v1
	v_sub_u32_e32 v1, v2, v1
.LBB23_476:
	s_mov_b64 s[46:47], 0
	s_mov_b64 s[0:1], -1
.LBB23_477:
	s_andn2_b64 vcc, exec, s[46:47]
	s_cbranch_vccnz .LBB23_490
; %bb.478:
	s_cmp_gt_i32 s49, 14
	s_cbranch_scc0 .LBB23_481
; %bb.479:
	s_cmp_eq_u32 s49, 15
	s_cbranch_scc0 .LBB23_484
; %bb.480:
	global_load_ushort v1, v[4:5], off
	s_mov_b32 s0, 0x2f800000
	s_mov_b32 s1, 0xcf800000
	s_mov_b64 s[44:45], 0
	s_waitcnt vmcnt(0)
	v_lshlrev_b32_e32 v1, 16, v1
	v_trunc_f32_e32 v1, v1
	v_mul_f32_e64 v2, |v1|, s0
	v_floor_f32_e32 v2, v2
	v_fma_f32 v2, v2, s1, |v1|
	v_cvt_u32_f32_e32 v2, v2
	v_ashrrev_i32_e32 v1, 31, v1
	s_mov_b64 s[0:1], -1
	v_xor_b32_e32 v2, v2, v1
	v_sub_u32_e32 v1, v2, v1
	s_branch .LBB23_485
.LBB23_481:
	s_mov_b64 s[46:47], -1
                                        ; implicit-def: $vgpr1
	s_branch .LBB23_486
.LBB23_482:
	s_andn2_saveexec_b64 s[0:1], s[0:1]
	s_cbranch_execz .LBB23_463
.LBB23_483:
	v_cmp_ne_u16_e32 vcc, 0, v2
	s_andn2_b64 s[46:47], s[46:47], exec
	s_and_b64 s[52:53], vcc, exec
	s_or_b64 s[46:47], s[46:47], s[52:53]
	s_or_b64 exec, exec, s[0:1]
	v_mov_b32_e32 v1, 0
	s_and_saveexec_b64 s[0:1], s[46:47]
	s_cbranch_execnz .LBB23_464
	s_branch .LBB23_465
.LBB23_484:
	s_mov_b64 s[44:45], -1
                                        ; implicit-def: $vgpr1
.LBB23_485:
	s_mov_b64 s[46:47], 0
.LBB23_486:
	s_and_b64 vcc, exec, s[46:47]
	s_cbranch_vccz .LBB23_490
; %bb.487:
	s_cmp_eq_u32 s49, 11
	s_cbranch_scc0 .LBB23_489
; %bb.488:
	global_load_ubyte v1, v[4:5], off
	s_mov_b64 s[0:1], -1
	s_mov_b64 s[44:45], 0
	s_waitcnt vmcnt(0)
	v_cmp_ne_u16_e32 vcc, 0, v1
	v_cndmask_b32_e64 v1, 0, 1, vcc
	s_branch .LBB23_490
.LBB23_489:
	s_mov_b64 s[44:45], -1
                                        ; implicit-def: $vgpr1
.LBB23_490:
	s_branch .LBB23_410
.LBB23_491:
	s_and_b32 s46, 0xffff, s48
	s_cmp_lt_i32 s46, 5
	s_cbranch_scc1 .LBB23_496
; %bb.492:
	s_cmp_lt_i32 s46, 8
	s_cbranch_scc1 .LBB23_497
; %bb.493:
	;; [unrolled: 3-line block ×3, first 2 shown]
	s_cmp_gt_i32 s46, 9
	s_cbranch_scc0 .LBB23_499
; %bb.495:
	global_load_dwordx2 v[1:2], v[4:5], off
	s_movk_i32 s0, 0xffe0
	s_waitcnt vmcnt(0)
	v_trunc_f64_e32 v[1:2], v[1:2]
	v_ldexp_f64 v[6:7], v[1:2], s0
	s_mov_b32 s0, 0
	s_mov_b32 s1, 0xc1f00000
	v_floor_f64_e32 v[6:7], v[6:7]
	v_fma_f64 v[1:2], v[6:7], s[0:1], v[1:2]
	s_mov_b64 s[0:1], 0
	v_cvt_u32_f64_e32 v1, v[1:2]
	s_branch .LBB23_500
.LBB23_496:
	s_mov_b64 s[0:1], -1
                                        ; implicit-def: $vgpr1
	s_branch .LBB23_518
.LBB23_497:
	s_mov_b64 s[0:1], -1
                                        ; implicit-def: $vgpr1
	s_branch .LBB23_506
.LBB23_498:
	s_mov_b64 s[0:1], -1
                                        ; implicit-def: $vgpr1
	s_branch .LBB23_503
.LBB23_499:
	s_mov_b64 s[0:1], -1
                                        ; implicit-def: $vgpr1
.LBB23_500:
	s_andn2_b64 vcc, exec, s[0:1]
	s_cbranch_vccnz .LBB23_502
; %bb.501:
	global_load_dword v1, v[4:5], off
	s_mov_b32 s0, 0x2f800000
	s_waitcnt vmcnt(0)
	v_trunc_f32_e32 v1, v1
	v_mul_f32_e64 v2, |v1|, s0
	v_floor_f32_e32 v2, v2
	s_mov_b32 s0, 0xcf800000
	v_fma_f32 v2, v2, s0, |v1|
	v_cvt_u32_f32_e32 v2, v2
	v_ashrrev_i32_e32 v1, 31, v1
	v_xor_b32_e32 v2, v2, v1
	v_sub_u32_e32 v1, v2, v1
.LBB23_502:
	s_mov_b64 s[0:1], 0
.LBB23_503:
	s_andn2_b64 vcc, exec, s[0:1]
	s_cbranch_vccnz .LBB23_505
; %bb.504:
	global_load_dword v1, v[4:5], off
	s_waitcnt vmcnt(0)
	v_cvt_f32_f16_e32 v1, v1
	v_cvt_i32_f32_e32 v1, v1
.LBB23_505:
	s_mov_b64 s[0:1], 0
.LBB23_506:
	s_andn2_b64 vcc, exec, s[0:1]
	s_cbranch_vccnz .LBB23_517
; %bb.507:
	s_cmp_lt_i32 s46, 6
	s_cbranch_scc1 .LBB23_510
; %bb.508:
	s_cmp_gt_i32 s46, 6
	s_cbranch_scc0 .LBB23_511
; %bb.509:
	global_load_dwordx2 v[1:2], v[4:5], off
	s_movk_i32 s0, 0xffe0
	s_waitcnt vmcnt(0)
	v_trunc_f64_e32 v[1:2], v[1:2]
	v_ldexp_f64 v[6:7], v[1:2], s0
	s_mov_b32 s0, 0
	s_mov_b32 s1, 0xc1f00000
	v_floor_f64_e32 v[6:7], v[6:7]
	v_fma_f64 v[1:2], v[6:7], s[0:1], v[1:2]
	s_mov_b64 s[0:1], 0
	v_cvt_u32_f64_e32 v1, v[1:2]
	s_branch .LBB23_512
.LBB23_510:
	s_mov_b64 s[0:1], -1
                                        ; implicit-def: $vgpr1
	s_branch .LBB23_515
.LBB23_511:
	s_mov_b64 s[0:1], -1
                                        ; implicit-def: $vgpr1
.LBB23_512:
	s_andn2_b64 vcc, exec, s[0:1]
	s_cbranch_vccnz .LBB23_514
; %bb.513:
	global_load_dword v1, v[4:5], off
	s_mov_b32 s0, 0x2f800000
	s_waitcnt vmcnt(0)
	v_trunc_f32_e32 v1, v1
	v_mul_f32_e64 v2, |v1|, s0
	v_floor_f32_e32 v2, v2
	s_mov_b32 s0, 0xcf800000
	v_fma_f32 v2, v2, s0, |v1|
	v_cvt_u32_f32_e32 v2, v2
	v_ashrrev_i32_e32 v1, 31, v1
	v_xor_b32_e32 v2, v2, v1
	v_sub_u32_e32 v1, v2, v1
.LBB23_514:
	s_mov_b64 s[0:1], 0
.LBB23_515:
	s_andn2_b64 vcc, exec, s[0:1]
	s_cbranch_vccnz .LBB23_517
; %bb.516:
	global_load_ushort v1, v[4:5], off
	s_waitcnt vmcnt(0)
	v_cvt_f32_f16_e32 v1, v1
	v_cvt_i32_f32_e32 v1, v1
.LBB23_517:
	s_mov_b64 s[0:1], 0
.LBB23_518:
	s_andn2_b64 vcc, exec, s[0:1]
	s_cbranch_vccnz .LBB23_538
; %bb.519:
	s_cmp_lt_i32 s46, 2
	s_cbranch_scc1 .LBB23_523
; %bb.520:
	s_cmp_lt_i32 s46, 3
	s_cbranch_scc1 .LBB23_524
; %bb.521:
	s_cmp_gt_i32 s46, 3
	s_cbranch_scc0 .LBB23_525
; %bb.522:
	global_load_dwordx2 v[1:2], v[4:5], off
	s_mov_b64 s[0:1], 0
	s_branch .LBB23_526
.LBB23_523:
	s_mov_b64 s[0:1], -1
                                        ; implicit-def: $vgpr1
	s_branch .LBB23_532
.LBB23_524:
	s_mov_b64 s[0:1], -1
                                        ; implicit-def: $vgpr1
	s_branch .LBB23_529
.LBB23_525:
	s_mov_b64 s[0:1], -1
                                        ; implicit-def: $vgpr1
.LBB23_526:
	s_andn2_b64 vcc, exec, s[0:1]
	s_cbranch_vccnz .LBB23_528
; %bb.527:
	global_load_dword v1, v[4:5], off
.LBB23_528:
	s_mov_b64 s[0:1], 0
.LBB23_529:
	s_andn2_b64 vcc, exec, s[0:1]
	s_cbranch_vccnz .LBB23_531
; %bb.530:
	global_load_ushort v1, v[4:5], off
.LBB23_531:
	s_mov_b64 s[0:1], 0
.LBB23_532:
	s_andn2_b64 vcc, exec, s[0:1]
	s_cbranch_vccnz .LBB23_538
; %bb.533:
	s_cmp_gt_i32 s46, 0
	s_cbranch_scc0 .LBB23_535
; %bb.534:
	global_load_ubyte v1, v[4:5], off
	s_mov_b64 s[0:1], 0
	s_branch .LBB23_536
.LBB23_535:
	s_mov_b64 s[0:1], -1
                                        ; implicit-def: $vgpr1
.LBB23_536:
	s_andn2_b64 vcc, exec, s[0:1]
	s_cbranch_vccnz .LBB23_538
; %bb.537:
	global_load_ubyte v1, v[4:5], off
.LBB23_538:
	s_branch .LBB23_411
.LBB23_539:
	s_mov_b64 s[52:53], 0
	s_mov_b64 s[0:1], s[36:37]
	;; [unrolled: 1-line block ×3, first 2 shown]
.LBB23_540:
                                        ; implicit-def: $vgpr10
	s_branch .LBB23_778
.LBB23_541:
	s_andn2_saveexec_b64 s[48:49], s[48:49]
	s_cbranch_execz .LBB23_200
.LBB23_542:
	v_add_f32_e32 v3, 0x42800000, v4
	v_and_b32_e32 v3, 0xff, v3
	v_cmp_ne_u32_e32 vcc, 0, v3
	s_andn2_b64 s[44:45], s[44:45], exec
	s_and_b64 s[52:53], vcc, exec
	s_or_b64 s[44:45], s[44:45], s[52:53]
	s_or_b64 exec, exec, s[48:49]
	v_mov_b32_e32 v5, 0
	s_and_saveexec_b64 s[48:49], s[44:45]
	s_cbranch_execnz .LBB23_201
	s_branch .LBB23_202
.LBB23_543:
	s_mov_b64 s[46:47], -1
                                        ; implicit-def: $vgpr4
	s_mov_b64 s[0:1], 0
.LBB23_544:
	s_and_b64 vcc, exec, s[48:49]
	s_cbranch_vccz .LBB23_548
; %bb.545:
	s_cmp_eq_u32 s53, 44
	s_cbranch_scc0 .LBB23_547
; %bb.546:
	global_load_ubyte v4, v[2:3], off
	s_mov_b32 s0, 0x2f800000
	s_mov_b32 s1, 0xcf800000
	s_mov_b64 s[46:47], 0
	s_waitcnt vmcnt(0)
	v_lshlrev_b32_e32 v5, 23, v4
	v_trunc_f32_e32 v5, v5
	v_mul_f32_e64 v6, |v5|, s0
	v_floor_f32_e32 v6, v6
	v_fma_f32 v6, v6, s1, |v5|
	v_cvt_u32_f32_e32 v6, v6
	v_ashrrev_i32_e32 v5, 31, v5
	v_cmp_ne_u32_e32 vcc, 0, v4
	s_mov_b64 s[0:1], -1
	v_xor_b32_e32 v6, v6, v5
	v_sub_u32_e32 v5, v6, v5
	v_cndmask_b32_e32 v4, 0, v5, vcc
	s_branch .LBB23_548
.LBB23_547:
	s_mov_b64 s[46:47], -1
                                        ; implicit-def: $vgpr4
.LBB23_548:
	s_mov_b64 s[48:49], 0
.LBB23_549:
	s_and_b64 vcc, exec, s[48:49]
	s_cbranch_vccz .LBB23_553
; %bb.550:
	s_cmp_eq_u32 s53, 29
	s_cbranch_scc0 .LBB23_552
; %bb.551:
	global_load_dwordx2 v[4:5], v[2:3], off
	s_mov_b64 s[0:1], -1
	s_mov_b64 s[46:47], 0
	s_branch .LBB23_553
.LBB23_552:
	s_mov_b64 s[46:47], -1
                                        ; implicit-def: $vgpr4
.LBB23_553:
	s_mov_b64 s[48:49], 0
.LBB23_554:
	s_and_b64 vcc, exec, s[48:49]
	s_cbranch_vccz .LBB23_570
; %bb.555:
	s_cmp_lt_i32 s53, 27
	s_cbranch_scc1 .LBB23_558
; %bb.556:
	s_cmp_gt_i32 s53, 27
	s_cbranch_scc0 .LBB23_559
; %bb.557:
	global_load_dword v4, v[2:3], off
	s_mov_b64 s[0:1], 0
	s_branch .LBB23_560
.LBB23_558:
	s_mov_b64 s[0:1], -1
                                        ; implicit-def: $vgpr4
	s_branch .LBB23_563
.LBB23_559:
	s_mov_b64 s[0:1], -1
                                        ; implicit-def: $vgpr4
.LBB23_560:
	s_andn2_b64 vcc, exec, s[0:1]
	s_cbranch_vccnz .LBB23_562
; %bb.561:
	global_load_ushort v4, v[2:3], off
.LBB23_562:
	s_mov_b64 s[0:1], 0
.LBB23_563:
	s_andn2_b64 vcc, exec, s[0:1]
	s_cbranch_vccnz .LBB23_569
; %bb.564:
	global_load_ubyte v5, v[2:3], off
	s_movk_i32 s0, 0x7f
	s_mov_b64 s[48:49], 0
	s_waitcnt vmcnt(0)
	v_cmp_lt_i16_e32 vcc, s0, v5
	s_and_saveexec_b64 s[0:1], vcc
	s_xor_b64 s[0:1], exec, s[0:1]
	s_cbranch_execz .LBB23_581
; %bb.565:
	s_movk_i32 s48, 0x80
	v_cmp_ne_u16_e32 vcc, s48, v5
	s_and_b64 s[48:49], vcc, exec
	s_andn2_saveexec_b64 s[0:1], s[0:1]
	s_cbranch_execnz .LBB23_582
.LBB23_566:
	s_or_b64 exec, exec, s[0:1]
	v_mov_b32_e32 v4, 0
	s_and_saveexec_b64 s[0:1], s[48:49]
	s_cbranch_execz .LBB23_568
.LBB23_567:
	v_lshlrev_b32_e32 v4, 24, v5
	v_and_b32_e32 v5, 0xffff, v5
	v_and_b32_e32 v6, 7, v5
	v_ffbh_u32_e32 v8, v6
	v_min_u32_e32 v8, 32, v8
	v_subrev_u32_e32 v9, 28, v8
	v_bfe_u32 v7, v5, 3, 4
	v_lshlrev_b32_e32 v5, v9, v5
	v_sub_u32_e32 v8, 29, v8
	v_and_b32_e32 v5, 7, v5
	v_cmp_eq_u32_e32 vcc, 0, v7
	v_cndmask_b32_e32 v7, v7, v8, vcc
	v_cndmask_b32_e32 v5, v6, v5, vcc
	v_mov_b32_e32 v6, 0x3b800000
	v_lshlrev_b32_e32 v5, 20, v5
	v_and_b32_e32 v4, 0x80000000, v4
	v_lshl_add_u32 v6, v7, 23, v6
	v_or3_b32 v4, v4, v6, v5
	v_trunc_f32_e32 v4, v4
	s_mov_b32 s48, 0x2f800000
	v_mul_f32_e64 v5, |v4|, s48
	v_floor_f32_e32 v5, v5
	s_mov_b32 s48, 0xcf800000
	v_fma_f32 v5, v5, s48, |v4|
	v_cvt_u32_f32_e32 v5, v5
	v_ashrrev_i32_e32 v4, 31, v4
	v_xor_b32_e32 v5, v5, v4
	v_sub_u32_e32 v4, v5, v4
.LBB23_568:
	s_or_b64 exec, exec, s[0:1]
.LBB23_569:
	s_mov_b64 s[0:1], -1
.LBB23_570:
	s_mov_b64 s[48:49], 0
.LBB23_571:
	s_and_b64 vcc, exec, s[48:49]
	s_cbranch_vccz .LBB23_604
; %bb.572:
	s_cmp_gt_i32 s53, 22
	s_cbranch_scc0 .LBB23_580
; %bb.573:
	s_cmp_lt_i32 s53, 24
	s_cbranch_scc1 .LBB23_583
; %bb.574:
	s_cmp_gt_i32 s53, 24
	s_cbranch_scc0 .LBB23_584
; %bb.575:
	global_load_ubyte v5, v[2:3], off
	s_movk_i32 s0, 0x7f
	s_mov_b64 s[48:49], 0
	s_waitcnt vmcnt(0)
	v_cmp_lt_i16_e32 vcc, s0, v5
	s_and_saveexec_b64 s[0:1], vcc
	s_xor_b64 s[0:1], exec, s[0:1]
	s_cbranch_execz .LBB23_596
; %bb.576:
	s_movk_i32 s48, 0x80
	v_cmp_ne_u16_e32 vcc, s48, v5
	s_and_b64 s[48:49], vcc, exec
	s_andn2_saveexec_b64 s[0:1], s[0:1]
	s_cbranch_execnz .LBB23_597
.LBB23_577:
	s_or_b64 exec, exec, s[0:1]
	v_mov_b32_e32 v4, 0
	s_and_saveexec_b64 s[0:1], s[48:49]
	s_cbranch_execz .LBB23_579
.LBB23_578:
	v_lshlrev_b32_e32 v4, 24, v5
	v_and_b32_e32 v5, 0xffff, v5
	v_and_b32_e32 v6, 3, v5
	v_ffbh_u32_e32 v8, v6
	v_min_u32_e32 v8, 32, v8
	v_subrev_u32_e32 v9, 29, v8
	v_bfe_u32 v7, v5, 2, 5
	v_lshlrev_b32_e32 v5, v9, v5
	v_sub_u32_e32 v8, 30, v8
	v_and_b32_e32 v5, 3, v5
	v_cmp_eq_u32_e32 vcc, 0, v7
	v_cndmask_b32_e32 v7, v7, v8, vcc
	v_cndmask_b32_e32 v5, v6, v5, vcc
	v_mov_b32_e32 v6, 0x37800000
	v_lshlrev_b32_e32 v5, 21, v5
	v_and_b32_e32 v4, 0x80000000, v4
	v_lshl_add_u32 v6, v7, 23, v6
	v_or3_b32 v4, v4, v6, v5
	v_trunc_f32_e32 v4, v4
	s_mov_b32 s48, 0x2f800000
	v_mul_f32_e64 v5, |v4|, s48
	v_floor_f32_e32 v5, v5
	s_mov_b32 s48, 0xcf800000
	v_fma_f32 v5, v5, s48, |v4|
	v_cvt_u32_f32_e32 v5, v5
	v_ashrrev_i32_e32 v4, 31, v4
	v_xor_b32_e32 v5, v5, v4
	v_sub_u32_e32 v4, v5, v4
.LBB23_579:
	s_or_b64 exec, exec, s[0:1]
	s_mov_b64 s[0:1], 0
	s_branch .LBB23_585
.LBB23_580:
	s_mov_b64 s[48:49], -1
                                        ; implicit-def: $vgpr4
	s_branch .LBB23_591
.LBB23_581:
	s_andn2_saveexec_b64 s[0:1], s[0:1]
	s_cbranch_execz .LBB23_566
.LBB23_582:
	v_cmp_ne_u16_e32 vcc, 0, v5
	s_andn2_b64 s[48:49], s[48:49], exec
	s_and_b64 s[54:55], vcc, exec
	s_or_b64 s[48:49], s[48:49], s[54:55]
	s_or_b64 exec, exec, s[0:1]
	v_mov_b32_e32 v4, 0
	s_and_saveexec_b64 s[0:1], s[48:49]
	s_cbranch_execnz .LBB23_567
	s_branch .LBB23_568
.LBB23_583:
	s_mov_b64 s[0:1], -1
                                        ; implicit-def: $vgpr4
	s_branch .LBB23_588
.LBB23_584:
	s_mov_b64 s[0:1], -1
                                        ; implicit-def: $vgpr4
.LBB23_585:
	s_and_b64 vcc, exec, s[0:1]
	s_cbranch_vccz .LBB23_587
; %bb.586:
	global_load_ubyte v4, v[2:3], off
	s_mov_b32 s0, 0x7f800000
	s_brev_b32 s1, 1
	s_mov_b32 s48, 0x2f800000
	s_waitcnt vmcnt(0)
	v_lshlrev_b32_e32 v4, 24, v4
	v_and_b32_e32 v5, 0x7f000000, v4
	v_ffbh_u32_e32 v6, v5
	v_min_u32_e32 v6, 32, v6
	v_sub_u32_e64 v6, v6, 4 clamp
	v_lshlrev_b32_e32 v8, v6, v5
	v_lshlrev_b32_e32 v6, 23, v6
	v_lshrrev_b32_e32 v8, 4, v8
	v_add_u32_e32 v7, 0x1000000, v5
	v_sub_u32_e32 v6, v8, v6
	v_ashrrev_i32_e32 v7, 8, v7
	v_add_u32_e32 v6, 0x3c000000, v6
	v_and_or_b32 v6, v7, s0, v6
	v_cmp_ne_u32_e32 vcc, 0, v5
	v_cndmask_b32_e32 v5, 0, v6, vcc
	v_and_or_b32 v4, v4, s1, v5
	v_trunc_f32_e32 v4, v4
	v_mul_f32_e64 v5, |v4|, s48
	v_floor_f32_e32 v5, v5
	s_mov_b32 s0, 0xcf800000
	v_fma_f32 v5, v5, s0, |v4|
	v_cvt_u32_f32_e32 v5, v5
	v_ashrrev_i32_e32 v4, 31, v4
	v_xor_b32_e32 v5, v5, v4
	v_sub_u32_e32 v4, v5, v4
.LBB23_587:
	s_mov_b64 s[0:1], 0
.LBB23_588:
	s_andn2_b64 vcc, exec, s[0:1]
	s_cbranch_vccnz .LBB23_590
; %bb.589:
	global_load_ubyte v4, v[2:3], off
	s_movk_i32 s0, 0x7f00
	s_brev_b32 s1, 16
	s_brev_b32 s48, 1
	s_mov_b32 s49, 0x2f800000
	s_waitcnt vmcnt(0)
	v_lshlrev_b16_e32 v5, 8, v4
	v_lshlrev_b32_e32 v4, 25, v4
	v_lshrrev_b32_e32 v6, 4, v4
	v_and_or_b32 v7, v5, s0, 0.5
	v_or_b32_e32 v6, 0x70000000, v6
	v_add_f32_e32 v7, -0.5, v7
	v_mul_f32_e32 v6, 0x7800000, v6
	v_cmp_gt_u32_e32 vcc, s1, v4
	v_bfe_i32 v5, v5, 0, 16
	v_cndmask_b32_e32 v4, v6, v7, vcc
	v_and_or_b32 v4, v5, s48, v4
	v_trunc_f32_e32 v4, v4
	v_mul_f32_e64 v5, |v4|, s49
	v_floor_f32_e32 v5, v5
	s_mov_b32 s0, 0xcf800000
	v_fma_f32 v5, v5, s0, |v4|
	v_cvt_u32_f32_e32 v5, v5
	v_ashrrev_i32_e32 v4, 31, v4
	v_xor_b32_e32 v5, v5, v4
	v_sub_u32_e32 v4, v5, v4
.LBB23_590:
	s_mov_b64 s[48:49], 0
	s_mov_b64 s[0:1], -1
.LBB23_591:
	s_andn2_b64 vcc, exec, s[48:49]
	s_cbranch_vccnz .LBB23_604
; %bb.592:
	s_cmp_gt_i32 s53, 14
	s_cbranch_scc0 .LBB23_595
; %bb.593:
	s_cmp_eq_u32 s53, 15
	s_cbranch_scc0 .LBB23_598
; %bb.594:
	global_load_ushort v4, v[2:3], off
	s_mov_b32 s0, 0x2f800000
	s_mov_b32 s1, 0xcf800000
	s_mov_b64 s[46:47], 0
	s_waitcnt vmcnt(0)
	v_lshlrev_b32_e32 v4, 16, v4
	v_trunc_f32_e32 v4, v4
	v_mul_f32_e64 v5, |v4|, s0
	v_floor_f32_e32 v5, v5
	v_fma_f32 v5, v5, s1, |v4|
	v_cvt_u32_f32_e32 v5, v5
	v_ashrrev_i32_e32 v4, 31, v4
	s_mov_b64 s[0:1], -1
	v_xor_b32_e32 v5, v5, v4
	v_sub_u32_e32 v4, v5, v4
	s_branch .LBB23_599
.LBB23_595:
	s_mov_b64 s[48:49], -1
                                        ; implicit-def: $vgpr4
	s_branch .LBB23_600
.LBB23_596:
	s_andn2_saveexec_b64 s[0:1], s[0:1]
	s_cbranch_execz .LBB23_577
.LBB23_597:
	v_cmp_ne_u16_e32 vcc, 0, v5
	s_andn2_b64 s[48:49], s[48:49], exec
	s_and_b64 s[54:55], vcc, exec
	s_or_b64 s[48:49], s[48:49], s[54:55]
	s_or_b64 exec, exec, s[0:1]
	v_mov_b32_e32 v4, 0
	s_and_saveexec_b64 s[0:1], s[48:49]
	s_cbranch_execnz .LBB23_578
	s_branch .LBB23_579
.LBB23_598:
	s_mov_b64 s[46:47], -1
                                        ; implicit-def: $vgpr4
.LBB23_599:
	s_mov_b64 s[48:49], 0
.LBB23_600:
	s_and_b64 vcc, exec, s[48:49]
	s_cbranch_vccz .LBB23_604
; %bb.601:
	s_cmp_eq_u32 s53, 11
	s_cbranch_scc0 .LBB23_603
; %bb.602:
	global_load_ubyte v4, v[2:3], off
	s_mov_b64 s[0:1], -1
	s_mov_b64 s[46:47], 0
	s_waitcnt vmcnt(0)
	v_cmp_ne_u16_e32 vcc, 0, v4
	v_cndmask_b32_e64 v4, 0, 1, vcc
	s_branch .LBB23_604
.LBB23_603:
	s_mov_b64 s[46:47], -1
                                        ; implicit-def: $vgpr4
.LBB23_604:
	s_mov_b64 s[48:49], 0
.LBB23_605:
	s_and_b64 vcc, exec, s[48:49]
	s_cbranch_vccz .LBB23_654
; %bb.606:
	s_and_b32 s48, 0xffff, s52
	s_cmp_lt_i32 s48, 5
	s_cbranch_scc1 .LBB23_611
; %bb.607:
	s_cmp_lt_i32 s48, 8
	s_cbranch_scc1 .LBB23_612
; %bb.608:
	;; [unrolled: 3-line block ×3, first 2 shown]
	s_cmp_gt_i32 s48, 9
	s_cbranch_scc0 .LBB23_614
; %bb.610:
	global_load_dwordx2 v[4:5], v[2:3], off
	s_movk_i32 s0, 0xffe0
	s_waitcnt vmcnt(0)
	v_trunc_f64_e32 v[4:5], v[4:5]
	v_ldexp_f64 v[6:7], v[4:5], s0
	s_mov_b32 s0, 0
	s_mov_b32 s1, 0xc1f00000
	v_floor_f64_e32 v[6:7], v[6:7]
	v_fma_f64 v[4:5], v[6:7], s[0:1], v[4:5]
	s_mov_b64 s[0:1], 0
	v_cvt_u32_f64_e32 v4, v[4:5]
	s_branch .LBB23_615
.LBB23_611:
	s_mov_b64 s[0:1], -1
                                        ; implicit-def: $vgpr4
	s_branch .LBB23_633
.LBB23_612:
	s_mov_b64 s[0:1], -1
                                        ; implicit-def: $vgpr4
	s_branch .LBB23_621
.LBB23_613:
	s_mov_b64 s[0:1], -1
                                        ; implicit-def: $vgpr4
	s_branch .LBB23_618
.LBB23_614:
	s_mov_b64 s[0:1], -1
                                        ; implicit-def: $vgpr4
.LBB23_615:
	s_andn2_b64 vcc, exec, s[0:1]
	s_cbranch_vccnz .LBB23_617
; %bb.616:
	global_load_dword v4, v[2:3], off
	s_mov_b32 s0, 0x2f800000
	s_waitcnt vmcnt(0)
	v_trunc_f32_e32 v4, v4
	v_mul_f32_e64 v5, |v4|, s0
	v_floor_f32_e32 v5, v5
	s_mov_b32 s0, 0xcf800000
	v_fma_f32 v5, v5, s0, |v4|
	v_cvt_u32_f32_e32 v5, v5
	v_ashrrev_i32_e32 v4, 31, v4
	v_xor_b32_e32 v5, v5, v4
	v_sub_u32_e32 v4, v5, v4
.LBB23_617:
	s_mov_b64 s[0:1], 0
.LBB23_618:
	s_andn2_b64 vcc, exec, s[0:1]
	s_cbranch_vccnz .LBB23_620
; %bb.619:
	global_load_dword v4, v[2:3], off
	s_waitcnt vmcnt(0)
	v_cvt_f32_f16_e32 v4, v4
	v_cvt_i32_f32_e32 v4, v4
.LBB23_620:
	s_mov_b64 s[0:1], 0
.LBB23_621:
	s_andn2_b64 vcc, exec, s[0:1]
	s_cbranch_vccnz .LBB23_632
; %bb.622:
	s_cmp_lt_i32 s48, 6
	s_cbranch_scc1 .LBB23_625
; %bb.623:
	s_cmp_gt_i32 s48, 6
	s_cbranch_scc0 .LBB23_626
; %bb.624:
	global_load_dwordx2 v[4:5], v[2:3], off
	s_movk_i32 s0, 0xffe0
	s_waitcnt vmcnt(0)
	v_trunc_f64_e32 v[4:5], v[4:5]
	v_ldexp_f64 v[6:7], v[4:5], s0
	s_mov_b32 s0, 0
	s_mov_b32 s1, 0xc1f00000
	v_floor_f64_e32 v[6:7], v[6:7]
	v_fma_f64 v[4:5], v[6:7], s[0:1], v[4:5]
	s_mov_b64 s[0:1], 0
	v_cvt_u32_f64_e32 v4, v[4:5]
	s_branch .LBB23_627
.LBB23_625:
	s_mov_b64 s[0:1], -1
                                        ; implicit-def: $vgpr4
	s_branch .LBB23_630
.LBB23_626:
	s_mov_b64 s[0:1], -1
                                        ; implicit-def: $vgpr4
.LBB23_627:
	s_andn2_b64 vcc, exec, s[0:1]
	s_cbranch_vccnz .LBB23_629
; %bb.628:
	global_load_dword v4, v[2:3], off
	s_mov_b32 s0, 0x2f800000
	s_waitcnt vmcnt(0)
	v_trunc_f32_e32 v4, v4
	v_mul_f32_e64 v5, |v4|, s0
	v_floor_f32_e32 v5, v5
	s_mov_b32 s0, 0xcf800000
	v_fma_f32 v5, v5, s0, |v4|
	v_cvt_u32_f32_e32 v5, v5
	v_ashrrev_i32_e32 v4, 31, v4
	v_xor_b32_e32 v5, v5, v4
	v_sub_u32_e32 v4, v5, v4
.LBB23_629:
	s_mov_b64 s[0:1], 0
.LBB23_630:
	s_andn2_b64 vcc, exec, s[0:1]
	s_cbranch_vccnz .LBB23_632
; %bb.631:
	global_load_ushort v4, v[2:3], off
	s_waitcnt vmcnt(0)
	v_cvt_f32_f16_e32 v4, v4
	v_cvt_i32_f32_e32 v4, v4
.LBB23_632:
	s_mov_b64 s[0:1], 0
.LBB23_633:
	s_andn2_b64 vcc, exec, s[0:1]
	s_cbranch_vccnz .LBB23_653
; %bb.634:
	s_cmp_lt_i32 s48, 2
	s_cbranch_scc1 .LBB23_638
; %bb.635:
	s_cmp_lt_i32 s48, 3
	s_cbranch_scc1 .LBB23_639
; %bb.636:
	s_cmp_gt_i32 s48, 3
	s_cbranch_scc0 .LBB23_640
; %bb.637:
	global_load_dwordx2 v[4:5], v[2:3], off
	s_mov_b64 s[0:1], 0
	s_branch .LBB23_641
.LBB23_638:
	s_mov_b64 s[0:1], -1
                                        ; implicit-def: $vgpr4
	s_branch .LBB23_647
.LBB23_639:
	s_mov_b64 s[0:1], -1
                                        ; implicit-def: $vgpr4
	s_branch .LBB23_644
.LBB23_640:
	s_mov_b64 s[0:1], -1
                                        ; implicit-def: $vgpr4
.LBB23_641:
	s_andn2_b64 vcc, exec, s[0:1]
	s_cbranch_vccnz .LBB23_643
; %bb.642:
	global_load_dword v4, v[2:3], off
.LBB23_643:
	s_mov_b64 s[0:1], 0
.LBB23_644:
	s_andn2_b64 vcc, exec, s[0:1]
	s_cbranch_vccnz .LBB23_646
; %bb.645:
	global_load_ushort v4, v[2:3], off
.LBB23_646:
	s_mov_b64 s[0:1], 0
.LBB23_647:
	s_andn2_b64 vcc, exec, s[0:1]
	s_cbranch_vccnz .LBB23_653
; %bb.648:
	s_cmp_gt_i32 s48, 0
	s_cbranch_scc0 .LBB23_650
; %bb.649:
	global_load_ubyte v4, v[2:3], off
	s_mov_b64 s[0:1], 0
	s_branch .LBB23_651
.LBB23_650:
	s_mov_b64 s[0:1], -1
                                        ; implicit-def: $vgpr4
.LBB23_651:
	s_andn2_b64 vcc, exec, s[0:1]
	s_cbranch_vccnz .LBB23_653
; %bb.652:
	global_load_ubyte v4, v[2:3], off
.LBB23_653:
	s_mov_b64 s[0:1], -1
.LBB23_654:
	s_andn2_b64 vcc, exec, s[0:1]
	s_cbranch_vccnz .LBB23_662
; %bb.655:
	v_mov_b32_e32 v2, 8
	s_waitcnt vmcnt(0)
	v_lshlrev_b32_e32 v1, v4, v1
	v_cmp_lt_u16_sdwa vcc, v4, v2 src0_sel:BYTE_0 src1_sel:DWORD
	v_cndmask_b32_e32 v2, 0, v1, vcc
	v_mov_b32_e32 v1, s9
	s_and_b32 s56, s69, 0xff
	v_add_co_u32_e32 v0, vcc, s8, v0
	s_cmp_lt_i32 s56, 11
	v_addc_co_u32_e32 v1, vcc, 0, v1, vcc
	s_cbranch_scc1 .LBB23_663
; %bb.656:
	s_and_b32 s57, 0xffff, s56
	s_cmp_gt_i32 s57, 25
	s_cbranch_scc0 .LBB23_664
; %bb.657:
	s_cmp_gt_i32 s57, 28
	s_cbranch_scc0 .LBB23_665
; %bb.658:
	;; [unrolled: 3-line block ×4, first 2 shown]
	s_mov_b64 s[52:53], 0
	s_mov_b64 s[0:1], -1
	s_cmp_eq_u32 s57, 46
	s_mov_b64 s[48:49], 0
	s_cbranch_scc0 .LBB23_668
; %bb.661:
	v_cvt_f32_ubyte0_e32 v3, v2
	v_bfe_u32 v4, v3, 16, 1
	s_movk_i32 s0, 0x7fff
	v_add3_u32 v3, v3, v4, s0
	v_lshrrev_b32_e32 v3, 16, v3
	global_store_dword v[0:1], v3, off
	s_mov_b64 s[48:49], -1
	s_mov_b64 s[0:1], 0
	s_branch .LBB23_668
.LBB23_662:
	s_mov_b64 s[52:53], 0
                                        ; implicit-def: $vgpr10
	s_mov_b64 s[0:1], s[36:37]
	s_branch .LBB23_778
.LBB23_663:
	s_mov_b64 s[52:53], -1
	s_mov_b64 s[48:49], 0
	s_mov_b64 s[0:1], s[36:37]
	s_branch .LBB23_737
.LBB23_664:
	s_mov_b64 s[52:53], -1
	s_mov_b64 s[48:49], 0
	s_mov_b64 s[0:1], s[36:37]
	s_branch .LBB23_695
.LBB23_665:
	s_mov_b64 s[52:53], -1
	s_mov_b64 s[48:49], 0
	s_mov_b64 s[0:1], s[36:37]
	s_branch .LBB23_678
.LBB23_666:
	s_mov_b64 s[52:53], -1
	s_mov_b64 s[48:49], 0
	s_mov_b64 s[0:1], s[36:37]
	s_branch .LBB23_674
.LBB23_667:
	s_mov_b64 s[52:53], -1
	s_mov_b64 s[48:49], 0
	s_mov_b64 s[0:1], s[36:37]
.LBB23_668:
	s_and_b64 vcc, exec, s[52:53]
	s_cbranch_vccz .LBB23_673
; %bb.669:
	s_cmp_eq_u32 s57, 44
	s_mov_b64 s[0:1], -1
	s_cbranch_scc0 .LBB23_673
; %bb.670:
	v_cvt_f32_ubyte0_e32 v4, v2
	v_lshrrev_b32_e32 v3, 23, v4
	s_movk_i32 s0, 0xff
	v_cmp_ne_u32_e32 vcc, s0, v3
	v_mov_b32_e32 v5, 0xff
	s_and_saveexec_b64 s[48:49], vcc
; %bb.671:
	s_mov_b32 s0, 0x3fffff
	v_and_b32_e32 v5, 0x400000, v4
	v_and_or_b32 v4, v4, s0, v3
	v_cmp_ne_u32_e32 vcc, 0, v5
	v_cmp_ne_u32_e64 s[0:1], 0, v4
	s_and_b64 s[0:1], vcc, s[0:1]
	v_cndmask_b32_e64 v4, 0, 1, s[0:1]
	v_add_u32_e32 v5, v3, v4
; %bb.672:
	s_or_b64 exec, exec, s[48:49]
	s_mov_b64 s[48:49], -1
	s_mov_b64 s[0:1], 0
	global_store_byte v[0:1], v5, off
.LBB23_673:
	s_mov_b64 s[52:53], 0
.LBB23_674:
	s_and_b64 vcc, exec, s[52:53]
	s_cbranch_vccz .LBB23_677
; %bb.675:
	s_cmp_eq_u32 s57, 29
	s_mov_b64 s[0:1], -1
	s_cbranch_scc0 .LBB23_677
; %bb.676:
	v_and_b32_e32 v3, 0xff, v2
	v_mov_b32_e32 v4, 0
	global_store_dwordx2 v[0:1], v[3:4], off
	s_mov_b64 s[48:49], -1
	s_mov_b64 s[0:1], 0
.LBB23_677:
	s_mov_b64 s[52:53], 0
.LBB23_678:
	s_and_b64 vcc, exec, s[52:53]
	s_cbranch_vccz .LBB23_694
; %bb.679:
	s_cmp_lt_i32 s57, 27
	s_mov_b64 s[48:49], -1
	s_cbranch_scc1 .LBB23_685
; %bb.680:
	s_cmp_gt_i32 s57, 27
	s_cbranch_scc0 .LBB23_682
; %bb.681:
	v_and_b32_e32 v3, 0xff, v2
	s_mov_b64 s[48:49], 0
	global_store_dword v[0:1], v3, off
.LBB23_682:
	s_andn2_b64 vcc, exec, s[48:49]
	s_cbranch_vccnz .LBB23_684
; %bb.683:
	v_and_b32_e32 v3, 0xff, v2
	global_store_short v[0:1], v3, off
.LBB23_684:
	s_mov_b64 s[48:49], 0
.LBB23_685:
	s_andn2_b64 vcc, exec, s[48:49]
	s_cbranch_vccnz .LBB23_693
; %bb.686:
	v_cvt_f32_ubyte0_e32 v4, v2
	s_mov_b32 s48, 0x43800000
	v_cmp_gt_u32_e32 vcc, s48, v4
	v_mov_b32_e32 v5, 0x80
	s_and_saveexec_b64 s[48:49], vcc
	s_cbranch_execz .LBB23_692
; %bb.687:
	s_mov_b32 s52, 0x3bffffff
	v_cmp_lt_u32_e32 vcc, s52, v4
	s_mov_b64 s[52:53], 0
                                        ; implicit-def: $vgpr3
	s_and_saveexec_b64 s[54:55], vcc
	s_xor_b64 s[54:55], exec, s[54:55]
	s_cbranch_execz .LBB23_806
; %bb.688:
	v_bfe_u32 v3, v4, 20, 1
	s_mov_b32 s58, 0x487ffff
	v_add3_u32 v3, v4, v3, s58
	s_mov_b64 s[52:53], exec
	v_lshrrev_b32_e32 v3, 20, v3
                                        ; implicit-def: $vgpr4
	s_andn2_saveexec_b64 s[54:55], s[54:55]
	s_cbranch_execnz .LBB23_807
.LBB23_689:
	s_or_b64 exec, exec, s[54:55]
	v_mov_b32_e32 v5, 0
	s_and_saveexec_b64 s[54:55], s[52:53]
.LBB23_690:
	v_mov_b32_e32 v5, v3
.LBB23_691:
	s_or_b64 exec, exec, s[54:55]
.LBB23_692:
	s_or_b64 exec, exec, s[48:49]
	global_store_byte v[0:1], v5, off
.LBB23_693:
	s_mov_b64 s[48:49], -1
.LBB23_694:
	s_mov_b64 s[52:53], 0
.LBB23_695:
	s_and_b64 vcc, exec, s[52:53]
	s_cbranch_vccz .LBB23_736
; %bb.696:
	s_cmp_gt_i32 s57, 22
	s_mov_b64 s[52:53], -1
	s_cbranch_scc0 .LBB23_728
; %bb.697:
	s_cmp_lt_i32 s57, 24
	s_mov_b64 s[48:49], -1
	s_cbranch_scc1 .LBB23_717
; %bb.698:
	s_cmp_gt_i32 s57, 24
	s_cbranch_scc0 .LBB23_706
; %bb.699:
	v_cvt_f32_ubyte0_e32 v4, v2
	s_mov_b32 s48, 0x47800000
	v_cmp_gt_u32_e32 vcc, s48, v4
	v_mov_b32_e32 v5, 0x80
	s_and_saveexec_b64 s[48:49], vcc
	s_cbranch_execz .LBB23_705
; %bb.700:
	s_mov_b32 s52, 0x37ffffff
	v_cmp_lt_u32_e32 vcc, s52, v4
	s_mov_b64 s[52:53], 0
                                        ; implicit-def: $vgpr3
	s_and_saveexec_b64 s[54:55], vcc
	s_xor_b64 s[54:55], exec, s[54:55]
	s_cbranch_execz .LBB23_934
; %bb.701:
	v_bfe_u32 v3, v4, 21, 1
	s_mov_b32 s58, 0x88fffff
	v_add3_u32 v3, v4, v3, s58
	s_mov_b64 s[52:53], exec
	v_lshrrev_b32_e32 v3, 21, v3
                                        ; implicit-def: $vgpr4
	s_andn2_saveexec_b64 s[54:55], s[54:55]
	s_cbranch_execnz .LBB23_935
.LBB23_702:
	s_or_b64 exec, exec, s[54:55]
	v_mov_b32_e32 v5, 0
	s_and_saveexec_b64 s[54:55], s[52:53]
.LBB23_703:
	v_mov_b32_e32 v5, v3
.LBB23_704:
	s_or_b64 exec, exec, s[54:55]
.LBB23_705:
	s_or_b64 exec, exec, s[48:49]
	s_mov_b64 s[48:49], 0
	global_store_byte v[0:1], v5, off
.LBB23_706:
	s_and_b64 vcc, exec, s[48:49]
	s_cbranch_vccz .LBB23_716
; %bb.707:
	v_cvt_f32_ubyte0_e32 v3, v2
	s_mov_b32 s48, 0x43f00000
	v_cmp_gt_u32_e32 vcc, s48, v3
                                        ; implicit-def: $vgpr4
	s_and_saveexec_b64 s[48:49], vcc
	s_xor_b64 s[48:49], exec, s[48:49]
	s_cbranch_execz .LBB23_713
; %bb.708:
	s_mov_b32 s52, 0x3c7fffff
	v_cmp_lt_u32_e32 vcc, s52, v3
                                        ; implicit-def: $vgpr4
	s_and_saveexec_b64 s[52:53], vcc
	s_xor_b64 s[52:53], exec, s[52:53]
; %bb.709:
	v_bfe_u32 v4, v3, 20, 1
	s_mov_b32 s54, 0x407ffff
	v_add3_u32 v3, v3, v4, s54
	v_lshrrev_b32_e32 v4, 20, v3
	v_and_b32_e32 v3, 0xff00000, v3
	s_mov_b32 s54, 0x7f00000
	v_mov_b32_e32 v5, 0x7e
	v_cmp_ne_u32_e32 vcc, s54, v3
	v_cndmask_b32_e32 v4, v5, v4, vcc
                                        ; implicit-def: $vgpr3
; %bb.710:
	s_andn2_saveexec_b64 s[52:53], s[52:53]
; %bb.711:
	v_add_f32_e32 v4, 0x46800000, v3
; %bb.712:
	s_or_b64 exec, exec, s[52:53]
                                        ; implicit-def: $vgpr3
.LBB23_713:
	s_andn2_saveexec_b64 s[48:49], s[48:49]
; %bb.714:
	s_mov_b32 s52, 0x7f800000
	v_mov_b32_e32 v4, 0x7e
	v_mov_b32_e32 v5, 0x7f
	v_cmp_lt_u32_e32 vcc, s52, v3
	v_cndmask_b32_e32 v4, v4, v5, vcc
; %bb.715:
	s_or_b64 exec, exec, s[48:49]
	global_store_byte v[0:1], v4, off
.LBB23_716:
	s_mov_b64 s[48:49], 0
.LBB23_717:
	s_andn2_b64 vcc, exec, s[48:49]
	s_cbranch_vccnz .LBB23_727
; %bb.718:
	v_cvt_f32_ubyte0_e32 v3, v2
	s_mov_b32 s48, 0x47800000
	v_cmp_gt_u32_e32 vcc, s48, v3
                                        ; implicit-def: $vgpr4
	s_and_saveexec_b64 s[48:49], vcc
	s_xor_b64 s[48:49], exec, s[48:49]
	s_cbranch_execz .LBB23_724
; %bb.719:
	s_mov_b32 s52, 0x387fffff
	v_cmp_lt_u32_e32 vcc, s52, v3
                                        ; implicit-def: $vgpr4
	s_and_saveexec_b64 s[52:53], vcc
	s_xor_b64 s[52:53], exec, s[52:53]
; %bb.720:
	v_bfe_u32 v4, v3, 21, 1
	s_mov_b32 s54, 0x80fffff
	v_add3_u32 v3, v3, v4, s54
	v_lshrrev_b32_e32 v4, 21, v3
                                        ; implicit-def: $vgpr3
; %bb.721:
	s_andn2_saveexec_b64 s[52:53], s[52:53]
; %bb.722:
	v_add_f32_e32 v4, 0x43000000, v3
; %bb.723:
	s_or_b64 exec, exec, s[52:53]
                                        ; implicit-def: $vgpr3
.LBB23_724:
	s_andn2_saveexec_b64 s[48:49], s[48:49]
; %bb.725:
	s_mov_b32 s52, 0x7f800000
	v_mov_b32_e32 v4, 0x7c
	v_mov_b32_e32 v5, 0x7f
	v_cmp_lt_u32_e32 vcc, s52, v3
	v_cndmask_b32_e32 v4, v4, v5, vcc
; %bb.726:
	s_or_b64 exec, exec, s[48:49]
	global_store_byte v[0:1], v4, off
.LBB23_727:
	s_mov_b64 s[52:53], 0
	s_mov_b64 s[48:49], -1
.LBB23_728:
	s_andn2_b64 vcc, exec, s[52:53]
	s_cbranch_vccnz .LBB23_736
; %bb.729:
	s_cmp_gt_i32 s57, 14
	s_mov_b64 s[52:53], -1
	s_cbranch_scc0 .LBB23_733
; %bb.730:
	s_cmp_eq_u32 s57, 15
	s_mov_b64 s[0:1], -1
	s_cbranch_scc0 .LBB23_732
; %bb.731:
	v_cvt_f32_ubyte0_e32 v3, v2
	v_bfe_u32 v4, v3, 16, 1
	s_movk_i32 s0, 0x7fff
	v_add3_u32 v3, v3, v4, s0
	global_store_short_d16_hi v[0:1], v3, off
	s_mov_b64 s[48:49], -1
	s_mov_b64 s[0:1], 0
.LBB23_732:
	s_mov_b64 s[52:53], 0
.LBB23_733:
	s_and_b64 vcc, exec, s[52:53]
	s_cbranch_vccz .LBB23_736
; %bb.734:
	s_cmp_eq_u32 s57, 11
	s_mov_b64 s[0:1], -1
	s_cbranch_scc0 .LBB23_736
; %bb.735:
	v_mov_b32_e32 v3, 0
	v_cmp_ne_u16_sdwa s[0:1], v2, v3 src0_sel:BYTE_0 src1_sel:DWORD
	v_cndmask_b32_e64 v3, 0, 1, s[0:1]
	s_mov_b64 s[48:49], -1
	s_mov_b64 s[0:1], 0
	global_store_byte v[0:1], v3, off
.LBB23_736:
	s_mov_b64 s[52:53], 0
.LBB23_737:
	s_and_b64 vcc, exec, s[52:53]
	s_cbranch_vccz .LBB23_776
; %bb.738:
	s_and_b32 s52, 0xffff, s56
	s_cmp_lt_i32 s52, 5
	s_mov_b64 s[48:49], -1
	s_cbranch_scc1 .LBB23_759
; %bb.739:
	s_cmp_lt_i32 s52, 8
	s_cbranch_scc1 .LBB23_749
; %bb.740:
	s_cmp_lt_i32 s52, 9
	s_cbranch_scc1 .LBB23_746
; %bb.741:
	s_cmp_gt_i32 s52, 9
	s_cbranch_scc0 .LBB23_743
; %bb.742:
	s_mov_b32 s48, 0xffff
	v_and_b32_sdwa v3, s48, v2 dst_sel:DWORD dst_unused:UNUSED_PAD src0_sel:DWORD src1_sel:BYTE_0
	v_cvt_f64_u32_e32 v[3:4], v3
	v_mov_b32_e32 v5, 0
	v_mov_b32_e32 v6, v5
	s_mov_b64 s[48:49], 0
	global_store_dwordx4 v[0:1], v[3:6], off
.LBB23_743:
	s_andn2_b64 vcc, exec, s[48:49]
	s_cbranch_vccnz .LBB23_745
; %bb.744:
	v_cvt_f32_ubyte0_e32 v3, v2
	v_mov_b32_e32 v4, 0
	global_store_dwordx2 v[0:1], v[3:4], off
.LBB23_745:
	s_mov_b64 s[48:49], 0
.LBB23_746:
	s_andn2_b64 vcc, exec, s[48:49]
	s_cbranch_vccnz .LBB23_748
; %bb.747:
	v_cvt_f16_u16_sdwa v3, v2 dst_sel:DWORD dst_unused:UNUSED_PAD src0_sel:BYTE_0
	global_store_dword v[0:1], v3, off
.LBB23_748:
	s_mov_b64 s[48:49], 0
.LBB23_749:
	s_andn2_b64 vcc, exec, s[48:49]
	s_cbranch_vccnz .LBB23_758
; %bb.750:
	s_cmp_lt_i32 s52, 6
	s_mov_b64 s[48:49], -1
	s_cbranch_scc1 .LBB23_756
; %bb.751:
	s_cmp_gt_i32 s52, 6
	s_cbranch_scc0 .LBB23_753
; %bb.752:
	s_mov_b32 s48, 0xffff
	v_and_b32_sdwa v3, s48, v2 dst_sel:DWORD dst_unused:UNUSED_PAD src0_sel:DWORD src1_sel:BYTE_0
	v_cvt_f64_u32_e32 v[3:4], v3
	s_mov_b64 s[48:49], 0
	global_store_dwordx2 v[0:1], v[3:4], off
.LBB23_753:
	s_andn2_b64 vcc, exec, s[48:49]
	s_cbranch_vccnz .LBB23_755
; %bb.754:
	v_cvt_f32_ubyte0_e32 v3, v2
	global_store_dword v[0:1], v3, off
.LBB23_755:
	s_mov_b64 s[48:49], 0
.LBB23_756:
	s_andn2_b64 vcc, exec, s[48:49]
	s_cbranch_vccnz .LBB23_758
; %bb.757:
	v_cvt_f16_u16_sdwa v3, v2 dst_sel:DWORD dst_unused:UNUSED_PAD src0_sel:BYTE_0
	global_store_short v[0:1], v3, off
.LBB23_758:
	s_mov_b64 s[48:49], 0
.LBB23_759:
	s_andn2_b64 vcc, exec, s[48:49]
	s_cbranch_vccnz .LBB23_775
; %bb.760:
	s_cmp_lt_i32 s52, 2
	s_mov_b64 s[48:49], -1
	s_cbranch_scc1 .LBB23_770
; %bb.761:
	s_cmp_lt_i32 s52, 3
	s_cbranch_scc1 .LBB23_767
; %bb.762:
	s_cmp_gt_i32 s52, 3
	s_cbranch_scc0 .LBB23_764
; %bb.763:
	v_and_b32_e32 v3, 0xff, v2
	v_mov_b32_e32 v4, 0
	s_mov_b64 s[48:49], 0
	global_store_dwordx2 v[0:1], v[3:4], off
.LBB23_764:
	s_andn2_b64 vcc, exec, s[48:49]
	s_cbranch_vccnz .LBB23_766
; %bb.765:
	v_and_b32_e32 v3, 0xff, v2
	global_store_dword v[0:1], v3, off
.LBB23_766:
	s_mov_b64 s[48:49], 0
.LBB23_767:
	s_andn2_b64 vcc, exec, s[48:49]
	s_cbranch_vccnz .LBB23_769
; %bb.768:
	v_and_b32_e32 v3, 0xff, v2
	global_store_short v[0:1], v3, off
.LBB23_769:
	s_mov_b64 s[48:49], 0
.LBB23_770:
	s_andn2_b64 vcc, exec, s[48:49]
	s_cbranch_vccnz .LBB23_775
; %bb.771:
	s_cmp_gt_i32 s52, 0
	s_mov_b64 s[48:49], -1
	s_cbranch_scc0 .LBB23_773
; %bb.772:
	s_mov_b64 s[48:49], 0
	global_store_byte v[0:1], v2, off
.LBB23_773:
	s_andn2_b64 vcc, exec, s[48:49]
	s_cbranch_vccnz .LBB23_775
; %bb.774:
	global_store_byte v[0:1], v2, off
.LBB23_775:
	s_mov_b64 s[48:49], -1
.LBB23_776:
	s_andn2_b64 vcc, exec, s[48:49]
	s_cbranch_vccnz .LBB23_788
; %bb.777:
	v_add_u32_e32 v10, 0x80, v10
	s_mov_b64 s[52:53], -1
.LBB23_778:
	s_andn2_b64 s[48:49], s[36:37], exec
	s_and_b64 s[0:1], s[0:1], exec
	s_or_b64 s[48:49], s[48:49], s[0:1]
	s_andn2_b64 s[0:1], s[38:39], exec
	s_and_b64 s[46:47], s[46:47], exec
	s_or_b64 s[46:47], s[0:1], s[46:47]
	;; [unrolled: 3-line block ×3, first 2 shown]
	s_orn2_b64 s[0:1], s[52:53], exec
.LBB23_779:
	s_or_b64 exec, exec, s[50:51]
	s_mov_b64 s[52:53], 0
	s_mov_b64 s[54:55], 0
	;; [unrolled: 1-line block ×3, first 2 shown]
                                        ; implicit-def: $sgpr73
                                        ; implicit-def: $vgpr4_vgpr5
                                        ; implicit-def: $vgpr0
                                        ; implicit-def: $vgpr3
                                        ; implicit-def: $vgpr1
	s_and_saveexec_b64 s[50:51], s[0:1]
	s_cbranch_execz .LBB23_1264
; %bb.780:
	v_cmp_gt_i32_e32 vcc, s66, v10
	s_mov_b64 s[64:65], -1
	s_mov_b64 s[0:1], s[44:45]
	s_mov_b64 s[56:57], s[46:47]
	;; [unrolled: 1-line block ×3, first 2 shown]
	s_and_saveexec_b64 s[52:53], vcc
	s_cbranch_execz .LBB23_1172
; %bb.781:
	s_andn2_b64 vcc, exec, s[20:21]
	s_cbranch_vccnz .LBB23_787
; %bb.782:
	s_andn2_b64 vcc, exec, s[34:35]
	s_cbranch_vccnz .LBB23_789
; %bb.783:
	s_add_i32 s0, s72, 1
	s_and_b32 s54, s0, 30
	s_add_u32 s0, s2, 0xffffffe8
	s_addc_u32 s1, s3, -1
	v_mov_b32_e32 v3, 0
	s_waitcnt vmcnt(0)
	v_mov_b32_e32 v5, 0
	v_mov_b32_e32 v0, 0
	;; [unrolled: 1-line block ×3, first 2 shown]
.LBB23_784:                             ; =>This Inner Loop Header: Depth=1
	s_load_dwordx4 s[56:59], s[0:1], 0x1c
	s_load_dwordx2 s[64:65], s[0:1], 0x2c
	s_load_dwordx2 s[74:75], s[0:1], 0xec
	s_load_dwordx4 s[60:63], s[0:1], 0xdc
	s_add_u32 s0, s0, 24
	s_waitcnt lgkmcnt(0)
	v_mul_hi_u32 v2, s57, v1
	s_addc_u32 s1, s1, 0
	s_add_i32 s54, s54, -2
	s_cmp_eq_u32 s54, 0
	v_add_u32_e32 v2, v1, v2
	v_lshrrev_b32_e32 v2, s58, v2
	v_mul_lo_u32 v4, v2, s56
	v_mul_hi_u32 v6, s64, v2
	v_sub_u32_e32 v4, v1, v4
	v_add_u32_e32 v1, v2, v6
	v_lshrrev_b32_e32 v1, s65, v1
	v_mul_lo_u32 v8, v1, s59
	v_mul_lo_u32 v6, v4, s60
	v_mul_lo_u32 v7, v4, s61
	v_mul_lo_u32 v4, v4, s62
	v_sub_u32_e32 v2, v2, v8
	v_mul_lo_u32 v8, v2, s63
	v_mul_lo_u32 v9, v2, s74
	v_mul_lo_u32 v2, v2, s75
	v_add3_u32 v0, v6, v0, v8
	v_add3_u32 v5, v7, v5, v9
	;; [unrolled: 1-line block ×3, first 2 shown]
	s_cbranch_scc0 .LBB23_784
; %bb.785:
	s_bitcmp1_b32 s72, 0
	s_cselect_b64 s[54:55], -1, 0
	s_and_b64 vcc, exec, s[54:55]
	s_cbranch_vccnz .LBB23_790
; %bb.786:
	s_load_dwordx2 s[54:55], s[0:1], 0x1c
	s_load_dword s58, s[0:1], 0x24
	s_load_dwordx2 s[56:57], s[0:1], 0xdc
	s_waitcnt lgkmcnt(0)
	v_mul_hi_u32 v2, s55, v1
	v_add_u32_e32 v2, v1, v2
	v_lshrrev_b32_e32 v2, s58, v2
	v_mul_lo_u32 v2, v2, s54
	s_load_dword s54, s[0:1], 0xe4
	v_sub_u32_e32 v2, v1, v2
	v_mad_u64_u32 v[0:1], s[0:1], v2, s56, v[0:1]
	v_mad_u64_u32 v[5:6], s[0:1], v2, s57, v[5:6]
	s_waitcnt lgkmcnt(0)
	v_mad_u64_u32 v[3:4], s[0:1], v2, s54, v[3:4]
	s_branch .LBB23_790
.LBB23_787:
	s_mov_b64 s[0:1], -1
                                        ; implicit-def: $vgpr0
                                        ; implicit-def: $vgpr5
                                        ; implicit-def: $vgpr3
	s_branch .LBB23_791
.LBB23_788:
	s_mov_b64 s[52:53], 0
	s_branch .LBB23_540
.LBB23_789:
	v_mov_b32_e32 v0, 0
	s_waitcnt vmcnt(0)
	v_mov_b32_e32 v5, 0
	v_mov_b32_e32 v3, 0
.LBB23_790:
	s_mov_b64 s[0:1], 0
.LBB23_791:
	s_andn2_b64 vcc, exec, s[0:1]
	s_cbranch_vccnz .LBB23_794
; %bb.792:
	s_waitcnt lgkmcnt(0)
	v_mul_hi_u32 v0, s17, v10
	s_andn2_b64 vcc, exec, s[30:31]
	v_add_u32_e32 v0, v10, v0
	s_waitcnt vmcnt(0)
	v_lshrrev_b32_e32 v1, s18, v0
	v_mul_lo_u32 v0, v1, s16
	v_sub_u32_e32 v2, v10, v0
	v_mul_lo_u32 v0, v2, s12
	v_mul_lo_u32 v5, v2, s13
	;; [unrolled: 1-line block ×3, first 2 shown]
	s_cbranch_vccnz .LBB23_794
; %bb.793:
	v_mul_hi_u32 v2, s28, v1
	v_add_u32_e32 v2, v1, v2
	v_lshrrev_b32_e32 v2, s29, v2
	v_mul_lo_u32 v2, v2, s19
	v_sub_u32_e32 v2, v1, v2
	v_mad_u64_u32 v[0:1], s[0:1], v2, s15, v[0:1]
	v_mad_u64_u32 v[5:6], s[0:1], v2, s26, v[5:6]
	;; [unrolled: 1-line block ×3, first 2 shown]
.LBB23_794:
	s_waitcnt vmcnt(0) lgkmcnt(0)
	v_mov_b32_e32 v1, s11
	s_and_b32 s58, s71, 0xff
	v_add_co_u32_e32 v4, vcc, s10, v5
	s_cmp_lt_i32 s58, 11
	v_addc_co_u32_e32 v5, vcc, 0, v1, vcc
	s_cbranch_scc1 .LBB23_801
; %bb.795:
	s_and_b32 s59, 0xffff, s58
	s_cmp_gt_i32 s59, 25
	s_cbranch_scc0 .LBB23_802
; %bb.796:
	s_cmp_gt_i32 s59, 28
	s_cbranch_scc0 .LBB23_803
; %bb.797:
	;; [unrolled: 3-line block ×4, first 2 shown]
	s_cmp_eq_u32 s59, 46
	s_mov_b64 s[56:57], 0
	s_cbranch_scc0 .LBB23_808
; %bb.800:
	global_load_dword v1, v[4:5], off
	s_mov_b32 s0, 0x2f800000
	s_mov_b32 s1, 0xcf800000
	s_mov_b64 s[54:55], 0
	s_waitcnt vmcnt(0)
	v_lshlrev_b32_e32 v1, 16, v1
	v_trunc_f32_e32 v1, v1
	v_mul_f32_e64 v2, |v1|, s0
	v_floor_f32_e32 v2, v2
	v_fma_f32 v2, v2, s1, |v1|
	v_cvt_u32_f32_e32 v2, v2
	v_ashrrev_i32_e32 v1, 31, v1
	s_mov_b64 s[0:1], -1
	v_xor_b32_e32 v2, v2, v1
	v_sub_u32_e32 v1, v2, v1
	s_branch .LBB23_809
.LBB23_801:
	s_mov_b64 s[56:57], -1
	s_mov_b64 s[0:1], 0
                                        ; implicit-def: $vgpr1
	s_mov_b64 s[54:55], s[44:45]
	s_branch .LBB23_870
.LBB23_802:
	s_mov_b64 s[56:57], -1
	s_mov_b64 s[0:1], 0
	s_mov_b64 s[54:55], s[44:45]
                                        ; implicit-def: $vgpr1
	s_branch .LBB23_836
.LBB23_803:
	s_mov_b64 s[56:57], -1
	s_mov_b64 s[0:1], 0
	s_mov_b64 s[54:55], s[44:45]
                                        ; implicit-def: $vgpr1
	s_branch .LBB23_819
.LBB23_804:
	s_mov_b64 s[56:57], -1
	s_mov_b64 s[0:1], 0
	s_mov_b64 s[54:55], s[44:45]
                                        ; implicit-def: $vgpr1
	s_branch .LBB23_814
.LBB23_805:
	s_mov_b64 s[56:57], -1
	s_mov_b64 s[0:1], 0
	s_mov_b64 s[54:55], s[44:45]
                                        ; implicit-def: $vgpr1
	s_branch .LBB23_809
.LBB23_806:
	s_andn2_saveexec_b64 s[54:55], s[54:55]
	s_cbranch_execz .LBB23_689
.LBB23_807:
	v_add_f32_e32 v3, 0x46000000, v4
	v_and_b32_e32 v3, 0xff, v3
	v_cmp_ne_u32_e32 vcc, 0, v3
	s_andn2_b64 s[52:53], s[52:53], exec
	s_and_b64 s[58:59], vcc, exec
	s_or_b64 s[52:53], s[52:53], s[58:59]
	s_or_b64 exec, exec, s[54:55]
	v_mov_b32_e32 v5, 0
	s_and_saveexec_b64 s[54:55], s[52:53]
	s_cbranch_execnz .LBB23_690
	s_branch .LBB23_691
.LBB23_808:
	s_mov_b64 s[54:55], -1
                                        ; implicit-def: $vgpr1
	s_mov_b64 s[0:1], 0
.LBB23_809:
	s_and_b64 vcc, exec, s[56:57]
	s_cbranch_vccz .LBB23_813
; %bb.810:
	s_cmp_eq_u32 s59, 44
	s_cbranch_scc0 .LBB23_812
; %bb.811:
	global_load_ubyte v1, v[4:5], off
	s_mov_b32 s0, 0x2f800000
	s_mov_b32 s1, 0xcf800000
	s_mov_b64 s[54:55], 0
	s_waitcnt vmcnt(0)
	v_lshlrev_b32_e32 v2, 23, v1
	v_trunc_f32_e32 v2, v2
	v_mul_f32_e64 v6, |v2|, s0
	v_floor_f32_e32 v6, v6
	v_fma_f32 v6, v6, s1, |v2|
	v_cvt_u32_f32_e32 v6, v6
	v_ashrrev_i32_e32 v2, 31, v2
	v_cmp_ne_u32_e32 vcc, 0, v1
	s_mov_b64 s[0:1], -1
	v_xor_b32_e32 v6, v6, v2
	v_sub_u32_e32 v2, v6, v2
	v_cndmask_b32_e32 v1, 0, v2, vcc
	s_branch .LBB23_813
.LBB23_812:
	s_mov_b64 s[54:55], -1
                                        ; implicit-def: $vgpr1
.LBB23_813:
	s_mov_b64 s[56:57], 0
.LBB23_814:
	s_and_b64 vcc, exec, s[56:57]
	s_cbranch_vccz .LBB23_818
; %bb.815:
	s_cmp_eq_u32 s59, 29
	s_cbranch_scc0 .LBB23_817
; %bb.816:
	global_load_dwordx2 v[1:2], v[4:5], off
	s_mov_b64 s[0:1], -1
	s_mov_b64 s[54:55], 0
	s_branch .LBB23_818
.LBB23_817:
	s_mov_b64 s[54:55], -1
                                        ; implicit-def: $vgpr1
.LBB23_818:
	s_mov_b64 s[56:57], 0
.LBB23_819:
	s_and_b64 vcc, exec, s[56:57]
	s_cbranch_vccz .LBB23_835
; %bb.820:
	s_cmp_lt_i32 s59, 27
	s_cbranch_scc1 .LBB23_823
; %bb.821:
	s_cmp_gt_i32 s59, 27
	s_cbranch_scc0 .LBB23_824
; %bb.822:
	global_load_dword v1, v[4:5], off
	s_mov_b64 s[0:1], 0
	s_branch .LBB23_825
.LBB23_823:
	s_mov_b64 s[0:1], -1
                                        ; implicit-def: $vgpr1
	s_branch .LBB23_828
.LBB23_824:
	s_mov_b64 s[0:1], -1
                                        ; implicit-def: $vgpr1
.LBB23_825:
	s_andn2_b64 vcc, exec, s[0:1]
	s_cbranch_vccnz .LBB23_827
; %bb.826:
	global_load_ushort v1, v[4:5], off
.LBB23_827:
	s_mov_b64 s[0:1], 0
.LBB23_828:
	s_andn2_b64 vcc, exec, s[0:1]
	s_cbranch_vccnz .LBB23_834
; %bb.829:
	global_load_ubyte v2, v[4:5], off
	s_movk_i32 s0, 0x7f
	s_mov_b64 s[56:57], 0
	s_waitcnt vmcnt(0)
	v_cmp_lt_i16_e32 vcc, s0, v2
	s_and_saveexec_b64 s[0:1], vcc
	s_xor_b64 s[0:1], exec, s[0:1]
	s_cbranch_execz .LBB23_846
; %bb.830:
	s_movk_i32 s56, 0x80
	v_cmp_ne_u16_e32 vcc, s56, v2
	s_and_b64 s[56:57], vcc, exec
	s_andn2_saveexec_b64 s[0:1], s[0:1]
	s_cbranch_execnz .LBB23_847
.LBB23_831:
	s_or_b64 exec, exec, s[0:1]
	v_mov_b32_e32 v1, 0
	s_and_saveexec_b64 s[0:1], s[56:57]
	s_cbranch_execz .LBB23_833
.LBB23_832:
	v_lshlrev_b32_e32 v1, 24, v2
	v_and_b32_e32 v2, 0xffff, v2
	v_and_b32_e32 v6, 7, v2
	v_ffbh_u32_e32 v8, v6
	v_min_u32_e32 v8, 32, v8
	v_subrev_u32_e32 v9, 28, v8
	v_bfe_u32 v7, v2, 3, 4
	v_lshlrev_b32_e32 v2, v9, v2
	v_sub_u32_e32 v8, 29, v8
	v_and_b32_e32 v2, 7, v2
	v_cmp_eq_u32_e32 vcc, 0, v7
	v_cndmask_b32_e32 v7, v7, v8, vcc
	v_cndmask_b32_e32 v2, v6, v2, vcc
	v_mov_b32_e32 v6, 0x3b800000
	v_lshlrev_b32_e32 v2, 20, v2
	v_and_b32_e32 v1, 0x80000000, v1
	v_lshl_add_u32 v6, v7, 23, v6
	v_or3_b32 v1, v1, v6, v2
	v_trunc_f32_e32 v1, v1
	s_mov_b32 s56, 0x2f800000
	v_mul_f32_e64 v2, |v1|, s56
	v_floor_f32_e32 v2, v2
	s_mov_b32 s56, 0xcf800000
	v_fma_f32 v2, v2, s56, |v1|
	v_cvt_u32_f32_e32 v2, v2
	v_ashrrev_i32_e32 v1, 31, v1
	v_xor_b32_e32 v2, v2, v1
	v_sub_u32_e32 v1, v2, v1
.LBB23_833:
	s_or_b64 exec, exec, s[0:1]
.LBB23_834:
	s_mov_b64 s[0:1], -1
.LBB23_835:
	s_mov_b64 s[56:57], 0
.LBB23_836:
	s_and_b64 vcc, exec, s[56:57]
	s_cbranch_vccz .LBB23_869
; %bb.837:
	s_cmp_gt_i32 s59, 22
	s_cbranch_scc0 .LBB23_845
; %bb.838:
	s_cmp_lt_i32 s59, 24
	s_cbranch_scc1 .LBB23_848
; %bb.839:
	s_cmp_gt_i32 s59, 24
	s_cbranch_scc0 .LBB23_849
; %bb.840:
	global_load_ubyte v2, v[4:5], off
	s_movk_i32 s0, 0x7f
	s_mov_b64 s[56:57], 0
	s_waitcnt vmcnt(0)
	v_cmp_lt_i16_e32 vcc, s0, v2
	s_and_saveexec_b64 s[0:1], vcc
	s_xor_b64 s[0:1], exec, s[0:1]
	s_cbranch_execz .LBB23_861
; %bb.841:
	s_movk_i32 s56, 0x80
	v_cmp_ne_u16_e32 vcc, s56, v2
	s_and_b64 s[56:57], vcc, exec
	s_andn2_saveexec_b64 s[0:1], s[0:1]
	s_cbranch_execnz .LBB23_862
.LBB23_842:
	s_or_b64 exec, exec, s[0:1]
	v_mov_b32_e32 v1, 0
	s_and_saveexec_b64 s[0:1], s[56:57]
	s_cbranch_execz .LBB23_844
.LBB23_843:
	v_lshlrev_b32_e32 v1, 24, v2
	v_and_b32_e32 v2, 0xffff, v2
	v_and_b32_e32 v6, 3, v2
	v_ffbh_u32_e32 v8, v6
	v_min_u32_e32 v8, 32, v8
	v_subrev_u32_e32 v9, 29, v8
	v_bfe_u32 v7, v2, 2, 5
	v_lshlrev_b32_e32 v2, v9, v2
	v_sub_u32_e32 v8, 30, v8
	v_and_b32_e32 v2, 3, v2
	v_cmp_eq_u32_e32 vcc, 0, v7
	v_cndmask_b32_e32 v7, v7, v8, vcc
	v_cndmask_b32_e32 v2, v6, v2, vcc
	v_mov_b32_e32 v6, 0x37800000
	v_lshlrev_b32_e32 v2, 21, v2
	v_and_b32_e32 v1, 0x80000000, v1
	v_lshl_add_u32 v6, v7, 23, v6
	v_or3_b32 v1, v1, v6, v2
	v_trunc_f32_e32 v1, v1
	s_mov_b32 s56, 0x2f800000
	v_mul_f32_e64 v2, |v1|, s56
	v_floor_f32_e32 v2, v2
	s_mov_b32 s56, 0xcf800000
	v_fma_f32 v2, v2, s56, |v1|
	v_cvt_u32_f32_e32 v2, v2
	v_ashrrev_i32_e32 v1, 31, v1
	v_xor_b32_e32 v2, v2, v1
	v_sub_u32_e32 v1, v2, v1
.LBB23_844:
	s_or_b64 exec, exec, s[0:1]
	s_mov_b64 s[0:1], 0
	s_branch .LBB23_850
.LBB23_845:
	s_mov_b64 s[56:57], -1
                                        ; implicit-def: $vgpr1
	s_branch .LBB23_856
.LBB23_846:
	s_andn2_saveexec_b64 s[0:1], s[0:1]
	s_cbranch_execz .LBB23_831
.LBB23_847:
	v_cmp_ne_u16_e32 vcc, 0, v2
	s_andn2_b64 s[56:57], s[56:57], exec
	s_and_b64 s[60:61], vcc, exec
	s_or_b64 s[56:57], s[56:57], s[60:61]
	s_or_b64 exec, exec, s[0:1]
	v_mov_b32_e32 v1, 0
	s_and_saveexec_b64 s[0:1], s[56:57]
	s_cbranch_execnz .LBB23_832
	s_branch .LBB23_833
.LBB23_848:
	s_mov_b64 s[0:1], -1
                                        ; implicit-def: $vgpr1
	s_branch .LBB23_853
.LBB23_849:
	s_mov_b64 s[0:1], -1
                                        ; implicit-def: $vgpr1
.LBB23_850:
	s_and_b64 vcc, exec, s[0:1]
	s_cbranch_vccz .LBB23_852
; %bb.851:
	global_load_ubyte v1, v[4:5], off
	s_mov_b32 s0, 0x7f800000
	s_brev_b32 s1, 1
	s_mov_b32 s56, 0x2f800000
	s_waitcnt vmcnt(0)
	v_lshlrev_b32_e32 v1, 24, v1
	v_and_b32_e32 v2, 0x7f000000, v1
	v_ffbh_u32_e32 v6, v2
	v_min_u32_e32 v6, 32, v6
	v_sub_u32_e64 v6, v6, 4 clamp
	v_lshlrev_b32_e32 v8, v6, v2
	v_lshlrev_b32_e32 v6, 23, v6
	v_lshrrev_b32_e32 v8, 4, v8
	v_add_u32_e32 v7, 0x1000000, v2
	v_sub_u32_e32 v6, v8, v6
	v_ashrrev_i32_e32 v7, 8, v7
	v_add_u32_e32 v6, 0x3c000000, v6
	v_and_or_b32 v6, v7, s0, v6
	v_cmp_ne_u32_e32 vcc, 0, v2
	v_cndmask_b32_e32 v2, 0, v6, vcc
	v_and_or_b32 v1, v1, s1, v2
	v_trunc_f32_e32 v1, v1
	v_mul_f32_e64 v2, |v1|, s56
	v_floor_f32_e32 v2, v2
	s_mov_b32 s0, 0xcf800000
	v_fma_f32 v2, v2, s0, |v1|
	v_cvt_u32_f32_e32 v2, v2
	v_ashrrev_i32_e32 v1, 31, v1
	v_xor_b32_e32 v2, v2, v1
	v_sub_u32_e32 v1, v2, v1
.LBB23_852:
	s_mov_b64 s[0:1], 0
.LBB23_853:
	s_andn2_b64 vcc, exec, s[0:1]
	s_cbranch_vccnz .LBB23_855
; %bb.854:
	global_load_ubyte v1, v[4:5], off
	s_movk_i32 s0, 0x7f00
	s_brev_b32 s1, 16
	s_brev_b32 s56, 1
	s_mov_b32 s57, 0x2f800000
	s_waitcnt vmcnt(0)
	v_lshlrev_b16_e32 v2, 8, v1
	v_lshlrev_b32_e32 v1, 25, v1
	v_lshrrev_b32_e32 v6, 4, v1
	v_and_or_b32 v7, v2, s0, 0.5
	v_or_b32_e32 v6, 0x70000000, v6
	v_add_f32_e32 v7, -0.5, v7
	v_mul_f32_e32 v6, 0x7800000, v6
	v_cmp_gt_u32_e32 vcc, s1, v1
	v_bfe_i32 v2, v2, 0, 16
	v_cndmask_b32_e32 v1, v6, v7, vcc
	v_and_or_b32 v1, v2, s56, v1
	v_trunc_f32_e32 v1, v1
	v_mul_f32_e64 v2, |v1|, s57
	v_floor_f32_e32 v2, v2
	s_mov_b32 s0, 0xcf800000
	v_fma_f32 v2, v2, s0, |v1|
	v_cvt_u32_f32_e32 v2, v2
	v_ashrrev_i32_e32 v1, 31, v1
	v_xor_b32_e32 v2, v2, v1
	v_sub_u32_e32 v1, v2, v1
.LBB23_855:
	s_mov_b64 s[56:57], 0
	s_mov_b64 s[0:1], -1
.LBB23_856:
	s_andn2_b64 vcc, exec, s[56:57]
	s_cbranch_vccnz .LBB23_869
; %bb.857:
	s_cmp_gt_i32 s59, 14
	s_cbranch_scc0 .LBB23_860
; %bb.858:
	s_cmp_eq_u32 s59, 15
	s_cbranch_scc0 .LBB23_863
; %bb.859:
	global_load_ushort v1, v[4:5], off
	s_mov_b32 s0, 0x2f800000
	s_mov_b32 s1, 0xcf800000
	s_mov_b64 s[54:55], 0
	s_waitcnt vmcnt(0)
	v_lshlrev_b32_e32 v1, 16, v1
	v_trunc_f32_e32 v1, v1
	v_mul_f32_e64 v2, |v1|, s0
	v_floor_f32_e32 v2, v2
	v_fma_f32 v2, v2, s1, |v1|
	v_cvt_u32_f32_e32 v2, v2
	v_ashrrev_i32_e32 v1, 31, v1
	s_mov_b64 s[0:1], -1
	v_xor_b32_e32 v2, v2, v1
	v_sub_u32_e32 v1, v2, v1
	s_branch .LBB23_864
.LBB23_860:
	s_mov_b64 s[56:57], -1
                                        ; implicit-def: $vgpr1
	s_branch .LBB23_865
.LBB23_861:
	s_andn2_saveexec_b64 s[0:1], s[0:1]
	s_cbranch_execz .LBB23_842
.LBB23_862:
	v_cmp_ne_u16_e32 vcc, 0, v2
	s_andn2_b64 s[56:57], s[56:57], exec
	s_and_b64 s[60:61], vcc, exec
	s_or_b64 s[56:57], s[56:57], s[60:61]
	s_or_b64 exec, exec, s[0:1]
	v_mov_b32_e32 v1, 0
	s_and_saveexec_b64 s[0:1], s[56:57]
	s_cbranch_execnz .LBB23_843
	s_branch .LBB23_844
.LBB23_863:
	s_mov_b64 s[54:55], -1
                                        ; implicit-def: $vgpr1
.LBB23_864:
	s_mov_b64 s[56:57], 0
.LBB23_865:
	s_and_b64 vcc, exec, s[56:57]
	s_cbranch_vccz .LBB23_869
; %bb.866:
	s_cmp_eq_u32 s59, 11
	s_cbranch_scc0 .LBB23_868
; %bb.867:
	global_load_ubyte v1, v[4:5], off
	s_mov_b64 s[0:1], -1
	s_mov_b64 s[54:55], 0
	s_waitcnt vmcnt(0)
	v_cmp_ne_u16_e32 vcc, 0, v1
	v_cndmask_b32_e64 v1, 0, 1, vcc
	s_branch .LBB23_869
.LBB23_868:
	s_mov_b64 s[54:55], -1
                                        ; implicit-def: $vgpr1
.LBB23_869:
	s_mov_b64 s[56:57], 0
.LBB23_870:
	s_and_b64 vcc, exec, s[56:57]
	s_cbranch_vccz .LBB23_919
; %bb.871:
	s_and_b32 s56, 0xffff, s58
	s_cmp_lt_i32 s56, 5
	s_cbranch_scc1 .LBB23_876
; %bb.872:
	s_cmp_lt_i32 s56, 8
	s_cbranch_scc1 .LBB23_877
; %bb.873:
	;; [unrolled: 3-line block ×3, first 2 shown]
	s_cmp_gt_i32 s56, 9
	s_cbranch_scc0 .LBB23_879
; %bb.875:
	global_load_dwordx2 v[1:2], v[4:5], off
	s_movk_i32 s0, 0xffe0
	s_waitcnt vmcnt(0)
	v_trunc_f64_e32 v[1:2], v[1:2]
	v_ldexp_f64 v[6:7], v[1:2], s0
	s_mov_b32 s0, 0
	s_mov_b32 s1, 0xc1f00000
	v_floor_f64_e32 v[6:7], v[6:7]
	v_fma_f64 v[1:2], v[6:7], s[0:1], v[1:2]
	s_mov_b64 s[0:1], 0
	v_cvt_u32_f64_e32 v1, v[1:2]
	s_branch .LBB23_880
.LBB23_876:
	s_mov_b64 s[0:1], -1
                                        ; implicit-def: $vgpr1
	s_branch .LBB23_898
.LBB23_877:
	s_mov_b64 s[0:1], -1
                                        ; implicit-def: $vgpr1
	s_branch .LBB23_886
.LBB23_878:
	s_mov_b64 s[0:1], -1
                                        ; implicit-def: $vgpr1
	s_branch .LBB23_883
.LBB23_879:
	s_mov_b64 s[0:1], -1
                                        ; implicit-def: $vgpr1
.LBB23_880:
	s_andn2_b64 vcc, exec, s[0:1]
	s_cbranch_vccnz .LBB23_882
; %bb.881:
	global_load_dword v1, v[4:5], off
	s_mov_b32 s0, 0x2f800000
	s_waitcnt vmcnt(0)
	v_trunc_f32_e32 v1, v1
	v_mul_f32_e64 v2, |v1|, s0
	v_floor_f32_e32 v2, v2
	s_mov_b32 s0, 0xcf800000
	v_fma_f32 v2, v2, s0, |v1|
	v_cvt_u32_f32_e32 v2, v2
	v_ashrrev_i32_e32 v1, 31, v1
	v_xor_b32_e32 v2, v2, v1
	v_sub_u32_e32 v1, v2, v1
.LBB23_882:
	s_mov_b64 s[0:1], 0
.LBB23_883:
	s_andn2_b64 vcc, exec, s[0:1]
	s_cbranch_vccnz .LBB23_885
; %bb.884:
	global_load_dword v1, v[4:5], off
	s_waitcnt vmcnt(0)
	v_cvt_f32_f16_e32 v1, v1
	v_cvt_i32_f32_e32 v1, v1
.LBB23_885:
	s_mov_b64 s[0:1], 0
.LBB23_886:
	s_andn2_b64 vcc, exec, s[0:1]
	s_cbranch_vccnz .LBB23_897
; %bb.887:
	s_cmp_lt_i32 s56, 6
	s_cbranch_scc1 .LBB23_890
; %bb.888:
	s_cmp_gt_i32 s56, 6
	s_cbranch_scc0 .LBB23_891
; %bb.889:
	global_load_dwordx2 v[1:2], v[4:5], off
	s_movk_i32 s0, 0xffe0
	s_waitcnt vmcnt(0)
	v_trunc_f64_e32 v[1:2], v[1:2]
	v_ldexp_f64 v[6:7], v[1:2], s0
	s_mov_b32 s0, 0
	s_mov_b32 s1, 0xc1f00000
	v_floor_f64_e32 v[6:7], v[6:7]
	v_fma_f64 v[1:2], v[6:7], s[0:1], v[1:2]
	s_mov_b64 s[0:1], 0
	v_cvt_u32_f64_e32 v1, v[1:2]
	s_branch .LBB23_892
.LBB23_890:
	s_mov_b64 s[0:1], -1
                                        ; implicit-def: $vgpr1
	s_branch .LBB23_895
.LBB23_891:
	s_mov_b64 s[0:1], -1
                                        ; implicit-def: $vgpr1
.LBB23_892:
	s_andn2_b64 vcc, exec, s[0:1]
	s_cbranch_vccnz .LBB23_894
; %bb.893:
	global_load_dword v1, v[4:5], off
	s_mov_b32 s0, 0x2f800000
	s_waitcnt vmcnt(0)
	v_trunc_f32_e32 v1, v1
	v_mul_f32_e64 v2, |v1|, s0
	v_floor_f32_e32 v2, v2
	s_mov_b32 s0, 0xcf800000
	v_fma_f32 v2, v2, s0, |v1|
	v_cvt_u32_f32_e32 v2, v2
	v_ashrrev_i32_e32 v1, 31, v1
	v_xor_b32_e32 v2, v2, v1
	v_sub_u32_e32 v1, v2, v1
.LBB23_894:
	s_mov_b64 s[0:1], 0
.LBB23_895:
	s_andn2_b64 vcc, exec, s[0:1]
	s_cbranch_vccnz .LBB23_897
; %bb.896:
	global_load_ushort v1, v[4:5], off
	s_waitcnt vmcnt(0)
	v_cvt_f32_f16_e32 v1, v1
	v_cvt_i32_f32_e32 v1, v1
.LBB23_897:
	s_mov_b64 s[0:1], 0
.LBB23_898:
	s_andn2_b64 vcc, exec, s[0:1]
	s_cbranch_vccnz .LBB23_918
; %bb.899:
	s_cmp_lt_i32 s56, 2
	s_cbranch_scc1 .LBB23_903
; %bb.900:
	s_cmp_lt_i32 s56, 3
	s_cbranch_scc1 .LBB23_904
; %bb.901:
	s_cmp_gt_i32 s56, 3
	s_cbranch_scc0 .LBB23_905
; %bb.902:
	global_load_dwordx2 v[1:2], v[4:5], off
	s_mov_b64 s[0:1], 0
	s_branch .LBB23_906
.LBB23_903:
	s_mov_b64 s[0:1], -1
                                        ; implicit-def: $vgpr1
	s_branch .LBB23_912
.LBB23_904:
	s_mov_b64 s[0:1], -1
                                        ; implicit-def: $vgpr1
	s_branch .LBB23_909
.LBB23_905:
	s_mov_b64 s[0:1], -1
                                        ; implicit-def: $vgpr1
.LBB23_906:
	s_andn2_b64 vcc, exec, s[0:1]
	s_cbranch_vccnz .LBB23_908
; %bb.907:
	global_load_dword v1, v[4:5], off
.LBB23_908:
	s_mov_b64 s[0:1], 0
.LBB23_909:
	s_andn2_b64 vcc, exec, s[0:1]
	s_cbranch_vccnz .LBB23_911
; %bb.910:
	global_load_ushort v1, v[4:5], off
.LBB23_911:
	s_mov_b64 s[0:1], 0
.LBB23_912:
	s_andn2_b64 vcc, exec, s[0:1]
	s_cbranch_vccnz .LBB23_918
; %bb.913:
	s_cmp_gt_i32 s56, 0
	s_cbranch_scc0 .LBB23_915
; %bb.914:
	global_load_ubyte v1, v[4:5], off
	s_mov_b64 s[0:1], 0
	s_branch .LBB23_916
.LBB23_915:
	s_mov_b64 s[0:1], -1
                                        ; implicit-def: $vgpr1
.LBB23_916:
	s_andn2_b64 vcc, exec, s[0:1]
	s_cbranch_vccnz .LBB23_918
; %bb.917:
	global_load_ubyte v1, v[4:5], off
.LBB23_918:
	s_mov_b64 s[0:1], -1
.LBB23_919:
	s_andn2_b64 vcc, exec, s[0:1]
	s_cbranch_vccnz .LBB23_927
; %bb.920:
	v_mov_b32_e32 v4, s25
	s_and_b32 s60, s70, 0xff
	s_waitcnt vmcnt(0)
	v_add_co_u32_e32 v2, vcc, s24, v3
	s_cmp_lt_i32 s60, 11
	v_addc_co_u32_e32 v3, vcc, 0, v4, vcc
	s_cbranch_scc1 .LBB23_929
; %bb.921:
	s_and_b32 s61, 0xffff, s60
	s_cmp_gt_i32 s61, 25
	s_cbranch_scc0 .LBB23_930
; %bb.922:
	s_cmp_gt_i32 s61, 28
	s_cbranch_scc0 .LBB23_931
; %bb.923:
	;; [unrolled: 3-line block ×4, first 2 shown]
	s_cmp_eq_u32 s61, 46
	s_mov_b64 s[58:59], 0
	s_cbranch_scc0 .LBB23_936
; %bb.926:
	global_load_dword v4, v[2:3], off
	s_mov_b32 s0, 0x2f800000
	s_mov_b32 s1, 0xcf800000
	s_mov_b64 s[56:57], 0
	s_waitcnt vmcnt(0)
	v_lshlrev_b32_e32 v4, 16, v4
	v_trunc_f32_e32 v4, v4
	v_mul_f32_e64 v5, |v4|, s0
	v_floor_f32_e32 v5, v5
	v_fma_f32 v5, v5, s1, |v4|
	v_cvt_u32_f32_e32 v5, v5
	v_ashrrev_i32_e32 v4, 31, v4
	s_mov_b64 s[0:1], -1
	v_xor_b32_e32 v5, v5, v4
	v_sub_u32_e32 v4, v5, v4
	s_branch .LBB23_937
.LBB23_927:
	s_mov_b64 s[60:61], 0
	s_mov_b64 s[0:1], s[48:49]
	;; [unrolled: 1-line block ×3, first 2 shown]
.LBB23_928:
                                        ; implicit-def: $vgpr10
	s_branch .LBB23_1171
.LBB23_929:
	s_mov_b64 s[58:59], -1
	s_mov_b64 s[0:1], 0
                                        ; implicit-def: $vgpr4
	s_mov_b64 s[56:57], s[46:47]
	s_branch .LBB23_998
.LBB23_930:
	s_mov_b64 s[58:59], -1
	s_mov_b64 s[0:1], 0
	s_mov_b64 s[56:57], s[46:47]
                                        ; implicit-def: $vgpr4
	s_branch .LBB23_964
.LBB23_931:
	s_mov_b64 s[58:59], -1
	s_mov_b64 s[0:1], 0
	s_mov_b64 s[56:57], s[46:47]
                                        ; implicit-def: $vgpr4
	s_branch .LBB23_947
.LBB23_932:
	s_mov_b64 s[58:59], -1
	s_mov_b64 s[0:1], 0
	s_mov_b64 s[56:57], s[46:47]
                                        ; implicit-def: $vgpr4
	s_branch .LBB23_942
.LBB23_933:
	s_mov_b64 s[58:59], -1
	s_mov_b64 s[0:1], 0
	s_mov_b64 s[56:57], s[46:47]
                                        ; implicit-def: $vgpr4
	s_branch .LBB23_937
.LBB23_934:
	s_andn2_saveexec_b64 s[54:55], s[54:55]
	s_cbranch_execz .LBB23_702
.LBB23_935:
	v_add_f32_e32 v3, 0x42800000, v4
	v_and_b32_e32 v3, 0xff, v3
	v_cmp_ne_u32_e32 vcc, 0, v3
	s_andn2_b64 s[52:53], s[52:53], exec
	s_and_b64 s[58:59], vcc, exec
	s_or_b64 s[52:53], s[52:53], s[58:59]
	s_or_b64 exec, exec, s[54:55]
	v_mov_b32_e32 v5, 0
	s_and_saveexec_b64 s[54:55], s[52:53]
	s_cbranch_execnz .LBB23_703
	s_branch .LBB23_704
.LBB23_936:
	s_mov_b64 s[56:57], -1
                                        ; implicit-def: $vgpr4
	s_mov_b64 s[0:1], 0
.LBB23_937:
	s_and_b64 vcc, exec, s[58:59]
	s_cbranch_vccz .LBB23_941
; %bb.938:
	s_cmp_eq_u32 s61, 44
	s_cbranch_scc0 .LBB23_940
; %bb.939:
	global_load_ubyte v4, v[2:3], off
	s_mov_b32 s0, 0x2f800000
	s_mov_b32 s1, 0xcf800000
	s_mov_b64 s[56:57], 0
	s_waitcnt vmcnt(0)
	v_lshlrev_b32_e32 v5, 23, v4
	v_trunc_f32_e32 v5, v5
	v_mul_f32_e64 v6, |v5|, s0
	v_floor_f32_e32 v6, v6
	v_fma_f32 v6, v6, s1, |v5|
	v_cvt_u32_f32_e32 v6, v6
	v_ashrrev_i32_e32 v5, 31, v5
	v_cmp_ne_u32_e32 vcc, 0, v4
	s_mov_b64 s[0:1], -1
	v_xor_b32_e32 v6, v6, v5
	v_sub_u32_e32 v5, v6, v5
	v_cndmask_b32_e32 v4, 0, v5, vcc
	s_branch .LBB23_941
.LBB23_940:
	s_mov_b64 s[56:57], -1
                                        ; implicit-def: $vgpr4
.LBB23_941:
	s_mov_b64 s[58:59], 0
.LBB23_942:
	s_and_b64 vcc, exec, s[58:59]
	s_cbranch_vccz .LBB23_946
; %bb.943:
	s_cmp_eq_u32 s61, 29
	s_cbranch_scc0 .LBB23_945
; %bb.944:
	global_load_dwordx2 v[4:5], v[2:3], off
	s_mov_b64 s[0:1], -1
	s_mov_b64 s[56:57], 0
	s_branch .LBB23_946
.LBB23_945:
	s_mov_b64 s[56:57], -1
                                        ; implicit-def: $vgpr4
.LBB23_946:
	s_mov_b64 s[58:59], 0
.LBB23_947:
	s_and_b64 vcc, exec, s[58:59]
	s_cbranch_vccz .LBB23_963
; %bb.948:
	s_cmp_lt_i32 s61, 27
	s_cbranch_scc1 .LBB23_951
; %bb.949:
	s_cmp_gt_i32 s61, 27
	s_cbranch_scc0 .LBB23_952
; %bb.950:
	global_load_dword v4, v[2:3], off
	s_mov_b64 s[0:1], 0
	s_branch .LBB23_953
.LBB23_951:
	s_mov_b64 s[0:1], -1
                                        ; implicit-def: $vgpr4
	s_branch .LBB23_956
.LBB23_952:
	s_mov_b64 s[0:1], -1
                                        ; implicit-def: $vgpr4
.LBB23_953:
	s_andn2_b64 vcc, exec, s[0:1]
	s_cbranch_vccnz .LBB23_955
; %bb.954:
	global_load_ushort v4, v[2:3], off
.LBB23_955:
	s_mov_b64 s[0:1], 0
.LBB23_956:
	s_andn2_b64 vcc, exec, s[0:1]
	s_cbranch_vccnz .LBB23_962
; %bb.957:
	global_load_ubyte v5, v[2:3], off
	s_movk_i32 s0, 0x7f
	s_mov_b64 s[58:59], 0
	s_waitcnt vmcnt(0)
	v_cmp_lt_i16_e32 vcc, s0, v5
	s_and_saveexec_b64 s[0:1], vcc
	s_xor_b64 s[0:1], exec, s[0:1]
	s_cbranch_execz .LBB23_974
; %bb.958:
	s_movk_i32 s58, 0x80
	v_cmp_ne_u16_e32 vcc, s58, v5
	s_and_b64 s[58:59], vcc, exec
	s_andn2_saveexec_b64 s[0:1], s[0:1]
	s_cbranch_execnz .LBB23_975
.LBB23_959:
	s_or_b64 exec, exec, s[0:1]
	v_mov_b32_e32 v4, 0
	s_and_saveexec_b64 s[0:1], s[58:59]
	s_cbranch_execz .LBB23_961
.LBB23_960:
	v_lshlrev_b32_e32 v4, 24, v5
	v_and_b32_e32 v5, 0xffff, v5
	v_and_b32_e32 v6, 7, v5
	v_ffbh_u32_e32 v8, v6
	v_min_u32_e32 v8, 32, v8
	v_subrev_u32_e32 v9, 28, v8
	v_bfe_u32 v7, v5, 3, 4
	v_lshlrev_b32_e32 v5, v9, v5
	v_sub_u32_e32 v8, 29, v8
	v_and_b32_e32 v5, 7, v5
	v_cmp_eq_u32_e32 vcc, 0, v7
	v_cndmask_b32_e32 v7, v7, v8, vcc
	v_cndmask_b32_e32 v5, v6, v5, vcc
	v_mov_b32_e32 v6, 0x3b800000
	v_lshlrev_b32_e32 v5, 20, v5
	v_and_b32_e32 v4, 0x80000000, v4
	v_lshl_add_u32 v6, v7, 23, v6
	v_or3_b32 v4, v4, v6, v5
	v_trunc_f32_e32 v4, v4
	s_mov_b32 s58, 0x2f800000
	v_mul_f32_e64 v5, |v4|, s58
	v_floor_f32_e32 v5, v5
	s_mov_b32 s58, 0xcf800000
	v_fma_f32 v5, v5, s58, |v4|
	v_cvt_u32_f32_e32 v5, v5
	v_ashrrev_i32_e32 v4, 31, v4
	v_xor_b32_e32 v5, v5, v4
	v_sub_u32_e32 v4, v5, v4
.LBB23_961:
	s_or_b64 exec, exec, s[0:1]
.LBB23_962:
	s_mov_b64 s[0:1], -1
.LBB23_963:
	s_mov_b64 s[58:59], 0
.LBB23_964:
	s_and_b64 vcc, exec, s[58:59]
	s_cbranch_vccz .LBB23_997
; %bb.965:
	s_cmp_gt_i32 s61, 22
	s_cbranch_scc0 .LBB23_973
; %bb.966:
	s_cmp_lt_i32 s61, 24
	s_cbranch_scc1 .LBB23_976
; %bb.967:
	s_cmp_gt_i32 s61, 24
	s_cbranch_scc0 .LBB23_977
; %bb.968:
	global_load_ubyte v5, v[2:3], off
	s_movk_i32 s0, 0x7f
	s_mov_b64 s[58:59], 0
	s_waitcnt vmcnt(0)
	v_cmp_lt_i16_e32 vcc, s0, v5
	s_and_saveexec_b64 s[0:1], vcc
	s_xor_b64 s[0:1], exec, s[0:1]
	s_cbranch_execz .LBB23_989
; %bb.969:
	s_movk_i32 s58, 0x80
	v_cmp_ne_u16_e32 vcc, s58, v5
	s_and_b64 s[58:59], vcc, exec
	s_andn2_saveexec_b64 s[0:1], s[0:1]
	s_cbranch_execnz .LBB23_990
.LBB23_970:
	s_or_b64 exec, exec, s[0:1]
	v_mov_b32_e32 v4, 0
	s_and_saveexec_b64 s[0:1], s[58:59]
	s_cbranch_execz .LBB23_972
.LBB23_971:
	v_lshlrev_b32_e32 v4, 24, v5
	v_and_b32_e32 v5, 0xffff, v5
	v_and_b32_e32 v6, 3, v5
	v_ffbh_u32_e32 v8, v6
	v_min_u32_e32 v8, 32, v8
	v_subrev_u32_e32 v9, 29, v8
	v_bfe_u32 v7, v5, 2, 5
	v_lshlrev_b32_e32 v5, v9, v5
	v_sub_u32_e32 v8, 30, v8
	v_and_b32_e32 v5, 3, v5
	v_cmp_eq_u32_e32 vcc, 0, v7
	v_cndmask_b32_e32 v7, v7, v8, vcc
	v_cndmask_b32_e32 v5, v6, v5, vcc
	v_mov_b32_e32 v6, 0x37800000
	v_lshlrev_b32_e32 v5, 21, v5
	v_and_b32_e32 v4, 0x80000000, v4
	v_lshl_add_u32 v6, v7, 23, v6
	v_or3_b32 v4, v4, v6, v5
	v_trunc_f32_e32 v4, v4
	s_mov_b32 s58, 0x2f800000
	v_mul_f32_e64 v5, |v4|, s58
	v_floor_f32_e32 v5, v5
	s_mov_b32 s58, 0xcf800000
	v_fma_f32 v5, v5, s58, |v4|
	v_cvt_u32_f32_e32 v5, v5
	v_ashrrev_i32_e32 v4, 31, v4
	v_xor_b32_e32 v5, v5, v4
	v_sub_u32_e32 v4, v5, v4
.LBB23_972:
	s_or_b64 exec, exec, s[0:1]
	s_mov_b64 s[0:1], 0
	s_branch .LBB23_978
.LBB23_973:
	s_mov_b64 s[58:59], -1
                                        ; implicit-def: $vgpr4
	s_branch .LBB23_984
.LBB23_974:
	s_andn2_saveexec_b64 s[0:1], s[0:1]
	s_cbranch_execz .LBB23_959
.LBB23_975:
	v_cmp_ne_u16_e32 vcc, 0, v5
	s_andn2_b64 s[58:59], s[58:59], exec
	s_and_b64 s[62:63], vcc, exec
	s_or_b64 s[58:59], s[58:59], s[62:63]
	s_or_b64 exec, exec, s[0:1]
	v_mov_b32_e32 v4, 0
	s_and_saveexec_b64 s[0:1], s[58:59]
	s_cbranch_execnz .LBB23_960
	s_branch .LBB23_961
.LBB23_976:
	s_mov_b64 s[0:1], -1
                                        ; implicit-def: $vgpr4
	s_branch .LBB23_981
.LBB23_977:
	s_mov_b64 s[0:1], -1
                                        ; implicit-def: $vgpr4
.LBB23_978:
	s_and_b64 vcc, exec, s[0:1]
	s_cbranch_vccz .LBB23_980
; %bb.979:
	global_load_ubyte v4, v[2:3], off
	s_mov_b32 s0, 0x7f800000
	s_brev_b32 s1, 1
	s_mov_b32 s58, 0x2f800000
	s_waitcnt vmcnt(0)
	v_lshlrev_b32_e32 v4, 24, v4
	v_and_b32_e32 v5, 0x7f000000, v4
	v_ffbh_u32_e32 v6, v5
	v_min_u32_e32 v6, 32, v6
	v_sub_u32_e64 v6, v6, 4 clamp
	v_lshlrev_b32_e32 v8, v6, v5
	v_lshlrev_b32_e32 v6, 23, v6
	v_lshrrev_b32_e32 v8, 4, v8
	v_add_u32_e32 v7, 0x1000000, v5
	v_sub_u32_e32 v6, v8, v6
	v_ashrrev_i32_e32 v7, 8, v7
	v_add_u32_e32 v6, 0x3c000000, v6
	v_and_or_b32 v6, v7, s0, v6
	v_cmp_ne_u32_e32 vcc, 0, v5
	v_cndmask_b32_e32 v5, 0, v6, vcc
	v_and_or_b32 v4, v4, s1, v5
	v_trunc_f32_e32 v4, v4
	v_mul_f32_e64 v5, |v4|, s58
	v_floor_f32_e32 v5, v5
	s_mov_b32 s0, 0xcf800000
	v_fma_f32 v5, v5, s0, |v4|
	v_cvt_u32_f32_e32 v5, v5
	v_ashrrev_i32_e32 v4, 31, v4
	v_xor_b32_e32 v5, v5, v4
	v_sub_u32_e32 v4, v5, v4
.LBB23_980:
	s_mov_b64 s[0:1], 0
.LBB23_981:
	s_andn2_b64 vcc, exec, s[0:1]
	s_cbranch_vccnz .LBB23_983
; %bb.982:
	global_load_ubyte v4, v[2:3], off
	s_movk_i32 s0, 0x7f00
	s_brev_b32 s1, 16
	s_brev_b32 s58, 1
	s_mov_b32 s59, 0x2f800000
	s_waitcnt vmcnt(0)
	v_lshlrev_b16_e32 v5, 8, v4
	v_lshlrev_b32_e32 v4, 25, v4
	v_lshrrev_b32_e32 v6, 4, v4
	v_and_or_b32 v7, v5, s0, 0.5
	v_or_b32_e32 v6, 0x70000000, v6
	v_add_f32_e32 v7, -0.5, v7
	v_mul_f32_e32 v6, 0x7800000, v6
	v_cmp_gt_u32_e32 vcc, s1, v4
	v_bfe_i32 v5, v5, 0, 16
	v_cndmask_b32_e32 v4, v6, v7, vcc
	v_and_or_b32 v4, v5, s58, v4
	v_trunc_f32_e32 v4, v4
	v_mul_f32_e64 v5, |v4|, s59
	v_floor_f32_e32 v5, v5
	s_mov_b32 s0, 0xcf800000
	v_fma_f32 v5, v5, s0, |v4|
	v_cvt_u32_f32_e32 v5, v5
	v_ashrrev_i32_e32 v4, 31, v4
	v_xor_b32_e32 v5, v5, v4
	v_sub_u32_e32 v4, v5, v4
.LBB23_983:
	s_mov_b64 s[58:59], 0
	s_mov_b64 s[0:1], -1
.LBB23_984:
	s_andn2_b64 vcc, exec, s[58:59]
	s_cbranch_vccnz .LBB23_997
; %bb.985:
	s_cmp_gt_i32 s61, 14
	s_cbranch_scc0 .LBB23_988
; %bb.986:
	s_cmp_eq_u32 s61, 15
	s_cbranch_scc0 .LBB23_991
; %bb.987:
	global_load_ushort v4, v[2:3], off
	s_mov_b32 s0, 0x2f800000
	s_mov_b32 s1, 0xcf800000
	s_mov_b64 s[56:57], 0
	s_waitcnt vmcnt(0)
	v_lshlrev_b32_e32 v4, 16, v4
	v_trunc_f32_e32 v4, v4
	v_mul_f32_e64 v5, |v4|, s0
	v_floor_f32_e32 v5, v5
	v_fma_f32 v5, v5, s1, |v4|
	v_cvt_u32_f32_e32 v5, v5
	v_ashrrev_i32_e32 v4, 31, v4
	s_mov_b64 s[0:1], -1
	v_xor_b32_e32 v5, v5, v4
	v_sub_u32_e32 v4, v5, v4
	s_branch .LBB23_992
.LBB23_988:
	s_mov_b64 s[58:59], -1
                                        ; implicit-def: $vgpr4
	s_branch .LBB23_993
.LBB23_989:
	s_andn2_saveexec_b64 s[0:1], s[0:1]
	s_cbranch_execz .LBB23_970
.LBB23_990:
	v_cmp_ne_u16_e32 vcc, 0, v5
	s_andn2_b64 s[58:59], s[58:59], exec
	s_and_b64 s[62:63], vcc, exec
	s_or_b64 s[58:59], s[58:59], s[62:63]
	s_or_b64 exec, exec, s[0:1]
	v_mov_b32_e32 v4, 0
	s_and_saveexec_b64 s[0:1], s[58:59]
	s_cbranch_execnz .LBB23_971
	s_branch .LBB23_972
.LBB23_991:
	s_mov_b64 s[56:57], -1
                                        ; implicit-def: $vgpr4
.LBB23_992:
	s_mov_b64 s[58:59], 0
.LBB23_993:
	s_and_b64 vcc, exec, s[58:59]
	s_cbranch_vccz .LBB23_997
; %bb.994:
	s_cmp_eq_u32 s61, 11
	s_cbranch_scc0 .LBB23_996
; %bb.995:
	global_load_ubyte v4, v[2:3], off
	s_mov_b64 s[0:1], -1
	s_mov_b64 s[56:57], 0
	s_waitcnt vmcnt(0)
	v_cmp_ne_u16_e32 vcc, 0, v4
	v_cndmask_b32_e64 v4, 0, 1, vcc
	s_branch .LBB23_997
.LBB23_996:
	s_mov_b64 s[56:57], -1
                                        ; implicit-def: $vgpr4
.LBB23_997:
	s_mov_b64 s[58:59], 0
.LBB23_998:
	s_and_b64 vcc, exec, s[58:59]
	s_cbranch_vccz .LBB23_1047
; %bb.999:
	s_and_b32 s58, 0xffff, s60
	s_cmp_lt_i32 s58, 5
	s_cbranch_scc1 .LBB23_1004
; %bb.1000:
	s_cmp_lt_i32 s58, 8
	s_cbranch_scc1 .LBB23_1005
; %bb.1001:
	;; [unrolled: 3-line block ×3, first 2 shown]
	s_cmp_gt_i32 s58, 9
	s_cbranch_scc0 .LBB23_1007
; %bb.1003:
	global_load_dwordx2 v[4:5], v[2:3], off
	s_movk_i32 s0, 0xffe0
	s_waitcnt vmcnt(0)
	v_trunc_f64_e32 v[4:5], v[4:5]
	v_ldexp_f64 v[6:7], v[4:5], s0
	s_mov_b32 s0, 0
	s_mov_b32 s1, 0xc1f00000
	v_floor_f64_e32 v[6:7], v[6:7]
	v_fma_f64 v[4:5], v[6:7], s[0:1], v[4:5]
	s_mov_b64 s[0:1], 0
	v_cvt_u32_f64_e32 v4, v[4:5]
	s_branch .LBB23_1008
.LBB23_1004:
	s_mov_b64 s[0:1], -1
                                        ; implicit-def: $vgpr4
	s_branch .LBB23_1026
.LBB23_1005:
	s_mov_b64 s[0:1], -1
                                        ; implicit-def: $vgpr4
	s_branch .LBB23_1014
.LBB23_1006:
	s_mov_b64 s[0:1], -1
                                        ; implicit-def: $vgpr4
	s_branch .LBB23_1011
.LBB23_1007:
	s_mov_b64 s[0:1], -1
                                        ; implicit-def: $vgpr4
.LBB23_1008:
	s_andn2_b64 vcc, exec, s[0:1]
	s_cbranch_vccnz .LBB23_1010
; %bb.1009:
	global_load_dword v4, v[2:3], off
	s_mov_b32 s0, 0x2f800000
	s_waitcnt vmcnt(0)
	v_trunc_f32_e32 v4, v4
	v_mul_f32_e64 v5, |v4|, s0
	v_floor_f32_e32 v5, v5
	s_mov_b32 s0, 0xcf800000
	v_fma_f32 v5, v5, s0, |v4|
	v_cvt_u32_f32_e32 v5, v5
	v_ashrrev_i32_e32 v4, 31, v4
	v_xor_b32_e32 v5, v5, v4
	v_sub_u32_e32 v4, v5, v4
.LBB23_1010:
	s_mov_b64 s[0:1], 0
.LBB23_1011:
	s_andn2_b64 vcc, exec, s[0:1]
	s_cbranch_vccnz .LBB23_1013
; %bb.1012:
	global_load_dword v4, v[2:3], off
	s_waitcnt vmcnt(0)
	v_cvt_f32_f16_e32 v4, v4
	v_cvt_i32_f32_e32 v4, v4
.LBB23_1013:
	s_mov_b64 s[0:1], 0
.LBB23_1014:
	s_andn2_b64 vcc, exec, s[0:1]
	s_cbranch_vccnz .LBB23_1025
; %bb.1015:
	s_cmp_lt_i32 s58, 6
	s_cbranch_scc1 .LBB23_1018
; %bb.1016:
	s_cmp_gt_i32 s58, 6
	s_cbranch_scc0 .LBB23_1019
; %bb.1017:
	global_load_dwordx2 v[4:5], v[2:3], off
	s_movk_i32 s0, 0xffe0
	s_waitcnt vmcnt(0)
	v_trunc_f64_e32 v[4:5], v[4:5]
	v_ldexp_f64 v[6:7], v[4:5], s0
	s_mov_b32 s0, 0
	s_mov_b32 s1, 0xc1f00000
	v_floor_f64_e32 v[6:7], v[6:7]
	v_fma_f64 v[4:5], v[6:7], s[0:1], v[4:5]
	s_mov_b64 s[0:1], 0
	v_cvt_u32_f64_e32 v4, v[4:5]
	s_branch .LBB23_1020
.LBB23_1018:
	s_mov_b64 s[0:1], -1
                                        ; implicit-def: $vgpr4
	s_branch .LBB23_1023
.LBB23_1019:
	s_mov_b64 s[0:1], -1
                                        ; implicit-def: $vgpr4
.LBB23_1020:
	s_andn2_b64 vcc, exec, s[0:1]
	s_cbranch_vccnz .LBB23_1022
; %bb.1021:
	global_load_dword v4, v[2:3], off
	s_mov_b32 s0, 0x2f800000
	s_waitcnt vmcnt(0)
	v_trunc_f32_e32 v4, v4
	v_mul_f32_e64 v5, |v4|, s0
	v_floor_f32_e32 v5, v5
	s_mov_b32 s0, 0xcf800000
	v_fma_f32 v5, v5, s0, |v4|
	v_cvt_u32_f32_e32 v5, v5
	v_ashrrev_i32_e32 v4, 31, v4
	v_xor_b32_e32 v5, v5, v4
	v_sub_u32_e32 v4, v5, v4
.LBB23_1022:
	s_mov_b64 s[0:1], 0
.LBB23_1023:
	s_andn2_b64 vcc, exec, s[0:1]
	s_cbranch_vccnz .LBB23_1025
; %bb.1024:
	global_load_ushort v4, v[2:3], off
	s_waitcnt vmcnt(0)
	v_cvt_f32_f16_e32 v4, v4
	v_cvt_i32_f32_e32 v4, v4
.LBB23_1025:
	s_mov_b64 s[0:1], 0
.LBB23_1026:
	s_andn2_b64 vcc, exec, s[0:1]
	s_cbranch_vccnz .LBB23_1046
; %bb.1027:
	s_cmp_lt_i32 s58, 2
	s_cbranch_scc1 .LBB23_1031
; %bb.1028:
	s_cmp_lt_i32 s58, 3
	s_cbranch_scc1 .LBB23_1032
; %bb.1029:
	s_cmp_gt_i32 s58, 3
	s_cbranch_scc0 .LBB23_1033
; %bb.1030:
	global_load_dwordx2 v[4:5], v[2:3], off
	s_mov_b64 s[0:1], 0
	s_branch .LBB23_1034
.LBB23_1031:
	s_mov_b64 s[0:1], -1
                                        ; implicit-def: $vgpr4
	s_branch .LBB23_1040
.LBB23_1032:
	s_mov_b64 s[0:1], -1
                                        ; implicit-def: $vgpr4
	s_branch .LBB23_1037
.LBB23_1033:
	s_mov_b64 s[0:1], -1
                                        ; implicit-def: $vgpr4
.LBB23_1034:
	s_andn2_b64 vcc, exec, s[0:1]
	s_cbranch_vccnz .LBB23_1036
; %bb.1035:
	global_load_dword v4, v[2:3], off
.LBB23_1036:
	s_mov_b64 s[0:1], 0
.LBB23_1037:
	s_andn2_b64 vcc, exec, s[0:1]
	s_cbranch_vccnz .LBB23_1039
; %bb.1038:
	global_load_ushort v4, v[2:3], off
.LBB23_1039:
	s_mov_b64 s[0:1], 0
.LBB23_1040:
	s_andn2_b64 vcc, exec, s[0:1]
	s_cbranch_vccnz .LBB23_1046
; %bb.1041:
	s_cmp_gt_i32 s58, 0
	s_cbranch_scc0 .LBB23_1043
; %bb.1042:
	global_load_ubyte v4, v[2:3], off
	s_mov_b64 s[0:1], 0
	s_branch .LBB23_1044
.LBB23_1043:
	s_mov_b64 s[0:1], -1
                                        ; implicit-def: $vgpr4
.LBB23_1044:
	s_andn2_b64 vcc, exec, s[0:1]
	s_cbranch_vccnz .LBB23_1046
; %bb.1045:
	global_load_ubyte v4, v[2:3], off
.LBB23_1046:
	s_mov_b64 s[0:1], -1
.LBB23_1047:
	s_andn2_b64 vcc, exec, s[0:1]
	s_cbranch_vccnz .LBB23_1055
; %bb.1048:
	v_mov_b32_e32 v2, 8
	s_waitcnt vmcnt(0)
	v_lshlrev_b32_e32 v1, v4, v1
	v_cmp_lt_u16_sdwa vcc, v4, v2 src0_sel:BYTE_0 src1_sel:DWORD
	v_cndmask_b32_e32 v2, 0, v1, vcc
	v_mov_b32_e32 v1, s9
	s_and_b32 s64, s69, 0xff
	v_add_co_u32_e32 v0, vcc, s8, v0
	s_cmp_lt_i32 s64, 11
	v_addc_co_u32_e32 v1, vcc, 0, v1, vcc
	s_cbranch_scc1 .LBB23_1056
; %bb.1049:
	s_and_b32 s65, 0xffff, s64
	s_cmp_gt_i32 s65, 25
	s_cbranch_scc0 .LBB23_1057
; %bb.1050:
	s_cmp_gt_i32 s65, 28
	s_cbranch_scc0 .LBB23_1058
; %bb.1051:
	;; [unrolled: 3-line block ×4, first 2 shown]
	s_mov_b64 s[60:61], 0
	s_mov_b64 s[0:1], -1
	s_cmp_eq_u32 s65, 46
	s_mov_b64 s[58:59], 0
	s_cbranch_scc0 .LBB23_1061
; %bb.1054:
	v_cvt_f32_ubyte0_e32 v3, v2
	v_bfe_u32 v4, v3, 16, 1
	s_movk_i32 s0, 0x7fff
	v_add3_u32 v3, v3, v4, s0
	v_lshrrev_b32_e32 v3, 16, v3
	global_store_dword v[0:1], v3, off
	s_mov_b64 s[58:59], -1
	s_mov_b64 s[0:1], 0
	s_branch .LBB23_1061
.LBB23_1055:
	s_mov_b64 s[60:61], 0
                                        ; implicit-def: $vgpr10
	s_mov_b64 s[0:1], s[48:49]
	s_branch .LBB23_1171
.LBB23_1056:
	s_mov_b64 s[60:61], -1
	s_mov_b64 s[58:59], 0
	s_mov_b64 s[0:1], s[48:49]
	s_branch .LBB23_1130
.LBB23_1057:
	s_mov_b64 s[60:61], -1
	s_mov_b64 s[58:59], 0
	s_mov_b64 s[0:1], s[48:49]
	s_branch .LBB23_1088
.LBB23_1058:
	s_mov_b64 s[60:61], -1
	s_mov_b64 s[58:59], 0
	s_mov_b64 s[0:1], s[48:49]
	s_branch .LBB23_1071
.LBB23_1059:
	s_mov_b64 s[60:61], -1
	s_mov_b64 s[58:59], 0
	s_mov_b64 s[0:1], s[48:49]
	s_branch .LBB23_1067
.LBB23_1060:
	s_mov_b64 s[60:61], -1
	s_mov_b64 s[58:59], 0
	s_mov_b64 s[0:1], s[48:49]
.LBB23_1061:
	s_and_b64 vcc, exec, s[60:61]
	s_cbranch_vccz .LBB23_1066
; %bb.1062:
	s_cmp_eq_u32 s65, 44
	s_mov_b64 s[0:1], -1
	s_cbranch_scc0 .LBB23_1066
; %bb.1063:
	v_cvt_f32_ubyte0_e32 v4, v2
	v_lshrrev_b32_e32 v3, 23, v4
	s_movk_i32 s0, 0xff
	v_cmp_ne_u32_e32 vcc, s0, v3
	v_mov_b32_e32 v5, 0xff
	s_and_saveexec_b64 s[58:59], vcc
; %bb.1064:
	s_mov_b32 s0, 0x3fffff
	v_and_b32_e32 v5, 0x400000, v4
	v_and_or_b32 v4, v4, s0, v3
	v_cmp_ne_u32_e32 vcc, 0, v5
	v_cmp_ne_u32_e64 s[0:1], 0, v4
	s_and_b64 s[0:1], vcc, s[0:1]
	v_cndmask_b32_e64 v4, 0, 1, s[0:1]
	v_add_u32_e32 v5, v3, v4
; %bb.1065:
	s_or_b64 exec, exec, s[58:59]
	s_mov_b64 s[58:59], -1
	s_mov_b64 s[0:1], 0
	global_store_byte v[0:1], v5, off
.LBB23_1066:
	s_mov_b64 s[60:61], 0
.LBB23_1067:
	s_and_b64 vcc, exec, s[60:61]
	s_cbranch_vccz .LBB23_1070
; %bb.1068:
	s_cmp_eq_u32 s65, 29
	s_mov_b64 s[0:1], -1
	s_cbranch_scc0 .LBB23_1070
; %bb.1069:
	v_and_b32_e32 v3, 0xff, v2
	v_mov_b32_e32 v4, 0
	global_store_dwordx2 v[0:1], v[3:4], off
	s_mov_b64 s[58:59], -1
	s_mov_b64 s[0:1], 0
.LBB23_1070:
	s_mov_b64 s[60:61], 0
.LBB23_1071:
	s_and_b64 vcc, exec, s[60:61]
	s_cbranch_vccz .LBB23_1087
; %bb.1072:
	s_cmp_lt_i32 s65, 27
	s_mov_b64 s[58:59], -1
	s_cbranch_scc1 .LBB23_1078
; %bb.1073:
	s_cmp_gt_i32 s65, 27
	s_cbranch_scc0 .LBB23_1075
; %bb.1074:
	v_and_b32_e32 v3, 0xff, v2
	s_mov_b64 s[58:59], 0
	global_store_dword v[0:1], v3, off
.LBB23_1075:
	s_andn2_b64 vcc, exec, s[58:59]
	s_cbranch_vccnz .LBB23_1077
; %bb.1076:
	v_and_b32_e32 v3, 0xff, v2
	global_store_short v[0:1], v3, off
.LBB23_1077:
	s_mov_b64 s[58:59], 0
.LBB23_1078:
	s_andn2_b64 vcc, exec, s[58:59]
	s_cbranch_vccnz .LBB23_1086
; %bb.1079:
	v_cvt_f32_ubyte0_e32 v4, v2
	s_mov_b32 s58, 0x43800000
	v_cmp_gt_u32_e32 vcc, s58, v4
	v_mov_b32_e32 v5, 0x80
	s_and_saveexec_b64 s[58:59], vcc
	s_cbranch_execz .LBB23_1085
; %bb.1080:
	s_mov_b32 s60, 0x3bffffff
	v_cmp_lt_u32_e32 vcc, s60, v4
	s_mov_b64 s[60:61], 0
                                        ; implicit-def: $vgpr3
	s_and_saveexec_b64 s[62:63], vcc
	s_xor_b64 s[62:63], exec, s[62:63]
	s_cbranch_execz .LBB23_1199
; %bb.1081:
	v_bfe_u32 v3, v4, 20, 1
	s_mov_b32 s67, 0x487ffff
	v_add3_u32 v3, v4, v3, s67
	s_mov_b64 s[60:61], exec
	v_lshrrev_b32_e32 v3, 20, v3
                                        ; implicit-def: $vgpr4
	s_andn2_saveexec_b64 s[62:63], s[62:63]
	s_cbranch_execnz .LBB23_1200
.LBB23_1082:
	s_or_b64 exec, exec, s[62:63]
	v_mov_b32_e32 v5, 0
	s_and_saveexec_b64 s[62:63], s[60:61]
.LBB23_1083:
	v_mov_b32_e32 v5, v3
.LBB23_1084:
	s_or_b64 exec, exec, s[62:63]
.LBB23_1085:
	s_or_b64 exec, exec, s[58:59]
	global_store_byte v[0:1], v5, off
.LBB23_1086:
	s_mov_b64 s[58:59], -1
.LBB23_1087:
	s_mov_b64 s[60:61], 0
.LBB23_1088:
	s_and_b64 vcc, exec, s[60:61]
	s_cbranch_vccz .LBB23_1129
; %bb.1089:
	s_cmp_gt_i32 s65, 22
	s_mov_b64 s[60:61], -1
	s_cbranch_scc0 .LBB23_1121
; %bb.1090:
	s_cmp_lt_i32 s65, 24
	s_mov_b64 s[58:59], -1
	s_cbranch_scc1 .LBB23_1110
; %bb.1091:
	s_cmp_gt_i32 s65, 24
	s_cbranch_scc0 .LBB23_1099
; %bb.1092:
	v_cvt_f32_ubyte0_e32 v4, v2
	s_mov_b32 s58, 0x47800000
	v_cmp_gt_u32_e32 vcc, s58, v4
	v_mov_b32_e32 v5, 0x80
	s_and_saveexec_b64 s[58:59], vcc
	s_cbranch_execz .LBB23_1098
; %bb.1093:
	s_mov_b32 s60, 0x37ffffff
	v_cmp_lt_u32_e32 vcc, s60, v4
	s_mov_b64 s[60:61], 0
                                        ; implicit-def: $vgpr3
	s_and_saveexec_b64 s[62:63], vcc
	s_xor_b64 s[62:63], exec, s[62:63]
	s_cbranch_execz .LBB23_2236
; %bb.1094:
	v_bfe_u32 v3, v4, 21, 1
	s_mov_b32 s67, 0x88fffff
	v_add3_u32 v3, v4, v3, s67
	s_mov_b64 s[60:61], exec
	v_lshrrev_b32_e32 v3, 21, v3
                                        ; implicit-def: $vgpr4
	s_andn2_saveexec_b64 s[62:63], s[62:63]
	s_cbranch_execnz .LBB23_2237
.LBB23_1095:
	s_or_b64 exec, exec, s[62:63]
	v_mov_b32_e32 v5, 0
	s_and_saveexec_b64 s[62:63], s[60:61]
.LBB23_1096:
	v_mov_b32_e32 v5, v3
.LBB23_1097:
	s_or_b64 exec, exec, s[62:63]
.LBB23_1098:
	s_or_b64 exec, exec, s[58:59]
	s_mov_b64 s[58:59], 0
	global_store_byte v[0:1], v5, off
.LBB23_1099:
	s_and_b64 vcc, exec, s[58:59]
	s_cbranch_vccz .LBB23_1109
; %bb.1100:
	v_cvt_f32_ubyte0_e32 v3, v2
	s_mov_b32 s58, 0x43f00000
	v_cmp_gt_u32_e32 vcc, s58, v3
                                        ; implicit-def: $vgpr4
	s_and_saveexec_b64 s[58:59], vcc
	s_xor_b64 s[58:59], exec, s[58:59]
	s_cbranch_execz .LBB23_1106
; %bb.1101:
	s_mov_b32 s60, 0x3c7fffff
	v_cmp_lt_u32_e32 vcc, s60, v3
                                        ; implicit-def: $vgpr4
	s_and_saveexec_b64 s[60:61], vcc
	s_xor_b64 s[60:61], exec, s[60:61]
; %bb.1102:
	v_bfe_u32 v4, v3, 20, 1
	s_mov_b32 s62, 0x407ffff
	v_add3_u32 v3, v3, v4, s62
	v_lshrrev_b32_e32 v4, 20, v3
	v_and_b32_e32 v3, 0xff00000, v3
	s_mov_b32 s62, 0x7f00000
	v_mov_b32_e32 v5, 0x7e
	v_cmp_ne_u32_e32 vcc, s62, v3
	v_cndmask_b32_e32 v4, v5, v4, vcc
                                        ; implicit-def: $vgpr3
; %bb.1103:
	s_andn2_saveexec_b64 s[60:61], s[60:61]
; %bb.1104:
	v_add_f32_e32 v4, 0x46800000, v3
; %bb.1105:
	s_or_b64 exec, exec, s[60:61]
                                        ; implicit-def: $vgpr3
.LBB23_1106:
	s_andn2_saveexec_b64 s[58:59], s[58:59]
; %bb.1107:
	s_mov_b32 s60, 0x7f800000
	v_mov_b32_e32 v4, 0x7e
	v_mov_b32_e32 v5, 0x7f
	v_cmp_lt_u32_e32 vcc, s60, v3
	v_cndmask_b32_e32 v4, v4, v5, vcc
; %bb.1108:
	s_or_b64 exec, exec, s[58:59]
	global_store_byte v[0:1], v4, off
.LBB23_1109:
	s_mov_b64 s[58:59], 0
.LBB23_1110:
	s_andn2_b64 vcc, exec, s[58:59]
	s_cbranch_vccnz .LBB23_1120
; %bb.1111:
	v_cvt_f32_ubyte0_e32 v3, v2
	s_mov_b32 s58, 0x47800000
	v_cmp_gt_u32_e32 vcc, s58, v3
                                        ; implicit-def: $vgpr4
	s_and_saveexec_b64 s[58:59], vcc
	s_xor_b64 s[58:59], exec, s[58:59]
	s_cbranch_execz .LBB23_1117
; %bb.1112:
	s_mov_b32 s60, 0x387fffff
	v_cmp_lt_u32_e32 vcc, s60, v3
                                        ; implicit-def: $vgpr4
	s_and_saveexec_b64 s[60:61], vcc
	s_xor_b64 s[60:61], exec, s[60:61]
; %bb.1113:
	v_bfe_u32 v4, v3, 21, 1
	s_mov_b32 s62, 0x80fffff
	v_add3_u32 v3, v3, v4, s62
	v_lshrrev_b32_e32 v4, 21, v3
                                        ; implicit-def: $vgpr3
; %bb.1114:
	s_andn2_saveexec_b64 s[60:61], s[60:61]
; %bb.1115:
	v_add_f32_e32 v4, 0x43000000, v3
; %bb.1116:
	s_or_b64 exec, exec, s[60:61]
                                        ; implicit-def: $vgpr3
.LBB23_1117:
	s_andn2_saveexec_b64 s[58:59], s[58:59]
; %bb.1118:
	s_mov_b32 s60, 0x7f800000
	v_mov_b32_e32 v4, 0x7c
	v_mov_b32_e32 v5, 0x7f
	v_cmp_lt_u32_e32 vcc, s60, v3
	v_cndmask_b32_e32 v4, v4, v5, vcc
; %bb.1119:
	s_or_b64 exec, exec, s[58:59]
	global_store_byte v[0:1], v4, off
.LBB23_1120:
	s_mov_b64 s[60:61], 0
	s_mov_b64 s[58:59], -1
.LBB23_1121:
	s_andn2_b64 vcc, exec, s[60:61]
	s_cbranch_vccnz .LBB23_1129
; %bb.1122:
	s_cmp_gt_i32 s65, 14
	s_mov_b64 s[60:61], -1
	s_cbranch_scc0 .LBB23_1126
; %bb.1123:
	s_cmp_eq_u32 s65, 15
	s_mov_b64 s[0:1], -1
	s_cbranch_scc0 .LBB23_1125
; %bb.1124:
	v_cvt_f32_ubyte0_e32 v3, v2
	v_bfe_u32 v4, v3, 16, 1
	s_movk_i32 s0, 0x7fff
	v_add3_u32 v3, v3, v4, s0
	global_store_short_d16_hi v[0:1], v3, off
	s_mov_b64 s[58:59], -1
	s_mov_b64 s[0:1], 0
.LBB23_1125:
	s_mov_b64 s[60:61], 0
.LBB23_1126:
	s_and_b64 vcc, exec, s[60:61]
	s_cbranch_vccz .LBB23_1129
; %bb.1127:
	s_cmp_eq_u32 s65, 11
	s_mov_b64 s[0:1], -1
	s_cbranch_scc0 .LBB23_1129
; %bb.1128:
	v_mov_b32_e32 v3, 0
	v_cmp_ne_u16_sdwa s[0:1], v2, v3 src0_sel:BYTE_0 src1_sel:DWORD
	v_cndmask_b32_e64 v3, 0, 1, s[0:1]
	s_mov_b64 s[58:59], -1
	s_mov_b64 s[0:1], 0
	global_store_byte v[0:1], v3, off
.LBB23_1129:
	s_mov_b64 s[60:61], 0
.LBB23_1130:
	s_and_b64 vcc, exec, s[60:61]
	s_cbranch_vccz .LBB23_1169
; %bb.1131:
	s_and_b32 s60, 0xffff, s64
	s_cmp_lt_i32 s60, 5
	s_mov_b64 s[58:59], -1
	s_cbranch_scc1 .LBB23_1152
; %bb.1132:
	s_cmp_lt_i32 s60, 8
	s_cbranch_scc1 .LBB23_1142
; %bb.1133:
	s_cmp_lt_i32 s60, 9
	s_cbranch_scc1 .LBB23_1139
; %bb.1134:
	s_cmp_gt_i32 s60, 9
	s_cbranch_scc0 .LBB23_1136
; %bb.1135:
	s_mov_b32 s58, 0xffff
	v_and_b32_sdwa v3, s58, v2 dst_sel:DWORD dst_unused:UNUSED_PAD src0_sel:DWORD src1_sel:BYTE_0
	v_cvt_f64_u32_e32 v[3:4], v3
	v_mov_b32_e32 v5, 0
	v_mov_b32_e32 v6, v5
	s_mov_b64 s[58:59], 0
	global_store_dwordx4 v[0:1], v[3:6], off
.LBB23_1136:
	s_andn2_b64 vcc, exec, s[58:59]
	s_cbranch_vccnz .LBB23_1138
; %bb.1137:
	v_cvt_f32_ubyte0_e32 v3, v2
	v_mov_b32_e32 v4, 0
	global_store_dwordx2 v[0:1], v[3:4], off
.LBB23_1138:
	s_mov_b64 s[58:59], 0
.LBB23_1139:
	s_andn2_b64 vcc, exec, s[58:59]
	s_cbranch_vccnz .LBB23_1141
; %bb.1140:
	v_cvt_f16_u16_sdwa v3, v2 dst_sel:DWORD dst_unused:UNUSED_PAD src0_sel:BYTE_0
	global_store_dword v[0:1], v3, off
.LBB23_1141:
	s_mov_b64 s[58:59], 0
.LBB23_1142:
	s_andn2_b64 vcc, exec, s[58:59]
	s_cbranch_vccnz .LBB23_1151
; %bb.1143:
	s_cmp_lt_i32 s60, 6
	s_mov_b64 s[58:59], -1
	s_cbranch_scc1 .LBB23_1149
; %bb.1144:
	s_cmp_gt_i32 s60, 6
	s_cbranch_scc0 .LBB23_1146
; %bb.1145:
	s_mov_b32 s58, 0xffff
	v_and_b32_sdwa v3, s58, v2 dst_sel:DWORD dst_unused:UNUSED_PAD src0_sel:DWORD src1_sel:BYTE_0
	v_cvt_f64_u32_e32 v[3:4], v3
	s_mov_b64 s[58:59], 0
	global_store_dwordx2 v[0:1], v[3:4], off
.LBB23_1146:
	s_andn2_b64 vcc, exec, s[58:59]
	s_cbranch_vccnz .LBB23_1148
; %bb.1147:
	v_cvt_f32_ubyte0_e32 v3, v2
	global_store_dword v[0:1], v3, off
.LBB23_1148:
	s_mov_b64 s[58:59], 0
.LBB23_1149:
	s_andn2_b64 vcc, exec, s[58:59]
	s_cbranch_vccnz .LBB23_1151
; %bb.1150:
	v_cvt_f16_u16_sdwa v3, v2 dst_sel:DWORD dst_unused:UNUSED_PAD src0_sel:BYTE_0
	global_store_short v[0:1], v3, off
.LBB23_1151:
	s_mov_b64 s[58:59], 0
.LBB23_1152:
	s_andn2_b64 vcc, exec, s[58:59]
	s_cbranch_vccnz .LBB23_1168
; %bb.1153:
	s_cmp_lt_i32 s60, 2
	s_mov_b64 s[58:59], -1
	s_cbranch_scc1 .LBB23_1163
; %bb.1154:
	s_cmp_lt_i32 s60, 3
	s_cbranch_scc1 .LBB23_1160
; %bb.1155:
	s_cmp_gt_i32 s60, 3
	s_cbranch_scc0 .LBB23_1157
; %bb.1156:
	v_and_b32_e32 v3, 0xff, v2
	v_mov_b32_e32 v4, 0
	s_mov_b64 s[58:59], 0
	global_store_dwordx2 v[0:1], v[3:4], off
.LBB23_1157:
	s_andn2_b64 vcc, exec, s[58:59]
	s_cbranch_vccnz .LBB23_1159
; %bb.1158:
	v_and_b32_e32 v3, 0xff, v2
	global_store_dword v[0:1], v3, off
.LBB23_1159:
	s_mov_b64 s[58:59], 0
.LBB23_1160:
	s_andn2_b64 vcc, exec, s[58:59]
	s_cbranch_vccnz .LBB23_1162
; %bb.1161:
	v_and_b32_e32 v3, 0xff, v2
	global_store_short v[0:1], v3, off
.LBB23_1162:
	s_mov_b64 s[58:59], 0
.LBB23_1163:
	s_andn2_b64 vcc, exec, s[58:59]
	s_cbranch_vccnz .LBB23_1168
; %bb.1164:
	s_cmp_gt_i32 s60, 0
	s_mov_b64 s[58:59], -1
	s_cbranch_scc0 .LBB23_1166
; %bb.1165:
	s_mov_b64 s[58:59], 0
	global_store_byte v[0:1], v2, off
.LBB23_1166:
	s_andn2_b64 vcc, exec, s[58:59]
	s_cbranch_vccnz .LBB23_1168
; %bb.1167:
	global_store_byte v[0:1], v2, off
.LBB23_1168:
	s_mov_b64 s[58:59], -1
.LBB23_1169:
	s_andn2_b64 vcc, exec, s[58:59]
	s_cbranch_vccnz .LBB23_1181
; %bb.1170:
	v_add_u32_e32 v10, 0x80, v10
	s_mov_b64 s[60:61], -1
.LBB23_1171:
	s_andn2_b64 s[58:59], s[48:49], exec
	s_and_b64 s[0:1], s[0:1], exec
	s_or_b64 s[58:59], s[58:59], s[0:1]
	s_andn2_b64 s[0:1], s[46:47], exec
	s_and_b64 s[56:57], s[56:57], exec
	s_or_b64 s[56:57], s[0:1], s[56:57]
	s_andn2_b64 s[0:1], s[44:45], exec
	s_and_b64 s[54:55], s[54:55], exec
	s_or_b64 s[0:1], s[0:1], s[54:55]
	s_orn2_b64 s[64:65], s[60:61], exec
.LBB23_1172:
	s_or_b64 exec, exec, s[52:53]
	s_mov_b64 s[60:61], 0
	s_mov_b64 s[54:55], 0
	;; [unrolled: 1-line block ×3, first 2 shown]
                                        ; implicit-def: $sgpr73
                                        ; implicit-def: $vgpr4_vgpr5
                                        ; implicit-def: $vgpr0
                                        ; implicit-def: $vgpr3
                                        ; implicit-def: $vgpr1
	s_and_saveexec_b64 s[52:53], s[64:65]
	s_cbranch_execz .LBB23_1263
; %bb.1173:
	v_cmp_gt_i32_e32 vcc, s66, v10
	s_mov_b64 s[64:65], s[0:1]
	s_mov_b64 s[66:67], 0
                                        ; implicit-def: $sgpr73
                                        ; implicit-def: $vgpr4_vgpr5
                                        ; implicit-def: $vgpr0
                                        ; implicit-def: $vgpr3
                                        ; implicit-def: $vgpr1
	s_and_saveexec_b64 s[54:55], vcc
	s_cbranch_execz .LBB23_1262
; %bb.1174:
	s_andn2_b64 vcc, exec, s[20:21]
	s_cbranch_vccnz .LBB23_1180
; %bb.1175:
	s_andn2_b64 vcc, exec, s[34:35]
	s_cbranch_vccnz .LBB23_1182
; %bb.1176:
	s_add_i32 s34, s72, 1
	s_and_b32 s60, s34, 30
	s_add_u32 s34, s2, 0xffffffe8
	s_addc_u32 s35, s3, -1
	v_mov_b32_e32 v3, 0
	s_waitcnt vmcnt(0)
	v_mov_b32_e32 v5, 0
	v_mov_b32_e32 v0, 0
	;; [unrolled: 1-line block ×3, first 2 shown]
.LBB23_1177:                            ; =>This Inner Loop Header: Depth=1
	s_load_dwordx4 s[64:67], s[34:35], 0x1c
	s_load_dwordx2 s[62:63], s[34:35], 0x2c
	s_load_dwordx2 s[74:75], s[34:35], 0xec
	s_load_dwordx4 s[76:79], s[34:35], 0xdc
	s_add_u32 s34, s34, 24
	s_waitcnt lgkmcnt(0)
	v_mul_hi_u32 v2, s65, v1
	s_addc_u32 s35, s35, 0
	s_add_i32 s60, s60, -2
	s_cmp_eq_u32 s60, 0
	v_add_u32_e32 v2, v1, v2
	v_lshrrev_b32_e32 v2, s66, v2
	v_mul_lo_u32 v4, v2, s64
	v_mul_hi_u32 v6, s62, v2
	v_sub_u32_e32 v4, v1, v4
	v_add_u32_e32 v1, v2, v6
	v_lshrrev_b32_e32 v1, s63, v1
	v_mul_lo_u32 v8, v1, s67
	v_mul_lo_u32 v6, v4, s76
	;; [unrolled: 1-line block ×4, first 2 shown]
	v_sub_u32_e32 v2, v2, v8
	v_mul_lo_u32 v8, v2, s79
	v_mul_lo_u32 v9, v2, s74
	;; [unrolled: 1-line block ×3, first 2 shown]
	v_add3_u32 v0, v6, v0, v8
	v_add3_u32 v5, v7, v5, v9
	;; [unrolled: 1-line block ×3, first 2 shown]
	s_cbranch_scc0 .LBB23_1177
; %bb.1178:
	s_bitcmp1_b32 s72, 0
	s_cselect_b64 s[60:61], -1, 0
	s_and_b64 vcc, exec, s[60:61]
	s_cbranch_vccnz .LBB23_1183
; %bb.1179:
	s_load_dwordx2 s[60:61], s[34:35], 0x1c
	s_load_dword s64, s[34:35], 0x24
	s_load_dwordx2 s[62:63], s[34:35], 0xdc
	s_waitcnt lgkmcnt(0)
	v_mul_hi_u32 v2, s61, v1
	v_add_u32_e32 v2, v1, v2
	v_lshrrev_b32_e32 v2, s64, v2
	v_mul_lo_u32 v2, v2, s60
	s_load_dword s60, s[34:35], 0xe4
	v_sub_u32_e32 v2, v1, v2
	v_mad_u64_u32 v[0:1], s[34:35], v2, s62, v[0:1]
	v_mad_u64_u32 v[5:6], s[34:35], v2, s63, v[5:6]
	s_waitcnt lgkmcnt(0)
	v_mad_u64_u32 v[3:4], s[34:35], v2, s60, v[3:4]
	s_branch .LBB23_1183
.LBB23_1180:
	s_mov_b64 s[34:35], -1
                                        ; implicit-def: $vgpr0
                                        ; implicit-def: $vgpr5
                                        ; implicit-def: $vgpr3
	s_branch .LBB23_1184
.LBB23_1181:
	s_mov_b64 s[60:61], 0
	s_branch .LBB23_928
.LBB23_1182:
	v_mov_b32_e32 v0, 0
	s_waitcnt vmcnt(0)
	v_mov_b32_e32 v5, 0
	v_mov_b32_e32 v3, 0
.LBB23_1183:
	s_mov_b64 s[34:35], 0
.LBB23_1184:
	s_andn2_b64 vcc, exec, s[34:35]
	s_cbranch_vccnz .LBB23_1187
; %bb.1185:
	s_waitcnt lgkmcnt(0)
	v_mul_hi_u32 v0, s17, v10
	s_andn2_b64 vcc, exec, s[30:31]
	v_add_u32_e32 v0, v10, v0
	s_waitcnt vmcnt(0)
	v_lshrrev_b32_e32 v1, s18, v0
	v_mul_lo_u32 v0, v1, s16
	v_sub_u32_e32 v2, v10, v0
	v_mul_lo_u32 v0, v2, s12
	v_mul_lo_u32 v5, v2, s13
	;; [unrolled: 1-line block ×3, first 2 shown]
	s_cbranch_vccnz .LBB23_1187
; %bb.1186:
	v_mul_hi_u32 v2, s28, v1
	v_add_u32_e32 v2, v1, v2
	v_lshrrev_b32_e32 v2, s29, v2
	v_mul_lo_u32 v2, v2, s19
	v_sub_u32_e32 v2, v1, v2
	v_mad_u64_u32 v[0:1], s[12:13], v2, s15, v[0:1]
	v_mad_u64_u32 v[5:6], s[12:13], v2, s26, v[5:6]
	;; [unrolled: 1-line block ×3, first 2 shown]
.LBB23_1187:
	s_waitcnt vmcnt(0) lgkmcnt(0)
	v_mov_b32_e32 v1, s11
	s_and_b32 s73, s71, 0xff
	v_add_co_u32_e32 v4, vcc, s10, v5
	s_cmp_lt_i32 s73, 11
	v_addc_co_u32_e32 v5, vcc, 0, v1, vcc
	s_cbranch_scc1 .LBB23_1194
; %bb.1188:
	s_and_b32 s18, 0xffff, s73
	s_cmp_gt_i32 s18, 25
	s_mov_b64 s[12:13], 0
	s_cbranch_scc0 .LBB23_1195
; %bb.1189:
	s_cmp_gt_i32 s18, 28
	s_cbranch_scc0 .LBB23_1196
; %bb.1190:
	s_cmp_gt_i32 s18, 43
	;; [unrolled: 3-line block ×3, first 2 shown]
	s_cbranch_scc0 .LBB23_1198
; %bb.1192:
	s_cmp_eq_u32 s18, 46
	s_mov_b64 s[16:17], 0
	s_cbranch_scc0 .LBB23_1201
; %bb.1193:
	global_load_dword v1, v[4:5], off
	s_mov_b32 s10, 0x2f800000
	s_mov_b32 s11, 0xcf800000
	s_mov_b64 s[14:15], -1
	s_waitcnt vmcnt(0)
	v_lshlrev_b32_e32 v1, 16, v1
	v_trunc_f32_e32 v1, v1
	v_mul_f32_e64 v2, |v1|, s10
	v_floor_f32_e32 v2, v2
	v_fma_f32 v2, v2, s11, |v1|
	v_cvt_u32_f32_e32 v2, v2
	v_ashrrev_i32_e32 v1, 31, v1
	s_mov_b64 s[10:11], 0
	v_xor_b32_e32 v2, v2, v1
	v_sub_u32_e32 v1, v2, v1
	s_branch .LBB23_1202
.LBB23_1194:
	s_mov_b64 s[16:17], -1
	s_mov_b64 s[14:15], 0
	s_mov_b64 s[12:13], 0
	;; [unrolled: 1-line block ×3, first 2 shown]
                                        ; implicit-def: $vgpr1
	s_branch .LBB23_1261
.LBB23_1195:
	s_mov_b64 s[16:17], -1
	s_mov_b64 s[14:15], 0
	s_mov_b64 s[10:11], s[0:1]
                                        ; implicit-def: $vgpr1
	s_branch .LBB23_1229
.LBB23_1196:
	s_mov_b64 s[16:17], -1
	s_mov_b64 s[14:15], 0
	s_mov_b64 s[10:11], s[0:1]
                                        ; implicit-def: $vgpr1
	s_branch .LBB23_1212
.LBB23_1197:
	s_mov_b64 s[16:17], -1
	s_mov_b64 s[14:15], 0
	s_mov_b64 s[10:11], s[0:1]
                                        ; implicit-def: $vgpr1
	s_branch .LBB23_1207
.LBB23_1198:
	s_mov_b64 s[16:17], -1
	s_mov_b64 s[14:15], 0
	s_mov_b64 s[10:11], s[0:1]
                                        ; implicit-def: $vgpr1
	s_branch .LBB23_1202
.LBB23_1199:
	s_andn2_saveexec_b64 s[62:63], s[62:63]
	s_cbranch_execz .LBB23_1082
.LBB23_1200:
	v_add_f32_e32 v3, 0x46000000, v4
	v_and_b32_e32 v3, 0xff, v3
	v_cmp_ne_u32_e32 vcc, 0, v3
	s_andn2_b64 s[60:61], s[60:61], exec
	s_and_b64 s[74:75], vcc, exec
	s_or_b64 s[60:61], s[60:61], s[74:75]
	s_or_b64 exec, exec, s[62:63]
	v_mov_b32_e32 v5, 0
	s_and_saveexec_b64 s[62:63], s[60:61]
	s_cbranch_execnz .LBB23_1083
	s_branch .LBB23_1084
.LBB23_1201:
	s_mov_b64 s[10:11], -1
                                        ; implicit-def: $vgpr1
	s_mov_b64 s[14:15], 0
.LBB23_1202:
	s_and_b64 vcc, exec, s[16:17]
	s_cbranch_vccz .LBB23_1206
; %bb.1203:
	s_cmp_eq_u32 s18, 44
	s_cbranch_scc0 .LBB23_1205
; %bb.1204:
	global_load_ubyte v1, v[4:5], off
	s_mov_b32 s10, 0x2f800000
	s_mov_b32 s11, 0xcf800000
	s_mov_b64 s[14:15], -1
	s_waitcnt vmcnt(0)
	v_lshlrev_b32_e32 v2, 23, v1
	v_trunc_f32_e32 v2, v2
	v_mul_f32_e64 v6, |v2|, s10
	v_floor_f32_e32 v6, v6
	v_fma_f32 v6, v6, s11, |v2|
	v_cvt_u32_f32_e32 v6, v6
	v_ashrrev_i32_e32 v2, 31, v2
	v_cmp_ne_u32_e32 vcc, 0, v1
	s_mov_b64 s[10:11], 0
	v_xor_b32_e32 v6, v6, v2
	v_sub_u32_e32 v2, v6, v2
	v_cndmask_b32_e32 v1, 0, v2, vcc
	s_branch .LBB23_1206
.LBB23_1205:
	s_mov_b64 s[10:11], -1
                                        ; implicit-def: $vgpr1
.LBB23_1206:
	s_mov_b64 s[16:17], 0
.LBB23_1207:
	s_and_b64 vcc, exec, s[16:17]
	s_cbranch_vccz .LBB23_1211
; %bb.1208:
	s_cmp_eq_u32 s18, 29
	s_cbranch_scc0 .LBB23_1210
; %bb.1209:
	global_load_dwordx2 v[1:2], v[4:5], off
	s_mov_b64 s[10:11], 0
	s_mov_b64 s[14:15], -1
	s_branch .LBB23_1211
.LBB23_1210:
	s_mov_b64 s[10:11], -1
                                        ; implicit-def: $vgpr1
.LBB23_1211:
	s_mov_b64 s[16:17], 0
.LBB23_1212:
	s_and_b64 vcc, exec, s[16:17]
	s_cbranch_vccz .LBB23_1228
; %bb.1213:
	s_cmp_lt_i32 s18, 27
	s_cbranch_scc1 .LBB23_1216
; %bb.1214:
	s_cmp_gt_i32 s18, 27
	s_cbranch_scc0 .LBB23_1217
; %bb.1215:
	global_load_dword v1, v[4:5], off
	s_mov_b64 s[14:15], 0
	s_branch .LBB23_1218
.LBB23_1216:
	s_mov_b64 s[14:15], -1
                                        ; implicit-def: $vgpr1
	s_branch .LBB23_1221
.LBB23_1217:
	s_mov_b64 s[14:15], -1
                                        ; implicit-def: $vgpr1
.LBB23_1218:
	s_andn2_b64 vcc, exec, s[14:15]
	s_cbranch_vccnz .LBB23_1220
; %bb.1219:
	global_load_ushort v1, v[4:5], off
.LBB23_1220:
	s_mov_b64 s[14:15], 0
.LBB23_1221:
	s_andn2_b64 vcc, exec, s[14:15]
	s_cbranch_vccnz .LBB23_1227
; %bb.1222:
	global_load_ubyte v2, v[4:5], off
	s_movk_i32 s14, 0x7f
	s_mov_b64 s[16:17], 0
	s_waitcnt vmcnt(0)
	v_cmp_lt_i16_e32 vcc, s14, v2
	s_and_saveexec_b64 s[14:15], vcc
	s_xor_b64 s[14:15], exec, s[14:15]
	s_cbranch_execz .LBB23_1239
; %bb.1223:
	s_movk_i32 s16, 0x80
	v_cmp_ne_u16_e32 vcc, s16, v2
	s_and_b64 s[16:17], vcc, exec
	s_andn2_saveexec_b64 s[14:15], s[14:15]
	s_cbranch_execnz .LBB23_1240
.LBB23_1224:
	s_or_b64 exec, exec, s[14:15]
	v_mov_b32_e32 v1, 0
	s_and_saveexec_b64 s[14:15], s[16:17]
	s_cbranch_execz .LBB23_1226
.LBB23_1225:
	v_lshlrev_b32_e32 v1, 24, v2
	v_and_b32_e32 v2, 0xffff, v2
	v_and_b32_e32 v6, 7, v2
	v_ffbh_u32_e32 v8, v6
	v_min_u32_e32 v8, 32, v8
	v_subrev_u32_e32 v9, 28, v8
	v_bfe_u32 v7, v2, 3, 4
	v_lshlrev_b32_e32 v2, v9, v2
	v_sub_u32_e32 v8, 29, v8
	v_and_b32_e32 v2, 7, v2
	v_cmp_eq_u32_e32 vcc, 0, v7
	v_cndmask_b32_e32 v7, v7, v8, vcc
	v_cndmask_b32_e32 v2, v6, v2, vcc
	v_mov_b32_e32 v6, 0x3b800000
	v_lshlrev_b32_e32 v2, 20, v2
	v_and_b32_e32 v1, 0x80000000, v1
	v_lshl_add_u32 v6, v7, 23, v6
	v_or3_b32 v1, v1, v6, v2
	v_trunc_f32_e32 v1, v1
	s_mov_b32 s16, 0x2f800000
	v_mul_f32_e64 v2, |v1|, s16
	v_floor_f32_e32 v2, v2
	s_mov_b32 s16, 0xcf800000
	v_fma_f32 v2, v2, s16, |v1|
	v_cvt_u32_f32_e32 v2, v2
	v_ashrrev_i32_e32 v1, 31, v1
	v_xor_b32_e32 v2, v2, v1
	v_sub_u32_e32 v1, v2, v1
.LBB23_1226:
	s_or_b64 exec, exec, s[14:15]
.LBB23_1227:
	s_mov_b64 s[14:15], -1
.LBB23_1228:
	s_mov_b64 s[16:17], 0
.LBB23_1229:
	s_and_b64 vcc, exec, s[16:17]
	s_cbranch_vccz .LBB23_1260
; %bb.1230:
	s_cmp_gt_i32 s18, 22
	s_cbranch_scc0 .LBB23_1238
; %bb.1231:
	s_cmp_lt_i32 s18, 24
	s_cbranch_scc1 .LBB23_1241
; %bb.1232:
	s_cmp_gt_i32 s18, 24
	s_cbranch_scc0 .LBB23_1242
; %bb.1233:
	global_load_ubyte v2, v[4:5], off
	s_movk_i32 s12, 0x7f
	s_mov_b64 s[14:15], 0
	s_waitcnt vmcnt(0)
	v_cmp_lt_i16_e32 vcc, s12, v2
	s_and_saveexec_b64 s[12:13], vcc
	s_xor_b64 s[12:13], exec, s[12:13]
	s_cbranch_execz .LBB23_1254
; %bb.1234:
	s_movk_i32 s14, 0x80
	v_cmp_ne_u16_e32 vcc, s14, v2
	s_and_b64 s[14:15], vcc, exec
	s_andn2_saveexec_b64 s[12:13], s[12:13]
	s_cbranch_execnz .LBB23_1255
.LBB23_1235:
	s_or_b64 exec, exec, s[12:13]
	v_mov_b32_e32 v1, 0
	s_and_saveexec_b64 s[12:13], s[14:15]
	s_cbranch_execz .LBB23_1237
.LBB23_1236:
	v_lshlrev_b32_e32 v1, 24, v2
	v_and_b32_e32 v2, 0xffff, v2
	v_and_b32_e32 v6, 3, v2
	v_ffbh_u32_e32 v8, v6
	v_min_u32_e32 v8, 32, v8
	v_subrev_u32_e32 v9, 29, v8
	v_bfe_u32 v7, v2, 2, 5
	v_lshlrev_b32_e32 v2, v9, v2
	v_sub_u32_e32 v8, 30, v8
	v_and_b32_e32 v2, 3, v2
	v_cmp_eq_u32_e32 vcc, 0, v7
	v_cndmask_b32_e32 v7, v7, v8, vcc
	v_cndmask_b32_e32 v2, v6, v2, vcc
	v_mov_b32_e32 v6, 0x37800000
	v_lshlrev_b32_e32 v2, 21, v2
	v_and_b32_e32 v1, 0x80000000, v1
	v_lshl_add_u32 v6, v7, 23, v6
	v_or3_b32 v1, v1, v6, v2
	v_trunc_f32_e32 v1, v1
	s_mov_b32 s14, 0x2f800000
	v_mul_f32_e64 v2, |v1|, s14
	v_floor_f32_e32 v2, v2
	s_mov_b32 s14, 0xcf800000
	v_fma_f32 v2, v2, s14, |v1|
	v_cvt_u32_f32_e32 v2, v2
	v_ashrrev_i32_e32 v1, 31, v1
	v_xor_b32_e32 v2, v2, v1
	v_sub_u32_e32 v1, v2, v1
.LBB23_1237:
	s_or_b64 exec, exec, s[12:13]
	s_mov_b64 s[12:13], 0
	s_branch .LBB23_1243
.LBB23_1238:
	s_mov_b64 s[12:13], -1
                                        ; implicit-def: $vgpr1
	s_branch .LBB23_1249
.LBB23_1239:
	s_andn2_saveexec_b64 s[14:15], s[14:15]
	s_cbranch_execz .LBB23_1224
.LBB23_1240:
	v_cmp_ne_u16_e32 vcc, 0, v2
	s_andn2_b64 s[16:17], s[16:17], exec
	s_and_b64 s[26:27], vcc, exec
	s_or_b64 s[16:17], s[16:17], s[26:27]
	s_or_b64 exec, exec, s[14:15]
	v_mov_b32_e32 v1, 0
	s_and_saveexec_b64 s[14:15], s[16:17]
	s_cbranch_execnz .LBB23_1225
	s_branch .LBB23_1226
.LBB23_1241:
	s_mov_b64 s[12:13], -1
                                        ; implicit-def: $vgpr1
	s_branch .LBB23_1246
.LBB23_1242:
	s_mov_b64 s[12:13], -1
                                        ; implicit-def: $vgpr1
.LBB23_1243:
	s_and_b64 vcc, exec, s[12:13]
	s_cbranch_vccz .LBB23_1245
; %bb.1244:
	global_load_ubyte v1, v[4:5], off
	s_mov_b32 s12, 0x7f800000
	s_brev_b32 s13, 1
	s_mov_b32 s14, 0x2f800000
	s_waitcnt vmcnt(0)
	v_lshlrev_b32_e32 v1, 24, v1
	v_and_b32_e32 v2, 0x7f000000, v1
	v_ffbh_u32_e32 v6, v2
	v_min_u32_e32 v6, 32, v6
	v_sub_u32_e64 v6, v6, 4 clamp
	v_lshlrev_b32_e32 v8, v6, v2
	v_lshlrev_b32_e32 v6, 23, v6
	v_lshrrev_b32_e32 v8, 4, v8
	v_add_u32_e32 v7, 0x1000000, v2
	v_sub_u32_e32 v6, v8, v6
	v_ashrrev_i32_e32 v7, 8, v7
	v_add_u32_e32 v6, 0x3c000000, v6
	v_and_or_b32 v6, v7, s12, v6
	v_cmp_ne_u32_e32 vcc, 0, v2
	v_cndmask_b32_e32 v2, 0, v6, vcc
	v_and_or_b32 v1, v1, s13, v2
	v_trunc_f32_e32 v1, v1
	v_mul_f32_e64 v2, |v1|, s14
	v_floor_f32_e32 v2, v2
	s_mov_b32 s12, 0xcf800000
	v_fma_f32 v2, v2, s12, |v1|
	v_cvt_u32_f32_e32 v2, v2
	v_ashrrev_i32_e32 v1, 31, v1
	v_xor_b32_e32 v2, v2, v1
	v_sub_u32_e32 v1, v2, v1
.LBB23_1245:
	s_mov_b64 s[12:13], 0
.LBB23_1246:
	s_andn2_b64 vcc, exec, s[12:13]
	s_cbranch_vccnz .LBB23_1248
; %bb.1247:
	global_load_ubyte v1, v[4:5], off
	s_movk_i32 s12, 0x7f00
	s_brev_b32 s13, 16
	s_brev_b32 s14, 1
	s_mov_b32 s15, 0x2f800000
	s_waitcnt vmcnt(0)
	v_lshlrev_b16_e32 v2, 8, v1
	v_lshlrev_b32_e32 v1, 25, v1
	v_lshrrev_b32_e32 v6, 4, v1
	v_and_or_b32 v7, v2, s12, 0.5
	v_or_b32_e32 v6, 0x70000000, v6
	v_add_f32_e32 v7, -0.5, v7
	v_mul_f32_e32 v6, 0x7800000, v6
	v_cmp_gt_u32_e32 vcc, s13, v1
	v_bfe_i32 v2, v2, 0, 16
	v_cndmask_b32_e32 v1, v6, v7, vcc
	v_and_or_b32 v1, v2, s14, v1
	v_trunc_f32_e32 v1, v1
	v_mul_f32_e64 v2, |v1|, s15
	v_floor_f32_e32 v2, v2
	s_mov_b32 s12, 0xcf800000
	v_fma_f32 v2, v2, s12, |v1|
	v_cvt_u32_f32_e32 v2, v2
	v_ashrrev_i32_e32 v1, 31, v1
	v_xor_b32_e32 v2, v2, v1
	v_sub_u32_e32 v1, v2, v1
.LBB23_1248:
	s_mov_b64 s[12:13], 0
	s_mov_b64 s[14:15], -1
.LBB23_1249:
	s_andn2_b64 vcc, exec, s[12:13]
	s_mov_b64 s[12:13], 0
	s_cbranch_vccnz .LBB23_1260
; %bb.1250:
	s_cmp_gt_i32 s18, 14
	s_cbranch_scc0 .LBB23_1253
; %bb.1251:
	s_cmp_eq_u32 s18, 15
	s_cbranch_scc0 .LBB23_1256
; %bb.1252:
	global_load_ushort v1, v[4:5], off
	s_mov_b32 s10, 0x2f800000
	s_mov_b32 s11, 0xcf800000
	s_mov_b64 s[14:15], -1
	s_waitcnt vmcnt(0)
	v_lshlrev_b32_e32 v1, 16, v1
	v_trunc_f32_e32 v1, v1
	v_mul_f32_e64 v2, |v1|, s10
	v_floor_f32_e32 v2, v2
	v_fma_f32 v2, v2, s11, |v1|
	v_cvt_u32_f32_e32 v2, v2
	v_ashrrev_i32_e32 v1, 31, v1
	s_mov_b64 s[10:11], 0
	v_xor_b32_e32 v2, v2, v1
	v_sub_u32_e32 v1, v2, v1
	s_branch .LBB23_1257
.LBB23_1253:
	s_mov_b64 s[16:17], -1
                                        ; implicit-def: $vgpr1
	s_branch .LBB23_1258
.LBB23_1254:
	s_andn2_saveexec_b64 s[12:13], s[12:13]
	s_cbranch_execz .LBB23_1235
.LBB23_1255:
	v_cmp_ne_u16_e32 vcc, 0, v2
	s_andn2_b64 s[14:15], s[14:15], exec
	s_and_b64 s[16:17], vcc, exec
	s_or_b64 s[14:15], s[14:15], s[16:17]
	s_or_b64 exec, exec, s[12:13]
	v_mov_b32_e32 v1, 0
	s_and_saveexec_b64 s[12:13], s[14:15]
	s_cbranch_execnz .LBB23_1236
	s_branch .LBB23_1237
.LBB23_1256:
	s_mov_b64 s[10:11], -1
                                        ; implicit-def: $vgpr1
.LBB23_1257:
	s_mov_b64 s[16:17], 0
.LBB23_1258:
	s_and_b64 vcc, exec, s[16:17]
	s_cbranch_vccz .LBB23_1260
; %bb.1259:
	s_cmp_lg_u32 s18, 11
	s_cselect_b64 s[16:17], -1, 0
	s_andn2_b64 s[10:11], s[10:11], exec
	s_and_b64 s[16:17], s[16:17], exec
	s_mov_b64 s[12:13], -1
	s_or_b64 s[10:11], s[10:11], s[16:17]
.LBB23_1260:
	s_mov_b64 s[16:17], 0
.LBB23_1261:
	s_and_b64 s[60:61], s[12:13], exec
	s_andn2_b64 s[12:13], s[0:1], exec
	s_and_b64 s[10:11], s[10:11], exec
	s_and_b64 s[62:63], s[14:15], exec
	;; [unrolled: 1-line block ×3, first 2 shown]
	s_or_b64 s[64:65], s[12:13], s[10:11]
.LBB23_1262:
	s_or_b64 exec, exec, s[54:55]
	s_andn2_b64 s[0:1], s[0:1], exec
	s_waitcnt lgkmcnt(0)
	s_and_b64 s[10:11], s[64:65], exec
	s_and_b64 s[62:63], s[62:63], exec
	;; [unrolled: 1-line block ×4, first 2 shown]
	s_or_b64 s[0:1], s[0:1], s[10:11]
.LBB23_1263:
	s_or_b64 exec, exec, s[52:53]
	s_waitcnt lgkmcnt(0)
	s_andn2_b64 s[10:11], s[48:49], exec
	s_and_b64 s[12:13], s[58:59], exec
	s_or_b64 s[48:49], s[10:11], s[12:13]
	s_andn2_b64 s[10:11], s[46:47], exec
	s_and_b64 s[12:13], s[56:57], exec
	s_or_b64 s[46:47], s[10:11], s[12:13]
	s_andn2_b64 s[10:11], s[44:45], exec
	s_and_b64 s[0:1], s[0:1], exec
	s_and_b64 s[56:57], s[62:63], exec
	;; [unrolled: 1-line block ×4, first 2 shown]
	s_or_b64 s[44:45], s[10:11], s[0:1]
.LBB23_1264:
	s_or_b64 exec, exec, s[50:51]
	s_andn2_b64 s[0:1], s[36:37], exec
	s_waitcnt lgkmcnt(0)
	s_and_b64 s[10:11], s[48:49], exec
	s_or_b64 s[36:37], s[0:1], s[10:11]
	s_andn2_b64 s[0:1], s[38:39], exec
	s_and_b64 s[10:11], s[46:47], exec
	s_or_b64 s[38:39], s[0:1], s[10:11]
	s_andn2_b64 s[0:1], s[40:41], exec
	s_and_b64 s[10:11], s[44:45], exec
	s_and_b64 s[48:49], s[56:57], exec
	s_and_b64 s[50:51], s[54:55], exec
	s_and_b64 s[46:47], s[52:53], exec
	s_or_b64 s[40:41], s[0:1], s[10:11]
	s_or_b64 exec, exec, s[42:43]
	s_mov_b64 s[10:11], 0
	s_and_saveexec_b64 s[0:1], s[40:41]
	s_cbranch_execz .LBB23_395
.LBB23_1265:
	s_mov_b64 s[10:11], exec
	s_andn2_b64 s[46:47], s[46:47], exec
	s_trap 2
	s_or_b64 exec, exec, s[0:1]
	s_and_saveexec_b64 s[0:1], s[46:47]
	s_xor_b64 s[0:1], exec, s[0:1]
	s_cbranch_execnz .LBB23_396
.LBB23_1266:
	s_or_b64 exec, exec, s[0:1]
	s_and_saveexec_b64 s[0:1], s[50:51]
	s_cbranch_execz .LBB23_1312
.LBB23_1267:
	s_sext_i32_i16 s12, s73
	s_cmp_lt_i32 s12, 5
	s_cbranch_scc1 .LBB23_1272
; %bb.1268:
	s_cmp_lt_i32 s12, 8
	s_cbranch_scc1 .LBB23_1273
; %bb.1269:
	;; [unrolled: 3-line block ×3, first 2 shown]
	s_cmp_gt_i32 s12, 9
	s_cbranch_scc0 .LBB23_1275
; %bb.1271:
	s_waitcnt vmcnt(0)
	global_load_dwordx2 v[1:2], v[4:5], off
	s_movk_i32 s12, 0xffe0
	s_waitcnt vmcnt(0)
	v_trunc_f64_e32 v[1:2], v[1:2]
	v_ldexp_f64 v[6:7], v[1:2], s12
	s_mov_b32 s12, 0
	s_mov_b32 s13, 0xc1f00000
	v_floor_f64_e32 v[6:7], v[6:7]
	v_fma_f64 v[1:2], v[6:7], s[12:13], v[1:2]
	s_mov_b64 s[12:13], 0
	v_cvt_u32_f64_e32 v1, v[1:2]
	s_branch .LBB23_1276
.LBB23_1272:
                                        ; implicit-def: $vgpr1
	s_branch .LBB23_1293
.LBB23_1273:
                                        ; implicit-def: $vgpr1
	s_branch .LBB23_1282
.LBB23_1274:
	s_mov_b64 s[12:13], -1
                                        ; implicit-def: $vgpr1
	s_branch .LBB23_1279
.LBB23_1275:
	s_mov_b64 s[12:13], -1
                                        ; implicit-def: $vgpr1
.LBB23_1276:
	s_andn2_b64 vcc, exec, s[12:13]
	s_cbranch_vccnz .LBB23_1278
; %bb.1277:
	s_waitcnt vmcnt(0)
	global_load_dword v1, v[4:5], off
	s_mov_b32 s12, 0x2f800000
	s_waitcnt vmcnt(0)
	v_trunc_f32_e32 v1, v1
	v_mul_f32_e64 v2, |v1|, s12
	v_floor_f32_e32 v2, v2
	s_mov_b32 s12, 0xcf800000
	v_fma_f32 v2, v2, s12, |v1|
	v_cvt_u32_f32_e32 v2, v2
	v_ashrrev_i32_e32 v1, 31, v1
	v_xor_b32_e32 v2, v2, v1
	v_sub_u32_e32 v1, v2, v1
.LBB23_1278:
	s_mov_b64 s[12:13], 0
.LBB23_1279:
	s_andn2_b64 vcc, exec, s[12:13]
	s_cbranch_vccnz .LBB23_1281
; %bb.1280:
	s_waitcnt vmcnt(0)
	global_load_dword v1, v[4:5], off
	s_waitcnt vmcnt(0)
	v_cvt_f32_f16_e32 v1, v1
	v_cvt_i32_f32_e32 v1, v1
.LBB23_1281:
	s_cbranch_execnz .LBB23_1292
.LBB23_1282:
	s_sext_i32_i16 s12, s73
	s_cmp_lt_i32 s12, 6
	s_cbranch_scc1 .LBB23_1285
; %bb.1283:
	s_cmp_gt_i32 s12, 6
	s_cbranch_scc0 .LBB23_1286
; %bb.1284:
	s_waitcnt vmcnt(0)
	global_load_dwordx2 v[1:2], v[4:5], off
	s_movk_i32 s12, 0xffe0
	s_waitcnt vmcnt(0)
	v_trunc_f64_e32 v[1:2], v[1:2]
	v_ldexp_f64 v[6:7], v[1:2], s12
	s_mov_b32 s12, 0
	s_mov_b32 s13, 0xc1f00000
	v_floor_f64_e32 v[6:7], v[6:7]
	v_fma_f64 v[1:2], v[6:7], s[12:13], v[1:2]
	s_mov_b64 s[12:13], 0
	v_cvt_u32_f64_e32 v1, v[1:2]
	s_branch .LBB23_1287
.LBB23_1285:
	s_mov_b64 s[12:13], -1
                                        ; implicit-def: $vgpr1
	s_branch .LBB23_1290
.LBB23_1286:
	s_mov_b64 s[12:13], -1
                                        ; implicit-def: $vgpr1
.LBB23_1287:
	s_andn2_b64 vcc, exec, s[12:13]
	s_cbranch_vccnz .LBB23_1289
; %bb.1288:
	s_waitcnt vmcnt(0)
	global_load_dword v1, v[4:5], off
	s_mov_b32 s12, 0x2f800000
	s_waitcnt vmcnt(0)
	v_trunc_f32_e32 v1, v1
	v_mul_f32_e64 v2, |v1|, s12
	v_floor_f32_e32 v2, v2
	s_mov_b32 s12, 0xcf800000
	v_fma_f32 v2, v2, s12, |v1|
	v_cvt_u32_f32_e32 v2, v2
	v_ashrrev_i32_e32 v1, 31, v1
	v_xor_b32_e32 v2, v2, v1
	v_sub_u32_e32 v1, v2, v1
.LBB23_1289:
	s_mov_b64 s[12:13], 0
.LBB23_1290:
	s_andn2_b64 vcc, exec, s[12:13]
	s_cbranch_vccnz .LBB23_1292
; %bb.1291:
	s_waitcnt vmcnt(0)
	global_load_ushort v1, v[4:5], off
	s_waitcnt vmcnt(0)
	v_cvt_f32_f16_e32 v1, v1
	v_cvt_i32_f32_e32 v1, v1
.LBB23_1292:
	s_cbranch_execnz .LBB23_1311
.LBB23_1293:
	s_sext_i32_i16 s12, s73
	s_cmp_lt_i32 s12, 2
	s_cbranch_scc1 .LBB23_1297
; %bb.1294:
	s_cmp_lt_i32 s12, 3
	s_cbranch_scc1 .LBB23_1298
; %bb.1295:
	s_cmp_gt_i32 s12, 3
	s_cbranch_scc0 .LBB23_1299
; %bb.1296:
	s_waitcnt vmcnt(0)
	global_load_dwordx2 v[1:2], v[4:5], off
	s_mov_b64 s[12:13], 0
	s_branch .LBB23_1300
.LBB23_1297:
                                        ; implicit-def: $vgpr1
	s_branch .LBB23_1306
.LBB23_1298:
	s_mov_b64 s[12:13], -1
                                        ; implicit-def: $vgpr1
	s_branch .LBB23_1303
.LBB23_1299:
	s_mov_b64 s[12:13], -1
                                        ; implicit-def: $vgpr1
.LBB23_1300:
	s_andn2_b64 vcc, exec, s[12:13]
	s_cbranch_vccnz .LBB23_1302
; %bb.1301:
	s_waitcnt vmcnt(0)
	global_load_dword v1, v[4:5], off
.LBB23_1302:
	s_mov_b64 s[12:13], 0
.LBB23_1303:
	s_andn2_b64 vcc, exec, s[12:13]
	s_cbranch_vccnz .LBB23_1305
; %bb.1304:
	s_waitcnt vmcnt(0)
	global_load_ushort v1, v[4:5], off
.LBB23_1305:
	s_cbranch_execnz .LBB23_1311
.LBB23_1306:
	s_sext_i32_i16 s12, s73
	s_cmp_gt_i32 s12, 0
	s_cbranch_scc0 .LBB23_1308
; %bb.1307:
	s_waitcnt vmcnt(0)
	global_load_ubyte v1, v[4:5], off
	s_mov_b64 s[12:13], 0
	s_branch .LBB23_1309
.LBB23_1308:
	s_mov_b64 s[12:13], -1
                                        ; implicit-def: $vgpr1
.LBB23_1309:
	s_andn2_b64 vcc, exec, s[12:13]
	s_cbranch_vccnz .LBB23_1311
; %bb.1310:
	s_waitcnt vmcnt(0)
	global_load_ubyte v1, v[4:5], off
.LBB23_1311:
	s_or_b64 s[48:49], s[48:49], exec
.LBB23_1312:
	s_or_b64 exec, exec, s[0:1]
	s_mov_b64 s[16:17], 0
	s_mov_b64 s[18:19], 0
	;; [unrolled: 1-line block ×3, first 2 shown]
                                        ; implicit-def: $sgpr26
                                        ; implicit-def: $vgpr4_vgpr5
                                        ; implicit-def: $vgpr6
	s_and_saveexec_b64 s[0:1], s[48:49]
	s_cbranch_execz .LBB23_1320
; %bb.1313:
	s_waitcnt vmcnt(0)
	v_mov_b32_e32 v2, s25
	s_and_b32 s26, s70, 0xff
	v_add_co_u32_e32 v4, vcc, s24, v3
	s_cmp_lt_i32 s26, 11
	v_addc_co_u32_e32 v5, vcc, 0, v2, vcc
	s_cbranch_scc1 .LBB23_1323
; %bb.1314:
	s_and_b32 s24, 0xffff, s26
	s_cmp_gt_i32 s24, 25
	s_cbranch_scc0 .LBB23_1324
; %bb.1315:
	s_cmp_gt_i32 s24, 28
	s_cbranch_scc0 .LBB23_1325
; %bb.1316:
	;; [unrolled: 3-line block ×4, first 2 shown]
	s_cmp_eq_u32 s24, 46
	s_cbranch_scc0 .LBB23_1328
; %bb.1319:
	global_load_dword v2, v[4:5], off
	s_mov_b32 s12, 0x2f800000
	s_mov_b32 s13, 0xcf800000
	s_mov_b64 s[14:15], -1
	s_waitcnt vmcnt(0)
	v_lshlrev_b32_e32 v2, 16, v2
	v_trunc_f32_e32 v2, v2
	v_mul_f32_e64 v3, |v2|, s12
	v_floor_f32_e32 v3, v3
	v_fma_f32 v3, v3, s13, |v2|
	v_cvt_u32_f32_e32 v3, v3
	v_ashrrev_i32_e32 v2, 31, v2
	s_mov_b64 s[12:13], 0
	v_xor_b32_e32 v3, v3, v2
	v_sub_u32_e32 v6, v3, v2
	s_branch .LBB23_1330
.LBB23_1320:
	s_or_b64 exec, exec, s[0:1]
	s_and_saveexec_b64 s[0:1], s[38:39]
	s_cbranch_execnz .LBB23_1389
.LBB23_1321:
	s_or_b64 exec, exec, s[0:1]
	s_and_saveexec_b64 s[0:1], s[16:17]
	s_xor_b64 s[0:1], exec, s[0:1]
	s_cbranch_execz .LBB23_1390
.LBB23_1322:
	s_waitcnt vmcnt(0)
	global_load_ubyte v2, v[4:5], off
	s_or_b64 s[14:15], s[14:15], exec
	s_waitcnt vmcnt(0)
	v_cmp_ne_u16_e32 vcc, 0, v2
	v_cndmask_b32_e64 v6, 0, 1, vcc
	s_or_b64 exec, exec, s[0:1]
	s_and_saveexec_b64 s[0:1], s[18:19]
	s_cbranch_execz .LBB23_1436
	s_branch .LBB23_1391
.LBB23_1323:
	s_mov_b64 s[18:19], -1
                                        ; implicit-def: $vgpr6
	s_mov_b64 s[12:13], s[38:39]
	s_branch .LBB23_1388
.LBB23_1324:
	s_mov_b64 s[12:13], s[38:39]
                                        ; implicit-def: $vgpr6
	s_cbranch_execnz .LBB23_1357
	s_branch .LBB23_1387
.LBB23_1325:
	s_mov_b64 s[18:19], -1
	s_mov_b64 s[12:13], s[38:39]
                                        ; implicit-def: $vgpr6
	s_branch .LBB23_1340
.LBB23_1326:
	s_mov_b64 s[18:19], -1
	s_mov_b64 s[12:13], s[38:39]
                                        ; implicit-def: $vgpr6
	s_branch .LBB23_1335
.LBB23_1327:
	s_mov_b64 s[18:19], -1
	s_mov_b64 s[12:13], s[38:39]
	s_branch .LBB23_1329
.LBB23_1328:
	s_mov_b64 s[12:13], -1
.LBB23_1329:
                                        ; implicit-def: $vgpr6
.LBB23_1330:
	s_and_b64 vcc, exec, s[18:19]
	s_cbranch_vccz .LBB23_1334
; %bb.1331:
	s_cmp_eq_u32 s24, 44
	s_cbranch_scc0 .LBB23_1333
; %bb.1332:
	global_load_ubyte v2, v[4:5], off
	s_mov_b32 s12, 0x2f800000
	s_mov_b32 s13, 0xcf800000
	s_mov_b64 s[14:15], -1
	s_waitcnt vmcnt(0)
	v_lshlrev_b32_e32 v3, 23, v2
	v_trunc_f32_e32 v3, v3
	v_mul_f32_e64 v6, |v3|, s12
	v_floor_f32_e32 v6, v6
	v_fma_f32 v6, v6, s13, |v3|
	v_cvt_u32_f32_e32 v6, v6
	v_ashrrev_i32_e32 v3, 31, v3
	v_cmp_ne_u32_e32 vcc, 0, v2
	s_mov_b64 s[12:13], 0
	v_xor_b32_e32 v6, v6, v3
	v_sub_u32_e32 v3, v6, v3
	v_cndmask_b32_e32 v6, 0, v3, vcc
	s_branch .LBB23_1334
.LBB23_1333:
	s_mov_b64 s[12:13], -1
                                        ; implicit-def: $vgpr6
.LBB23_1334:
	s_mov_b64 s[18:19], 0
.LBB23_1335:
	s_and_b64 vcc, exec, s[18:19]
	s_cbranch_vccz .LBB23_1339
; %bb.1336:
	s_cmp_eq_u32 s24, 29
	s_cbranch_scc0 .LBB23_1338
; %bb.1337:
	global_load_dwordx2 v[6:7], v[4:5], off
	s_mov_b64 s[12:13], 0
	s_mov_b64 s[14:15], -1
	s_branch .LBB23_1339
.LBB23_1338:
	s_mov_b64 s[12:13], -1
                                        ; implicit-def: $vgpr6
.LBB23_1339:
	s_mov_b64 s[18:19], 0
.LBB23_1340:
	s_and_b64 vcc, exec, s[18:19]
	s_cbranch_vccz .LBB23_1356
; %bb.1341:
	s_cmp_lt_i32 s24, 27
	s_cbranch_scc1 .LBB23_1344
; %bb.1342:
	s_cmp_gt_i32 s24, 27
	s_cbranch_scc0 .LBB23_1345
; %bb.1343:
	global_load_dword v6, v[4:5], off
	s_mov_b64 s[14:15], 0
	s_branch .LBB23_1346
.LBB23_1344:
	s_mov_b64 s[14:15], -1
                                        ; implicit-def: $vgpr6
	s_branch .LBB23_1349
.LBB23_1345:
	s_mov_b64 s[14:15], -1
                                        ; implicit-def: $vgpr6
.LBB23_1346:
	s_andn2_b64 vcc, exec, s[14:15]
	s_cbranch_vccnz .LBB23_1348
; %bb.1347:
	global_load_ushort v6, v[4:5], off
.LBB23_1348:
	s_mov_b64 s[14:15], 0
.LBB23_1349:
	s_andn2_b64 vcc, exec, s[14:15]
	s_cbranch_vccnz .LBB23_1355
; %bb.1350:
	global_load_ubyte v2, v[4:5], off
	s_movk_i32 s14, 0x7f
	s_mov_b64 s[18:19], 0
	s_waitcnt vmcnt(0)
	v_cmp_lt_i16_e32 vcc, s14, v2
	s_and_saveexec_b64 s[14:15], vcc
	s_xor_b64 s[14:15], exec, s[14:15]
	s_cbranch_execz .LBB23_1366
; %bb.1351:
	s_movk_i32 s18, 0x80
	v_cmp_ne_u16_e32 vcc, s18, v2
	s_and_b64 s[18:19], vcc, exec
	s_andn2_saveexec_b64 s[14:15], s[14:15]
	s_cbranch_execnz .LBB23_1367
.LBB23_1352:
	s_or_b64 exec, exec, s[14:15]
	v_mov_b32_e32 v6, 0
	s_and_saveexec_b64 s[14:15], s[18:19]
	s_cbranch_execz .LBB23_1354
.LBB23_1353:
	v_lshlrev_b32_e32 v3, 24, v2
	v_and_b32_e32 v2, 0xffff, v2
	v_and_b32_e32 v6, 7, v2
	v_ffbh_u32_e32 v8, v6
	v_min_u32_e32 v8, 32, v8
	v_subrev_u32_e32 v9, 28, v8
	v_bfe_u32 v7, v2, 3, 4
	v_lshlrev_b32_e32 v2, v9, v2
	v_sub_u32_e32 v8, 29, v8
	v_and_b32_e32 v2, 7, v2
	v_cmp_eq_u32_e32 vcc, 0, v7
	v_cndmask_b32_e32 v7, v7, v8, vcc
	v_cndmask_b32_e32 v2, v6, v2, vcc
	v_mov_b32_e32 v6, 0x3b800000
	v_lshlrev_b32_e32 v2, 20, v2
	v_and_b32_e32 v3, 0x80000000, v3
	v_lshl_add_u32 v6, v7, 23, v6
	v_or3_b32 v2, v3, v6, v2
	v_trunc_f32_e32 v2, v2
	s_mov_b32 s18, 0x2f800000
	v_mul_f32_e64 v3, |v2|, s18
	v_floor_f32_e32 v3, v3
	s_mov_b32 s18, 0xcf800000
	v_fma_f32 v3, v3, s18, |v2|
	v_cvt_u32_f32_e32 v3, v3
	v_ashrrev_i32_e32 v2, 31, v2
	v_xor_b32_e32 v3, v3, v2
	v_sub_u32_e32 v6, v3, v2
.LBB23_1354:
	s_or_b64 exec, exec, s[14:15]
.LBB23_1355:
	s_mov_b64 s[14:15], -1
.LBB23_1356:
	s_branch .LBB23_1387
.LBB23_1357:
	s_cmp_gt_i32 s24, 22
	s_cbranch_scc0 .LBB23_1365
; %bb.1358:
	s_cmp_lt_i32 s24, 24
	s_cbranch_scc1 .LBB23_1368
; %bb.1359:
	s_cmp_gt_i32 s24, 24
	s_cbranch_scc0 .LBB23_1369
; %bb.1360:
	global_load_ubyte v2, v[4:5], off
	s_movk_i32 s14, 0x7f
	s_waitcnt vmcnt(0)
	v_cmp_lt_i16_e32 vcc, s14, v2
	s_and_saveexec_b64 s[14:15], vcc
	s_xor_b64 s[14:15], exec, s[14:15]
	s_cbranch_execz .LBB23_1381
; %bb.1361:
	s_movk_i32 s16, 0x80
	v_cmp_ne_u16_e32 vcc, s16, v2
	s_and_b64 s[16:17], vcc, exec
	s_andn2_saveexec_b64 s[14:15], s[14:15]
	s_cbranch_execnz .LBB23_1382
.LBB23_1362:
	s_or_b64 exec, exec, s[14:15]
	v_mov_b32_e32 v6, 0
	s_and_saveexec_b64 s[14:15], s[16:17]
	s_cbranch_execz .LBB23_1364
.LBB23_1363:
	v_lshlrev_b32_e32 v3, 24, v2
	v_and_b32_e32 v2, 0xffff, v2
	v_and_b32_e32 v6, 3, v2
	v_ffbh_u32_e32 v8, v6
	v_min_u32_e32 v8, 32, v8
	v_subrev_u32_e32 v9, 29, v8
	v_bfe_u32 v7, v2, 2, 5
	v_lshlrev_b32_e32 v2, v9, v2
	v_sub_u32_e32 v8, 30, v8
	v_and_b32_e32 v2, 3, v2
	v_cmp_eq_u32_e32 vcc, 0, v7
	v_cndmask_b32_e32 v7, v7, v8, vcc
	v_cndmask_b32_e32 v2, v6, v2, vcc
	v_mov_b32_e32 v6, 0x37800000
	v_lshlrev_b32_e32 v2, 21, v2
	v_and_b32_e32 v3, 0x80000000, v3
	v_lshl_add_u32 v6, v7, 23, v6
	v_or3_b32 v2, v3, v6, v2
	v_trunc_f32_e32 v2, v2
	s_mov_b32 s16, 0x2f800000
	v_mul_f32_e64 v3, |v2|, s16
	v_floor_f32_e32 v3, v3
	s_mov_b32 s16, 0xcf800000
	v_fma_f32 v3, v3, s16, |v2|
	v_cvt_u32_f32_e32 v3, v3
	v_ashrrev_i32_e32 v2, 31, v2
	v_xor_b32_e32 v3, v3, v2
	v_sub_u32_e32 v6, v3, v2
.LBB23_1364:
	s_or_b64 exec, exec, s[14:15]
	s_mov_b64 s[14:15], 0
	s_branch .LBB23_1370
.LBB23_1365:
	s_mov_b64 s[16:17], -1
                                        ; implicit-def: $vgpr6
	s_branch .LBB23_1376
.LBB23_1366:
	s_andn2_saveexec_b64 s[14:15], s[14:15]
	s_cbranch_execz .LBB23_1352
.LBB23_1367:
	v_cmp_ne_u16_e32 vcc, 0, v2
	s_andn2_b64 s[18:19], s[18:19], exec
	s_and_b64 s[28:29], vcc, exec
	s_or_b64 s[18:19], s[18:19], s[28:29]
	s_or_b64 exec, exec, s[14:15]
	v_mov_b32_e32 v6, 0
	s_and_saveexec_b64 s[14:15], s[18:19]
	s_cbranch_execnz .LBB23_1353
	s_branch .LBB23_1354
.LBB23_1368:
	s_mov_b64 s[14:15], -1
                                        ; implicit-def: $vgpr6
	s_branch .LBB23_1373
.LBB23_1369:
	s_mov_b64 s[14:15], -1
                                        ; implicit-def: $vgpr6
.LBB23_1370:
	s_and_b64 vcc, exec, s[14:15]
	s_cbranch_vccz .LBB23_1372
; %bb.1371:
	global_load_ubyte v2, v[4:5], off
	s_mov_b32 s14, 0x7f800000
	s_brev_b32 s15, 1
	s_mov_b32 s16, 0x2f800000
	s_waitcnt vmcnt(0)
	v_lshlrev_b32_e32 v2, 24, v2
	v_and_b32_e32 v3, 0x7f000000, v2
	v_ffbh_u32_e32 v6, v3
	v_min_u32_e32 v6, 32, v6
	v_sub_u32_e64 v6, v6, 4 clamp
	v_lshlrev_b32_e32 v8, v6, v3
	v_lshlrev_b32_e32 v6, 23, v6
	v_lshrrev_b32_e32 v8, 4, v8
	v_add_u32_e32 v7, 0x1000000, v3
	v_sub_u32_e32 v6, v8, v6
	v_ashrrev_i32_e32 v7, 8, v7
	v_add_u32_e32 v6, 0x3c000000, v6
	v_and_or_b32 v6, v7, s14, v6
	v_cmp_ne_u32_e32 vcc, 0, v3
	v_cndmask_b32_e32 v3, 0, v6, vcc
	v_and_or_b32 v2, v2, s15, v3
	v_trunc_f32_e32 v2, v2
	v_mul_f32_e64 v3, |v2|, s16
	v_floor_f32_e32 v3, v3
	s_mov_b32 s14, 0xcf800000
	v_fma_f32 v3, v3, s14, |v2|
	v_cvt_u32_f32_e32 v3, v3
	v_ashrrev_i32_e32 v2, 31, v2
	v_xor_b32_e32 v3, v3, v2
	v_sub_u32_e32 v6, v3, v2
.LBB23_1372:
	s_mov_b64 s[14:15], 0
.LBB23_1373:
	s_andn2_b64 vcc, exec, s[14:15]
	s_cbranch_vccnz .LBB23_1375
; %bb.1374:
	global_load_ubyte v2, v[4:5], off
	s_movk_i32 s14, 0x7f00
	s_brev_b32 s15, 16
	s_brev_b32 s16, 1
	s_mov_b32 s17, 0x2f800000
	s_waitcnt vmcnt(0)
	v_lshlrev_b16_e32 v3, 8, v2
	v_lshlrev_b32_e32 v2, 25, v2
	v_lshrrev_b32_e32 v6, 4, v2
	v_and_or_b32 v7, v3, s14, 0.5
	v_or_b32_e32 v6, 0x70000000, v6
	v_add_f32_e32 v7, -0.5, v7
	v_mul_f32_e32 v6, 0x7800000, v6
	v_cmp_gt_u32_e32 vcc, s15, v2
	v_bfe_i32 v3, v3, 0, 16
	v_cndmask_b32_e32 v2, v6, v7, vcc
	v_and_or_b32 v2, v3, s16, v2
	v_trunc_f32_e32 v2, v2
	v_mul_f32_e64 v3, |v2|, s17
	v_floor_f32_e32 v3, v3
	s_mov_b32 s14, 0xcf800000
	v_fma_f32 v3, v3, s14, |v2|
	v_cvt_u32_f32_e32 v3, v3
	v_ashrrev_i32_e32 v2, 31, v2
	v_xor_b32_e32 v3, v3, v2
	v_sub_u32_e32 v6, v3, v2
.LBB23_1375:
	s_mov_b64 s[16:17], 0
	s_mov_b64 s[14:15], -1
.LBB23_1376:
	s_andn2_b64 vcc, exec, s[16:17]
	s_mov_b64 s[16:17], 0
	s_cbranch_vccnz .LBB23_1387
; %bb.1377:
	s_cmp_gt_i32 s24, 14
	s_cbranch_scc0 .LBB23_1380
; %bb.1378:
	s_cmp_eq_u32 s24, 15
	s_cbranch_scc0 .LBB23_1383
; %bb.1379:
	global_load_ushort v2, v[4:5], off
	s_mov_b32 s12, 0x2f800000
	s_mov_b32 s13, 0xcf800000
	s_mov_b64 s[14:15], -1
	s_waitcnt vmcnt(0)
	v_lshlrev_b32_e32 v2, 16, v2
	v_trunc_f32_e32 v2, v2
	v_mul_f32_e64 v3, |v2|, s12
	v_floor_f32_e32 v3, v3
	v_fma_f32 v3, v3, s13, |v2|
	v_cvt_u32_f32_e32 v3, v3
	v_ashrrev_i32_e32 v2, 31, v2
	s_mov_b64 s[12:13], 0
	v_xor_b32_e32 v3, v3, v2
	v_sub_u32_e32 v6, v3, v2
	s_branch .LBB23_1384
.LBB23_1380:
	s_mov_b64 s[18:19], -1
                                        ; implicit-def: $vgpr6
	s_branch .LBB23_1385
.LBB23_1381:
	s_andn2_saveexec_b64 s[14:15], s[14:15]
	s_cbranch_execz .LBB23_1362
.LBB23_1382:
	v_cmp_ne_u16_e32 vcc, 0, v2
	s_andn2_b64 s[16:17], s[16:17], exec
	s_and_b64 s[18:19], vcc, exec
	s_or_b64 s[16:17], s[16:17], s[18:19]
	s_or_b64 exec, exec, s[14:15]
	v_mov_b32_e32 v6, 0
	s_and_saveexec_b64 s[14:15], s[16:17]
	s_cbranch_execnz .LBB23_1363
	s_branch .LBB23_1364
.LBB23_1383:
	s_mov_b64 s[12:13], -1
                                        ; implicit-def: $vgpr6
.LBB23_1384:
	s_mov_b64 s[18:19], 0
.LBB23_1385:
	s_and_b64 vcc, exec, s[18:19]
	s_cbranch_vccz .LBB23_1387
; %bb.1386:
	s_cmp_lg_u32 s24, 11
	s_cselect_b64 s[18:19], -1, 0
	s_andn2_b64 s[12:13], s[12:13], exec
	s_and_b64 s[18:19], s[18:19], exec
	s_mov_b64 s[16:17], -1
	s_or_b64 s[12:13], s[12:13], s[18:19]
.LBB23_1387:
	s_mov_b64 s[18:19], 0
.LBB23_1388:
	s_andn2_b64 s[24:25], s[38:39], exec
	s_and_b64 s[12:13], s[12:13], exec
	s_and_b64 s[14:15], s[14:15], exec
	;; [unrolled: 1-line block ×4, first 2 shown]
	s_or_b64 s[38:39], s[24:25], s[12:13]
	s_or_b64 exec, exec, s[0:1]
	s_and_saveexec_b64 s[0:1], s[38:39]
	s_cbranch_execz .LBB23_1321
.LBB23_1389:
	s_or_b64 s[10:11], s[10:11], exec
	s_andn2_b64 s[16:17], s[16:17], exec
	s_trap 2
	s_or_b64 exec, exec, s[0:1]
	s_and_saveexec_b64 s[0:1], s[16:17]
	s_xor_b64 s[0:1], exec, s[0:1]
	s_cbranch_execnz .LBB23_1322
.LBB23_1390:
	s_or_b64 exec, exec, s[0:1]
	s_and_saveexec_b64 s[0:1], s[18:19]
	s_cbranch_execz .LBB23_1436
.LBB23_1391:
	s_sext_i32_i16 s12, s26
	s_cmp_lt_i32 s12, 5
	s_cbranch_scc1 .LBB23_1396
; %bb.1392:
	s_cmp_lt_i32 s12, 8
	s_cbranch_scc1 .LBB23_1397
; %bb.1393:
	;; [unrolled: 3-line block ×3, first 2 shown]
	s_cmp_gt_i32 s12, 9
	s_cbranch_scc0 .LBB23_1399
; %bb.1395:
	s_waitcnt vmcnt(0)
	global_load_dwordx2 v[2:3], v[4:5], off
	s_movk_i32 s12, 0xffe0
	s_waitcnt vmcnt(0)
	v_trunc_f64_e32 v[2:3], v[2:3]
	v_ldexp_f64 v[6:7], v[2:3], s12
	s_mov_b32 s12, 0
	s_mov_b32 s13, 0xc1f00000
	v_floor_f64_e32 v[6:7], v[6:7]
	v_fma_f64 v[2:3], v[6:7], s[12:13], v[2:3]
	s_mov_b64 s[12:13], 0
	v_cvt_u32_f64_e32 v6, v[2:3]
	s_branch .LBB23_1400
.LBB23_1396:
                                        ; implicit-def: $vgpr6
	s_branch .LBB23_1417
.LBB23_1397:
                                        ; implicit-def: $vgpr6
	s_branch .LBB23_1406
.LBB23_1398:
	s_mov_b64 s[12:13], -1
                                        ; implicit-def: $vgpr6
	s_branch .LBB23_1403
.LBB23_1399:
	s_mov_b64 s[12:13], -1
                                        ; implicit-def: $vgpr6
.LBB23_1400:
	s_andn2_b64 vcc, exec, s[12:13]
	s_cbranch_vccnz .LBB23_1402
; %bb.1401:
	s_waitcnt vmcnt(0)
	global_load_dword v2, v[4:5], off
	s_mov_b32 s12, 0x2f800000
	s_waitcnt vmcnt(0)
	v_trunc_f32_e32 v2, v2
	v_mul_f32_e64 v3, |v2|, s12
	v_floor_f32_e32 v3, v3
	s_mov_b32 s12, 0xcf800000
	v_fma_f32 v3, v3, s12, |v2|
	v_cvt_u32_f32_e32 v3, v3
	v_ashrrev_i32_e32 v2, 31, v2
	v_xor_b32_e32 v3, v3, v2
	v_sub_u32_e32 v6, v3, v2
.LBB23_1402:
	s_mov_b64 s[12:13], 0
.LBB23_1403:
	s_andn2_b64 vcc, exec, s[12:13]
	s_cbranch_vccnz .LBB23_1405
; %bb.1404:
	s_waitcnt vmcnt(0)
	global_load_dword v2, v[4:5], off
	s_waitcnt vmcnt(0)
	v_cvt_f32_f16_e32 v2, v2
	v_cvt_i32_f32_e32 v6, v2
.LBB23_1405:
	s_cbranch_execnz .LBB23_1416
.LBB23_1406:
	s_sext_i32_i16 s12, s26
	s_cmp_lt_i32 s12, 6
	s_cbranch_scc1 .LBB23_1409
; %bb.1407:
	s_cmp_gt_i32 s12, 6
	s_cbranch_scc0 .LBB23_1410
; %bb.1408:
	s_waitcnt vmcnt(0)
	global_load_dwordx2 v[2:3], v[4:5], off
	s_movk_i32 s12, 0xffe0
	s_waitcnt vmcnt(0)
	v_trunc_f64_e32 v[2:3], v[2:3]
	v_ldexp_f64 v[6:7], v[2:3], s12
	s_mov_b32 s12, 0
	s_mov_b32 s13, 0xc1f00000
	v_floor_f64_e32 v[6:7], v[6:7]
	v_fma_f64 v[2:3], v[6:7], s[12:13], v[2:3]
	s_mov_b64 s[12:13], 0
	v_cvt_u32_f64_e32 v6, v[2:3]
	s_branch .LBB23_1411
.LBB23_1409:
	s_mov_b64 s[12:13], -1
                                        ; implicit-def: $vgpr6
	s_branch .LBB23_1414
.LBB23_1410:
	s_mov_b64 s[12:13], -1
                                        ; implicit-def: $vgpr6
.LBB23_1411:
	s_andn2_b64 vcc, exec, s[12:13]
	s_cbranch_vccnz .LBB23_1413
; %bb.1412:
	s_waitcnt vmcnt(0)
	global_load_dword v2, v[4:5], off
	s_mov_b32 s12, 0x2f800000
	s_waitcnt vmcnt(0)
	v_trunc_f32_e32 v2, v2
	v_mul_f32_e64 v3, |v2|, s12
	v_floor_f32_e32 v3, v3
	s_mov_b32 s12, 0xcf800000
	v_fma_f32 v3, v3, s12, |v2|
	v_cvt_u32_f32_e32 v3, v3
	v_ashrrev_i32_e32 v2, 31, v2
	v_xor_b32_e32 v3, v3, v2
	v_sub_u32_e32 v6, v3, v2
.LBB23_1413:
	s_mov_b64 s[12:13], 0
.LBB23_1414:
	s_andn2_b64 vcc, exec, s[12:13]
	s_cbranch_vccnz .LBB23_1416
; %bb.1415:
	s_waitcnt vmcnt(0)
	global_load_ushort v2, v[4:5], off
	s_waitcnt vmcnt(0)
	v_cvt_f32_f16_e32 v2, v2
	v_cvt_i32_f32_e32 v6, v2
.LBB23_1416:
	s_cbranch_execnz .LBB23_1435
.LBB23_1417:
	s_sext_i32_i16 s12, s26
	s_cmp_lt_i32 s12, 2
	s_cbranch_scc1 .LBB23_1421
; %bb.1418:
	s_cmp_lt_i32 s12, 3
	s_cbranch_scc1 .LBB23_1422
; %bb.1419:
	s_cmp_gt_i32 s12, 3
	s_cbranch_scc0 .LBB23_1423
; %bb.1420:
	s_waitcnt vmcnt(0)
	global_load_dwordx2 v[6:7], v[4:5], off
	s_mov_b64 s[12:13], 0
	s_branch .LBB23_1424
.LBB23_1421:
                                        ; implicit-def: $vgpr6
	s_branch .LBB23_1430
.LBB23_1422:
	s_mov_b64 s[12:13], -1
                                        ; implicit-def: $vgpr6
	s_branch .LBB23_1427
.LBB23_1423:
	s_mov_b64 s[12:13], -1
                                        ; implicit-def: $vgpr6
.LBB23_1424:
	s_andn2_b64 vcc, exec, s[12:13]
	s_cbranch_vccnz .LBB23_1426
; %bb.1425:
	s_waitcnt vmcnt(0)
	global_load_dword v6, v[4:5], off
.LBB23_1426:
	s_mov_b64 s[12:13], 0
.LBB23_1427:
	s_andn2_b64 vcc, exec, s[12:13]
	s_cbranch_vccnz .LBB23_1429
; %bb.1428:
	s_waitcnt vmcnt(0)
	global_load_ushort v6, v[4:5], off
.LBB23_1429:
	s_cbranch_execnz .LBB23_1435
.LBB23_1430:
	s_sext_i32_i16 s12, s26
	s_cmp_gt_i32 s12, 0
	s_cbranch_scc0 .LBB23_1432
; %bb.1431:
	s_waitcnt vmcnt(0)
	global_load_ubyte v6, v[4:5], off
	s_mov_b64 s[12:13], 0
	s_branch .LBB23_1433
.LBB23_1432:
	s_mov_b64 s[12:13], -1
                                        ; implicit-def: $vgpr6
.LBB23_1433:
	s_andn2_b64 vcc, exec, s[12:13]
	s_cbranch_vccnz .LBB23_1435
; %bb.1434:
	s_waitcnt vmcnt(0)
	global_load_ubyte v6, v[4:5], off
.LBB23_1435:
	s_or_b64 s[14:15], s[14:15], exec
.LBB23_1436:
	s_or_b64 exec, exec, s[0:1]
	s_mov_b64 s[18:19], 0
	s_mov_b64 s[16:17], 0
                                        ; implicit-def: $sgpr24
                                        ; implicit-def: $vgpr2_vgpr3
                                        ; implicit-def: $vgpr4
	s_and_saveexec_b64 s[12:13], s[14:15]
	s_cbranch_execz .LBB23_1511
; %bb.1437:
	s_waitcnt vmcnt(0)
	v_mov_b32_e32 v2, 8
	v_lshlrev_b32_e32 v1, v6, v1
	v_cmp_lt_u16_sdwa vcc, v6, v2 src0_sel:BYTE_0 src1_sel:DWORD
	v_cndmask_b32_e32 v4, 0, v1, vcc
	v_mov_b32_e32 v1, s9
	s_and_b32 s24, s69, 0xff
	v_add_co_u32_e32 v2, vcc, s8, v0
	s_cmp_lt_i32 s24, 11
	v_addc_co_u32_e32 v3, vcc, 0, v1, vcc
	s_cbranch_scc1 .LBB23_1514
; %bb.1438:
	s_and_b32 s25, 0xffff, s24
	s_mov_b64 s[14:15], -1
	s_cmp_gt_i32 s25, 25
	s_mov_b64 s[0:1], s[36:37]
	s_cbranch_scc0 .LBB23_1471
; %bb.1439:
	s_mov_b64 s[8:9], -1
	s_cmp_gt_i32 s25, 28
	s_mov_b64 s[0:1], s[36:37]
	s_cbranch_scc0 .LBB23_1455
; %bb.1440:
	s_cmp_gt_i32 s25, 43
	s_mov_b64 s[0:1], s[36:37]
	s_cbranch_scc0 .LBB23_1451
; %bb.1441:
	;; [unrolled: 4-line block ×3, first 2 shown]
	s_cmp_eq_u32 s25, 46
	s_mov_b64 s[0:1], -1
	s_cbranch_scc0 .LBB23_1444
; %bb.1443:
	v_cvt_f32_ubyte0_e32 v0, v4
	v_bfe_u32 v1, v0, 16, 1
	s_movk_i32 s0, 0x7fff
	v_add3_u32 v0, v0, v1, s0
	v_lshrrev_b32_e32 v0, 16, v0
	global_store_dword v[2:3], v0, off
	s_mov_b64 s[0:1], 0
.LBB23_1444:
	s_mov_b64 s[8:9], 0
.LBB23_1445:
	s_and_b64 vcc, exec, s[8:9]
	s_cbranch_vccz .LBB23_1450
; %bb.1446:
	s_cmp_eq_u32 s25, 44
	s_mov_b64 s[0:1], -1
	s_cbranch_scc0 .LBB23_1450
; %bb.1447:
	v_cvt_f32_ubyte0_e32 v1, v4
	v_lshrrev_b32_e32 v0, 23, v1
	s_movk_i32 s0, 0xff
	v_cmp_ne_u32_e32 vcc, s0, v0
	v_mov_b32_e32 v5, 0xff
	s_and_saveexec_b64 s[8:9], vcc
; %bb.1448:
	s_mov_b32 s0, 0x3fffff
	v_and_b32_e32 v5, 0x400000, v1
	v_and_or_b32 v1, v1, s0, v0
	v_cmp_ne_u32_e32 vcc, 0, v5
	v_cmp_ne_u32_e64 s[0:1], 0, v1
	s_and_b64 s[0:1], vcc, s[0:1]
	v_cndmask_b32_e64 v1, 0, 1, s[0:1]
	v_add_u32_e32 v5, v0, v1
; %bb.1449:
	s_or_b64 exec, exec, s[8:9]
	s_mov_b64 s[0:1], 0
	global_store_byte v[2:3], v5, off
.LBB23_1450:
	s_mov_b64 s[8:9], 0
.LBB23_1451:
	s_and_b64 vcc, exec, s[8:9]
	s_cbranch_vccz .LBB23_1454
; %bb.1452:
	s_cmp_eq_u32 s25, 29
	s_mov_b64 s[0:1], -1
	s_cbranch_scc0 .LBB23_1454
; %bb.1453:
	v_and_b32_e32 v0, 0xff, v4
	v_mov_b32_e32 v1, 0
	global_store_dwordx2 v[2:3], v[0:1], off
	s_mov_b64 s[0:1], 0
.LBB23_1454:
	s_mov_b64 s[8:9], 0
.LBB23_1455:
	s_and_b64 vcc, exec, s[8:9]
	s_cbranch_vccz .LBB23_1470
; %bb.1456:
	s_cmp_lt_i32 s25, 27
	s_mov_b64 s[8:9], -1
	s_cbranch_scc1 .LBB23_1462
; %bb.1457:
	s_cmp_gt_i32 s25, 27
	s_cbranch_scc0 .LBB23_1459
; %bb.1458:
	v_and_b32_e32 v0, 0xff, v4
	s_mov_b64 s[8:9], 0
	global_store_dword v[2:3], v0, off
.LBB23_1459:
	s_andn2_b64 vcc, exec, s[8:9]
	s_cbranch_vccnz .LBB23_1461
; %bb.1460:
	v_and_b32_e32 v0, 0xff, v4
	global_store_short v[2:3], v0, off
.LBB23_1461:
	s_mov_b64 s[8:9], 0
.LBB23_1462:
	s_andn2_b64 vcc, exec, s[8:9]
	s_cbranch_vccnz .LBB23_1470
; %bb.1463:
	v_cvt_f32_ubyte0_e32 v1, v4
	s_mov_b32 s8, 0x43800000
	v_cmp_gt_u32_e32 vcc, s8, v1
	v_mov_b32_e32 v5, 0x80
	s_and_saveexec_b64 s[8:9], vcc
	s_cbranch_execz .LBB23_1469
; %bb.1464:
	s_mov_b32 s14, 0x3bffffff
	v_cmp_lt_u32_e32 vcc, s14, v1
	s_mov_b64 s[14:15], 0
                                        ; implicit-def: $vgpr0
	s_and_saveexec_b64 s[16:17], vcc
	s_xor_b64 s[16:17], exec, s[16:17]
	s_cbranch_execz .LBB23_1615
; %bb.1465:
	v_bfe_u32 v0, v1, 20, 1
	s_mov_b32 s18, 0x487ffff
	v_add3_u32 v0, v1, v0, s18
	s_mov_b64 s[14:15], exec
	v_lshrrev_b32_e32 v0, 20, v0
                                        ; implicit-def: $vgpr1
	s_andn2_saveexec_b64 s[16:17], s[16:17]
	s_cbranch_execnz .LBB23_1616
.LBB23_1466:
	s_or_b64 exec, exec, s[16:17]
	v_mov_b32_e32 v5, 0
	s_and_saveexec_b64 s[16:17], s[14:15]
.LBB23_1467:
	v_mov_b32_e32 v5, v0
.LBB23_1468:
	s_or_b64 exec, exec, s[16:17]
.LBB23_1469:
	s_or_b64 exec, exec, s[8:9]
	global_store_byte v[2:3], v5, off
.LBB23_1470:
	s_mov_b64 s[14:15], 0
.LBB23_1471:
	s_mov_b64 s[8:9], 0
	s_and_b64 vcc, exec, s[14:15]
	s_cbranch_vccz .LBB23_1515
; %bb.1472:
	s_cmp_gt_i32 s25, 22
	s_mov_b64 s[14:15], -1
	s_cbranch_scc0 .LBB23_1504
; %bb.1473:
	s_cmp_lt_i32 s25, 24
	s_cbranch_scc1 .LBB23_1493
; %bb.1474:
	s_cmp_gt_i32 s25, 24
	s_cbranch_scc0 .LBB23_1482
; %bb.1475:
	v_cvt_f32_ubyte0_e32 v1, v4
	s_mov_b32 s14, 0x47800000
	v_cmp_gt_u32_e32 vcc, s14, v1
	v_mov_b32_e32 v5, 0x80
	s_and_saveexec_b64 s[14:15], vcc
	s_cbranch_execz .LBB23_1481
; %bb.1476:
	s_mov_b32 s16, 0x37ffffff
	v_cmp_lt_u32_e32 vcc, s16, v1
	s_mov_b64 s[16:17], 0
                                        ; implicit-def: $vgpr0
	s_and_saveexec_b64 s[18:19], vcc
	s_xor_b64 s[18:19], exec, s[18:19]
	s_cbranch_execz .LBB23_1735
; %bb.1477:
	v_bfe_u32 v0, v1, 21, 1
	s_mov_b32 s26, 0x88fffff
	v_add3_u32 v0, v1, v0, s26
	s_mov_b64 s[16:17], exec
	v_lshrrev_b32_e32 v0, 21, v0
                                        ; implicit-def: $vgpr1
	s_andn2_saveexec_b64 s[18:19], s[18:19]
	s_cbranch_execnz .LBB23_1736
.LBB23_1478:
	s_or_b64 exec, exec, s[18:19]
	v_mov_b32_e32 v5, 0
	s_and_saveexec_b64 s[18:19], s[16:17]
.LBB23_1479:
	v_mov_b32_e32 v5, v0
.LBB23_1480:
	s_or_b64 exec, exec, s[18:19]
.LBB23_1481:
	s_or_b64 exec, exec, s[14:15]
	s_mov_b64 s[14:15], 0
	global_store_byte v[2:3], v5, off
.LBB23_1482:
	s_and_b64 vcc, exec, s[14:15]
	s_cbranch_vccz .LBB23_1492
; %bb.1483:
	v_cvt_f32_ubyte0_e32 v0, v4
	s_mov_b32 s14, 0x43f00000
	v_cmp_gt_u32_e32 vcc, s14, v0
                                        ; implicit-def: $vgpr1
	s_and_saveexec_b64 s[14:15], vcc
	s_xor_b64 s[14:15], exec, s[14:15]
	s_cbranch_execz .LBB23_1489
; %bb.1484:
	s_mov_b32 s16, 0x3c7fffff
	v_cmp_lt_u32_e32 vcc, s16, v0
                                        ; implicit-def: $vgpr1
	s_and_saveexec_b64 s[16:17], vcc
	s_xor_b64 s[16:17], exec, s[16:17]
; %bb.1485:
	v_bfe_u32 v1, v0, 20, 1
	s_mov_b32 s18, 0x407ffff
	v_add3_u32 v0, v0, v1, s18
	v_lshrrev_b32_e32 v1, 20, v0
	v_and_b32_e32 v0, 0xff00000, v0
	s_mov_b32 s18, 0x7f00000
	v_mov_b32_e32 v5, 0x7e
	v_cmp_ne_u32_e32 vcc, s18, v0
	v_cndmask_b32_e32 v1, v5, v1, vcc
                                        ; implicit-def: $vgpr0
; %bb.1486:
	s_andn2_saveexec_b64 s[16:17], s[16:17]
; %bb.1487:
	v_add_f32_e32 v1, 0x46800000, v0
; %bb.1488:
	s_or_b64 exec, exec, s[16:17]
                                        ; implicit-def: $vgpr0
.LBB23_1489:
	s_andn2_saveexec_b64 s[14:15], s[14:15]
; %bb.1490:
	s_mov_b32 s16, 0x7f800000
	v_mov_b32_e32 v1, 0x7e
	v_mov_b32_e32 v5, 0x7f
	v_cmp_lt_u32_e32 vcc, s16, v0
	v_cndmask_b32_e32 v1, v1, v5, vcc
; %bb.1491:
	s_or_b64 exec, exec, s[14:15]
	global_store_byte v[2:3], v1, off
.LBB23_1492:
	s_mov_b64 s[14:15], 0
.LBB23_1493:
	s_andn2_b64 vcc, exec, s[14:15]
	s_cbranch_vccnz .LBB23_1503
; %bb.1494:
	v_cvt_f32_ubyte0_e32 v0, v4
	s_mov_b32 s14, 0x47800000
	v_cmp_gt_u32_e32 vcc, s14, v0
                                        ; implicit-def: $vgpr1
	s_and_saveexec_b64 s[14:15], vcc
	s_xor_b64 s[14:15], exec, s[14:15]
	s_cbranch_execz .LBB23_1500
; %bb.1495:
	s_mov_b32 s16, 0x387fffff
	v_cmp_lt_u32_e32 vcc, s16, v0
                                        ; implicit-def: $vgpr1
	s_and_saveexec_b64 s[16:17], vcc
	s_xor_b64 s[16:17], exec, s[16:17]
; %bb.1496:
	v_bfe_u32 v1, v0, 21, 1
	s_mov_b32 s18, 0x80fffff
	v_add3_u32 v0, v0, v1, s18
	v_lshrrev_b32_e32 v1, 21, v0
                                        ; implicit-def: $vgpr0
; %bb.1497:
	s_andn2_saveexec_b64 s[16:17], s[16:17]
; %bb.1498:
	v_add_f32_e32 v1, 0x43000000, v0
; %bb.1499:
	s_or_b64 exec, exec, s[16:17]
                                        ; implicit-def: $vgpr0
.LBB23_1500:
	s_andn2_saveexec_b64 s[14:15], s[14:15]
; %bb.1501:
	s_mov_b32 s16, 0x7f800000
	v_mov_b32_e32 v1, 0x7c
	v_mov_b32_e32 v5, 0x7f
	v_cmp_lt_u32_e32 vcc, s16, v0
	v_cndmask_b32_e32 v1, v1, v5, vcc
; %bb.1502:
	s_or_b64 exec, exec, s[14:15]
	global_store_byte v[2:3], v1, off
.LBB23_1503:
	s_mov_b64 s[14:15], 0
.LBB23_1504:
	s_andn2_b64 vcc, exec, s[14:15]
	s_mov_b64 s[14:15], 0
	s_cbranch_vccnz .LBB23_1516
; %bb.1505:
	s_cmp_gt_i32 s25, 14
	s_mov_b64 s[16:17], -1
	s_cbranch_scc0 .LBB23_1509
; %bb.1506:
	s_cmp_eq_u32 s25, 15
	s_mov_b64 s[0:1], -1
	s_cbranch_scc0 .LBB23_1508
; %bb.1507:
	v_cvt_f32_ubyte0_e32 v0, v4
	v_bfe_u32 v1, v0, 16, 1
	s_movk_i32 s0, 0x7fff
	v_add3_u32 v0, v0, v1, s0
	global_store_short_d16_hi v[2:3], v0, off
	s_mov_b64 s[0:1], 0
.LBB23_1508:
	s_mov_b64 s[16:17], 0
.LBB23_1509:
	s_and_b64 vcc, exec, s[16:17]
	s_cbranch_vccz .LBB23_1516
; %bb.1510:
	s_cmp_lg_u32 s25, 11
	s_cselect_b64 s[16:17], -1, 0
	s_andn2_b64 s[0:1], s[0:1], exec
	s_and_b64 s[16:17], s[16:17], exec
	s_mov_b64 s[14:15], -1
	s_or_b64 s[0:1], s[0:1], s[16:17]
	s_branch .LBB23_1516
.LBB23_1511:
	s_or_b64 exec, exec, s[12:13]
	s_and_saveexec_b64 s[0:1], s[36:37]
	s_cbranch_execnz .LBB23_1517
.LBB23_1512:
	s_or_b64 exec, exec, s[0:1]
	s_and_saveexec_b64 s[0:1], s[18:19]
	s_xor_b64 s[0:1], exec, s[0:1]
	s_cbranch_execz .LBB23_1518
.LBB23_1513:
	v_mov_b32_e32 v0, 0
	s_waitcnt vmcnt(0)
	v_cmp_ne_u16_sdwa s[8:9], v4, v0 src0_sel:BYTE_0 src1_sel:DWORD
	v_cndmask_b32_e64 v0, 0, 1, s[8:9]
	global_store_byte v[2:3], v0, off
	s_or_b64 exec, exec, s[0:1]
	s_and_saveexec_b64 s[0:1], s[16:17]
	s_xor_b64 s[0:1], exec, s[0:1]
	s_cbranch_execz .LBB23_1556
	s_branch .LBB23_1519
.LBB23_1514:
	s_mov_b64 s[14:15], 0
	s_mov_b64 s[8:9], -1
	s_mov_b64 s[0:1], s[36:37]
	s_branch .LBB23_1516
.LBB23_1515:
	s_mov_b64 s[14:15], 0
.LBB23_1516:
	s_and_b64 s[16:17], s[8:9], exec
	s_andn2_b64 s[8:9], s[36:37], exec
	s_and_b64 s[0:1], s[0:1], exec
	s_and_b64 s[18:19], s[14:15], exec
	s_or_b64 s[36:37], s[8:9], s[0:1]
	s_or_b64 exec, exec, s[12:13]
	s_and_saveexec_b64 s[0:1], s[36:37]
	s_cbranch_execz .LBB23_1512
.LBB23_1517:
	s_or_b64 s[10:11], s[10:11], exec
	s_andn2_b64 s[18:19], s[18:19], exec
	s_trap 2
	s_or_b64 exec, exec, s[0:1]
	s_and_saveexec_b64 s[0:1], s[18:19]
	s_xor_b64 s[0:1], exec, s[0:1]
	s_cbranch_execnz .LBB23_1513
.LBB23_1518:
	s_or_b64 exec, exec, s[0:1]
	s_and_saveexec_b64 s[0:1], s[16:17]
	s_xor_b64 s[0:1], exec, s[0:1]
	s_cbranch_execz .LBB23_1556
.LBB23_1519:
	s_sext_i32_i16 s12, s24
	s_cmp_lt_i32 s12, 5
	s_mov_b64 s[8:9], -1
	s_cbranch_scc1 .LBB23_1540
; %bb.1520:
	s_cmp_lt_i32 s12, 8
	s_cbranch_scc1 .LBB23_1530
; %bb.1521:
	s_cmp_lt_i32 s12, 9
	s_cbranch_scc1 .LBB23_1527
; %bb.1522:
	s_cmp_gt_i32 s12, 9
	s_cbranch_scc0 .LBB23_1524
; %bb.1523:
	s_mov_b32 s8, 0xffff
	s_waitcnt vmcnt(0)
	v_and_b32_sdwa v0, s8, v4 dst_sel:DWORD dst_unused:UNUSED_PAD src0_sel:DWORD src1_sel:BYTE_0
	v_cvt_f64_u32_e32 v[5:6], v0
	v_mov_b32_e32 v7, 0
	v_mov_b32_e32 v8, v7
	s_mov_b64 s[8:9], 0
	global_store_dwordx4 v[2:3], v[5:8], off
.LBB23_1524:
	s_andn2_b64 vcc, exec, s[8:9]
	s_cbranch_vccnz .LBB23_1526
; %bb.1525:
	s_waitcnt vmcnt(0)
	v_cvt_f32_ubyte0_e32 v0, v4
	v_mov_b32_e32 v1, 0
	global_store_dwordx2 v[2:3], v[0:1], off
.LBB23_1526:
	s_mov_b64 s[8:9], 0
.LBB23_1527:
	s_andn2_b64 vcc, exec, s[8:9]
	s_cbranch_vccnz .LBB23_1529
; %bb.1528:
	s_waitcnt vmcnt(0)
	v_cvt_f16_u16_sdwa v0, v4 dst_sel:DWORD dst_unused:UNUSED_PAD src0_sel:BYTE_0
	global_store_dword v[2:3], v0, off
.LBB23_1529:
	s_mov_b64 s[8:9], 0
.LBB23_1530:
	s_andn2_b64 vcc, exec, s[8:9]
	s_cbranch_vccnz .LBB23_1539
; %bb.1531:
	s_sext_i32_i16 s12, s24
	s_cmp_lt_i32 s12, 6
	s_mov_b64 s[8:9], -1
	s_cbranch_scc1 .LBB23_1537
; %bb.1532:
	s_cmp_gt_i32 s12, 6
	s_cbranch_scc0 .LBB23_1534
; %bb.1533:
	s_mov_b32 s8, 0xffff
	s_waitcnt vmcnt(0)
	v_and_b32_sdwa v0, s8, v4 dst_sel:DWORD dst_unused:UNUSED_PAD src0_sel:DWORD src1_sel:BYTE_0
	v_cvt_f64_u32_e32 v[0:1], v0
	s_mov_b64 s[8:9], 0
	global_store_dwordx2 v[2:3], v[0:1], off
.LBB23_1534:
	s_andn2_b64 vcc, exec, s[8:9]
	s_cbranch_vccnz .LBB23_1536
; %bb.1535:
	s_waitcnt vmcnt(0)
	v_cvt_f32_ubyte0_e32 v0, v4
	global_store_dword v[2:3], v0, off
.LBB23_1536:
	s_mov_b64 s[8:9], 0
.LBB23_1537:
	s_andn2_b64 vcc, exec, s[8:9]
	s_cbranch_vccnz .LBB23_1539
; %bb.1538:
	s_waitcnt vmcnt(0)
	v_cvt_f16_u16_sdwa v0, v4 dst_sel:DWORD dst_unused:UNUSED_PAD src0_sel:BYTE_0
	global_store_short v[2:3], v0, off
.LBB23_1539:
	s_mov_b64 s[8:9], 0
.LBB23_1540:
	s_andn2_b64 vcc, exec, s[8:9]
	s_cbranch_vccnz .LBB23_1556
; %bb.1541:
	s_sext_i32_i16 s12, s24
	s_cmp_lt_i32 s12, 2
	s_mov_b64 s[8:9], -1
	s_cbranch_scc1 .LBB23_1551
; %bb.1542:
	s_cmp_lt_i32 s12, 3
	s_cbranch_scc1 .LBB23_1548
; %bb.1543:
	s_cmp_gt_i32 s12, 3
	s_cbranch_scc0 .LBB23_1545
; %bb.1544:
	s_waitcnt vmcnt(0)
	v_and_b32_e32 v0, 0xff, v4
	v_mov_b32_e32 v1, 0
	s_mov_b64 s[8:9], 0
	global_store_dwordx2 v[2:3], v[0:1], off
.LBB23_1545:
	s_andn2_b64 vcc, exec, s[8:9]
	s_cbranch_vccnz .LBB23_1547
; %bb.1546:
	s_waitcnt vmcnt(0)
	v_and_b32_e32 v0, 0xff, v4
	global_store_dword v[2:3], v0, off
.LBB23_1547:
	s_mov_b64 s[8:9], 0
.LBB23_1548:
	s_andn2_b64 vcc, exec, s[8:9]
	s_cbranch_vccnz .LBB23_1550
; %bb.1549:
	s_waitcnt vmcnt(0)
	v_and_b32_e32 v0, 0xff, v4
	global_store_short v[2:3], v0, off
.LBB23_1550:
	s_mov_b64 s[8:9], 0
.LBB23_1551:
	s_andn2_b64 vcc, exec, s[8:9]
	s_cbranch_vccnz .LBB23_1556
; %bb.1552:
	s_sext_i32_i16 s8, s24
	s_cmp_gt_i32 s8, 0
	s_mov_b64 s[8:9], -1
	s_cbranch_scc0 .LBB23_1554
; %bb.1553:
	s_mov_b64 s[8:9], 0
	s_waitcnt vmcnt(0)
	global_store_byte v[2:3], v4, off
.LBB23_1554:
	s_andn2_b64 vcc, exec, s[8:9]
	s_cbranch_vccnz .LBB23_1556
; %bb.1555:
	s_waitcnt vmcnt(0)
	global_store_byte v[2:3], v4, off
.LBB23_1556:
	s_or_b64 exec, exec, s[0:1]
	s_and_b64 s[12:13], s[10:11], exec
                                        ; implicit-def: $vgpr20
                                        ; implicit-def: $vgpr10
.LBB23_1557:
	s_or_saveexec_b64 s[14:15], s[22:23]
	s_mov_b64 s[0:1], 0
                                        ; implicit-def: $vgpr0_vgpr1
                                        ; implicit-def: $sgpr18
                                        ; implicit-def: $vgpr2
	s_xor_b64 exec, exec, s[14:15]
	s_cbranch_execz .LBB23_3038
; %bb.1558:
	v_cndmask_b32_e64 v0, 0, 1, s[20:21]
	v_cmp_ne_u32_e64 s[0:1], 1, v0
	s_andn2_b64 vcc, exec, s[20:21]
	s_cbranch_vccnz .LBB23_1564
; %bb.1559:
	s_cmp_lg_u32 s33, 0
	s_cbranch_scc0 .LBB23_1565
; %bb.1560:
	s_min_u32 s8, s68, 15
	s_add_i32 s6, s8, 1
	s_and_b32 s9, s6, 30
	s_add_u32 s6, s2, 0xffffffe8
	s_addc_u32 s7, s3, -1
	v_mov_b32_e32 v11, 0
	v_mov_b32_e32 v8, 0
	s_waitcnt vmcnt(0)
	v_mov_b32_e32 v6, 0
	v_mov_b32_e32 v0, v10
.LBB23_1561:                            ; =>This Inner Loop Header: Depth=1
	s_load_dwordx4 s[16:19], s[6:7], 0x1c
	s_load_dwordx2 s[10:11], s[6:7], 0x2c
	s_load_dwordx2 s[24:25], s[6:7], 0xec
	s_load_dwordx4 s[20:23], s[6:7], 0xdc
	s_add_u32 s6, s6, 24
	s_waitcnt lgkmcnt(0)
	v_mul_hi_u32 v1, s17, v0
	s_addc_u32 s7, s7, 0
	s_add_i32 s9, s9, -2
	s_cmp_lg_u32 s9, 0
	v_add_u32_e32 v1, v0, v1
	v_lshrrev_b32_e32 v1, s18, v1
	v_mul_lo_u32 v2, v1, s16
	v_mul_hi_u32 v3, s10, v1
	v_sub_u32_e32 v2, v0, v2
	v_add_u32_e32 v0, v1, v3
	v_lshrrev_b32_e32 v0, s11, v0
	v_mul_lo_u32 v5, v0, s19
	v_mul_lo_u32 v3, v2, s20
	;; [unrolled: 1-line block ×4, first 2 shown]
	v_sub_u32_e32 v1, v1, v5
	v_mul_lo_u32 v5, v1, s23
	v_mul_lo_u32 v7, v1, s24
	;; [unrolled: 1-line block ×3, first 2 shown]
	v_add3_u32 v6, v3, v6, v5
	v_add3_u32 v8, v4, v8, v7
	;; [unrolled: 1-line block ×3, first 2 shown]
	s_cbranch_scc1 .LBB23_1561
; %bb.1562:
	s_bitcmp1_b32 s8, 0
	s_cselect_b64 s[8:9], -1, 0
	s_and_b64 vcc, exec, s[8:9]
	s_cbranch_vccnz .LBB23_1566
; %bb.1563:
	s_load_dwordx2 s[8:9], s[6:7], 0x1c
	s_load_dword s16, s[6:7], 0x24
	s_load_dwordx2 s[10:11], s[6:7], 0xdc
	s_waitcnt lgkmcnt(0)
	v_mul_hi_u32 v1, s9, v0
	v_add_u32_e32 v1, v0, v1
	v_lshrrev_b32_e32 v1, s16, v1
	v_mul_lo_u32 v1, v1, s8
	s_load_dword s8, s[6:7], 0xe4
	v_sub_u32_e32 v0, v0, v1
	v_mad_u64_u32 v[6:7], s[6:7], v0, s10, v[6:7]
	v_mad_u64_u32 v[8:9], s[6:7], v0, s11, v[8:9]
	s_waitcnt lgkmcnt(0)
	v_mad_u64_u32 v[11:12], s[6:7], v0, s8, v[11:12]
	s_cbranch_execz .LBB23_1567
	s_branch .LBB23_1569
.LBB23_1564:
                                        ; implicit-def: $vgpr6
                                        ; implicit-def: $vgpr8
                                        ; implicit-def: $vgpr11
	s_branch .LBB23_1567
.LBB23_1565:
	s_waitcnt vmcnt(0)
	v_mov_b32_e32 v6, 0
	v_mov_b32_e32 v8, 0
	;; [unrolled: 1-line block ×3, first 2 shown]
.LBB23_1566:
	s_cbranch_execnz .LBB23_1569
.LBB23_1567:
	s_load_dwordx4 s[8:11], s[2:3], 0x4
	s_load_dwordx4 s[16:19], s[2:3], 0xc4
	s_cmp_lt_u32 s33, 2
	s_waitcnt lgkmcnt(0)
	v_mul_hi_u32 v0, s9, v10
	v_add_u32_e32 v0, v10, v0
	v_lshrrev_b32_e32 v0, s10, v0
	s_waitcnt vmcnt(0)
	v_mul_lo_u32 v1, v0, s8
	v_sub_u32_e32 v1, v10, v1
	v_mul_lo_u32 v6, v1, s16
	v_mul_lo_u32 v8, v1, s17
	;; [unrolled: 1-line block ×3, first 2 shown]
	s_cbranch_scc1 .LBB23_1569
; %bb.1568:
	s_load_dwordx4 s[8:11], s[2:3], 0x10
	s_load_dwordx4 s[16:19], s[2:3], 0xd0
	s_waitcnt lgkmcnt(0)
	v_mul_hi_u32 v1, s9, v0
	v_add_u32_e32 v1, v0, v1
	v_lshrrev_b32_e32 v1, s10, v1
	v_mul_lo_u32 v1, v1, s8
	v_sub_u32_e32 v0, v0, v1
	v_mad_u64_u32 v[6:7], s[6:7], v0, s16, v[6:7]
	v_mad_u64_u32 v[8:9], s[6:7], v0, s17, v[8:9]
	;; [unrolled: 1-line block ×3, first 2 shown]
.LBB23_1569:
	s_and_b64 vcc, exec, s[0:1]
	v_add_u32_e32 v0, 0x80, v10
	s_cbranch_vccnz .LBB23_1575
; %bb.1570:
	s_cmp_lg_u32 s33, 0
	s_cbranch_scc0 .LBB23_1576
; %bb.1571:
	s_min_u32 s8, s68, 15
	s_add_i32 s6, s8, 1
	s_and_b32 s9, s6, 30
	s_add_u32 s6, s2, 0xffffffe8
	s_addc_u32 s7, s3, -1
	v_mov_b32_e32 v15, 0
	v_mov_b32_e32 v12, 0
	s_waitcnt vmcnt(0)
	v_mov_b32_e32 v4, 0
	v_mov_b32_e32 v1, v0
.LBB23_1572:                            ; =>This Inner Loop Header: Depth=1
	s_load_dwordx4 s[16:19], s[6:7], 0x1c
	s_load_dwordx2 s[10:11], s[6:7], 0x2c
	s_load_dwordx2 s[24:25], s[6:7], 0xec
	s_load_dwordx4 s[20:23], s[6:7], 0xdc
	s_add_u32 s6, s6, 24
	s_waitcnt lgkmcnt(0)
	v_mul_hi_u32 v2, s17, v1
	s_addc_u32 s7, s7, 0
	s_add_i32 s9, s9, -2
	s_cmp_lg_u32 s9, 0
	v_add_u32_e32 v2, v1, v2
	v_lshrrev_b32_e32 v2, s18, v2
	v_mul_lo_u32 v3, v2, s16
	v_mul_hi_u32 v5, s10, v2
	v_sub_u32_e32 v3, v1, v3
	v_add_u32_e32 v1, v2, v5
	v_lshrrev_b32_e32 v1, s11, v1
	v_mul_lo_u32 v9, v1, s19
	v_mul_lo_u32 v5, v3, s20
	;; [unrolled: 1-line block ×4, first 2 shown]
	v_sub_u32_e32 v2, v2, v9
	v_mul_lo_u32 v9, v2, s23
	v_mul_lo_u32 v13, v2, s24
	v_mul_lo_u32 v2, v2, s25
	v_add3_u32 v4, v5, v4, v9
	v_add3_u32 v12, v7, v12, v13
	;; [unrolled: 1-line block ×3, first 2 shown]
	s_cbranch_scc1 .LBB23_1572
; %bb.1573:
	s_bitcmp1_b32 s8, 0
	s_cselect_b64 s[8:9], -1, 0
	s_and_b64 vcc, exec, s[8:9]
	s_cbranch_vccnz .LBB23_1577
; %bb.1574:
	s_load_dwordx2 s[8:9], s[6:7], 0x1c
	s_load_dword s16, s[6:7], 0x24
	s_load_dwordx2 s[10:11], s[6:7], 0xdc
	s_waitcnt lgkmcnt(0)
	v_mul_hi_u32 v2, s9, v1
	v_add_u32_e32 v2, v1, v2
	v_lshrrev_b32_e32 v2, s16, v2
	v_mul_lo_u32 v2, v2, s8
	s_load_dword s8, s[6:7], 0xe4
	v_sub_u32_e32 v1, v1, v2
	v_mad_u64_u32 v[4:5], s[6:7], v1, s10, v[4:5]
	v_mad_u64_u32 v[12:13], s[6:7], v1, s11, v[12:13]
	s_waitcnt lgkmcnt(0)
	v_mad_u64_u32 v[15:16], s[6:7], v1, s8, v[15:16]
	s_cbranch_execz .LBB23_1578
	s_branch .LBB23_1580
.LBB23_1575:
                                        ; implicit-def: $vgpr4
                                        ; implicit-def: $vgpr12
                                        ; implicit-def: $vgpr15
	s_branch .LBB23_1578
.LBB23_1576:
	s_waitcnt vmcnt(0)
	v_mov_b32_e32 v4, 0
	v_mov_b32_e32 v12, 0
	;; [unrolled: 1-line block ×3, first 2 shown]
.LBB23_1577:
	s_cbranch_execnz .LBB23_1580
.LBB23_1578:
	s_load_dwordx4 s[8:11], s[2:3], 0x4
	s_load_dwordx4 s[16:19], s[2:3], 0xc4
	s_cmp_lt_u32 s33, 2
	s_waitcnt vmcnt(0) lgkmcnt(0)
	v_mul_hi_u32 v1, s9, v0
	v_add_u32_e32 v1, v0, v1
	v_lshrrev_b32_e32 v1, s10, v1
	v_mul_lo_u32 v2, v1, s8
	v_sub_u32_e32 v0, v0, v2
	v_mul_lo_u32 v4, v0, s16
	v_mul_lo_u32 v12, v0, s17
	;; [unrolled: 1-line block ×3, first 2 shown]
	s_cbranch_scc1 .LBB23_1580
; %bb.1579:
	s_load_dwordx4 s[8:11], s[2:3], 0x10
	s_load_dwordx4 s[16:19], s[2:3], 0xd0
	s_waitcnt lgkmcnt(0)
	v_mul_hi_u32 v0, s9, v1
	v_add_u32_e32 v0, v1, v0
	v_lshrrev_b32_e32 v0, s10, v0
	v_mul_lo_u32 v0, v0, s8
	v_sub_u32_e32 v0, v1, v0
	v_mad_u64_u32 v[4:5], s[6:7], v0, s16, v[4:5]
	v_mad_u64_u32 v[12:13], s[6:7], v0, s17, v[12:13]
	;; [unrolled: 1-line block ×3, first 2 shown]
.LBB23_1580:
	s_and_b64 vcc, exec, s[0:1]
	v_add_u32_e32 v0, 0x100, v10
	s_cbranch_vccnz .LBB23_1586
; %bb.1581:
	s_cmp_lg_u32 s33, 0
	s_cbranch_scc0 .LBB23_1587
; %bb.1582:
	s_min_u32 s8, s68, 15
	s_add_i32 s6, s8, 1
	s_and_b32 s9, s6, 30
	s_add_u32 s6, s2, 0xffffffe8
	s_addc_u32 s7, s3, -1
	v_mov_b32_e32 v16, 0
	v_mov_b32_e32 v18, 0
	s_waitcnt vmcnt(0)
	v_mov_b32_e32 v2, 0
	v_mov_b32_e32 v1, v0
.LBB23_1583:                            ; =>This Inner Loop Header: Depth=1
	s_load_dwordx4 s[16:19], s[6:7], 0x1c
	s_load_dwordx2 s[10:11], s[6:7], 0x2c
	s_load_dwordx2 s[24:25], s[6:7], 0xec
	s_load_dwordx4 s[20:23], s[6:7], 0xdc
	s_add_u32 s6, s6, 24
	s_waitcnt lgkmcnt(0)
	v_mul_hi_u32 v3, s17, v1
	s_addc_u32 s7, s7, 0
	s_add_i32 s9, s9, -2
	s_cmp_lg_u32 s9, 0
	v_add_u32_e32 v3, v1, v3
	v_lshrrev_b32_e32 v3, s18, v3
	v_mul_lo_u32 v5, v3, s16
	v_mul_hi_u32 v7, s10, v3
	v_sub_u32_e32 v5, v1, v5
	v_add_u32_e32 v1, v3, v7
	v_lshrrev_b32_e32 v1, s11, v1
	v_mul_lo_u32 v10, v1, s19
	v_mul_lo_u32 v7, v5, s20
	;; [unrolled: 1-line block ×4, first 2 shown]
	v_sub_u32_e32 v3, v3, v10
	v_mul_lo_u32 v10, v3, s23
	v_mul_lo_u32 v13, v3, s24
	;; [unrolled: 1-line block ×3, first 2 shown]
	v_add3_u32 v2, v7, v2, v10
	v_add3_u32 v18, v9, v18, v13
	;; [unrolled: 1-line block ×3, first 2 shown]
	s_cbranch_scc1 .LBB23_1583
; %bb.1584:
	s_bitcmp1_b32 s8, 0
	s_cselect_b64 s[8:9], -1, 0
	s_and_b64 vcc, exec, s[8:9]
	s_cbranch_vccnz .LBB23_1588
; %bb.1585:
	s_load_dwordx2 s[8:9], s[6:7], 0x1c
	s_load_dword s16, s[6:7], 0x24
	s_load_dwordx2 s[10:11], s[6:7], 0xdc
	s_waitcnt lgkmcnt(0)
	v_mul_hi_u32 v3, s9, v1
	v_add_u32_e32 v3, v1, v3
	v_lshrrev_b32_e32 v3, s16, v3
	v_mul_lo_u32 v3, v3, s8
	s_load_dword s8, s[6:7], 0xe4
	v_sub_u32_e32 v1, v1, v3
	v_mad_u64_u32 v[2:3], s[6:7], v1, s10, v[2:3]
	v_mad_u64_u32 v[18:19], s[6:7], v1, s11, v[18:19]
	s_waitcnt lgkmcnt(0)
	v_mad_u64_u32 v[16:17], s[6:7], v1, s8, v[16:17]
	s_cbranch_execz .LBB23_1589
	s_branch .LBB23_1591
.LBB23_1586:
                                        ; implicit-def: $vgpr2
                                        ; implicit-def: $vgpr18
                                        ; implicit-def: $vgpr16
	s_branch .LBB23_1589
.LBB23_1587:
	s_waitcnt vmcnt(0)
	v_mov_b32_e32 v2, 0
	v_mov_b32_e32 v18, 0
	;; [unrolled: 1-line block ×3, first 2 shown]
.LBB23_1588:
	s_cbranch_execnz .LBB23_1591
.LBB23_1589:
	s_load_dwordx4 s[8:11], s[2:3], 0x4
	s_load_dwordx4 s[16:19], s[2:3], 0xc4
	s_cmp_lt_u32 s33, 2
	s_waitcnt vmcnt(0) lgkmcnt(0)
	v_mul_hi_u32 v1, s9, v0
	v_add_u32_e32 v1, v0, v1
	v_lshrrev_b32_e32 v1, s10, v1
	v_mul_lo_u32 v2, v1, s8
	v_sub_u32_e32 v0, v0, v2
	v_mul_lo_u32 v2, v0, s16
	v_mul_lo_u32 v18, v0, s17
	;; [unrolled: 1-line block ×3, first 2 shown]
	s_cbranch_scc1 .LBB23_1591
; %bb.1590:
	s_load_dwordx4 s[8:11], s[2:3], 0x10
	s_load_dwordx4 s[16:19], s[2:3], 0xd0
	s_waitcnt lgkmcnt(0)
	v_mul_hi_u32 v0, s9, v1
	v_add_u32_e32 v0, v1, v0
	v_lshrrev_b32_e32 v0, s10, v0
	v_mul_lo_u32 v0, v0, s8
	v_sub_u32_e32 v0, v1, v0
	v_mad_u64_u32 v[2:3], s[6:7], v0, s16, v[2:3]
	v_mad_u64_u32 v[18:19], s[6:7], v0, s17, v[18:19]
	;; [unrolled: 1-line block ×3, first 2 shown]
.LBB23_1591:
	s_and_b64 vcc, exec, s[0:1]
	s_cbranch_vccnz .LBB23_1597
; %bb.1592:
	s_cmp_lg_u32 s33, 0
	s_cbranch_scc0 .LBB23_1598
; %bb.1593:
	s_min_u32 s6, s68, 15
	s_add_i32 s0, s6, 1
	s_and_b32 s7, s0, 30
	s_add_u32 s0, s2, 0xffffffe8
	s_addc_u32 s1, s3, -1
	v_mov_b32_e32 v9, 0
	v_mov_b32_e32 v13, 0
	;; [unrolled: 1-line block ×3, first 2 shown]
	s_waitcnt vmcnt(0)
	v_mov_b32_e32 v1, v20
.LBB23_1594:                            ; =>This Inner Loop Header: Depth=1
	s_load_dwordx4 s[8:11], s[0:1], 0x1c
	s_load_dwordx2 s[20:21], s[0:1], 0x2c
	s_load_dwordx2 s[22:23], s[0:1], 0xec
	s_load_dwordx4 s[16:19], s[0:1], 0xdc
	s_add_u32 s0, s0, 24
	s_waitcnt lgkmcnt(0)
	v_mul_hi_u32 v3, s9, v1
	s_addc_u32 s1, s1, 0
	s_add_i32 s7, s7, -2
	s_cmp_lg_u32 s7, 0
	v_add_u32_e32 v3, v1, v3
	v_lshrrev_b32_e32 v3, s10, v3
	v_mul_lo_u32 v5, v3, s8
	v_mul_hi_u32 v7, s20, v3
	v_sub_u32_e32 v5, v1, v5
	v_add_u32_e32 v1, v3, v7
	v_lshrrev_b32_e32 v1, s21, v1
	v_mul_lo_u32 v14, v1, s11
	v_mul_lo_u32 v7, v5, s16
	;; [unrolled: 1-line block ×4, first 2 shown]
	v_sub_u32_e32 v3, v3, v14
	v_mul_lo_u32 v14, v3, s19
	v_mul_lo_u32 v17, v3, s22
	;; [unrolled: 1-line block ×3, first 2 shown]
	v_add3_u32 v0, v7, v0, v14
	v_add3_u32 v13, v10, v13, v17
	;; [unrolled: 1-line block ×3, first 2 shown]
	s_cbranch_scc1 .LBB23_1594
; %bb.1595:
	s_bitcmp1_b32 s6, 0
	s_cselect_b64 s[6:7], -1, 0
	s_and_b64 vcc, exec, s[6:7]
	s_cbranch_vccnz .LBB23_1599
; %bb.1596:
	s_load_dwordx2 s[6:7], s[0:1], 0x1c
	s_load_dword s10, s[0:1], 0x24
	s_load_dwordx2 s[8:9], s[0:1], 0xdc
	s_waitcnt lgkmcnt(0)
	v_mul_hi_u32 v3, s7, v1
	v_add_u32_e32 v3, v1, v3
	v_lshrrev_b32_e32 v3, s10, v3
	v_mul_lo_u32 v3, v3, s6
	s_load_dword s6, s[0:1], 0xe4
	v_sub_u32_e32 v3, v1, v3
	v_mad_u64_u32 v[0:1], s[0:1], v3, s8, v[0:1]
	v_mad_u64_u32 v[13:14], s[0:1], v3, s9, v[13:14]
	s_waitcnt lgkmcnt(0)
	v_mad_u64_u32 v[9:10], s[0:1], v3, s6, v[9:10]
	s_cbranch_execz .LBB23_1600
	s_branch .LBB23_1602
.LBB23_1597:
                                        ; implicit-def: $vgpr0
                                        ; implicit-def: $vgpr13
                                        ; implicit-def: $vgpr9
	s_branch .LBB23_1600
.LBB23_1598:
	v_mov_b32_e32 v0, 0
	v_mov_b32_e32 v13, 0
	v_mov_b32_e32 v9, 0
.LBB23_1599:
	s_cbranch_execnz .LBB23_1602
.LBB23_1600:
	s_load_dwordx4 s[8:11], s[2:3], 0x4
	s_load_dwordx4 s[16:19], s[2:3], 0xc4
	s_cmp_lt_u32 s33, 2
	s_waitcnt lgkmcnt(0)
	v_mul_hi_u32 v0, s9, v20
	v_add_u32_e32 v0, v20, v0
	s_waitcnt vmcnt(0)
	v_lshrrev_b32_e32 v1, s10, v0
	v_mul_lo_u32 v0, v1, s8
	v_sub_u32_e32 v3, v20, v0
	v_mul_lo_u32 v0, v3, s16
	v_mul_lo_u32 v13, v3, s17
	v_mul_lo_u32 v9, v3, s18
	s_cbranch_scc1 .LBB23_1602
; %bb.1601:
	s_load_dwordx4 s[8:11], s[2:3], 0x10
	s_load_dwordx4 s[16:19], s[2:3], 0xd0
	s_waitcnt lgkmcnt(0)
	v_mul_hi_u32 v3, s9, v1
	v_add_u32_e32 v3, v1, v3
	v_lshrrev_b32_e32 v3, s10, v3
	v_mul_lo_u32 v3, v3, s8
	v_sub_u32_e32 v3, v1, v3
	v_mad_u64_u32 v[0:1], s[0:1], v3, s16, v[0:1]
	v_mad_u64_u32 v[13:14], s[0:1], v3, s17, v[13:14]
	;; [unrolled: 1-line block ×3, first 2 shown]
.LBB23_1602:
	s_load_dwordx4 s[8:11], s[2:3], 0x188
	s_load_dword s20, s[4:5], 0x1a8
	s_waitcnt vmcnt(0) lgkmcnt(0)
	v_mov_b32_e32 v1, s11
	s_bfe_u32 s18, s20, 0x80010
	v_add_co_u32_e32 v19, vcc, s10, v8
	s_cmp_lt_i32 s18, 11
	v_addc_co_u32_e32 v20, vcc, 0, v1, vcc
	s_cbranch_scc1 .LBB23_1609
; %bb.1603:
	s_and_b32 s19, 0xffff, s18
	s_cmp_gt_i32 s19, 25
	s_mov_b64 s[6:7], 0
	s_cbranch_scc0 .LBB23_1611
; %bb.1604:
	s_cmp_gt_i32 s19, 28
	s_cbranch_scc0 .LBB23_1612
; %bb.1605:
	s_cmp_gt_i32 s19, 43
	;; [unrolled: 3-line block ×3, first 2 shown]
	s_cbranch_scc0 .LBB23_1614
; %bb.1607:
	s_cmp_eq_u32 s19, 46
	s_mov_b64 s[4:5], 0
	s_cbranch_scc0 .LBB23_1617
; %bb.1608:
	global_load_dword v1, v[19:20], off
	s_mov_b32 s0, 0x2f800000
	s_mov_b32 s1, 0xcf800000
	s_mov_b64 s[16:17], -1
	s_waitcnt vmcnt(0)
	v_lshlrev_b32_e32 v1, 16, v1
	v_trunc_f32_e32 v1, v1
	v_mul_f32_e64 v3, |v1|, s0
	v_floor_f32_e32 v3, v3
	v_fma_f32 v3, v3, s1, |v1|
	v_cvt_u32_f32_e32 v3, v3
	v_ashrrev_i32_e32 v1, 31, v1
	s_mov_b64 s[0:1], 0
	v_xor_b32_e32 v3, v3, v1
	v_sub_u32_e32 v7, v3, v1
	s_branch .LBB23_1618
.LBB23_1609:
	s_mov_b64 s[16:17], 0
                                        ; implicit-def: $vgpr7
	s_mov_b64 s[4:5], s[12:13]
	s_cbranch_execnz .LBB23_1676
.LBB23_1610:
	s_andn2_b64 vcc, exec, s[16:17]
	s_cbranch_vccz .LBB23_1721
	s_branch .LBB23_3036
.LBB23_1611:
	s_mov_b64 s[16:17], 0
	s_mov_b64 s[0:1], 0
                                        ; implicit-def: $vgpr7
	s_cbranch_execnz .LBB23_1643
	s_branch .LBB23_1672
.LBB23_1612:
	s_mov_b64 s[16:17], 0
	s_mov_b64 s[0:1], 0
                                        ; implicit-def: $vgpr7
	s_cbranch_execz .LBB23_1642
	s_branch .LBB23_1627
.LBB23_1613:
	s_mov_b64 s[16:17], 0
	s_mov_b64 s[0:1], 0
                                        ; implicit-def: $vgpr7
	s_cbranch_execnz .LBB23_1623
	s_branch .LBB23_1626
.LBB23_1614:
	s_mov_b64 s[4:5], -1
	s_mov_b64 s[16:17], 0
	s_mov_b64 s[0:1], 0
                                        ; implicit-def: $vgpr7
	s_branch .LBB23_1618
.LBB23_1615:
	s_andn2_saveexec_b64 s[16:17], s[16:17]
	s_cbranch_execz .LBB23_1466
.LBB23_1616:
	v_add_f32_e32 v0, 0x46000000, v1
	v_and_b32_e32 v0, 0xff, v0
	v_cmp_ne_u32_e32 vcc, 0, v0
	s_andn2_b64 s[14:15], s[14:15], exec
	s_and_b64 s[18:19], vcc, exec
	s_or_b64 s[14:15], s[14:15], s[18:19]
	s_or_b64 exec, exec, s[16:17]
	v_mov_b32_e32 v5, 0
	s_and_saveexec_b64 s[16:17], s[14:15]
	s_cbranch_execnz .LBB23_1467
	s_branch .LBB23_1468
.LBB23_1617:
	s_mov_b64 s[0:1], -1
                                        ; implicit-def: $vgpr7
	s_mov_b64 s[16:17], 0
.LBB23_1618:
	s_and_b64 vcc, exec, s[4:5]
	s_cbranch_vccz .LBB23_1621
; %bb.1619:
	s_cmp_eq_u32 s19, 44
	s_cbranch_scc0 .LBB23_1622
; %bb.1620:
	global_load_ubyte v1, v[19:20], off
	s_mov_b32 s0, 0x2f800000
	s_mov_b32 s1, 0xcf800000
	s_mov_b64 s[16:17], -1
	s_waitcnt vmcnt(0)
	v_lshlrev_b32_e32 v3, 23, v1
	v_trunc_f32_e32 v3, v3
	v_mul_f32_e64 v5, |v3|, s0
	v_floor_f32_e32 v5, v5
	v_fma_f32 v5, v5, s1, |v3|
	v_cvt_u32_f32_e32 v5, v5
	v_ashrrev_i32_e32 v3, 31, v3
	v_cmp_ne_u32_e32 vcc, 0, v1
	s_mov_b64 s[0:1], 0
	v_xor_b32_e32 v5, v5, v3
	v_sub_u32_e32 v3, v5, v3
	v_cndmask_b32_e32 v7, 0, v3, vcc
.LBB23_1621:
	s_branch .LBB23_1626
.LBB23_1622:
	s_mov_b64 s[0:1], -1
                                        ; implicit-def: $vgpr7
	s_branch .LBB23_1626
.LBB23_1623:
	s_cmp_eq_u32 s19, 29
	s_cbranch_scc0 .LBB23_1625
; %bb.1624:
	global_load_dwordx2 v[7:8], v[19:20], off
	s_mov_b64 s[0:1], 0
	s_mov_b64 s[16:17], -1
	s_branch .LBB23_1626
.LBB23_1625:
	s_mov_b64 s[0:1], -1
                                        ; implicit-def: $vgpr7
.LBB23_1626:
	s_branch .LBB23_1642
.LBB23_1627:
	s_cmp_lt_i32 s19, 27
	s_cbranch_scc1 .LBB23_1630
; %bb.1628:
	s_cmp_gt_i32 s19, 27
	s_cbranch_scc0 .LBB23_1631
; %bb.1629:
	global_load_dword v7, v[19:20], off
	s_mov_b64 s[4:5], 0
	s_branch .LBB23_1632
.LBB23_1630:
	s_mov_b64 s[4:5], -1
                                        ; implicit-def: $vgpr7
	s_branch .LBB23_1635
.LBB23_1631:
	s_mov_b64 s[4:5], -1
                                        ; implicit-def: $vgpr7
.LBB23_1632:
	s_andn2_b64 vcc, exec, s[4:5]
	s_cbranch_vccnz .LBB23_1634
; %bb.1633:
	global_load_ushort v7, v[19:20], off
.LBB23_1634:
	s_mov_b64 s[4:5], 0
.LBB23_1635:
	s_andn2_b64 vcc, exec, s[4:5]
	s_cbranch_vccnz .LBB23_1641
; %bb.1636:
	global_load_ubyte v1, v[19:20], off
	s_movk_i32 s4, 0x7f
	s_mov_b64 s[16:17], 0
	s_waitcnt vmcnt(0)
	v_cmp_lt_i16_e32 vcc, s4, v1
	s_and_saveexec_b64 s[4:5], vcc
	s_xor_b64 s[4:5], exec, s[4:5]
	s_cbranch_execz .LBB23_1652
; %bb.1637:
	s_movk_i32 s16, 0x80
	v_cmp_ne_u16_e32 vcc, s16, v1
	s_and_b64 s[16:17], vcc, exec
	s_andn2_saveexec_b64 s[4:5], s[4:5]
	s_cbranch_execnz .LBB23_1653
.LBB23_1638:
	s_or_b64 exec, exec, s[4:5]
	v_mov_b32_e32 v7, 0
	s_and_saveexec_b64 s[4:5], s[16:17]
	s_cbranch_execz .LBB23_1640
.LBB23_1639:
	v_lshlrev_b32_e32 v3, 24, v1
	v_and_b32_e32 v1, 0xffff, v1
	v_and_b32_e32 v5, 7, v1
	v_ffbh_u32_e32 v8, v5
	v_min_u32_e32 v8, 32, v8
	v_subrev_u32_e32 v10, 28, v8
	v_bfe_u32 v7, v1, 3, 4
	v_lshlrev_b32_e32 v1, v10, v1
	v_sub_u32_e32 v8, 29, v8
	v_and_b32_e32 v1, 7, v1
	v_cmp_eq_u32_e32 vcc, 0, v7
	v_cndmask_b32_e32 v7, v7, v8, vcc
	v_cndmask_b32_e32 v1, v5, v1, vcc
	v_mov_b32_e32 v5, 0x3b800000
	v_lshlrev_b32_e32 v1, 20, v1
	v_and_b32_e32 v3, 0x80000000, v3
	v_lshl_add_u32 v5, v7, 23, v5
	v_or3_b32 v1, v3, v5, v1
	v_trunc_f32_e32 v1, v1
	s_mov_b32 s16, 0x2f800000
	v_mul_f32_e64 v3, |v1|, s16
	v_floor_f32_e32 v3, v3
	s_mov_b32 s16, 0xcf800000
	v_fma_f32 v3, v3, s16, |v1|
	v_cvt_u32_f32_e32 v3, v3
	v_ashrrev_i32_e32 v1, 31, v1
	v_xor_b32_e32 v3, v3, v1
	v_sub_u32_e32 v7, v3, v1
.LBB23_1640:
	s_or_b64 exec, exec, s[4:5]
.LBB23_1641:
	s_mov_b64 s[16:17], -1
.LBB23_1642:
	s_branch .LBB23_1672
.LBB23_1643:
	s_cmp_gt_i32 s19, 22
	s_cbranch_scc0 .LBB23_1651
; %bb.1644:
	s_cmp_lt_i32 s19, 24
	s_cbranch_scc1 .LBB23_1654
; %bb.1645:
	s_cmp_gt_i32 s19, 24
	s_cbranch_scc0 .LBB23_1655
; %bb.1646:
	global_load_ubyte v1, v[19:20], off
	s_movk_i32 s4, 0x7f
	s_waitcnt vmcnt(0)
	v_cmp_lt_i16_e32 vcc, s4, v1
	s_and_saveexec_b64 s[4:5], vcc
	s_xor_b64 s[4:5], exec, s[4:5]
	s_cbranch_execz .LBB23_1666
; %bb.1647:
	s_movk_i32 s6, 0x80
	v_cmp_ne_u16_e32 vcc, s6, v1
	s_and_b64 s[6:7], vcc, exec
	s_andn2_saveexec_b64 s[4:5], s[4:5]
	s_cbranch_execnz .LBB23_1667
.LBB23_1648:
	s_or_b64 exec, exec, s[4:5]
	v_mov_b32_e32 v7, 0
	s_and_saveexec_b64 s[4:5], s[6:7]
	s_cbranch_execz .LBB23_1650
.LBB23_1649:
	v_lshlrev_b32_e32 v3, 24, v1
	v_and_b32_e32 v1, 0xffff, v1
	v_and_b32_e32 v5, 3, v1
	v_ffbh_u32_e32 v8, v5
	v_min_u32_e32 v8, 32, v8
	v_subrev_u32_e32 v10, 29, v8
	v_bfe_u32 v7, v1, 2, 5
	v_lshlrev_b32_e32 v1, v10, v1
	v_sub_u32_e32 v8, 30, v8
	v_and_b32_e32 v1, 3, v1
	v_cmp_eq_u32_e32 vcc, 0, v7
	v_cndmask_b32_e32 v7, v7, v8, vcc
	v_cndmask_b32_e32 v1, v5, v1, vcc
	v_mov_b32_e32 v5, 0x37800000
	v_lshlrev_b32_e32 v1, 21, v1
	v_and_b32_e32 v3, 0x80000000, v3
	v_lshl_add_u32 v5, v7, 23, v5
	v_or3_b32 v1, v3, v5, v1
	v_trunc_f32_e32 v1, v1
	s_mov_b32 s6, 0x2f800000
	v_mul_f32_e64 v3, |v1|, s6
	v_floor_f32_e32 v3, v3
	s_mov_b32 s6, 0xcf800000
	v_fma_f32 v3, v3, s6, |v1|
	v_cvt_u32_f32_e32 v3, v3
	v_ashrrev_i32_e32 v1, 31, v1
	v_xor_b32_e32 v3, v3, v1
	v_sub_u32_e32 v7, v3, v1
.LBB23_1650:
	s_or_b64 exec, exec, s[4:5]
	s_mov_b64 s[4:5], 0
	s_branch .LBB23_1656
.LBB23_1651:
                                        ; implicit-def: $vgpr7
	s_mov_b64 s[6:7], 0
	s_branch .LBB23_1662
.LBB23_1652:
	s_andn2_saveexec_b64 s[4:5], s[4:5]
	s_cbranch_execz .LBB23_1638
.LBB23_1653:
	v_cmp_ne_u16_e32 vcc, 0, v1
	s_andn2_b64 s[16:17], s[16:17], exec
	s_and_b64 s[22:23], vcc, exec
	s_or_b64 s[16:17], s[16:17], s[22:23]
	s_or_b64 exec, exec, s[4:5]
	v_mov_b32_e32 v7, 0
	s_and_saveexec_b64 s[4:5], s[16:17]
	s_cbranch_execnz .LBB23_1639
	s_branch .LBB23_1640
.LBB23_1654:
	s_mov_b64 s[4:5], -1
                                        ; implicit-def: $vgpr7
	s_branch .LBB23_1659
.LBB23_1655:
	s_mov_b64 s[4:5], -1
                                        ; implicit-def: $vgpr7
.LBB23_1656:
	s_and_b64 vcc, exec, s[4:5]
	s_cbranch_vccz .LBB23_1658
; %bb.1657:
	global_load_ubyte v1, v[19:20], off
	s_mov_b32 s4, 0x7f800000
	s_brev_b32 s5, 1
	s_mov_b32 s6, 0x2f800000
	s_waitcnt vmcnt(0)
	v_lshlrev_b32_e32 v1, 24, v1
	v_and_b32_e32 v3, 0x7f000000, v1
	v_ffbh_u32_e32 v5, v3
	v_min_u32_e32 v5, 32, v5
	v_sub_u32_e64 v5, v5, 4 clamp
	v_lshlrev_b32_e32 v8, v5, v3
	v_lshlrev_b32_e32 v5, 23, v5
	v_lshrrev_b32_e32 v8, 4, v8
	v_add_u32_e32 v7, 0x1000000, v3
	v_sub_u32_e32 v5, v8, v5
	v_ashrrev_i32_e32 v7, 8, v7
	v_add_u32_e32 v5, 0x3c000000, v5
	v_and_or_b32 v5, v7, s4, v5
	v_cmp_ne_u32_e32 vcc, 0, v3
	v_cndmask_b32_e32 v3, 0, v5, vcc
	v_and_or_b32 v1, v1, s5, v3
	v_trunc_f32_e32 v1, v1
	v_mul_f32_e64 v3, |v1|, s6
	v_floor_f32_e32 v3, v3
	s_mov_b32 s4, 0xcf800000
	v_fma_f32 v3, v3, s4, |v1|
	v_cvt_u32_f32_e32 v3, v3
	v_ashrrev_i32_e32 v1, 31, v1
	v_xor_b32_e32 v3, v3, v1
	v_sub_u32_e32 v7, v3, v1
.LBB23_1658:
	s_mov_b64 s[4:5], 0
.LBB23_1659:
	s_andn2_b64 vcc, exec, s[4:5]
	s_cbranch_vccnz .LBB23_1661
; %bb.1660:
	global_load_ubyte v1, v[19:20], off
	s_movk_i32 s4, 0x7f00
	s_brev_b32 s5, 16
	s_brev_b32 s6, 1
	s_mov_b32 s7, 0x2f800000
	s_waitcnt vmcnt(0)
	v_lshlrev_b16_e32 v3, 8, v1
	v_lshlrev_b32_e32 v1, 25, v1
	v_lshrrev_b32_e32 v5, 4, v1
	v_and_or_b32 v7, v3, s4, 0.5
	v_or_b32_e32 v5, 0x70000000, v5
	v_add_f32_e32 v7, -0.5, v7
	v_mul_f32_e32 v5, 0x7800000, v5
	v_cmp_gt_u32_e32 vcc, s5, v1
	v_bfe_i32 v3, v3, 0, 16
	v_cndmask_b32_e32 v1, v5, v7, vcc
	v_and_or_b32 v1, v3, s6, v1
	v_trunc_f32_e32 v1, v1
	v_mul_f32_e64 v3, |v1|, s7
	v_floor_f32_e32 v3, v3
	s_mov_b32 s4, 0xcf800000
	v_fma_f32 v3, v3, s4, |v1|
	v_cvt_u32_f32_e32 v3, v3
	v_ashrrev_i32_e32 v1, 31, v1
	v_xor_b32_e32 v3, v3, v1
	v_sub_u32_e32 v7, v3, v1
.LBB23_1661:
	s_mov_b64 s[16:17], -1
	s_mov_b64 s[6:7], 0
	s_cbranch_execnz .LBB23_1672
.LBB23_1662:
	s_cmp_gt_i32 s19, 14
	s_cbranch_scc0 .LBB23_1665
; %bb.1663:
	s_cmp_eq_u32 s19, 15
	s_cbranch_scc0 .LBB23_1668
; %bb.1664:
	global_load_ushort v1, v[19:20], off
	s_mov_b32 s0, 0x2f800000
	s_mov_b32 s1, 0xcf800000
	s_mov_b64 s[16:17], -1
	s_waitcnt vmcnt(0)
	v_lshlrev_b32_e32 v1, 16, v1
	v_trunc_f32_e32 v1, v1
	v_mul_f32_e64 v3, |v1|, s0
	v_floor_f32_e32 v3, v3
	v_fma_f32 v3, v3, s1, |v1|
	v_cvt_u32_f32_e32 v3, v3
	v_ashrrev_i32_e32 v1, 31, v1
	s_mov_b64 s[0:1], 0
	v_xor_b32_e32 v3, v3, v1
	v_sub_u32_e32 v7, v3, v1
	s_branch .LBB23_1669
.LBB23_1665:
	s_mov_b64 s[4:5], -1
                                        ; implicit-def: $vgpr7
	s_branch .LBB23_1670
.LBB23_1666:
	s_andn2_saveexec_b64 s[4:5], s[4:5]
	s_cbranch_execz .LBB23_1648
.LBB23_1667:
	v_cmp_ne_u16_e32 vcc, 0, v1
	s_andn2_b64 s[6:7], s[6:7], exec
	s_and_b64 s[16:17], vcc, exec
	s_or_b64 s[6:7], s[6:7], s[16:17]
	s_or_b64 exec, exec, s[4:5]
	v_mov_b32_e32 v7, 0
	s_and_saveexec_b64 s[4:5], s[6:7]
	s_cbranch_execnz .LBB23_1649
	s_branch .LBB23_1650
.LBB23_1668:
	s_mov_b64 s[0:1], -1
                                        ; implicit-def: $vgpr7
.LBB23_1669:
	s_mov_b64 s[4:5], 0
.LBB23_1670:
	s_and_b64 vcc, exec, s[4:5]
	s_cbranch_vccz .LBB23_1672
; %bb.1671:
	s_cmp_lg_u32 s19, 11
	s_mov_b64 s[6:7], -1
	s_cselect_b64 s[0:1], -1, 0
.LBB23_1672:
	s_and_b64 vcc, exec, s[0:1]
	s_mov_b64 s[4:5], s[12:13]
	s_cbranch_vccnz .LBB23_1733
; %bb.1673:
	s_andn2_b64 vcc, exec, s[6:7]
	s_cbranch_vccnz .LBB23_1675
.LBB23_1674:
	global_load_ubyte v1, v[19:20], off
	s_mov_b64 s[16:17], -1
	s_waitcnt vmcnt(0)
	v_cmp_ne_u16_e32 vcc, 0, v1
	v_cndmask_b32_e64 v7, 0, 1, vcc
.LBB23_1675:
	s_branch .LBB23_1610
.LBB23_1676:
	s_and_b32 s6, 0xffff, s18
	s_cmp_lt_i32 s6, 5
	s_cbranch_scc1 .LBB23_1681
; %bb.1677:
	s_cmp_lt_i32 s6, 8
	s_cbranch_scc1 .LBB23_1682
; %bb.1678:
	;; [unrolled: 3-line block ×3, first 2 shown]
	s_cmp_gt_i32 s6, 9
	s_cbranch_scc0 .LBB23_1684
; %bb.1680:
	global_load_dwordx2 v[7:8], v[19:20], off
	s_movk_i32 s0, 0xffe0
	s_waitcnt vmcnt(0)
	v_trunc_f64_e32 v[7:8], v[7:8]
	v_ldexp_f64 v[21:22], v[7:8], s0
	s_mov_b32 s0, 0
	s_mov_b32 s1, 0xc1f00000
	v_floor_f64_e32 v[21:22], v[21:22]
	v_fma_f64 v[7:8], v[21:22], s[0:1], v[7:8]
	s_mov_b64 s[0:1], 0
	v_cvt_u32_f64_e32 v7, v[7:8]
	s_branch .LBB23_1685
.LBB23_1681:
                                        ; implicit-def: $vgpr7
	s_branch .LBB23_1702
.LBB23_1682:
                                        ; implicit-def: $vgpr7
	s_branch .LBB23_1691
.LBB23_1683:
	s_mov_b64 s[0:1], -1
                                        ; implicit-def: $vgpr7
	s_branch .LBB23_1688
.LBB23_1684:
	s_mov_b64 s[0:1], -1
                                        ; implicit-def: $vgpr7
.LBB23_1685:
	s_andn2_b64 vcc, exec, s[0:1]
	s_cbranch_vccnz .LBB23_1687
; %bb.1686:
	global_load_dword v1, v[19:20], off
	s_mov_b32 s0, 0x2f800000
	s_waitcnt vmcnt(0)
	v_trunc_f32_e32 v1, v1
	v_mul_f32_e64 v3, |v1|, s0
	v_floor_f32_e32 v3, v3
	s_mov_b32 s0, 0xcf800000
	v_fma_f32 v3, v3, s0, |v1|
	v_cvt_u32_f32_e32 v3, v3
	v_ashrrev_i32_e32 v1, 31, v1
	v_xor_b32_e32 v3, v3, v1
	v_sub_u32_e32 v7, v3, v1
.LBB23_1687:
	s_mov_b64 s[0:1], 0
.LBB23_1688:
	s_andn2_b64 vcc, exec, s[0:1]
	s_cbranch_vccnz .LBB23_1690
; %bb.1689:
	global_load_dword v1, v[19:20], off
	s_waitcnt vmcnt(0)
	v_cvt_f32_f16_e32 v1, v1
	v_cvt_i32_f32_e32 v7, v1
.LBB23_1690:
	s_cbranch_execnz .LBB23_1701
.LBB23_1691:
	s_cmp_lt_i32 s6, 6
	s_cbranch_scc1 .LBB23_1694
; %bb.1692:
	s_cmp_gt_i32 s6, 6
	s_cbranch_scc0 .LBB23_1695
; %bb.1693:
	global_load_dwordx2 v[7:8], v[19:20], off
	s_movk_i32 s0, 0xffe0
	s_waitcnt vmcnt(0)
	v_trunc_f64_e32 v[7:8], v[7:8]
	v_ldexp_f64 v[21:22], v[7:8], s0
	s_mov_b32 s0, 0
	s_mov_b32 s1, 0xc1f00000
	v_floor_f64_e32 v[21:22], v[21:22]
	v_fma_f64 v[7:8], v[21:22], s[0:1], v[7:8]
	s_mov_b64 s[0:1], 0
	v_cvt_u32_f64_e32 v7, v[7:8]
	s_branch .LBB23_1696
.LBB23_1694:
	s_mov_b64 s[0:1], -1
                                        ; implicit-def: $vgpr7
	s_branch .LBB23_1699
.LBB23_1695:
	s_mov_b64 s[0:1], -1
                                        ; implicit-def: $vgpr7
.LBB23_1696:
	s_andn2_b64 vcc, exec, s[0:1]
	s_cbranch_vccnz .LBB23_1698
; %bb.1697:
	global_load_dword v1, v[19:20], off
	s_mov_b32 s0, 0x2f800000
	s_waitcnt vmcnt(0)
	v_trunc_f32_e32 v1, v1
	v_mul_f32_e64 v3, |v1|, s0
	v_floor_f32_e32 v3, v3
	s_mov_b32 s0, 0xcf800000
	v_fma_f32 v3, v3, s0, |v1|
	v_cvt_u32_f32_e32 v3, v3
	v_ashrrev_i32_e32 v1, 31, v1
	v_xor_b32_e32 v3, v3, v1
	v_sub_u32_e32 v7, v3, v1
.LBB23_1698:
	s_mov_b64 s[0:1], 0
.LBB23_1699:
	s_andn2_b64 vcc, exec, s[0:1]
	s_cbranch_vccnz .LBB23_1701
; %bb.1700:
	global_load_ushort v1, v[19:20], off
	s_waitcnt vmcnt(0)
	v_cvt_f32_f16_e32 v1, v1
	v_cvt_i32_f32_e32 v7, v1
.LBB23_1701:
	s_cbranch_execnz .LBB23_1720
.LBB23_1702:
	s_cmp_lt_i32 s6, 2
	s_cbranch_scc1 .LBB23_1706
; %bb.1703:
	s_cmp_lt_i32 s6, 3
	s_cbranch_scc1 .LBB23_1707
; %bb.1704:
	s_cmp_gt_i32 s6, 3
	s_cbranch_scc0 .LBB23_1708
; %bb.1705:
	global_load_dwordx2 v[7:8], v[19:20], off
	s_mov_b64 s[0:1], 0
	s_branch .LBB23_1709
.LBB23_1706:
                                        ; implicit-def: $vgpr7
	s_branch .LBB23_1715
.LBB23_1707:
	s_mov_b64 s[0:1], -1
                                        ; implicit-def: $vgpr7
	s_branch .LBB23_1712
.LBB23_1708:
	s_mov_b64 s[0:1], -1
                                        ; implicit-def: $vgpr7
.LBB23_1709:
	s_andn2_b64 vcc, exec, s[0:1]
	s_cbranch_vccnz .LBB23_1711
; %bb.1710:
	global_load_dword v7, v[19:20], off
.LBB23_1711:
	s_mov_b64 s[0:1], 0
.LBB23_1712:
	s_andn2_b64 vcc, exec, s[0:1]
	s_cbranch_vccnz .LBB23_1714
; %bb.1713:
	global_load_ushort v7, v[19:20], off
.LBB23_1714:
	s_cbranch_execnz .LBB23_1720
.LBB23_1715:
	s_cmp_gt_i32 s6, 0
	s_cbranch_scc0 .LBB23_1717
; %bb.1716:
	global_load_ubyte v7, v[19:20], off
	s_mov_b64 s[0:1], 0
	s_branch .LBB23_1718
.LBB23_1717:
	s_mov_b64 s[0:1], -1
                                        ; implicit-def: $vgpr7
.LBB23_1718:
	s_andn2_b64 vcc, exec, s[0:1]
	s_cbranch_vccnz .LBB23_1720
; %bb.1719:
	global_load_ubyte v7, v[19:20], off
.LBB23_1720:
.LBB23_1721:
	s_load_dwordx2 s[0:1], s[2:3], 0x198
	s_lshr_b32 s21, s20, 24
	s_cmp_lt_i32 s21, 11
	s_waitcnt lgkmcnt(0)
	v_mov_b32_e32 v1, s1
	v_add_co_u32_e32 v19, vcc, s0, v11
	v_addc_co_u32_e32 v20, vcc, 0, v1, vcc
	s_cbranch_scc1 .LBB23_1728
; %bb.1722:
	s_and_b32 s22, 0xffff, s21
	s_cmp_gt_i32 s22, 25
	s_mov_b64 s[6:7], 0
	s_cbranch_scc0 .LBB23_1730
; %bb.1723:
	s_cmp_gt_i32 s22, 28
	s_cbranch_scc0 .LBB23_1731
; %bb.1724:
	s_cmp_gt_i32 s22, 43
	;; [unrolled: 3-line block ×3, first 2 shown]
	s_cbranch_scc0 .LBB23_1734
; %bb.1726:
	s_cmp_eq_u32 s22, 46
	s_mov_b64 s[18:19], 0
	s_cbranch_scc0 .LBB23_1737
; %bb.1727:
	global_load_dword v1, v[19:20], off
	s_mov_b32 s2, 0x2f800000
	s_mov_b32 s3, 0xcf800000
	s_mov_b64 s[16:17], -1
	s_waitcnt vmcnt(0)
	v_lshlrev_b32_e32 v1, 16, v1
	v_trunc_f32_e32 v1, v1
	v_mul_f32_e64 v3, |v1|, s2
	v_floor_f32_e32 v3, v3
	v_fma_f32 v3, v3, s3, |v1|
	v_cvt_u32_f32_e32 v3, v3
	v_ashrrev_i32_e32 v1, 31, v1
	s_mov_b64 s[2:3], 0
	v_xor_b32_e32 v3, v3, v1
	v_sub_u32_e32 v10, v3, v1
	s_branch .LBB23_1738
.LBB23_1728:
	s_mov_b64 s[16:17], 0
                                        ; implicit-def: $vgpr10
	s_cbranch_execnz .LBB23_1799
.LBB23_1729:
	s_andn2_b64 vcc, exec, s[16:17]
	s_cbranch_vccnz .LBB23_3036
	s_branch .LBB23_1846
.LBB23_1730:
	s_mov_b64 s[16:17], 0
	s_mov_b64 s[2:3], 0
                                        ; implicit-def: $vgpr10
	s_cbranch_execnz .LBB23_1765
	s_branch .LBB23_1795
.LBB23_1731:
	s_mov_b64 s[18:19], -1
	s_mov_b64 s[16:17], 0
	s_mov_b64 s[2:3], 0
                                        ; implicit-def: $vgpr10
	s_branch .LBB23_1748
.LBB23_1732:
	s_mov_b64 s[18:19], -1
	s_mov_b64 s[16:17], 0
	s_mov_b64 s[2:3], 0
                                        ; implicit-def: $vgpr10
	s_branch .LBB23_1743
.LBB23_1733:
	s_or_b64 s[4:5], s[12:13], exec
	s_trap 2
	s_cbranch_execz .LBB23_1674
	s_branch .LBB23_1675
.LBB23_1734:
	s_mov_b64 s[18:19], -1
	s_mov_b64 s[16:17], 0
	s_mov_b64 s[2:3], 0
                                        ; implicit-def: $vgpr10
	s_branch .LBB23_1738
.LBB23_1735:
	s_andn2_saveexec_b64 s[18:19], s[18:19]
	s_cbranch_execz .LBB23_1478
.LBB23_1736:
	v_add_f32_e32 v0, 0x42800000, v1
	v_and_b32_e32 v0, 0xff, v0
	v_cmp_ne_u32_e32 vcc, 0, v0
	s_andn2_b64 s[16:17], s[16:17], exec
	s_and_b64 s[26:27], vcc, exec
	s_or_b64 s[16:17], s[16:17], s[26:27]
	s_or_b64 exec, exec, s[18:19]
	v_mov_b32_e32 v5, 0
	s_and_saveexec_b64 s[18:19], s[16:17]
	s_cbranch_execnz .LBB23_1479
	s_branch .LBB23_1480
.LBB23_1737:
	s_mov_b64 s[2:3], -1
                                        ; implicit-def: $vgpr10
	s_mov_b64 s[16:17], 0
.LBB23_1738:
	s_and_b64 vcc, exec, s[18:19]
	s_cbranch_vccz .LBB23_1742
; %bb.1739:
	s_cmp_eq_u32 s22, 44
	s_cbranch_scc0 .LBB23_1741
; %bb.1740:
	global_load_ubyte v1, v[19:20], off
	s_mov_b32 s2, 0x2f800000
	s_mov_b32 s3, 0xcf800000
	s_mov_b64 s[16:17], -1
	s_waitcnt vmcnt(0)
	v_lshlrev_b32_e32 v3, 23, v1
	v_trunc_f32_e32 v3, v3
	v_mul_f32_e64 v5, |v3|, s2
	v_floor_f32_e32 v5, v5
	v_fma_f32 v5, v5, s3, |v3|
	v_cvt_u32_f32_e32 v5, v5
	v_ashrrev_i32_e32 v3, 31, v3
	v_cmp_ne_u32_e32 vcc, 0, v1
	s_mov_b64 s[2:3], 0
	v_xor_b32_e32 v5, v5, v3
	v_sub_u32_e32 v3, v5, v3
	v_cndmask_b32_e32 v10, 0, v3, vcc
	s_branch .LBB23_1742
.LBB23_1741:
	s_mov_b64 s[2:3], -1
                                        ; implicit-def: $vgpr10
.LBB23_1742:
	s_mov_b64 s[18:19], 0
.LBB23_1743:
	s_and_b64 vcc, exec, s[18:19]
	s_cbranch_vccz .LBB23_1747
; %bb.1744:
	s_cmp_eq_u32 s22, 29
	s_cbranch_scc0 .LBB23_1746
; %bb.1745:
	global_load_dwordx2 v[10:11], v[19:20], off
	s_mov_b64 s[2:3], 0
	s_mov_b64 s[16:17], -1
	s_branch .LBB23_1747
.LBB23_1746:
	s_mov_b64 s[2:3], -1
                                        ; implicit-def: $vgpr10
.LBB23_1747:
	s_mov_b64 s[18:19], 0
.LBB23_1748:
	s_and_b64 vcc, exec, s[18:19]
	s_cbranch_vccz .LBB23_1764
; %bb.1749:
	s_cmp_lt_i32 s22, 27
	s_cbranch_scc1 .LBB23_1752
; %bb.1750:
	s_cmp_gt_i32 s22, 27
	s_cbranch_scc0 .LBB23_1753
; %bb.1751:
	global_load_dword v10, v[19:20], off
	s_mov_b64 s[16:17], 0
	s_branch .LBB23_1754
.LBB23_1752:
	s_mov_b64 s[16:17], -1
                                        ; implicit-def: $vgpr10
	s_branch .LBB23_1757
.LBB23_1753:
	s_mov_b64 s[16:17], -1
                                        ; implicit-def: $vgpr10
.LBB23_1754:
	s_andn2_b64 vcc, exec, s[16:17]
	s_cbranch_vccnz .LBB23_1756
; %bb.1755:
	global_load_ushort v10, v[19:20], off
.LBB23_1756:
	s_mov_b64 s[16:17], 0
.LBB23_1757:
	s_andn2_b64 vcc, exec, s[16:17]
	s_cbranch_vccnz .LBB23_1763
; %bb.1758:
	global_load_ubyte v1, v[19:20], off
	s_movk_i32 s16, 0x7f
	s_mov_b64 s[18:19], 0
	s_waitcnt vmcnt(0)
	v_cmp_lt_i16_e32 vcc, s16, v1
	s_and_saveexec_b64 s[16:17], vcc
	s_xor_b64 s[16:17], exec, s[16:17]
	s_cbranch_execz .LBB23_1774
; %bb.1759:
	s_movk_i32 s18, 0x80
	v_cmp_ne_u16_e32 vcc, s18, v1
	s_and_b64 s[18:19], vcc, exec
	s_andn2_saveexec_b64 s[16:17], s[16:17]
	s_cbranch_execnz .LBB23_1775
.LBB23_1760:
	s_or_b64 exec, exec, s[16:17]
	v_mov_b32_e32 v10, 0
	s_and_saveexec_b64 s[16:17], s[18:19]
	s_cbranch_execz .LBB23_1762
.LBB23_1761:
	v_lshlrev_b32_e32 v3, 24, v1
	v_and_b32_e32 v1, 0xffff, v1
	v_and_b32_e32 v5, 7, v1
	v_ffbh_u32_e32 v10, v5
	v_min_u32_e32 v10, 32, v10
	v_subrev_u32_e32 v11, 28, v10
	v_bfe_u32 v8, v1, 3, 4
	v_lshlrev_b32_e32 v1, v11, v1
	v_sub_u32_e32 v10, 29, v10
	v_and_b32_e32 v1, 7, v1
	v_cmp_eq_u32_e32 vcc, 0, v8
	v_cndmask_b32_e32 v8, v8, v10, vcc
	v_cndmask_b32_e32 v1, v5, v1, vcc
	v_mov_b32_e32 v5, 0x3b800000
	v_lshlrev_b32_e32 v1, 20, v1
	v_and_b32_e32 v3, 0x80000000, v3
	v_lshl_add_u32 v5, v8, 23, v5
	v_or3_b32 v1, v3, v5, v1
	v_trunc_f32_e32 v1, v1
	s_mov_b32 s18, 0x2f800000
	v_mul_f32_e64 v3, |v1|, s18
	v_floor_f32_e32 v3, v3
	s_mov_b32 s18, 0xcf800000
	v_fma_f32 v3, v3, s18, |v1|
	v_cvt_u32_f32_e32 v3, v3
	v_ashrrev_i32_e32 v1, 31, v1
	v_xor_b32_e32 v3, v3, v1
	v_sub_u32_e32 v10, v3, v1
.LBB23_1762:
	s_or_b64 exec, exec, s[16:17]
.LBB23_1763:
	s_mov_b64 s[16:17], -1
.LBB23_1764:
	s_branch .LBB23_1795
.LBB23_1765:
	s_cmp_gt_i32 s22, 22
	s_cbranch_scc0 .LBB23_1773
; %bb.1766:
	s_cmp_lt_i32 s22, 24
	s_cbranch_scc1 .LBB23_1776
; %bb.1767:
	s_cmp_gt_i32 s22, 24
	s_cbranch_scc0 .LBB23_1777
; %bb.1768:
	global_load_ubyte v1, v[19:20], off
	s_movk_i32 s6, 0x7f
	s_mov_b64 s[16:17], 0
	s_waitcnt vmcnt(0)
	v_cmp_lt_i16_e32 vcc, s6, v1
	s_and_saveexec_b64 s[6:7], vcc
	s_xor_b64 s[6:7], exec, s[6:7]
	s_cbranch_execz .LBB23_1789
; %bb.1769:
	s_movk_i32 s16, 0x80
	v_cmp_ne_u16_e32 vcc, s16, v1
	s_and_b64 s[16:17], vcc, exec
	s_andn2_saveexec_b64 s[6:7], s[6:7]
	s_cbranch_execnz .LBB23_1790
.LBB23_1770:
	s_or_b64 exec, exec, s[6:7]
	v_mov_b32_e32 v10, 0
	s_and_saveexec_b64 s[6:7], s[16:17]
	s_cbranch_execz .LBB23_1772
.LBB23_1771:
	v_lshlrev_b32_e32 v3, 24, v1
	v_and_b32_e32 v1, 0xffff, v1
	v_and_b32_e32 v5, 3, v1
	v_ffbh_u32_e32 v10, v5
	v_min_u32_e32 v10, 32, v10
	v_subrev_u32_e32 v11, 29, v10
	v_bfe_u32 v8, v1, 2, 5
	v_lshlrev_b32_e32 v1, v11, v1
	v_sub_u32_e32 v10, 30, v10
	v_and_b32_e32 v1, 3, v1
	v_cmp_eq_u32_e32 vcc, 0, v8
	v_cndmask_b32_e32 v8, v8, v10, vcc
	v_cndmask_b32_e32 v1, v5, v1, vcc
	v_mov_b32_e32 v5, 0x37800000
	v_lshlrev_b32_e32 v1, 21, v1
	v_and_b32_e32 v3, 0x80000000, v3
	v_lshl_add_u32 v5, v8, 23, v5
	v_or3_b32 v1, v3, v5, v1
	v_trunc_f32_e32 v1, v1
	s_mov_b32 s16, 0x2f800000
	v_mul_f32_e64 v3, |v1|, s16
	v_floor_f32_e32 v3, v3
	s_mov_b32 s16, 0xcf800000
	v_fma_f32 v3, v3, s16, |v1|
	v_cvt_u32_f32_e32 v3, v3
	v_ashrrev_i32_e32 v1, 31, v1
	v_xor_b32_e32 v3, v3, v1
	v_sub_u32_e32 v10, v3, v1
.LBB23_1772:
	s_or_b64 exec, exec, s[6:7]
	s_mov_b64 s[6:7], 0
	s_branch .LBB23_1778
.LBB23_1773:
	s_mov_b64 s[6:7], -1
                                        ; implicit-def: $vgpr10
	s_branch .LBB23_1784
.LBB23_1774:
	s_andn2_saveexec_b64 s[16:17], s[16:17]
	s_cbranch_execz .LBB23_1760
.LBB23_1775:
	v_cmp_ne_u16_e32 vcc, 0, v1
	s_andn2_b64 s[18:19], s[18:19], exec
	s_and_b64 s[24:25], vcc, exec
	s_or_b64 s[18:19], s[18:19], s[24:25]
	s_or_b64 exec, exec, s[16:17]
	v_mov_b32_e32 v10, 0
	s_and_saveexec_b64 s[16:17], s[18:19]
	s_cbranch_execnz .LBB23_1761
	s_branch .LBB23_1762
.LBB23_1776:
	s_mov_b64 s[6:7], -1
                                        ; implicit-def: $vgpr10
	s_branch .LBB23_1781
.LBB23_1777:
	s_mov_b64 s[6:7], -1
                                        ; implicit-def: $vgpr10
.LBB23_1778:
	s_and_b64 vcc, exec, s[6:7]
	s_cbranch_vccz .LBB23_1780
; %bb.1779:
	global_load_ubyte v1, v[19:20], off
	s_mov_b32 s6, 0x7f800000
	s_brev_b32 s7, 1
	s_mov_b32 s16, 0x2f800000
	s_waitcnt vmcnt(0)
	v_lshlrev_b32_e32 v1, 24, v1
	v_and_b32_e32 v3, 0x7f000000, v1
	v_ffbh_u32_e32 v5, v3
	v_min_u32_e32 v5, 32, v5
	v_sub_u32_e64 v5, v5, 4 clamp
	v_lshlrev_b32_e32 v10, v5, v3
	v_lshlrev_b32_e32 v5, 23, v5
	v_lshrrev_b32_e32 v10, 4, v10
	v_add_u32_e32 v8, 0x1000000, v3
	v_sub_u32_e32 v5, v10, v5
	v_ashrrev_i32_e32 v8, 8, v8
	v_add_u32_e32 v5, 0x3c000000, v5
	v_and_or_b32 v5, v8, s6, v5
	v_cmp_ne_u32_e32 vcc, 0, v3
	v_cndmask_b32_e32 v3, 0, v5, vcc
	v_and_or_b32 v1, v1, s7, v3
	v_trunc_f32_e32 v1, v1
	v_mul_f32_e64 v3, |v1|, s16
	v_floor_f32_e32 v3, v3
	s_mov_b32 s6, 0xcf800000
	v_fma_f32 v3, v3, s6, |v1|
	v_cvt_u32_f32_e32 v3, v3
	v_ashrrev_i32_e32 v1, 31, v1
	v_xor_b32_e32 v3, v3, v1
	v_sub_u32_e32 v10, v3, v1
.LBB23_1780:
	s_mov_b64 s[6:7], 0
.LBB23_1781:
	s_andn2_b64 vcc, exec, s[6:7]
	s_cbranch_vccnz .LBB23_1783
; %bb.1782:
	global_load_ubyte v1, v[19:20], off
	s_movk_i32 s6, 0x7f00
	s_brev_b32 s7, 16
	s_brev_b32 s16, 1
	s_mov_b32 s17, 0x2f800000
	s_waitcnt vmcnt(0)
	v_lshlrev_b16_e32 v3, 8, v1
	v_lshlrev_b32_e32 v1, 25, v1
	v_lshrrev_b32_e32 v5, 4, v1
	v_and_or_b32 v8, v3, s6, 0.5
	v_or_b32_e32 v5, 0x70000000, v5
	v_add_f32_e32 v8, -0.5, v8
	v_mul_f32_e32 v5, 0x7800000, v5
	v_cmp_gt_u32_e32 vcc, s7, v1
	v_bfe_i32 v3, v3, 0, 16
	v_cndmask_b32_e32 v1, v5, v8, vcc
	v_and_or_b32 v1, v3, s16, v1
	v_trunc_f32_e32 v1, v1
	v_mul_f32_e64 v3, |v1|, s17
	v_floor_f32_e32 v3, v3
	s_mov_b32 s6, 0xcf800000
	v_fma_f32 v3, v3, s6, |v1|
	v_cvt_u32_f32_e32 v3, v3
	v_ashrrev_i32_e32 v1, 31, v1
	v_xor_b32_e32 v3, v3, v1
	v_sub_u32_e32 v10, v3, v1
.LBB23_1783:
	s_mov_b64 s[6:7], 0
	s_mov_b64 s[16:17], -1
.LBB23_1784:
	s_andn2_b64 vcc, exec, s[6:7]
	s_mov_b64 s[6:7], 0
	s_cbranch_vccnz .LBB23_1795
; %bb.1785:
	s_cmp_gt_i32 s22, 14
	s_cbranch_scc0 .LBB23_1788
; %bb.1786:
	s_cmp_eq_u32 s22, 15
	s_cbranch_scc0 .LBB23_1791
; %bb.1787:
	global_load_ushort v1, v[19:20], off
	s_mov_b32 s2, 0x2f800000
	s_mov_b32 s3, 0xcf800000
	s_mov_b64 s[16:17], -1
	s_waitcnt vmcnt(0)
	v_lshlrev_b32_e32 v1, 16, v1
	v_trunc_f32_e32 v1, v1
	v_mul_f32_e64 v3, |v1|, s2
	v_floor_f32_e32 v3, v3
	v_fma_f32 v3, v3, s3, |v1|
	v_cvt_u32_f32_e32 v3, v3
	v_ashrrev_i32_e32 v1, 31, v1
	s_mov_b64 s[2:3], 0
	v_xor_b32_e32 v3, v3, v1
	v_sub_u32_e32 v10, v3, v1
	s_branch .LBB23_1792
.LBB23_1788:
	s_mov_b64 s[18:19], -1
                                        ; implicit-def: $vgpr10
	s_branch .LBB23_1793
.LBB23_1789:
	s_andn2_saveexec_b64 s[6:7], s[6:7]
	s_cbranch_execz .LBB23_1770
.LBB23_1790:
	v_cmp_ne_u16_e32 vcc, 0, v1
	s_andn2_b64 s[16:17], s[16:17], exec
	s_and_b64 s[18:19], vcc, exec
	s_or_b64 s[16:17], s[16:17], s[18:19]
	s_or_b64 exec, exec, s[6:7]
	v_mov_b32_e32 v10, 0
	s_and_saveexec_b64 s[6:7], s[16:17]
	s_cbranch_execnz .LBB23_1771
	s_branch .LBB23_1772
.LBB23_1791:
	s_mov_b64 s[2:3], -1
                                        ; implicit-def: $vgpr10
.LBB23_1792:
	s_mov_b64 s[18:19], 0
.LBB23_1793:
	s_and_b64 vcc, exec, s[18:19]
	s_cbranch_vccz .LBB23_1795
; %bb.1794:
	s_cmp_lg_u32 s22, 11
	s_mov_b64 s[6:7], -1
	s_cselect_b64 s[2:3], -1, 0
.LBB23_1795:
	s_and_b64 vcc, exec, s[2:3]
	s_cbranch_vccnz .LBB23_1858
; %bb.1796:
	s_andn2_b64 vcc, exec, s[6:7]
	s_cbranch_vccnz .LBB23_1798
.LBB23_1797:
	global_load_ubyte v1, v[19:20], off
	s_mov_b64 s[16:17], -1
	s_waitcnt vmcnt(0)
	v_cmp_ne_u16_e32 vcc, 0, v1
	v_cndmask_b32_e64 v10, 0, 1, vcc
.LBB23_1798:
	s_branch .LBB23_1729
.LBB23_1799:
	s_and_b32 s6, 0xffff, s21
	s_cmp_lt_i32 s6, 5
	s_cbranch_scc1 .LBB23_1804
; %bb.1800:
	s_cmp_lt_i32 s6, 8
	s_cbranch_scc1 .LBB23_1805
; %bb.1801:
	;; [unrolled: 3-line block ×3, first 2 shown]
	s_cmp_gt_i32 s6, 9
	s_cbranch_scc0 .LBB23_1807
; %bb.1803:
	global_load_dwordx2 v[10:11], v[19:20], off
	s_movk_i32 s2, 0xffe0
	s_waitcnt vmcnt(0)
	v_trunc_f64_e32 v[10:11], v[10:11]
	v_ldexp_f64 v[21:22], v[10:11], s2
	s_mov_b32 s2, 0
	s_mov_b32 s3, 0xc1f00000
	v_floor_f64_e32 v[21:22], v[21:22]
	v_fma_f64 v[10:11], v[21:22], s[2:3], v[10:11]
	s_mov_b64 s[2:3], 0
	v_cvt_u32_f64_e32 v10, v[10:11]
	s_branch .LBB23_1808
.LBB23_1804:
                                        ; implicit-def: $vgpr10
	s_branch .LBB23_1826
.LBB23_1805:
	s_mov_b64 s[2:3], -1
                                        ; implicit-def: $vgpr10
	s_branch .LBB23_1814
.LBB23_1806:
	s_mov_b64 s[2:3], -1
                                        ; implicit-def: $vgpr10
	s_branch .LBB23_1811
.LBB23_1807:
	s_mov_b64 s[2:3], -1
                                        ; implicit-def: $vgpr10
.LBB23_1808:
	s_andn2_b64 vcc, exec, s[2:3]
	s_cbranch_vccnz .LBB23_1810
; %bb.1809:
	global_load_dword v1, v[19:20], off
	s_mov_b32 s2, 0x2f800000
	s_waitcnt vmcnt(0)
	v_trunc_f32_e32 v1, v1
	v_mul_f32_e64 v3, |v1|, s2
	v_floor_f32_e32 v3, v3
	s_mov_b32 s2, 0xcf800000
	v_fma_f32 v3, v3, s2, |v1|
	v_cvt_u32_f32_e32 v3, v3
	v_ashrrev_i32_e32 v1, 31, v1
	v_xor_b32_e32 v3, v3, v1
	v_sub_u32_e32 v10, v3, v1
.LBB23_1810:
	s_mov_b64 s[2:3], 0
.LBB23_1811:
	s_andn2_b64 vcc, exec, s[2:3]
	s_cbranch_vccnz .LBB23_1813
; %bb.1812:
	global_load_dword v1, v[19:20], off
	s_waitcnt vmcnt(0)
	v_cvt_f32_f16_e32 v1, v1
	v_cvt_i32_f32_e32 v10, v1
.LBB23_1813:
	s_mov_b64 s[2:3], 0
.LBB23_1814:
	s_andn2_b64 vcc, exec, s[2:3]
	s_cbranch_vccnz .LBB23_1825
; %bb.1815:
	s_cmp_lt_i32 s6, 6
	s_cbranch_scc1 .LBB23_1818
; %bb.1816:
	s_cmp_gt_i32 s6, 6
	s_cbranch_scc0 .LBB23_1819
; %bb.1817:
	global_load_dwordx2 v[10:11], v[19:20], off
	s_movk_i32 s2, 0xffe0
	s_waitcnt vmcnt(0)
	v_trunc_f64_e32 v[10:11], v[10:11]
	v_ldexp_f64 v[21:22], v[10:11], s2
	s_mov_b32 s2, 0
	s_mov_b32 s3, 0xc1f00000
	v_floor_f64_e32 v[21:22], v[21:22]
	v_fma_f64 v[10:11], v[21:22], s[2:3], v[10:11]
	s_mov_b64 s[2:3], 0
	v_cvt_u32_f64_e32 v10, v[10:11]
	s_branch .LBB23_1820
.LBB23_1818:
	s_mov_b64 s[2:3], -1
                                        ; implicit-def: $vgpr10
	s_branch .LBB23_1823
.LBB23_1819:
	s_mov_b64 s[2:3], -1
                                        ; implicit-def: $vgpr10
.LBB23_1820:
	s_andn2_b64 vcc, exec, s[2:3]
	s_cbranch_vccnz .LBB23_1822
; %bb.1821:
	global_load_dword v1, v[19:20], off
	s_mov_b32 s2, 0x2f800000
	s_waitcnt vmcnt(0)
	v_trunc_f32_e32 v1, v1
	v_mul_f32_e64 v3, |v1|, s2
	v_floor_f32_e32 v3, v3
	s_mov_b32 s2, 0xcf800000
	v_fma_f32 v3, v3, s2, |v1|
	v_cvt_u32_f32_e32 v3, v3
	v_ashrrev_i32_e32 v1, 31, v1
	v_xor_b32_e32 v3, v3, v1
	v_sub_u32_e32 v10, v3, v1
.LBB23_1822:
	s_mov_b64 s[2:3], 0
.LBB23_1823:
	s_andn2_b64 vcc, exec, s[2:3]
	s_cbranch_vccnz .LBB23_1825
; %bb.1824:
	global_load_ushort v1, v[19:20], off
	s_waitcnt vmcnt(0)
	v_cvt_f32_f16_e32 v1, v1
	v_cvt_i32_f32_e32 v10, v1
.LBB23_1825:
	s_cbranch_execnz .LBB23_1845
.LBB23_1826:
	s_cmp_lt_i32 s6, 2
	s_cbranch_scc1 .LBB23_1830
; %bb.1827:
	s_cmp_lt_i32 s6, 3
	s_cbranch_scc1 .LBB23_1831
; %bb.1828:
	s_cmp_gt_i32 s6, 3
	s_cbranch_scc0 .LBB23_1832
; %bb.1829:
	global_load_dwordx2 v[10:11], v[19:20], off
	s_mov_b64 s[2:3], 0
	s_branch .LBB23_1833
.LBB23_1830:
	s_mov_b64 s[2:3], -1
                                        ; implicit-def: $vgpr10
	s_branch .LBB23_1839
.LBB23_1831:
	s_mov_b64 s[2:3], -1
                                        ; implicit-def: $vgpr10
	s_branch .LBB23_1836
.LBB23_1832:
	s_mov_b64 s[2:3], -1
                                        ; implicit-def: $vgpr10
.LBB23_1833:
	s_andn2_b64 vcc, exec, s[2:3]
	s_cbranch_vccnz .LBB23_1835
; %bb.1834:
	global_load_dword v10, v[19:20], off
.LBB23_1835:
	s_mov_b64 s[2:3], 0
.LBB23_1836:
	s_andn2_b64 vcc, exec, s[2:3]
	s_cbranch_vccnz .LBB23_1838
; %bb.1837:
	global_load_ushort v10, v[19:20], off
.LBB23_1838:
	s_mov_b64 s[2:3], 0
.LBB23_1839:
	s_andn2_b64 vcc, exec, s[2:3]
	s_cbranch_vccnz .LBB23_1845
; %bb.1840:
	s_cmp_gt_i32 s6, 0
	s_cbranch_scc0 .LBB23_1842
; %bb.1841:
	global_load_ubyte v10, v[19:20], off
	s_mov_b64 s[2:3], 0
	s_branch .LBB23_1843
.LBB23_1842:
	s_mov_b64 s[2:3], -1
                                        ; implicit-def: $vgpr10
.LBB23_1843:
	s_andn2_b64 vcc, exec, s[2:3]
	s_cbranch_vccnz .LBB23_1845
; %bb.1844:
	global_load_ubyte v10, v[19:20], off
.LBB23_1845:
.LBB23_1846:
	s_lshr_b32 s2, s20, 16
	v_mov_b32_e32 v1, s11
	s_and_b32 s22, s2, 0xff
	v_add_co_u32_e32 v19, vcc, s10, v12
	s_cmp_lt_i32 s22, 11
	v_addc_co_u32_e32 v20, vcc, 0, v1, vcc
	s_cbranch_scc1 .LBB23_1853
; %bb.1847:
	s_and_b32 s23, 0xffff, s22
	s_cmp_gt_i32 s23, 25
	s_mov_b64 s[6:7], 0
	s_cbranch_scc0 .LBB23_1855
; %bb.1848:
	s_cmp_gt_i32 s23, 28
	s_cbranch_scc0 .LBB23_1856
; %bb.1849:
	s_cmp_gt_i32 s23, 43
	;; [unrolled: 3-line block ×3, first 2 shown]
	s_cbranch_scc0 .LBB23_1859
; %bb.1851:
	s_cmp_eq_u32 s23, 46
	s_mov_b64 s[18:19], 0
	s_cbranch_scc0 .LBB23_1860
; %bb.1852:
	global_load_dword v1, v[19:20], off
	s_mov_b32 s2, 0x2f800000
	s_mov_b32 s3, 0xcf800000
	s_mov_b64 s[16:17], -1
	s_waitcnt vmcnt(0)
	v_lshlrev_b32_e32 v1, 16, v1
	v_trunc_f32_e32 v1, v1
	v_mul_f32_e64 v3, |v1|, s2
	v_floor_f32_e32 v3, v3
	v_fma_f32 v3, v3, s3, |v1|
	v_cvt_u32_f32_e32 v3, v3
	v_ashrrev_i32_e32 v1, 31, v1
	s_mov_b64 s[2:3], 0
	v_xor_b32_e32 v3, v3, v1
	v_sub_u32_e32 v11, v3, v1
	s_branch .LBB23_1861
.LBB23_1853:
	s_mov_b64 s[16:17], 0
                                        ; implicit-def: $vgpr11
	s_cbranch_execnz .LBB23_1923
.LBB23_1854:
	s_andn2_b64 vcc, exec, s[16:17]
	s_cbranch_vccnz .LBB23_3036
	s_branch .LBB23_1971
.LBB23_1855:
	s_mov_b64 s[18:19], -1
	s_mov_b64 s[16:17], 0
	s_mov_b64 s[2:3], 0
                                        ; implicit-def: $vgpr11
	s_branch .LBB23_1888
.LBB23_1856:
	s_mov_b64 s[18:19], -1
	s_mov_b64 s[16:17], 0
	s_mov_b64 s[2:3], 0
                                        ; implicit-def: $vgpr11
	s_branch .LBB23_1871
.LBB23_1857:
	s_mov_b64 s[18:19], -1
	s_mov_b64 s[16:17], 0
	s_mov_b64 s[2:3], 0
                                        ; implicit-def: $vgpr11
	s_branch .LBB23_1866
.LBB23_1858:
	s_trap 2
	s_or_b64 s[4:5], s[4:5], exec
	s_cbranch_execz .LBB23_1797
	s_branch .LBB23_1798
.LBB23_1859:
	s_mov_b64 s[18:19], -1
	s_mov_b64 s[16:17], 0
	s_mov_b64 s[2:3], 0
                                        ; implicit-def: $vgpr11
	s_branch .LBB23_1861
.LBB23_1860:
	s_mov_b64 s[2:3], -1
                                        ; implicit-def: $vgpr11
	s_mov_b64 s[16:17], 0
.LBB23_1861:
	s_and_b64 vcc, exec, s[18:19]
	s_cbranch_vccz .LBB23_1865
; %bb.1862:
	s_cmp_eq_u32 s23, 44
	s_cbranch_scc0 .LBB23_1864
; %bb.1863:
	global_load_ubyte v1, v[19:20], off
	s_mov_b32 s2, 0x2f800000
	s_mov_b32 s3, 0xcf800000
	s_mov_b64 s[16:17], -1
	s_waitcnt vmcnt(0)
	v_lshlrev_b32_e32 v3, 23, v1
	v_trunc_f32_e32 v3, v3
	v_mul_f32_e64 v5, |v3|, s2
	v_floor_f32_e32 v5, v5
	v_fma_f32 v5, v5, s3, |v3|
	v_cvt_u32_f32_e32 v5, v5
	v_ashrrev_i32_e32 v3, 31, v3
	v_cmp_ne_u32_e32 vcc, 0, v1
	s_mov_b64 s[2:3], 0
	v_xor_b32_e32 v5, v5, v3
	v_sub_u32_e32 v3, v5, v3
	v_cndmask_b32_e32 v11, 0, v3, vcc
	s_branch .LBB23_1865
.LBB23_1864:
	s_mov_b64 s[2:3], -1
                                        ; implicit-def: $vgpr11
.LBB23_1865:
	s_mov_b64 s[18:19], 0
.LBB23_1866:
	s_and_b64 vcc, exec, s[18:19]
	s_cbranch_vccz .LBB23_1870
; %bb.1867:
	s_cmp_eq_u32 s23, 29
	s_cbranch_scc0 .LBB23_1869
; %bb.1868:
	global_load_dwordx2 v[11:12], v[19:20], off
	s_mov_b64 s[2:3], 0
	s_mov_b64 s[16:17], -1
	s_branch .LBB23_1870
.LBB23_1869:
	s_mov_b64 s[2:3], -1
                                        ; implicit-def: $vgpr11
.LBB23_1870:
	s_mov_b64 s[18:19], 0
.LBB23_1871:
	s_and_b64 vcc, exec, s[18:19]
	s_cbranch_vccz .LBB23_1887
; %bb.1872:
	s_cmp_lt_i32 s23, 27
	s_cbranch_scc1 .LBB23_1875
; %bb.1873:
	s_cmp_gt_i32 s23, 27
	s_cbranch_scc0 .LBB23_1876
; %bb.1874:
	global_load_dword v11, v[19:20], off
	s_mov_b64 s[16:17], 0
	s_branch .LBB23_1877
.LBB23_1875:
	s_mov_b64 s[16:17], -1
                                        ; implicit-def: $vgpr11
	s_branch .LBB23_1880
.LBB23_1876:
	s_mov_b64 s[16:17], -1
                                        ; implicit-def: $vgpr11
.LBB23_1877:
	s_andn2_b64 vcc, exec, s[16:17]
	s_cbranch_vccnz .LBB23_1879
; %bb.1878:
	global_load_ushort v11, v[19:20], off
.LBB23_1879:
	s_mov_b64 s[16:17], 0
.LBB23_1880:
	s_andn2_b64 vcc, exec, s[16:17]
	s_cbranch_vccnz .LBB23_1886
; %bb.1881:
	global_load_ubyte v1, v[19:20], off
	s_movk_i32 s16, 0x7f
	s_mov_b64 s[18:19], 0
	s_waitcnt vmcnt(0)
	v_cmp_lt_i16_e32 vcc, s16, v1
	s_and_saveexec_b64 s[16:17], vcc
	s_xor_b64 s[16:17], exec, s[16:17]
	s_cbranch_execz .LBB23_1898
; %bb.1882:
	s_movk_i32 s18, 0x80
	v_cmp_ne_u16_e32 vcc, s18, v1
	s_and_b64 s[18:19], vcc, exec
	s_andn2_saveexec_b64 s[16:17], s[16:17]
	s_cbranch_execnz .LBB23_1899
.LBB23_1883:
	s_or_b64 exec, exec, s[16:17]
	v_mov_b32_e32 v11, 0
	s_and_saveexec_b64 s[16:17], s[18:19]
	s_cbranch_execz .LBB23_1885
.LBB23_1884:
	v_lshlrev_b32_e32 v3, 24, v1
	v_and_b32_e32 v1, 0xffff, v1
	v_and_b32_e32 v5, 7, v1
	v_ffbh_u32_e32 v11, v5
	v_min_u32_e32 v11, 32, v11
	v_subrev_u32_e32 v12, 28, v11
	v_bfe_u32 v8, v1, 3, 4
	v_lshlrev_b32_e32 v1, v12, v1
	v_sub_u32_e32 v11, 29, v11
	v_and_b32_e32 v1, 7, v1
	v_cmp_eq_u32_e32 vcc, 0, v8
	v_cndmask_b32_e32 v8, v8, v11, vcc
	v_cndmask_b32_e32 v1, v5, v1, vcc
	v_mov_b32_e32 v5, 0x3b800000
	v_lshlrev_b32_e32 v1, 20, v1
	v_and_b32_e32 v3, 0x80000000, v3
	v_lshl_add_u32 v5, v8, 23, v5
	v_or3_b32 v1, v3, v5, v1
	v_trunc_f32_e32 v1, v1
	s_mov_b32 s18, 0x2f800000
	v_mul_f32_e64 v3, |v1|, s18
	v_floor_f32_e32 v3, v3
	s_mov_b32 s18, 0xcf800000
	v_fma_f32 v3, v3, s18, |v1|
	v_cvt_u32_f32_e32 v3, v3
	v_ashrrev_i32_e32 v1, 31, v1
	v_xor_b32_e32 v3, v3, v1
	v_sub_u32_e32 v11, v3, v1
.LBB23_1885:
	s_or_b64 exec, exec, s[16:17]
.LBB23_1886:
	s_mov_b64 s[16:17], -1
.LBB23_1887:
	s_mov_b64 s[18:19], 0
.LBB23_1888:
	s_and_b64 vcc, exec, s[18:19]
	s_cbranch_vccz .LBB23_1919
; %bb.1889:
	s_cmp_gt_i32 s23, 22
	s_cbranch_scc0 .LBB23_1897
; %bb.1890:
	s_cmp_lt_i32 s23, 24
	s_cbranch_scc1 .LBB23_1900
; %bb.1891:
	s_cmp_gt_i32 s23, 24
	s_cbranch_scc0 .LBB23_1901
; %bb.1892:
	global_load_ubyte v1, v[19:20], off
	s_movk_i32 s6, 0x7f
	s_mov_b64 s[16:17], 0
	s_waitcnt vmcnt(0)
	v_cmp_lt_i16_e32 vcc, s6, v1
	s_and_saveexec_b64 s[6:7], vcc
	s_xor_b64 s[6:7], exec, s[6:7]
	s_cbranch_execz .LBB23_1913
; %bb.1893:
	s_movk_i32 s16, 0x80
	v_cmp_ne_u16_e32 vcc, s16, v1
	s_and_b64 s[16:17], vcc, exec
	s_andn2_saveexec_b64 s[6:7], s[6:7]
	s_cbranch_execnz .LBB23_1914
.LBB23_1894:
	s_or_b64 exec, exec, s[6:7]
	v_mov_b32_e32 v11, 0
	s_and_saveexec_b64 s[6:7], s[16:17]
	s_cbranch_execz .LBB23_1896
.LBB23_1895:
	v_lshlrev_b32_e32 v3, 24, v1
	v_and_b32_e32 v1, 0xffff, v1
	v_and_b32_e32 v5, 3, v1
	v_ffbh_u32_e32 v11, v5
	v_min_u32_e32 v11, 32, v11
	v_subrev_u32_e32 v12, 29, v11
	v_bfe_u32 v8, v1, 2, 5
	v_lshlrev_b32_e32 v1, v12, v1
	v_sub_u32_e32 v11, 30, v11
	v_and_b32_e32 v1, 3, v1
	v_cmp_eq_u32_e32 vcc, 0, v8
	v_cndmask_b32_e32 v8, v8, v11, vcc
	v_cndmask_b32_e32 v1, v5, v1, vcc
	v_mov_b32_e32 v5, 0x37800000
	v_lshlrev_b32_e32 v1, 21, v1
	v_and_b32_e32 v3, 0x80000000, v3
	v_lshl_add_u32 v5, v8, 23, v5
	v_or3_b32 v1, v3, v5, v1
	v_trunc_f32_e32 v1, v1
	s_mov_b32 s16, 0x2f800000
	v_mul_f32_e64 v3, |v1|, s16
	v_floor_f32_e32 v3, v3
	s_mov_b32 s16, 0xcf800000
	v_fma_f32 v3, v3, s16, |v1|
	v_cvt_u32_f32_e32 v3, v3
	v_ashrrev_i32_e32 v1, 31, v1
	v_xor_b32_e32 v3, v3, v1
	v_sub_u32_e32 v11, v3, v1
.LBB23_1896:
	s_or_b64 exec, exec, s[6:7]
	s_mov_b64 s[6:7], 0
	s_branch .LBB23_1902
.LBB23_1897:
	s_mov_b64 s[6:7], -1
                                        ; implicit-def: $vgpr11
	s_branch .LBB23_1908
.LBB23_1898:
	s_andn2_saveexec_b64 s[16:17], s[16:17]
	s_cbranch_execz .LBB23_1883
.LBB23_1899:
	v_cmp_ne_u16_e32 vcc, 0, v1
	s_andn2_b64 s[18:19], s[18:19], exec
	s_and_b64 s[24:25], vcc, exec
	s_or_b64 s[18:19], s[18:19], s[24:25]
	s_or_b64 exec, exec, s[16:17]
	v_mov_b32_e32 v11, 0
	s_and_saveexec_b64 s[16:17], s[18:19]
	s_cbranch_execnz .LBB23_1884
	s_branch .LBB23_1885
.LBB23_1900:
	s_mov_b64 s[6:7], -1
                                        ; implicit-def: $vgpr11
	s_branch .LBB23_1905
.LBB23_1901:
	s_mov_b64 s[6:7], -1
                                        ; implicit-def: $vgpr11
.LBB23_1902:
	s_and_b64 vcc, exec, s[6:7]
	s_cbranch_vccz .LBB23_1904
; %bb.1903:
	global_load_ubyte v1, v[19:20], off
	s_mov_b32 s6, 0x7f800000
	s_brev_b32 s7, 1
	s_mov_b32 s16, 0x2f800000
	s_waitcnt vmcnt(0)
	v_lshlrev_b32_e32 v1, 24, v1
	v_and_b32_e32 v3, 0x7f000000, v1
	v_ffbh_u32_e32 v5, v3
	v_min_u32_e32 v5, 32, v5
	v_sub_u32_e64 v5, v5, 4 clamp
	v_lshlrev_b32_e32 v11, v5, v3
	v_lshlrev_b32_e32 v5, 23, v5
	v_lshrrev_b32_e32 v11, 4, v11
	v_add_u32_e32 v8, 0x1000000, v3
	v_sub_u32_e32 v5, v11, v5
	v_ashrrev_i32_e32 v8, 8, v8
	v_add_u32_e32 v5, 0x3c000000, v5
	v_and_or_b32 v5, v8, s6, v5
	v_cmp_ne_u32_e32 vcc, 0, v3
	v_cndmask_b32_e32 v3, 0, v5, vcc
	v_and_or_b32 v1, v1, s7, v3
	v_trunc_f32_e32 v1, v1
	v_mul_f32_e64 v3, |v1|, s16
	v_floor_f32_e32 v3, v3
	s_mov_b32 s6, 0xcf800000
	v_fma_f32 v3, v3, s6, |v1|
	v_cvt_u32_f32_e32 v3, v3
	v_ashrrev_i32_e32 v1, 31, v1
	v_xor_b32_e32 v3, v3, v1
	v_sub_u32_e32 v11, v3, v1
.LBB23_1904:
	s_mov_b64 s[6:7], 0
.LBB23_1905:
	s_andn2_b64 vcc, exec, s[6:7]
	s_cbranch_vccnz .LBB23_1907
; %bb.1906:
	global_load_ubyte v1, v[19:20], off
	s_movk_i32 s6, 0x7f00
	s_brev_b32 s7, 16
	s_brev_b32 s16, 1
	s_mov_b32 s17, 0x2f800000
	s_waitcnt vmcnt(0)
	v_lshlrev_b16_e32 v3, 8, v1
	v_lshlrev_b32_e32 v1, 25, v1
	v_lshrrev_b32_e32 v5, 4, v1
	v_and_or_b32 v8, v3, s6, 0.5
	v_or_b32_e32 v5, 0x70000000, v5
	v_add_f32_e32 v8, -0.5, v8
	v_mul_f32_e32 v5, 0x7800000, v5
	v_cmp_gt_u32_e32 vcc, s7, v1
	v_bfe_i32 v3, v3, 0, 16
	v_cndmask_b32_e32 v1, v5, v8, vcc
	v_and_or_b32 v1, v3, s16, v1
	v_trunc_f32_e32 v1, v1
	v_mul_f32_e64 v3, |v1|, s17
	v_floor_f32_e32 v3, v3
	s_mov_b32 s6, 0xcf800000
	v_fma_f32 v3, v3, s6, |v1|
	v_cvt_u32_f32_e32 v3, v3
	v_ashrrev_i32_e32 v1, 31, v1
	v_xor_b32_e32 v3, v3, v1
	v_sub_u32_e32 v11, v3, v1
.LBB23_1907:
	s_mov_b64 s[6:7], 0
	s_mov_b64 s[16:17], -1
.LBB23_1908:
	s_andn2_b64 vcc, exec, s[6:7]
	s_mov_b64 s[6:7], 0
	s_cbranch_vccnz .LBB23_1919
; %bb.1909:
	s_cmp_gt_i32 s23, 14
	s_cbranch_scc0 .LBB23_1912
; %bb.1910:
	s_cmp_eq_u32 s23, 15
	s_cbranch_scc0 .LBB23_1915
; %bb.1911:
	global_load_ushort v1, v[19:20], off
	s_mov_b32 s2, 0x2f800000
	s_mov_b32 s3, 0xcf800000
	s_mov_b64 s[16:17], -1
	s_waitcnt vmcnt(0)
	v_lshlrev_b32_e32 v1, 16, v1
	v_trunc_f32_e32 v1, v1
	v_mul_f32_e64 v3, |v1|, s2
	v_floor_f32_e32 v3, v3
	v_fma_f32 v3, v3, s3, |v1|
	v_cvt_u32_f32_e32 v3, v3
	v_ashrrev_i32_e32 v1, 31, v1
	s_mov_b64 s[2:3], 0
	v_xor_b32_e32 v3, v3, v1
	v_sub_u32_e32 v11, v3, v1
	s_branch .LBB23_1916
.LBB23_1912:
	s_mov_b64 s[18:19], -1
                                        ; implicit-def: $vgpr11
	s_branch .LBB23_1917
.LBB23_1913:
	s_andn2_saveexec_b64 s[6:7], s[6:7]
	s_cbranch_execz .LBB23_1894
.LBB23_1914:
	v_cmp_ne_u16_e32 vcc, 0, v1
	s_andn2_b64 s[16:17], s[16:17], exec
	s_and_b64 s[18:19], vcc, exec
	s_or_b64 s[16:17], s[16:17], s[18:19]
	s_or_b64 exec, exec, s[6:7]
	v_mov_b32_e32 v11, 0
	s_and_saveexec_b64 s[6:7], s[16:17]
	s_cbranch_execnz .LBB23_1895
	s_branch .LBB23_1896
.LBB23_1915:
	s_mov_b64 s[2:3], -1
                                        ; implicit-def: $vgpr11
.LBB23_1916:
	s_mov_b64 s[18:19], 0
.LBB23_1917:
	s_and_b64 vcc, exec, s[18:19]
	s_cbranch_vccz .LBB23_1919
; %bb.1918:
	s_cmp_lg_u32 s23, 11
	s_mov_b64 s[6:7], -1
	s_cselect_b64 s[2:3], -1, 0
.LBB23_1919:
	s_and_b64 vcc, exec, s[2:3]
	s_cbranch_vccnz .LBB23_1982
; %bb.1920:
	s_andn2_b64 vcc, exec, s[6:7]
	s_cbranch_vccnz .LBB23_1922
.LBB23_1921:
	global_load_ubyte v1, v[19:20], off
	s_mov_b64 s[16:17], -1
	s_waitcnt vmcnt(0)
	v_cmp_ne_u16_e32 vcc, 0, v1
	v_cndmask_b32_e64 v11, 0, 1, vcc
.LBB23_1922:
	s_branch .LBB23_1854
.LBB23_1923:
	s_and_b32 s6, 0xffff, s22
	s_cmp_lt_i32 s6, 5
	s_cbranch_scc1 .LBB23_1928
; %bb.1924:
	s_cmp_lt_i32 s6, 8
	s_cbranch_scc1 .LBB23_1929
; %bb.1925:
	;; [unrolled: 3-line block ×3, first 2 shown]
	s_cmp_gt_i32 s6, 9
	s_cbranch_scc0 .LBB23_1931
; %bb.1927:
	global_load_dwordx2 v[11:12], v[19:20], off
	s_movk_i32 s2, 0xffe0
	s_waitcnt vmcnt(0)
	v_trunc_f64_e32 v[11:12], v[11:12]
	v_ldexp_f64 v[21:22], v[11:12], s2
	s_mov_b32 s2, 0
	s_mov_b32 s3, 0xc1f00000
	v_floor_f64_e32 v[21:22], v[21:22]
	v_fma_f64 v[11:12], v[21:22], s[2:3], v[11:12]
	s_mov_b64 s[2:3], 0
	v_cvt_u32_f64_e32 v11, v[11:12]
	s_branch .LBB23_1932
.LBB23_1928:
	s_mov_b64 s[2:3], -1
                                        ; implicit-def: $vgpr11
	s_branch .LBB23_1950
.LBB23_1929:
	s_mov_b64 s[2:3], -1
                                        ; implicit-def: $vgpr11
	s_branch .LBB23_1938
.LBB23_1930:
	s_mov_b64 s[2:3], -1
                                        ; implicit-def: $vgpr11
	s_branch .LBB23_1935
.LBB23_1931:
	s_mov_b64 s[2:3], -1
                                        ; implicit-def: $vgpr11
.LBB23_1932:
	s_andn2_b64 vcc, exec, s[2:3]
	s_cbranch_vccnz .LBB23_1934
; %bb.1933:
	global_load_dword v1, v[19:20], off
	s_mov_b32 s2, 0x2f800000
	s_waitcnt vmcnt(0)
	v_trunc_f32_e32 v1, v1
	v_mul_f32_e64 v3, |v1|, s2
	v_floor_f32_e32 v3, v3
	s_mov_b32 s2, 0xcf800000
	v_fma_f32 v3, v3, s2, |v1|
	v_cvt_u32_f32_e32 v3, v3
	v_ashrrev_i32_e32 v1, 31, v1
	v_xor_b32_e32 v3, v3, v1
	v_sub_u32_e32 v11, v3, v1
.LBB23_1934:
	s_mov_b64 s[2:3], 0
.LBB23_1935:
	s_andn2_b64 vcc, exec, s[2:3]
	s_cbranch_vccnz .LBB23_1937
; %bb.1936:
	global_load_dword v1, v[19:20], off
	s_waitcnt vmcnt(0)
	v_cvt_f32_f16_e32 v1, v1
	v_cvt_i32_f32_e32 v11, v1
.LBB23_1937:
	s_mov_b64 s[2:3], 0
.LBB23_1938:
	s_andn2_b64 vcc, exec, s[2:3]
	s_cbranch_vccnz .LBB23_1949
; %bb.1939:
	s_cmp_lt_i32 s6, 6
	s_cbranch_scc1 .LBB23_1942
; %bb.1940:
	s_cmp_gt_i32 s6, 6
	s_cbranch_scc0 .LBB23_1943
; %bb.1941:
	global_load_dwordx2 v[11:12], v[19:20], off
	s_movk_i32 s2, 0xffe0
	s_waitcnt vmcnt(0)
	v_trunc_f64_e32 v[11:12], v[11:12]
	v_ldexp_f64 v[21:22], v[11:12], s2
	s_mov_b32 s2, 0
	s_mov_b32 s3, 0xc1f00000
	v_floor_f64_e32 v[21:22], v[21:22]
	v_fma_f64 v[11:12], v[21:22], s[2:3], v[11:12]
	s_mov_b64 s[2:3], 0
	v_cvt_u32_f64_e32 v11, v[11:12]
	s_branch .LBB23_1944
.LBB23_1942:
	s_mov_b64 s[2:3], -1
                                        ; implicit-def: $vgpr11
	s_branch .LBB23_1947
.LBB23_1943:
	s_mov_b64 s[2:3], -1
                                        ; implicit-def: $vgpr11
.LBB23_1944:
	s_andn2_b64 vcc, exec, s[2:3]
	s_cbranch_vccnz .LBB23_1946
; %bb.1945:
	global_load_dword v1, v[19:20], off
	s_mov_b32 s2, 0x2f800000
	s_waitcnt vmcnt(0)
	v_trunc_f32_e32 v1, v1
	v_mul_f32_e64 v3, |v1|, s2
	v_floor_f32_e32 v3, v3
	s_mov_b32 s2, 0xcf800000
	v_fma_f32 v3, v3, s2, |v1|
	v_cvt_u32_f32_e32 v3, v3
	v_ashrrev_i32_e32 v1, 31, v1
	v_xor_b32_e32 v3, v3, v1
	v_sub_u32_e32 v11, v3, v1
.LBB23_1946:
	s_mov_b64 s[2:3], 0
.LBB23_1947:
	s_andn2_b64 vcc, exec, s[2:3]
	s_cbranch_vccnz .LBB23_1949
; %bb.1948:
	global_load_ushort v1, v[19:20], off
	s_waitcnt vmcnt(0)
	v_cvt_f32_f16_e32 v1, v1
	v_cvt_i32_f32_e32 v11, v1
.LBB23_1949:
	s_mov_b64 s[2:3], 0
.LBB23_1950:
	s_andn2_b64 vcc, exec, s[2:3]
	s_cbranch_vccnz .LBB23_1970
; %bb.1951:
	s_cmp_lt_i32 s6, 2
	s_cbranch_scc1 .LBB23_1955
; %bb.1952:
	s_cmp_lt_i32 s6, 3
	s_cbranch_scc1 .LBB23_1956
; %bb.1953:
	s_cmp_gt_i32 s6, 3
	s_cbranch_scc0 .LBB23_1957
; %bb.1954:
	global_load_dwordx2 v[11:12], v[19:20], off
	s_mov_b64 s[2:3], 0
	s_branch .LBB23_1958
.LBB23_1955:
	s_mov_b64 s[2:3], -1
                                        ; implicit-def: $vgpr11
	s_branch .LBB23_1964
.LBB23_1956:
	s_mov_b64 s[2:3], -1
                                        ; implicit-def: $vgpr11
	s_branch .LBB23_1961
.LBB23_1957:
	s_mov_b64 s[2:3], -1
                                        ; implicit-def: $vgpr11
.LBB23_1958:
	s_andn2_b64 vcc, exec, s[2:3]
	s_cbranch_vccnz .LBB23_1960
; %bb.1959:
	global_load_dword v11, v[19:20], off
.LBB23_1960:
	s_mov_b64 s[2:3], 0
.LBB23_1961:
	s_andn2_b64 vcc, exec, s[2:3]
	s_cbranch_vccnz .LBB23_1963
; %bb.1962:
	global_load_ushort v11, v[19:20], off
.LBB23_1963:
	s_mov_b64 s[2:3], 0
.LBB23_1964:
	s_andn2_b64 vcc, exec, s[2:3]
	s_cbranch_vccnz .LBB23_1970
; %bb.1965:
	s_cmp_gt_i32 s6, 0
	s_cbranch_scc0 .LBB23_1967
; %bb.1966:
	global_load_ubyte v11, v[19:20], off
	s_mov_b64 s[2:3], 0
	s_branch .LBB23_1968
.LBB23_1967:
	s_mov_b64 s[2:3], -1
                                        ; implicit-def: $vgpr11
.LBB23_1968:
	s_andn2_b64 vcc, exec, s[2:3]
	s_cbranch_vccnz .LBB23_1970
; %bb.1969:
	global_load_ubyte v11, v[19:20], off
.LBB23_1970:
.LBB23_1971:
	v_mov_b32_e32 v1, s1
	s_and_b32 s21, 0xffff, s21
	v_add_co_u32_e32 v19, vcc, s0, v15
	s_cmp_lt_i32 s21, 11
	v_addc_co_u32_e32 v20, vcc, 0, v1, vcc
	s_cbranch_scc1 .LBB23_1978
; %bb.1972:
	s_cmp_gt_i32 s21, 25
	s_mov_b64 s[6:7], 0
	s_cbranch_scc0 .LBB23_1979
; %bb.1973:
	s_cmp_gt_i32 s21, 28
	s_cbranch_scc0 .LBB23_1980
; %bb.1974:
	s_cmp_gt_i32 s21, 43
	;; [unrolled: 3-line block ×3, first 2 shown]
	s_cbranch_scc0 .LBB23_1983
; %bb.1976:
	s_cmp_eq_u32 s21, 46
	s_mov_b64 s[18:19], 0
	s_cbranch_scc0 .LBB23_1984
; %bb.1977:
	global_load_dword v1, v[19:20], off
	s_mov_b32 s2, 0x2f800000
	s_mov_b32 s3, 0xcf800000
	s_mov_b64 s[16:17], -1
	s_waitcnt vmcnt(0)
	v_lshlrev_b32_e32 v1, 16, v1
	v_trunc_f32_e32 v1, v1
	v_mul_f32_e64 v3, |v1|, s2
	v_floor_f32_e32 v3, v3
	v_fma_f32 v3, v3, s3, |v1|
	v_cvt_u32_f32_e32 v3, v3
	v_ashrrev_i32_e32 v1, 31, v1
	s_mov_b64 s[2:3], 0
	v_xor_b32_e32 v3, v3, v1
	v_sub_u32_e32 v14, v3, v1
	s_branch .LBB23_1985
.LBB23_1978:
	s_mov_b64 s[2:3], -1
	s_mov_b64 s[16:17], 0
                                        ; implicit-def: $vgpr14
	s_branch .LBB23_2047
.LBB23_1979:
	s_mov_b64 s[18:19], -1
	s_mov_b64 s[16:17], 0
	s_mov_b64 s[2:3], 0
                                        ; implicit-def: $vgpr14
	s_branch .LBB23_2012
.LBB23_1980:
	s_mov_b64 s[18:19], -1
	s_mov_b64 s[16:17], 0
	s_mov_b64 s[2:3], 0
                                        ; implicit-def: $vgpr14
	s_branch .LBB23_1995
.LBB23_1981:
	s_mov_b64 s[18:19], -1
	s_mov_b64 s[16:17], 0
	s_mov_b64 s[2:3], 0
                                        ; implicit-def: $vgpr14
	s_branch .LBB23_1990
.LBB23_1982:
	s_trap 2
	s_or_b64 s[4:5], s[4:5], exec
	s_cbranch_execz .LBB23_1921
	s_branch .LBB23_1922
.LBB23_1983:
	s_mov_b64 s[18:19], -1
	s_mov_b64 s[16:17], 0
	s_mov_b64 s[2:3], 0
                                        ; implicit-def: $vgpr14
	s_branch .LBB23_1985
.LBB23_1984:
	s_mov_b64 s[2:3], -1
                                        ; implicit-def: $vgpr14
	s_mov_b64 s[16:17], 0
.LBB23_1985:
	s_and_b64 vcc, exec, s[18:19]
	s_cbranch_vccz .LBB23_1989
; %bb.1986:
	s_cmp_eq_u32 s21, 44
	s_cbranch_scc0 .LBB23_1988
; %bb.1987:
	global_load_ubyte v1, v[19:20], off
	s_mov_b32 s2, 0x2f800000
	s_mov_b32 s3, 0xcf800000
	s_mov_b64 s[16:17], -1
	s_waitcnt vmcnt(0)
	v_lshlrev_b32_e32 v3, 23, v1
	v_trunc_f32_e32 v3, v3
	v_mul_f32_e64 v5, |v3|, s2
	v_floor_f32_e32 v5, v5
	v_fma_f32 v5, v5, s3, |v3|
	v_cvt_u32_f32_e32 v5, v5
	v_ashrrev_i32_e32 v3, 31, v3
	v_cmp_ne_u32_e32 vcc, 0, v1
	s_mov_b64 s[2:3], 0
	v_xor_b32_e32 v5, v5, v3
	v_sub_u32_e32 v3, v5, v3
	v_cndmask_b32_e32 v14, 0, v3, vcc
	s_branch .LBB23_1989
.LBB23_1988:
	s_mov_b64 s[2:3], -1
                                        ; implicit-def: $vgpr14
.LBB23_1989:
	s_mov_b64 s[18:19], 0
.LBB23_1990:
	s_and_b64 vcc, exec, s[18:19]
	s_cbranch_vccz .LBB23_1994
; %bb.1991:
	s_cmp_eq_u32 s21, 29
	s_cbranch_scc0 .LBB23_1993
; %bb.1992:
	global_load_dwordx2 v[14:15], v[19:20], off
	s_mov_b64 s[2:3], 0
	s_mov_b64 s[16:17], -1
	s_branch .LBB23_1994
.LBB23_1993:
	s_mov_b64 s[2:3], -1
                                        ; implicit-def: $vgpr14
.LBB23_1994:
	s_mov_b64 s[18:19], 0
.LBB23_1995:
	s_and_b64 vcc, exec, s[18:19]
	s_cbranch_vccz .LBB23_2011
; %bb.1996:
	s_cmp_lt_i32 s21, 27
	s_cbranch_scc1 .LBB23_1999
; %bb.1997:
	s_cmp_gt_i32 s21, 27
	s_cbranch_scc0 .LBB23_2000
; %bb.1998:
	global_load_dword v14, v[19:20], off
	s_mov_b64 s[16:17], 0
	s_branch .LBB23_2001
.LBB23_1999:
	s_mov_b64 s[16:17], -1
                                        ; implicit-def: $vgpr14
	s_branch .LBB23_2004
.LBB23_2000:
	s_mov_b64 s[16:17], -1
                                        ; implicit-def: $vgpr14
.LBB23_2001:
	s_andn2_b64 vcc, exec, s[16:17]
	s_cbranch_vccnz .LBB23_2003
; %bb.2002:
	global_load_ushort v14, v[19:20], off
.LBB23_2003:
	s_mov_b64 s[16:17], 0
.LBB23_2004:
	s_andn2_b64 vcc, exec, s[16:17]
	s_cbranch_vccnz .LBB23_2010
; %bb.2005:
	global_load_ubyte v1, v[19:20], off
	s_movk_i32 s16, 0x7f
	s_mov_b64 s[18:19], 0
	s_waitcnt vmcnt(0)
	v_cmp_lt_i16_e32 vcc, s16, v1
	s_and_saveexec_b64 s[16:17], vcc
	s_xor_b64 s[16:17], exec, s[16:17]
	s_cbranch_execz .LBB23_2022
; %bb.2006:
	s_movk_i32 s18, 0x80
	v_cmp_ne_u16_e32 vcc, s18, v1
	s_and_b64 s[18:19], vcc, exec
	s_andn2_saveexec_b64 s[16:17], s[16:17]
	s_cbranch_execnz .LBB23_2023
.LBB23_2007:
	s_or_b64 exec, exec, s[16:17]
	v_mov_b32_e32 v14, 0
	s_and_saveexec_b64 s[16:17], s[18:19]
	s_cbranch_execz .LBB23_2009
.LBB23_2008:
	v_lshlrev_b32_e32 v3, 24, v1
	v_and_b32_e32 v1, 0xffff, v1
	v_and_b32_e32 v5, 7, v1
	v_ffbh_u32_e32 v12, v5
	v_min_u32_e32 v12, 32, v12
	v_subrev_u32_e32 v14, 28, v12
	v_bfe_u32 v8, v1, 3, 4
	v_lshlrev_b32_e32 v1, v14, v1
	v_sub_u32_e32 v12, 29, v12
	v_and_b32_e32 v1, 7, v1
	v_cmp_eq_u32_e32 vcc, 0, v8
	v_cndmask_b32_e32 v8, v8, v12, vcc
	v_cndmask_b32_e32 v1, v5, v1, vcc
	v_mov_b32_e32 v5, 0x3b800000
	v_lshlrev_b32_e32 v1, 20, v1
	v_and_b32_e32 v3, 0x80000000, v3
	v_lshl_add_u32 v5, v8, 23, v5
	v_or3_b32 v1, v3, v5, v1
	v_trunc_f32_e32 v1, v1
	s_mov_b32 s18, 0x2f800000
	v_mul_f32_e64 v3, |v1|, s18
	v_floor_f32_e32 v3, v3
	s_mov_b32 s18, 0xcf800000
	v_fma_f32 v3, v3, s18, |v1|
	v_cvt_u32_f32_e32 v3, v3
	v_ashrrev_i32_e32 v1, 31, v1
	v_xor_b32_e32 v3, v3, v1
	v_sub_u32_e32 v14, v3, v1
.LBB23_2009:
	s_or_b64 exec, exec, s[16:17]
.LBB23_2010:
	s_mov_b64 s[16:17], -1
.LBB23_2011:
	s_mov_b64 s[18:19], 0
.LBB23_2012:
	s_and_b64 vcc, exec, s[18:19]
	s_cbranch_vccz .LBB23_2043
; %bb.2013:
	s_cmp_gt_i32 s21, 22
	s_cbranch_scc0 .LBB23_2021
; %bb.2014:
	s_cmp_lt_i32 s21, 24
	s_cbranch_scc1 .LBB23_2024
; %bb.2015:
	s_cmp_gt_i32 s21, 24
	s_cbranch_scc0 .LBB23_2025
; %bb.2016:
	global_load_ubyte v1, v[19:20], off
	s_movk_i32 s6, 0x7f
	s_mov_b64 s[16:17], 0
	s_waitcnt vmcnt(0)
	v_cmp_lt_i16_e32 vcc, s6, v1
	s_and_saveexec_b64 s[6:7], vcc
	s_xor_b64 s[6:7], exec, s[6:7]
	s_cbranch_execz .LBB23_2037
; %bb.2017:
	s_movk_i32 s16, 0x80
	v_cmp_ne_u16_e32 vcc, s16, v1
	s_and_b64 s[16:17], vcc, exec
	s_andn2_saveexec_b64 s[6:7], s[6:7]
	s_cbranch_execnz .LBB23_2038
.LBB23_2018:
	s_or_b64 exec, exec, s[6:7]
	v_mov_b32_e32 v14, 0
	s_and_saveexec_b64 s[6:7], s[16:17]
	s_cbranch_execz .LBB23_2020
.LBB23_2019:
	v_lshlrev_b32_e32 v3, 24, v1
	v_and_b32_e32 v1, 0xffff, v1
	v_and_b32_e32 v5, 3, v1
	v_ffbh_u32_e32 v12, v5
	v_min_u32_e32 v12, 32, v12
	v_subrev_u32_e32 v14, 29, v12
	v_bfe_u32 v8, v1, 2, 5
	v_lshlrev_b32_e32 v1, v14, v1
	v_sub_u32_e32 v12, 30, v12
	v_and_b32_e32 v1, 3, v1
	v_cmp_eq_u32_e32 vcc, 0, v8
	v_cndmask_b32_e32 v8, v8, v12, vcc
	v_cndmask_b32_e32 v1, v5, v1, vcc
	v_mov_b32_e32 v5, 0x37800000
	v_lshlrev_b32_e32 v1, 21, v1
	v_and_b32_e32 v3, 0x80000000, v3
	v_lshl_add_u32 v5, v8, 23, v5
	v_or3_b32 v1, v3, v5, v1
	v_trunc_f32_e32 v1, v1
	s_mov_b32 s16, 0x2f800000
	v_mul_f32_e64 v3, |v1|, s16
	v_floor_f32_e32 v3, v3
	s_mov_b32 s16, 0xcf800000
	v_fma_f32 v3, v3, s16, |v1|
	v_cvt_u32_f32_e32 v3, v3
	v_ashrrev_i32_e32 v1, 31, v1
	v_xor_b32_e32 v3, v3, v1
	v_sub_u32_e32 v14, v3, v1
.LBB23_2020:
	s_or_b64 exec, exec, s[6:7]
	s_mov_b64 s[6:7], 0
	s_branch .LBB23_2026
.LBB23_2021:
	s_mov_b64 s[6:7], -1
                                        ; implicit-def: $vgpr14
	s_branch .LBB23_2032
.LBB23_2022:
	s_andn2_saveexec_b64 s[16:17], s[16:17]
	s_cbranch_execz .LBB23_2007
.LBB23_2023:
	v_cmp_ne_u16_e32 vcc, 0, v1
	s_andn2_b64 s[18:19], s[18:19], exec
	s_and_b64 s[24:25], vcc, exec
	s_or_b64 s[18:19], s[18:19], s[24:25]
	s_or_b64 exec, exec, s[16:17]
	v_mov_b32_e32 v14, 0
	s_and_saveexec_b64 s[16:17], s[18:19]
	s_cbranch_execnz .LBB23_2008
	s_branch .LBB23_2009
.LBB23_2024:
	s_mov_b64 s[6:7], -1
                                        ; implicit-def: $vgpr14
	s_branch .LBB23_2029
.LBB23_2025:
	s_mov_b64 s[6:7], -1
                                        ; implicit-def: $vgpr14
.LBB23_2026:
	s_and_b64 vcc, exec, s[6:7]
	s_cbranch_vccz .LBB23_2028
; %bb.2027:
	global_load_ubyte v1, v[19:20], off
	s_mov_b32 s6, 0x7f800000
	s_brev_b32 s7, 1
	s_mov_b32 s16, 0x2f800000
	s_waitcnt vmcnt(0)
	v_lshlrev_b32_e32 v1, 24, v1
	v_and_b32_e32 v3, 0x7f000000, v1
	v_ffbh_u32_e32 v5, v3
	v_min_u32_e32 v5, 32, v5
	v_sub_u32_e64 v5, v5, 4 clamp
	v_lshlrev_b32_e32 v12, v5, v3
	v_lshlrev_b32_e32 v5, 23, v5
	v_lshrrev_b32_e32 v12, 4, v12
	v_add_u32_e32 v8, 0x1000000, v3
	v_sub_u32_e32 v5, v12, v5
	v_ashrrev_i32_e32 v8, 8, v8
	v_add_u32_e32 v5, 0x3c000000, v5
	v_and_or_b32 v5, v8, s6, v5
	v_cmp_ne_u32_e32 vcc, 0, v3
	v_cndmask_b32_e32 v3, 0, v5, vcc
	v_and_or_b32 v1, v1, s7, v3
	v_trunc_f32_e32 v1, v1
	v_mul_f32_e64 v3, |v1|, s16
	v_floor_f32_e32 v3, v3
	s_mov_b32 s6, 0xcf800000
	v_fma_f32 v3, v3, s6, |v1|
	v_cvt_u32_f32_e32 v3, v3
	v_ashrrev_i32_e32 v1, 31, v1
	v_xor_b32_e32 v3, v3, v1
	v_sub_u32_e32 v14, v3, v1
.LBB23_2028:
	s_mov_b64 s[6:7], 0
.LBB23_2029:
	s_andn2_b64 vcc, exec, s[6:7]
	s_cbranch_vccnz .LBB23_2031
; %bb.2030:
	global_load_ubyte v1, v[19:20], off
	s_movk_i32 s6, 0x7f00
	s_brev_b32 s7, 16
	s_brev_b32 s16, 1
	s_mov_b32 s17, 0x2f800000
	s_waitcnt vmcnt(0)
	v_lshlrev_b16_e32 v3, 8, v1
	v_lshlrev_b32_e32 v1, 25, v1
	v_lshrrev_b32_e32 v5, 4, v1
	v_and_or_b32 v8, v3, s6, 0.5
	v_or_b32_e32 v5, 0x70000000, v5
	v_add_f32_e32 v8, -0.5, v8
	v_mul_f32_e32 v5, 0x7800000, v5
	v_cmp_gt_u32_e32 vcc, s7, v1
	v_bfe_i32 v3, v3, 0, 16
	v_cndmask_b32_e32 v1, v5, v8, vcc
	v_and_or_b32 v1, v3, s16, v1
	v_trunc_f32_e32 v1, v1
	v_mul_f32_e64 v3, |v1|, s17
	v_floor_f32_e32 v3, v3
	s_mov_b32 s6, 0xcf800000
	v_fma_f32 v3, v3, s6, |v1|
	v_cvt_u32_f32_e32 v3, v3
	v_ashrrev_i32_e32 v1, 31, v1
	v_xor_b32_e32 v3, v3, v1
	v_sub_u32_e32 v14, v3, v1
.LBB23_2031:
	s_mov_b64 s[6:7], 0
	s_mov_b64 s[16:17], -1
.LBB23_2032:
	s_andn2_b64 vcc, exec, s[6:7]
	s_mov_b64 s[6:7], 0
	s_cbranch_vccnz .LBB23_2043
; %bb.2033:
	s_cmp_gt_i32 s21, 14
	s_cbranch_scc0 .LBB23_2036
; %bb.2034:
	s_cmp_eq_u32 s21, 15
	s_cbranch_scc0 .LBB23_2039
; %bb.2035:
	global_load_ushort v1, v[19:20], off
	s_mov_b32 s2, 0x2f800000
	s_mov_b32 s3, 0xcf800000
	s_mov_b64 s[16:17], -1
	s_waitcnt vmcnt(0)
	v_lshlrev_b32_e32 v1, 16, v1
	v_trunc_f32_e32 v1, v1
	v_mul_f32_e64 v3, |v1|, s2
	v_floor_f32_e32 v3, v3
	v_fma_f32 v3, v3, s3, |v1|
	v_cvt_u32_f32_e32 v3, v3
	v_ashrrev_i32_e32 v1, 31, v1
	s_mov_b64 s[2:3], 0
	v_xor_b32_e32 v3, v3, v1
	v_sub_u32_e32 v14, v3, v1
	s_branch .LBB23_2040
.LBB23_2036:
	s_mov_b64 s[18:19], -1
                                        ; implicit-def: $vgpr14
	s_branch .LBB23_2041
.LBB23_2037:
	s_andn2_saveexec_b64 s[6:7], s[6:7]
	s_cbranch_execz .LBB23_2018
.LBB23_2038:
	v_cmp_ne_u16_e32 vcc, 0, v1
	s_andn2_b64 s[16:17], s[16:17], exec
	s_and_b64 s[18:19], vcc, exec
	s_or_b64 s[16:17], s[16:17], s[18:19]
	s_or_b64 exec, exec, s[6:7]
	v_mov_b32_e32 v14, 0
	s_and_saveexec_b64 s[6:7], s[16:17]
	s_cbranch_execnz .LBB23_2019
	s_branch .LBB23_2020
.LBB23_2039:
	s_mov_b64 s[2:3], -1
                                        ; implicit-def: $vgpr14
.LBB23_2040:
	s_mov_b64 s[18:19], 0
.LBB23_2041:
	s_and_b64 vcc, exec, s[18:19]
	s_cbranch_vccz .LBB23_2043
; %bb.2042:
	s_cmp_lg_u32 s21, 11
	s_mov_b64 s[6:7], -1
	s_cselect_b64 s[2:3], -1, 0
.LBB23_2043:
	s_and_b64 vcc, exec, s[2:3]
	s_cbranch_vccnz .LBB23_2108
; %bb.2044:
	s_andn2_b64 vcc, exec, s[6:7]
	s_cbranch_vccnz .LBB23_2046
.LBB23_2045:
	global_load_ubyte v1, v[19:20], off
	s_mov_b64 s[16:17], -1
	s_waitcnt vmcnt(0)
	v_cmp_ne_u16_e32 vcc, 0, v1
	v_cndmask_b32_e64 v14, 0, 1, vcc
.LBB23_2046:
	s_mov_b64 s[2:3], 0
.LBB23_2047:
	s_and_b64 vcc, exec, s[2:3]
	s_cbranch_vccz .LBB23_2096
; %bb.2048:
	s_cmp_lt_i32 s21, 5
	s_cbranch_scc1 .LBB23_2053
; %bb.2049:
	s_cmp_lt_i32 s21, 8
	s_cbranch_scc1 .LBB23_2054
	;; [unrolled: 3-line block ×3, first 2 shown]
; %bb.2051:
	s_cmp_gt_i32 s21, 9
	s_cbranch_scc0 .LBB23_2056
; %bb.2052:
	global_load_dwordx2 v[14:15], v[19:20], off
	s_movk_i32 s2, 0xffe0
	s_waitcnt vmcnt(0)
	v_trunc_f64_e32 v[14:15], v[14:15]
	v_ldexp_f64 v[21:22], v[14:15], s2
	s_mov_b32 s2, 0
	s_mov_b32 s3, 0xc1f00000
	v_floor_f64_e32 v[21:22], v[21:22]
	v_fma_f64 v[14:15], v[21:22], s[2:3], v[14:15]
	s_mov_b64 s[2:3], 0
	v_cvt_u32_f64_e32 v14, v[14:15]
	s_branch .LBB23_2057
.LBB23_2053:
	s_mov_b64 s[2:3], -1
                                        ; implicit-def: $vgpr14
	s_branch .LBB23_2075
.LBB23_2054:
	s_mov_b64 s[2:3], -1
                                        ; implicit-def: $vgpr14
	s_branch .LBB23_2063
.LBB23_2055:
	s_mov_b64 s[2:3], -1
                                        ; implicit-def: $vgpr14
	s_branch .LBB23_2060
.LBB23_2056:
	s_mov_b64 s[2:3], -1
                                        ; implicit-def: $vgpr14
.LBB23_2057:
	s_andn2_b64 vcc, exec, s[2:3]
	s_cbranch_vccnz .LBB23_2059
; %bb.2058:
	global_load_dword v1, v[19:20], off
	s_mov_b32 s2, 0x2f800000
	s_waitcnt vmcnt(0)
	v_trunc_f32_e32 v1, v1
	v_mul_f32_e64 v3, |v1|, s2
	v_floor_f32_e32 v3, v3
	s_mov_b32 s2, 0xcf800000
	v_fma_f32 v3, v3, s2, |v1|
	v_cvt_u32_f32_e32 v3, v3
	v_ashrrev_i32_e32 v1, 31, v1
	v_xor_b32_e32 v3, v3, v1
	v_sub_u32_e32 v14, v3, v1
.LBB23_2059:
	s_mov_b64 s[2:3], 0
.LBB23_2060:
	s_andn2_b64 vcc, exec, s[2:3]
	s_cbranch_vccnz .LBB23_2062
; %bb.2061:
	global_load_dword v1, v[19:20], off
	s_waitcnt vmcnt(0)
	v_cvt_f32_f16_e32 v1, v1
	v_cvt_i32_f32_e32 v14, v1
.LBB23_2062:
	s_mov_b64 s[2:3], 0
.LBB23_2063:
	s_andn2_b64 vcc, exec, s[2:3]
	s_cbranch_vccnz .LBB23_2074
; %bb.2064:
	s_cmp_lt_i32 s21, 6
	s_cbranch_scc1 .LBB23_2067
; %bb.2065:
	s_cmp_gt_i32 s21, 6
	s_cbranch_scc0 .LBB23_2068
; %bb.2066:
	global_load_dwordx2 v[14:15], v[19:20], off
	s_movk_i32 s2, 0xffe0
	s_waitcnt vmcnt(0)
	v_trunc_f64_e32 v[14:15], v[14:15]
	v_ldexp_f64 v[21:22], v[14:15], s2
	s_mov_b32 s2, 0
	s_mov_b32 s3, 0xc1f00000
	v_floor_f64_e32 v[21:22], v[21:22]
	v_fma_f64 v[14:15], v[21:22], s[2:3], v[14:15]
	s_mov_b64 s[2:3], 0
	v_cvt_u32_f64_e32 v14, v[14:15]
	s_branch .LBB23_2069
.LBB23_2067:
	s_mov_b64 s[2:3], -1
                                        ; implicit-def: $vgpr14
	s_branch .LBB23_2072
.LBB23_2068:
	s_mov_b64 s[2:3], -1
                                        ; implicit-def: $vgpr14
.LBB23_2069:
	s_andn2_b64 vcc, exec, s[2:3]
	s_cbranch_vccnz .LBB23_2071
; %bb.2070:
	global_load_dword v1, v[19:20], off
	s_mov_b32 s2, 0x2f800000
	s_waitcnt vmcnt(0)
	v_trunc_f32_e32 v1, v1
	v_mul_f32_e64 v3, |v1|, s2
	v_floor_f32_e32 v3, v3
	s_mov_b32 s2, 0xcf800000
	v_fma_f32 v3, v3, s2, |v1|
	v_cvt_u32_f32_e32 v3, v3
	v_ashrrev_i32_e32 v1, 31, v1
	v_xor_b32_e32 v3, v3, v1
	v_sub_u32_e32 v14, v3, v1
.LBB23_2071:
	s_mov_b64 s[2:3], 0
.LBB23_2072:
	s_andn2_b64 vcc, exec, s[2:3]
	s_cbranch_vccnz .LBB23_2074
; %bb.2073:
	global_load_ushort v1, v[19:20], off
	s_waitcnt vmcnt(0)
	v_cvt_f32_f16_e32 v1, v1
	v_cvt_i32_f32_e32 v14, v1
.LBB23_2074:
	s_mov_b64 s[2:3], 0
.LBB23_2075:
	s_andn2_b64 vcc, exec, s[2:3]
	s_cbranch_vccnz .LBB23_2095
; %bb.2076:
	s_cmp_lt_i32 s21, 2
	s_cbranch_scc1 .LBB23_2080
; %bb.2077:
	s_cmp_lt_i32 s21, 3
	s_cbranch_scc1 .LBB23_2081
; %bb.2078:
	s_cmp_gt_i32 s21, 3
	s_cbranch_scc0 .LBB23_2082
; %bb.2079:
	global_load_dwordx2 v[14:15], v[19:20], off
	s_mov_b64 s[2:3], 0
	s_branch .LBB23_2083
.LBB23_2080:
	s_mov_b64 s[2:3], -1
                                        ; implicit-def: $vgpr14
	s_branch .LBB23_2089
.LBB23_2081:
	s_mov_b64 s[2:3], -1
                                        ; implicit-def: $vgpr14
	s_branch .LBB23_2086
.LBB23_2082:
	s_mov_b64 s[2:3], -1
                                        ; implicit-def: $vgpr14
.LBB23_2083:
	s_andn2_b64 vcc, exec, s[2:3]
	s_cbranch_vccnz .LBB23_2085
; %bb.2084:
	global_load_dword v14, v[19:20], off
.LBB23_2085:
	s_mov_b64 s[2:3], 0
.LBB23_2086:
	s_andn2_b64 vcc, exec, s[2:3]
	s_cbranch_vccnz .LBB23_2088
; %bb.2087:
	global_load_ushort v14, v[19:20], off
.LBB23_2088:
	s_mov_b64 s[2:3], 0
.LBB23_2089:
	s_andn2_b64 vcc, exec, s[2:3]
	s_cbranch_vccnz .LBB23_2095
; %bb.2090:
	s_cmp_gt_i32 s21, 0
	s_cbranch_scc0 .LBB23_2092
; %bb.2091:
	global_load_ubyte v14, v[19:20], off
	s_mov_b64 s[2:3], 0
	s_branch .LBB23_2093
.LBB23_2092:
	s_mov_b64 s[2:3], -1
                                        ; implicit-def: $vgpr14
.LBB23_2093:
	s_andn2_b64 vcc, exec, s[2:3]
	s_cbranch_vccnz .LBB23_2095
; %bb.2094:
	global_load_ubyte v14, v[19:20], off
.LBB23_2095:
	s_mov_b64 s[16:17], -1
.LBB23_2096:
	s_andn2_b64 vcc, exec, s[16:17]
	s_cbranch_vccnz .LBB23_3036
; %bb.2097:
	v_mov_b32_e32 v1, s11
	v_add_co_u32_e32 v19, vcc, s10, v18
	s_cmp_lt_i32 s22, 11
	v_addc_co_u32_e32 v20, vcc, 0, v1, vcc
	s_cbranch_scc1 .LBB23_2104
; %bb.2098:
	s_and_b32 s23, 0xffff, s22
	s_cmp_gt_i32 s23, 25
	s_mov_b64 s[6:7], 0
	s_cbranch_scc0 .LBB23_2105
; %bb.2099:
	s_cmp_gt_i32 s23, 28
	s_cbranch_scc0 .LBB23_2106
; %bb.2100:
	s_cmp_gt_i32 s23, 43
	;; [unrolled: 3-line block ×3, first 2 shown]
	s_cbranch_scc0 .LBB23_2109
; %bb.2102:
	s_cmp_eq_u32 s23, 46
	s_mov_b64 s[18:19], 0
	s_cbranch_scc0 .LBB23_2110
; %bb.2103:
	global_load_dword v1, v[19:20], off
	s_mov_b32 s2, 0x2f800000
	s_mov_b32 s3, 0xcf800000
	s_mov_b64 s[16:17], -1
	s_waitcnt vmcnt(0)
	v_lshlrev_b32_e32 v1, 16, v1
	v_trunc_f32_e32 v1, v1
	v_mul_f32_e64 v3, |v1|, s2
	v_floor_f32_e32 v3, v3
	v_fma_f32 v3, v3, s3, |v1|
	v_cvt_u32_f32_e32 v3, v3
	v_ashrrev_i32_e32 v1, 31, v1
	s_mov_b64 s[2:3], 0
	v_xor_b32_e32 v3, v3, v1
	v_sub_u32_e32 v17, v3, v1
	s_branch .LBB23_2111
.LBB23_2104:
	s_mov_b64 s[2:3], -1
	s_mov_b64 s[16:17], 0
                                        ; implicit-def: $vgpr17
	s_branch .LBB23_2173
.LBB23_2105:
	s_mov_b64 s[18:19], -1
	s_mov_b64 s[16:17], 0
	s_mov_b64 s[2:3], 0
                                        ; implicit-def: $vgpr17
	s_branch .LBB23_2138
.LBB23_2106:
	s_mov_b64 s[18:19], -1
	s_mov_b64 s[16:17], 0
	s_mov_b64 s[2:3], 0
                                        ; implicit-def: $vgpr17
	s_branch .LBB23_2121
.LBB23_2107:
	s_mov_b64 s[18:19], -1
	s_mov_b64 s[16:17], 0
	s_mov_b64 s[2:3], 0
                                        ; implicit-def: $vgpr17
	s_branch .LBB23_2116
.LBB23_2108:
	s_trap 2
	s_or_b64 s[4:5], s[4:5], exec
	s_cbranch_execz .LBB23_2045
	s_branch .LBB23_2046
.LBB23_2109:
	s_mov_b64 s[18:19], -1
	s_mov_b64 s[16:17], 0
	s_mov_b64 s[2:3], 0
                                        ; implicit-def: $vgpr17
	s_branch .LBB23_2111
.LBB23_2110:
	s_mov_b64 s[2:3], -1
                                        ; implicit-def: $vgpr17
	s_mov_b64 s[16:17], 0
.LBB23_2111:
	s_and_b64 vcc, exec, s[18:19]
	s_cbranch_vccz .LBB23_2115
; %bb.2112:
	s_cmp_eq_u32 s23, 44
	s_cbranch_scc0 .LBB23_2114
; %bb.2113:
	global_load_ubyte v1, v[19:20], off
	s_mov_b32 s2, 0x2f800000
	s_mov_b32 s3, 0xcf800000
	s_mov_b64 s[16:17], -1
	s_waitcnt vmcnt(0)
	v_lshlrev_b32_e32 v3, 23, v1
	v_trunc_f32_e32 v3, v3
	v_mul_f32_e64 v5, |v3|, s2
	v_floor_f32_e32 v5, v5
	v_fma_f32 v5, v5, s3, |v3|
	v_cvt_u32_f32_e32 v5, v5
	v_ashrrev_i32_e32 v3, 31, v3
	v_cmp_ne_u32_e32 vcc, 0, v1
	s_mov_b64 s[2:3], 0
	v_xor_b32_e32 v5, v5, v3
	v_sub_u32_e32 v3, v5, v3
	v_cndmask_b32_e32 v17, 0, v3, vcc
	s_branch .LBB23_2115
.LBB23_2114:
	s_mov_b64 s[2:3], -1
                                        ; implicit-def: $vgpr17
.LBB23_2115:
	s_mov_b64 s[18:19], 0
.LBB23_2116:
	s_and_b64 vcc, exec, s[18:19]
	s_cbranch_vccz .LBB23_2120
; %bb.2117:
	s_cmp_eq_u32 s23, 29
	s_cbranch_scc0 .LBB23_2119
; %bb.2118:
	global_load_dwordx2 v[17:18], v[19:20], off
	s_mov_b64 s[2:3], 0
	s_mov_b64 s[16:17], -1
	s_branch .LBB23_2120
.LBB23_2119:
	s_mov_b64 s[2:3], -1
                                        ; implicit-def: $vgpr17
.LBB23_2120:
	s_mov_b64 s[18:19], 0
.LBB23_2121:
	s_and_b64 vcc, exec, s[18:19]
	s_cbranch_vccz .LBB23_2137
; %bb.2122:
	s_cmp_lt_i32 s23, 27
	s_cbranch_scc1 .LBB23_2125
; %bb.2123:
	s_cmp_gt_i32 s23, 27
	s_cbranch_scc0 .LBB23_2126
; %bb.2124:
	global_load_dword v17, v[19:20], off
	s_mov_b64 s[16:17], 0
	s_branch .LBB23_2127
.LBB23_2125:
	s_mov_b64 s[16:17], -1
                                        ; implicit-def: $vgpr17
	s_branch .LBB23_2130
.LBB23_2126:
	s_mov_b64 s[16:17], -1
                                        ; implicit-def: $vgpr17
.LBB23_2127:
	s_andn2_b64 vcc, exec, s[16:17]
	s_cbranch_vccnz .LBB23_2129
; %bb.2128:
	global_load_ushort v17, v[19:20], off
.LBB23_2129:
	s_mov_b64 s[16:17], 0
.LBB23_2130:
	s_andn2_b64 vcc, exec, s[16:17]
	s_cbranch_vccnz .LBB23_2136
; %bb.2131:
	global_load_ubyte v1, v[19:20], off
	s_movk_i32 s16, 0x7f
	s_mov_b64 s[18:19], 0
	s_waitcnt vmcnt(0)
	v_cmp_lt_i16_e32 vcc, s16, v1
	s_and_saveexec_b64 s[16:17], vcc
	s_xor_b64 s[16:17], exec, s[16:17]
	s_cbranch_execz .LBB23_2148
; %bb.2132:
	s_movk_i32 s18, 0x80
	v_cmp_ne_u16_e32 vcc, s18, v1
	s_and_b64 s[18:19], vcc, exec
	s_andn2_saveexec_b64 s[16:17], s[16:17]
	s_cbranch_execnz .LBB23_2149
.LBB23_2133:
	s_or_b64 exec, exec, s[16:17]
	v_mov_b32_e32 v17, 0
	s_and_saveexec_b64 s[16:17], s[18:19]
	s_cbranch_execz .LBB23_2135
.LBB23_2134:
	v_lshlrev_b32_e32 v3, 24, v1
	v_and_b32_e32 v1, 0xffff, v1
	v_and_b32_e32 v5, 7, v1
	v_ffbh_u32_e32 v12, v5
	v_min_u32_e32 v12, 32, v12
	v_subrev_u32_e32 v15, 28, v12
	v_bfe_u32 v8, v1, 3, 4
	v_lshlrev_b32_e32 v1, v15, v1
	v_sub_u32_e32 v12, 29, v12
	v_and_b32_e32 v1, 7, v1
	v_cmp_eq_u32_e32 vcc, 0, v8
	v_cndmask_b32_e32 v8, v8, v12, vcc
	v_cndmask_b32_e32 v1, v5, v1, vcc
	v_mov_b32_e32 v5, 0x3b800000
	v_lshlrev_b32_e32 v1, 20, v1
	v_and_b32_e32 v3, 0x80000000, v3
	v_lshl_add_u32 v5, v8, 23, v5
	v_or3_b32 v1, v3, v5, v1
	v_trunc_f32_e32 v1, v1
	s_mov_b32 s18, 0x2f800000
	v_mul_f32_e64 v3, |v1|, s18
	v_floor_f32_e32 v3, v3
	s_mov_b32 s18, 0xcf800000
	v_fma_f32 v3, v3, s18, |v1|
	v_cvt_u32_f32_e32 v3, v3
	v_ashrrev_i32_e32 v1, 31, v1
	v_xor_b32_e32 v3, v3, v1
	v_sub_u32_e32 v17, v3, v1
.LBB23_2135:
	s_or_b64 exec, exec, s[16:17]
.LBB23_2136:
	s_mov_b64 s[16:17], -1
.LBB23_2137:
	s_mov_b64 s[18:19], 0
.LBB23_2138:
	s_and_b64 vcc, exec, s[18:19]
	s_cbranch_vccz .LBB23_2169
; %bb.2139:
	s_cmp_gt_i32 s23, 22
	s_cbranch_scc0 .LBB23_2147
; %bb.2140:
	s_cmp_lt_i32 s23, 24
	s_cbranch_scc1 .LBB23_2150
; %bb.2141:
	s_cmp_gt_i32 s23, 24
	s_cbranch_scc0 .LBB23_2151
; %bb.2142:
	global_load_ubyte v1, v[19:20], off
	s_movk_i32 s6, 0x7f
	s_mov_b64 s[16:17], 0
	s_waitcnt vmcnt(0)
	v_cmp_lt_i16_e32 vcc, s6, v1
	s_and_saveexec_b64 s[6:7], vcc
	s_xor_b64 s[6:7], exec, s[6:7]
	s_cbranch_execz .LBB23_2163
; %bb.2143:
	s_movk_i32 s16, 0x80
	v_cmp_ne_u16_e32 vcc, s16, v1
	s_and_b64 s[16:17], vcc, exec
	s_andn2_saveexec_b64 s[6:7], s[6:7]
	s_cbranch_execnz .LBB23_2164
.LBB23_2144:
	s_or_b64 exec, exec, s[6:7]
	v_mov_b32_e32 v17, 0
	s_and_saveexec_b64 s[6:7], s[16:17]
	s_cbranch_execz .LBB23_2146
.LBB23_2145:
	v_lshlrev_b32_e32 v3, 24, v1
	v_and_b32_e32 v1, 0xffff, v1
	v_and_b32_e32 v5, 3, v1
	v_ffbh_u32_e32 v12, v5
	v_min_u32_e32 v12, 32, v12
	v_subrev_u32_e32 v15, 29, v12
	v_bfe_u32 v8, v1, 2, 5
	v_lshlrev_b32_e32 v1, v15, v1
	v_sub_u32_e32 v12, 30, v12
	v_and_b32_e32 v1, 3, v1
	v_cmp_eq_u32_e32 vcc, 0, v8
	v_cndmask_b32_e32 v8, v8, v12, vcc
	v_cndmask_b32_e32 v1, v5, v1, vcc
	v_mov_b32_e32 v5, 0x37800000
	v_lshlrev_b32_e32 v1, 21, v1
	v_and_b32_e32 v3, 0x80000000, v3
	v_lshl_add_u32 v5, v8, 23, v5
	v_or3_b32 v1, v3, v5, v1
	v_trunc_f32_e32 v1, v1
	s_mov_b32 s16, 0x2f800000
	v_mul_f32_e64 v3, |v1|, s16
	v_floor_f32_e32 v3, v3
	s_mov_b32 s16, 0xcf800000
	v_fma_f32 v3, v3, s16, |v1|
	v_cvt_u32_f32_e32 v3, v3
	v_ashrrev_i32_e32 v1, 31, v1
	v_xor_b32_e32 v3, v3, v1
	v_sub_u32_e32 v17, v3, v1
.LBB23_2146:
	s_or_b64 exec, exec, s[6:7]
	s_mov_b64 s[6:7], 0
	s_branch .LBB23_2152
.LBB23_2147:
	s_mov_b64 s[6:7], -1
                                        ; implicit-def: $vgpr17
	s_branch .LBB23_2158
.LBB23_2148:
	s_andn2_saveexec_b64 s[16:17], s[16:17]
	s_cbranch_execz .LBB23_2133
.LBB23_2149:
	v_cmp_ne_u16_e32 vcc, 0, v1
	s_andn2_b64 s[18:19], s[18:19], exec
	s_and_b64 s[24:25], vcc, exec
	s_or_b64 s[18:19], s[18:19], s[24:25]
	s_or_b64 exec, exec, s[16:17]
	v_mov_b32_e32 v17, 0
	s_and_saveexec_b64 s[16:17], s[18:19]
	s_cbranch_execnz .LBB23_2134
	s_branch .LBB23_2135
.LBB23_2150:
	s_mov_b64 s[6:7], -1
                                        ; implicit-def: $vgpr17
	s_branch .LBB23_2155
.LBB23_2151:
	s_mov_b64 s[6:7], -1
                                        ; implicit-def: $vgpr17
.LBB23_2152:
	s_and_b64 vcc, exec, s[6:7]
	s_cbranch_vccz .LBB23_2154
; %bb.2153:
	global_load_ubyte v1, v[19:20], off
	s_mov_b32 s6, 0x7f800000
	s_brev_b32 s7, 1
	s_mov_b32 s16, 0x2f800000
	s_waitcnt vmcnt(0)
	v_lshlrev_b32_e32 v1, 24, v1
	v_and_b32_e32 v3, 0x7f000000, v1
	v_ffbh_u32_e32 v5, v3
	v_min_u32_e32 v5, 32, v5
	v_sub_u32_e64 v5, v5, 4 clamp
	v_lshlrev_b32_e32 v12, v5, v3
	v_lshlrev_b32_e32 v5, 23, v5
	v_lshrrev_b32_e32 v12, 4, v12
	v_add_u32_e32 v8, 0x1000000, v3
	v_sub_u32_e32 v5, v12, v5
	v_ashrrev_i32_e32 v8, 8, v8
	v_add_u32_e32 v5, 0x3c000000, v5
	v_and_or_b32 v5, v8, s6, v5
	v_cmp_ne_u32_e32 vcc, 0, v3
	v_cndmask_b32_e32 v3, 0, v5, vcc
	v_and_or_b32 v1, v1, s7, v3
	v_trunc_f32_e32 v1, v1
	v_mul_f32_e64 v3, |v1|, s16
	v_floor_f32_e32 v3, v3
	s_mov_b32 s6, 0xcf800000
	v_fma_f32 v3, v3, s6, |v1|
	v_cvt_u32_f32_e32 v3, v3
	v_ashrrev_i32_e32 v1, 31, v1
	v_xor_b32_e32 v3, v3, v1
	v_sub_u32_e32 v17, v3, v1
.LBB23_2154:
	s_mov_b64 s[6:7], 0
.LBB23_2155:
	s_andn2_b64 vcc, exec, s[6:7]
	s_cbranch_vccnz .LBB23_2157
; %bb.2156:
	global_load_ubyte v1, v[19:20], off
	s_movk_i32 s6, 0x7f00
	s_brev_b32 s7, 16
	s_brev_b32 s16, 1
	s_mov_b32 s17, 0x2f800000
	s_waitcnt vmcnt(0)
	v_lshlrev_b16_e32 v3, 8, v1
	v_lshlrev_b32_e32 v1, 25, v1
	v_lshrrev_b32_e32 v5, 4, v1
	v_and_or_b32 v8, v3, s6, 0.5
	v_or_b32_e32 v5, 0x70000000, v5
	v_add_f32_e32 v8, -0.5, v8
	v_mul_f32_e32 v5, 0x7800000, v5
	v_cmp_gt_u32_e32 vcc, s7, v1
	v_bfe_i32 v3, v3, 0, 16
	v_cndmask_b32_e32 v1, v5, v8, vcc
	v_and_or_b32 v1, v3, s16, v1
	v_trunc_f32_e32 v1, v1
	v_mul_f32_e64 v3, |v1|, s17
	v_floor_f32_e32 v3, v3
	s_mov_b32 s6, 0xcf800000
	v_fma_f32 v3, v3, s6, |v1|
	v_cvt_u32_f32_e32 v3, v3
	v_ashrrev_i32_e32 v1, 31, v1
	v_xor_b32_e32 v3, v3, v1
	v_sub_u32_e32 v17, v3, v1
.LBB23_2157:
	s_mov_b64 s[6:7], 0
	s_mov_b64 s[16:17], -1
.LBB23_2158:
	s_andn2_b64 vcc, exec, s[6:7]
	s_mov_b64 s[6:7], 0
	s_cbranch_vccnz .LBB23_2169
; %bb.2159:
	s_cmp_gt_i32 s23, 14
	s_cbranch_scc0 .LBB23_2162
; %bb.2160:
	s_cmp_eq_u32 s23, 15
	s_cbranch_scc0 .LBB23_2165
; %bb.2161:
	global_load_ushort v1, v[19:20], off
	s_mov_b32 s2, 0x2f800000
	s_mov_b32 s3, 0xcf800000
	s_mov_b64 s[16:17], -1
	s_waitcnt vmcnt(0)
	v_lshlrev_b32_e32 v1, 16, v1
	v_trunc_f32_e32 v1, v1
	v_mul_f32_e64 v3, |v1|, s2
	v_floor_f32_e32 v3, v3
	v_fma_f32 v3, v3, s3, |v1|
	v_cvt_u32_f32_e32 v3, v3
	v_ashrrev_i32_e32 v1, 31, v1
	s_mov_b64 s[2:3], 0
	v_xor_b32_e32 v3, v3, v1
	v_sub_u32_e32 v17, v3, v1
	s_branch .LBB23_2166
.LBB23_2162:
	s_mov_b64 s[18:19], -1
                                        ; implicit-def: $vgpr17
	s_branch .LBB23_2167
.LBB23_2163:
	s_andn2_saveexec_b64 s[6:7], s[6:7]
	s_cbranch_execz .LBB23_2144
.LBB23_2164:
	v_cmp_ne_u16_e32 vcc, 0, v1
	s_andn2_b64 s[16:17], s[16:17], exec
	s_and_b64 s[18:19], vcc, exec
	s_or_b64 s[16:17], s[16:17], s[18:19]
	s_or_b64 exec, exec, s[6:7]
	v_mov_b32_e32 v17, 0
	s_and_saveexec_b64 s[6:7], s[16:17]
	s_cbranch_execnz .LBB23_2145
	s_branch .LBB23_2146
.LBB23_2165:
	s_mov_b64 s[2:3], -1
                                        ; implicit-def: $vgpr17
.LBB23_2166:
	s_mov_b64 s[18:19], 0
.LBB23_2167:
	s_and_b64 vcc, exec, s[18:19]
	s_cbranch_vccz .LBB23_2169
; %bb.2168:
	s_cmp_lg_u32 s23, 11
	s_mov_b64 s[6:7], -1
	s_cselect_b64 s[2:3], -1, 0
.LBB23_2169:
	s_and_b64 vcc, exec, s[2:3]
	s_cbranch_vccnz .LBB23_2234
; %bb.2170:
	s_andn2_b64 vcc, exec, s[6:7]
	s_cbranch_vccnz .LBB23_2172
.LBB23_2171:
	global_load_ubyte v1, v[19:20], off
	s_mov_b64 s[16:17], -1
	s_waitcnt vmcnt(0)
	v_cmp_ne_u16_e32 vcc, 0, v1
	v_cndmask_b32_e64 v17, 0, 1, vcc
.LBB23_2172:
	s_mov_b64 s[2:3], 0
.LBB23_2173:
	s_and_b64 vcc, exec, s[2:3]
	s_cbranch_vccz .LBB23_2222
; %bb.2174:
	s_and_b32 s6, 0xffff, s22
	s_cmp_lt_i32 s6, 5
	s_cbranch_scc1 .LBB23_2179
; %bb.2175:
	s_cmp_lt_i32 s6, 8
	s_cbranch_scc1 .LBB23_2180
; %bb.2176:
	;; [unrolled: 3-line block ×3, first 2 shown]
	s_cmp_gt_i32 s6, 9
	s_cbranch_scc0 .LBB23_2182
; %bb.2178:
	global_load_dwordx2 v[17:18], v[19:20], off
	s_movk_i32 s2, 0xffe0
	s_waitcnt vmcnt(0)
	v_trunc_f64_e32 v[17:18], v[17:18]
	v_ldexp_f64 v[21:22], v[17:18], s2
	s_mov_b32 s2, 0
	s_mov_b32 s3, 0xc1f00000
	v_floor_f64_e32 v[21:22], v[21:22]
	v_fma_f64 v[17:18], v[21:22], s[2:3], v[17:18]
	s_mov_b64 s[2:3], 0
	v_cvt_u32_f64_e32 v17, v[17:18]
	s_branch .LBB23_2183
.LBB23_2179:
	s_mov_b64 s[2:3], -1
                                        ; implicit-def: $vgpr17
	s_branch .LBB23_2201
.LBB23_2180:
	s_mov_b64 s[2:3], -1
                                        ; implicit-def: $vgpr17
	s_branch .LBB23_2189
.LBB23_2181:
	s_mov_b64 s[2:3], -1
                                        ; implicit-def: $vgpr17
	s_branch .LBB23_2186
.LBB23_2182:
	s_mov_b64 s[2:3], -1
                                        ; implicit-def: $vgpr17
.LBB23_2183:
	s_andn2_b64 vcc, exec, s[2:3]
	s_cbranch_vccnz .LBB23_2185
; %bb.2184:
	global_load_dword v1, v[19:20], off
	s_mov_b32 s2, 0x2f800000
	s_waitcnt vmcnt(0)
	v_trunc_f32_e32 v1, v1
	v_mul_f32_e64 v3, |v1|, s2
	v_floor_f32_e32 v3, v3
	s_mov_b32 s2, 0xcf800000
	v_fma_f32 v3, v3, s2, |v1|
	v_cvt_u32_f32_e32 v3, v3
	v_ashrrev_i32_e32 v1, 31, v1
	v_xor_b32_e32 v3, v3, v1
	v_sub_u32_e32 v17, v3, v1
.LBB23_2185:
	s_mov_b64 s[2:3], 0
.LBB23_2186:
	s_andn2_b64 vcc, exec, s[2:3]
	s_cbranch_vccnz .LBB23_2188
; %bb.2187:
	global_load_dword v1, v[19:20], off
	s_waitcnt vmcnt(0)
	v_cvt_f32_f16_e32 v1, v1
	v_cvt_i32_f32_e32 v17, v1
.LBB23_2188:
	s_mov_b64 s[2:3], 0
.LBB23_2189:
	s_andn2_b64 vcc, exec, s[2:3]
	s_cbranch_vccnz .LBB23_2200
; %bb.2190:
	s_cmp_lt_i32 s6, 6
	s_cbranch_scc1 .LBB23_2193
; %bb.2191:
	s_cmp_gt_i32 s6, 6
	s_cbranch_scc0 .LBB23_2194
; %bb.2192:
	global_load_dwordx2 v[17:18], v[19:20], off
	s_movk_i32 s2, 0xffe0
	s_waitcnt vmcnt(0)
	v_trunc_f64_e32 v[17:18], v[17:18]
	v_ldexp_f64 v[21:22], v[17:18], s2
	s_mov_b32 s2, 0
	s_mov_b32 s3, 0xc1f00000
	v_floor_f64_e32 v[21:22], v[21:22]
	v_fma_f64 v[17:18], v[21:22], s[2:3], v[17:18]
	s_mov_b64 s[2:3], 0
	v_cvt_u32_f64_e32 v17, v[17:18]
	s_branch .LBB23_2195
.LBB23_2193:
	s_mov_b64 s[2:3], -1
                                        ; implicit-def: $vgpr17
	s_branch .LBB23_2198
.LBB23_2194:
	s_mov_b64 s[2:3], -1
                                        ; implicit-def: $vgpr17
.LBB23_2195:
	s_andn2_b64 vcc, exec, s[2:3]
	s_cbranch_vccnz .LBB23_2197
; %bb.2196:
	global_load_dword v1, v[19:20], off
	s_mov_b32 s2, 0x2f800000
	s_waitcnt vmcnt(0)
	v_trunc_f32_e32 v1, v1
	v_mul_f32_e64 v3, |v1|, s2
	v_floor_f32_e32 v3, v3
	s_mov_b32 s2, 0xcf800000
	v_fma_f32 v3, v3, s2, |v1|
	v_cvt_u32_f32_e32 v3, v3
	v_ashrrev_i32_e32 v1, 31, v1
	v_xor_b32_e32 v3, v3, v1
	v_sub_u32_e32 v17, v3, v1
.LBB23_2197:
	s_mov_b64 s[2:3], 0
.LBB23_2198:
	s_andn2_b64 vcc, exec, s[2:3]
	s_cbranch_vccnz .LBB23_2200
; %bb.2199:
	global_load_ushort v1, v[19:20], off
	s_waitcnt vmcnt(0)
	v_cvt_f32_f16_e32 v1, v1
	v_cvt_i32_f32_e32 v17, v1
.LBB23_2200:
	s_mov_b64 s[2:3], 0
.LBB23_2201:
	s_andn2_b64 vcc, exec, s[2:3]
	s_cbranch_vccnz .LBB23_2221
; %bb.2202:
	s_cmp_lt_i32 s6, 2
	s_cbranch_scc1 .LBB23_2206
; %bb.2203:
	s_cmp_lt_i32 s6, 3
	s_cbranch_scc1 .LBB23_2207
; %bb.2204:
	s_cmp_gt_i32 s6, 3
	s_cbranch_scc0 .LBB23_2208
; %bb.2205:
	global_load_dwordx2 v[17:18], v[19:20], off
	s_mov_b64 s[2:3], 0
	s_branch .LBB23_2209
.LBB23_2206:
	s_mov_b64 s[2:3], -1
                                        ; implicit-def: $vgpr17
	s_branch .LBB23_2215
.LBB23_2207:
	s_mov_b64 s[2:3], -1
                                        ; implicit-def: $vgpr17
	s_branch .LBB23_2212
.LBB23_2208:
	s_mov_b64 s[2:3], -1
                                        ; implicit-def: $vgpr17
.LBB23_2209:
	s_andn2_b64 vcc, exec, s[2:3]
	s_cbranch_vccnz .LBB23_2211
; %bb.2210:
	global_load_dword v17, v[19:20], off
.LBB23_2211:
	s_mov_b64 s[2:3], 0
.LBB23_2212:
	s_andn2_b64 vcc, exec, s[2:3]
	s_cbranch_vccnz .LBB23_2214
; %bb.2213:
	global_load_ushort v17, v[19:20], off
.LBB23_2214:
	s_mov_b64 s[2:3], 0
.LBB23_2215:
	s_andn2_b64 vcc, exec, s[2:3]
	s_cbranch_vccnz .LBB23_2221
; %bb.2216:
	s_cmp_gt_i32 s6, 0
	s_cbranch_scc0 .LBB23_2218
; %bb.2217:
	global_load_ubyte v17, v[19:20], off
	s_mov_b64 s[2:3], 0
	s_branch .LBB23_2219
.LBB23_2218:
	s_mov_b64 s[2:3], -1
                                        ; implicit-def: $vgpr17
.LBB23_2219:
	s_andn2_b64 vcc, exec, s[2:3]
	s_cbranch_vccnz .LBB23_2221
; %bb.2220:
	global_load_ubyte v17, v[19:20], off
.LBB23_2221:
	s_mov_b64 s[16:17], -1
.LBB23_2222:
	s_andn2_b64 vcc, exec, s[16:17]
	s_cbranch_vccnz .LBB23_3036
; %bb.2223:
	v_mov_b32_e32 v1, s1
	s_waitcnt vmcnt(0)
	v_add_co_u32_e32 v18, vcc, s0, v16
	s_cmp_lt_i32 s21, 11
	v_addc_co_u32_e32 v19, vcc, 0, v1, vcc
	s_cbranch_scc1 .LBB23_2230
; %bb.2224:
	s_cmp_gt_i32 s21, 25
	s_mov_b64 s[6:7], 0
	s_cbranch_scc0 .LBB23_2231
; %bb.2225:
	s_cmp_gt_i32 s21, 28
	s_cbranch_scc0 .LBB23_2232
; %bb.2226:
	s_cmp_gt_i32 s21, 43
	;; [unrolled: 3-line block ×3, first 2 shown]
	s_cbranch_scc0 .LBB23_2235
; %bb.2228:
	s_cmp_eq_u32 s21, 46
	s_mov_b64 s[18:19], 0
	s_cbranch_scc0 .LBB23_2238
; %bb.2229:
	global_load_dword v1, v[18:19], off
	s_mov_b32 s2, 0x2f800000
	s_mov_b32 s3, 0xcf800000
	s_mov_b64 s[16:17], -1
	s_waitcnt vmcnt(0)
	v_lshlrev_b32_e32 v1, 16, v1
	v_trunc_f32_e32 v1, v1
	v_mul_f32_e64 v3, |v1|, s2
	v_floor_f32_e32 v3, v3
	v_fma_f32 v3, v3, s3, |v1|
	v_cvt_u32_f32_e32 v3, v3
	v_ashrrev_i32_e32 v1, 31, v1
	s_mov_b64 s[2:3], 0
	v_xor_b32_e32 v3, v3, v1
	v_sub_u32_e32 v15, v3, v1
	s_branch .LBB23_2239
.LBB23_2230:
	s_mov_b64 s[2:3], -1
	s_mov_b64 s[16:17], 0
                                        ; implicit-def: $vgpr15
	s_branch .LBB23_2301
.LBB23_2231:
	s_mov_b64 s[18:19], -1
	s_mov_b64 s[16:17], 0
	s_mov_b64 s[2:3], 0
                                        ; implicit-def: $vgpr15
	s_branch .LBB23_2266
.LBB23_2232:
	s_mov_b64 s[18:19], -1
	s_mov_b64 s[16:17], 0
	s_mov_b64 s[2:3], 0
                                        ; implicit-def: $vgpr15
	s_branch .LBB23_2249
.LBB23_2233:
	s_mov_b64 s[18:19], -1
	s_mov_b64 s[16:17], 0
	s_mov_b64 s[2:3], 0
                                        ; implicit-def: $vgpr15
	s_branch .LBB23_2244
.LBB23_2234:
	s_trap 2
	s_or_b64 s[4:5], s[4:5], exec
	s_cbranch_execz .LBB23_2171
	s_branch .LBB23_2172
.LBB23_2235:
	s_mov_b64 s[18:19], -1
	s_mov_b64 s[16:17], 0
	s_mov_b64 s[2:3], 0
                                        ; implicit-def: $vgpr15
	s_branch .LBB23_2239
.LBB23_2236:
	s_andn2_saveexec_b64 s[62:63], s[62:63]
	s_cbranch_execz .LBB23_1095
.LBB23_2237:
	v_add_f32_e32 v3, 0x42800000, v4
	v_and_b32_e32 v3, 0xff, v3
	v_cmp_ne_u32_e32 vcc, 0, v3
	s_andn2_b64 s[60:61], s[60:61], exec
	s_and_b64 s[74:75], vcc, exec
	s_or_b64 s[60:61], s[60:61], s[74:75]
	s_or_b64 exec, exec, s[62:63]
	v_mov_b32_e32 v5, 0
	s_and_saveexec_b64 s[62:63], s[60:61]
	s_cbranch_execnz .LBB23_1096
	s_branch .LBB23_1097
.LBB23_2238:
	s_mov_b64 s[2:3], -1
                                        ; implicit-def: $vgpr15
	s_mov_b64 s[16:17], 0
.LBB23_2239:
	s_and_b64 vcc, exec, s[18:19]
	s_cbranch_vccz .LBB23_2243
; %bb.2240:
	s_cmp_eq_u32 s21, 44
	s_cbranch_scc0 .LBB23_2242
; %bb.2241:
	global_load_ubyte v1, v[18:19], off
	s_mov_b32 s2, 0x2f800000
	s_mov_b32 s3, 0xcf800000
	s_mov_b64 s[16:17], -1
	s_waitcnt vmcnt(0)
	v_lshlrev_b32_e32 v3, 23, v1
	v_trunc_f32_e32 v3, v3
	v_mul_f32_e64 v5, |v3|, s2
	v_floor_f32_e32 v5, v5
	v_fma_f32 v5, v5, s3, |v3|
	v_cvt_u32_f32_e32 v5, v5
	v_ashrrev_i32_e32 v3, 31, v3
	v_cmp_ne_u32_e32 vcc, 0, v1
	s_mov_b64 s[2:3], 0
	v_xor_b32_e32 v5, v5, v3
	v_sub_u32_e32 v3, v5, v3
	v_cndmask_b32_e32 v15, 0, v3, vcc
	s_branch .LBB23_2243
.LBB23_2242:
	s_mov_b64 s[2:3], -1
                                        ; implicit-def: $vgpr15
.LBB23_2243:
	s_mov_b64 s[18:19], 0
.LBB23_2244:
	s_and_b64 vcc, exec, s[18:19]
	s_cbranch_vccz .LBB23_2248
; %bb.2245:
	s_cmp_eq_u32 s21, 29
	s_cbranch_scc0 .LBB23_2247
; %bb.2246:
	global_load_dwordx2 v[15:16], v[18:19], off
	s_mov_b64 s[2:3], 0
	s_mov_b64 s[16:17], -1
	s_branch .LBB23_2248
.LBB23_2247:
	s_mov_b64 s[2:3], -1
                                        ; implicit-def: $vgpr15
.LBB23_2248:
	s_mov_b64 s[18:19], 0
.LBB23_2249:
	s_and_b64 vcc, exec, s[18:19]
	s_cbranch_vccz .LBB23_2265
; %bb.2250:
	s_cmp_lt_i32 s21, 27
	s_cbranch_scc1 .LBB23_2253
; %bb.2251:
	s_cmp_gt_i32 s21, 27
	s_cbranch_scc0 .LBB23_2254
; %bb.2252:
	global_load_dword v15, v[18:19], off
	s_mov_b64 s[16:17], 0
	s_branch .LBB23_2255
.LBB23_2253:
	s_mov_b64 s[16:17], -1
                                        ; implicit-def: $vgpr15
	s_branch .LBB23_2258
.LBB23_2254:
	s_mov_b64 s[16:17], -1
                                        ; implicit-def: $vgpr15
.LBB23_2255:
	s_andn2_b64 vcc, exec, s[16:17]
	s_cbranch_vccnz .LBB23_2257
; %bb.2256:
	global_load_ushort v15, v[18:19], off
.LBB23_2257:
	s_mov_b64 s[16:17], 0
.LBB23_2258:
	s_andn2_b64 vcc, exec, s[16:17]
	s_cbranch_vccnz .LBB23_2264
; %bb.2259:
	global_load_ubyte v1, v[18:19], off
	s_movk_i32 s16, 0x7f
	s_mov_b64 s[18:19], 0
	s_waitcnt vmcnt(0)
	v_cmp_lt_i16_e32 vcc, s16, v1
	s_and_saveexec_b64 s[16:17], vcc
	s_xor_b64 s[16:17], exec, s[16:17]
	s_cbranch_execz .LBB23_2276
; %bb.2260:
	s_movk_i32 s18, 0x80
	v_cmp_ne_u16_e32 vcc, s18, v1
	s_and_b64 s[18:19], vcc, exec
	s_andn2_saveexec_b64 s[16:17], s[16:17]
	s_cbranch_execnz .LBB23_2277
.LBB23_2261:
	s_or_b64 exec, exec, s[16:17]
	v_mov_b32_e32 v15, 0
	s_and_saveexec_b64 s[16:17], s[18:19]
	s_cbranch_execz .LBB23_2263
.LBB23_2262:
	v_lshlrev_b32_e32 v3, 24, v1
	v_and_b32_e32 v1, 0xffff, v1
	v_and_b32_e32 v5, 7, v1
	v_ffbh_u32_e32 v12, v5
	v_min_u32_e32 v12, 32, v12
	v_subrev_u32_e32 v15, 28, v12
	v_bfe_u32 v8, v1, 3, 4
	v_lshlrev_b32_e32 v1, v15, v1
	v_sub_u32_e32 v12, 29, v12
	v_and_b32_e32 v1, 7, v1
	v_cmp_eq_u32_e32 vcc, 0, v8
	v_cndmask_b32_e32 v8, v8, v12, vcc
	v_cndmask_b32_e32 v1, v5, v1, vcc
	v_mov_b32_e32 v5, 0x3b800000
	v_lshlrev_b32_e32 v1, 20, v1
	v_and_b32_e32 v3, 0x80000000, v3
	v_lshl_add_u32 v5, v8, 23, v5
	v_or3_b32 v1, v3, v5, v1
	v_trunc_f32_e32 v1, v1
	s_mov_b32 s18, 0x2f800000
	v_mul_f32_e64 v3, |v1|, s18
	v_floor_f32_e32 v3, v3
	s_mov_b32 s18, 0xcf800000
	v_fma_f32 v3, v3, s18, |v1|
	v_cvt_u32_f32_e32 v3, v3
	v_ashrrev_i32_e32 v1, 31, v1
	v_xor_b32_e32 v3, v3, v1
	v_sub_u32_e32 v15, v3, v1
.LBB23_2263:
	s_or_b64 exec, exec, s[16:17]
.LBB23_2264:
	s_mov_b64 s[16:17], -1
.LBB23_2265:
	s_mov_b64 s[18:19], 0
.LBB23_2266:
	s_and_b64 vcc, exec, s[18:19]
	s_cbranch_vccz .LBB23_2297
; %bb.2267:
	s_cmp_gt_i32 s21, 22
	s_cbranch_scc0 .LBB23_2275
; %bb.2268:
	s_cmp_lt_i32 s21, 24
	s_cbranch_scc1 .LBB23_2278
; %bb.2269:
	s_cmp_gt_i32 s21, 24
	s_cbranch_scc0 .LBB23_2279
; %bb.2270:
	global_load_ubyte v1, v[18:19], off
	s_movk_i32 s6, 0x7f
	s_mov_b64 s[16:17], 0
	s_waitcnt vmcnt(0)
	v_cmp_lt_i16_e32 vcc, s6, v1
	s_and_saveexec_b64 s[6:7], vcc
	s_xor_b64 s[6:7], exec, s[6:7]
	s_cbranch_execz .LBB23_2291
; %bb.2271:
	s_movk_i32 s16, 0x80
	v_cmp_ne_u16_e32 vcc, s16, v1
	s_and_b64 s[16:17], vcc, exec
	s_andn2_saveexec_b64 s[6:7], s[6:7]
	s_cbranch_execnz .LBB23_2292
.LBB23_2272:
	s_or_b64 exec, exec, s[6:7]
	v_mov_b32_e32 v15, 0
	s_and_saveexec_b64 s[6:7], s[16:17]
	s_cbranch_execz .LBB23_2274
.LBB23_2273:
	v_lshlrev_b32_e32 v3, 24, v1
	v_and_b32_e32 v1, 0xffff, v1
	v_and_b32_e32 v5, 3, v1
	v_ffbh_u32_e32 v12, v5
	v_min_u32_e32 v12, 32, v12
	v_subrev_u32_e32 v15, 29, v12
	v_bfe_u32 v8, v1, 2, 5
	v_lshlrev_b32_e32 v1, v15, v1
	v_sub_u32_e32 v12, 30, v12
	v_and_b32_e32 v1, 3, v1
	v_cmp_eq_u32_e32 vcc, 0, v8
	v_cndmask_b32_e32 v8, v8, v12, vcc
	v_cndmask_b32_e32 v1, v5, v1, vcc
	v_mov_b32_e32 v5, 0x37800000
	v_lshlrev_b32_e32 v1, 21, v1
	v_and_b32_e32 v3, 0x80000000, v3
	v_lshl_add_u32 v5, v8, 23, v5
	v_or3_b32 v1, v3, v5, v1
	v_trunc_f32_e32 v1, v1
	s_mov_b32 s16, 0x2f800000
	v_mul_f32_e64 v3, |v1|, s16
	v_floor_f32_e32 v3, v3
	s_mov_b32 s16, 0xcf800000
	v_fma_f32 v3, v3, s16, |v1|
	v_cvt_u32_f32_e32 v3, v3
	v_ashrrev_i32_e32 v1, 31, v1
	v_xor_b32_e32 v3, v3, v1
	v_sub_u32_e32 v15, v3, v1
.LBB23_2274:
	s_or_b64 exec, exec, s[6:7]
	s_mov_b64 s[6:7], 0
	s_branch .LBB23_2280
.LBB23_2275:
	s_mov_b64 s[6:7], -1
                                        ; implicit-def: $vgpr15
	s_branch .LBB23_2286
.LBB23_2276:
	s_andn2_saveexec_b64 s[16:17], s[16:17]
	s_cbranch_execz .LBB23_2261
.LBB23_2277:
	v_cmp_ne_u16_e32 vcc, 0, v1
	s_andn2_b64 s[18:19], s[18:19], exec
	s_and_b64 s[24:25], vcc, exec
	s_or_b64 s[18:19], s[18:19], s[24:25]
	s_or_b64 exec, exec, s[16:17]
	v_mov_b32_e32 v15, 0
	s_and_saveexec_b64 s[16:17], s[18:19]
	s_cbranch_execnz .LBB23_2262
	s_branch .LBB23_2263
.LBB23_2278:
	s_mov_b64 s[6:7], -1
                                        ; implicit-def: $vgpr15
	s_branch .LBB23_2283
.LBB23_2279:
	s_mov_b64 s[6:7], -1
                                        ; implicit-def: $vgpr15
.LBB23_2280:
	s_and_b64 vcc, exec, s[6:7]
	s_cbranch_vccz .LBB23_2282
; %bb.2281:
	global_load_ubyte v1, v[18:19], off
	s_mov_b32 s6, 0x7f800000
	s_brev_b32 s7, 1
	s_mov_b32 s16, 0x2f800000
	s_waitcnt vmcnt(0)
	v_lshlrev_b32_e32 v1, 24, v1
	v_and_b32_e32 v3, 0x7f000000, v1
	v_ffbh_u32_e32 v5, v3
	v_min_u32_e32 v5, 32, v5
	v_sub_u32_e64 v5, v5, 4 clamp
	v_lshlrev_b32_e32 v12, v5, v3
	v_lshlrev_b32_e32 v5, 23, v5
	v_lshrrev_b32_e32 v12, 4, v12
	v_add_u32_e32 v8, 0x1000000, v3
	v_sub_u32_e32 v5, v12, v5
	v_ashrrev_i32_e32 v8, 8, v8
	v_add_u32_e32 v5, 0x3c000000, v5
	v_and_or_b32 v5, v8, s6, v5
	v_cmp_ne_u32_e32 vcc, 0, v3
	v_cndmask_b32_e32 v3, 0, v5, vcc
	v_and_or_b32 v1, v1, s7, v3
	v_trunc_f32_e32 v1, v1
	v_mul_f32_e64 v3, |v1|, s16
	v_floor_f32_e32 v3, v3
	s_mov_b32 s6, 0xcf800000
	v_fma_f32 v3, v3, s6, |v1|
	v_cvt_u32_f32_e32 v3, v3
	v_ashrrev_i32_e32 v1, 31, v1
	v_xor_b32_e32 v3, v3, v1
	v_sub_u32_e32 v15, v3, v1
.LBB23_2282:
	s_mov_b64 s[6:7], 0
.LBB23_2283:
	s_andn2_b64 vcc, exec, s[6:7]
	s_cbranch_vccnz .LBB23_2285
; %bb.2284:
	global_load_ubyte v1, v[18:19], off
	s_movk_i32 s6, 0x7f00
	s_brev_b32 s7, 16
	s_brev_b32 s16, 1
	s_mov_b32 s17, 0x2f800000
	s_waitcnt vmcnt(0)
	v_lshlrev_b16_e32 v3, 8, v1
	v_lshlrev_b32_e32 v1, 25, v1
	v_lshrrev_b32_e32 v5, 4, v1
	v_and_or_b32 v8, v3, s6, 0.5
	v_or_b32_e32 v5, 0x70000000, v5
	v_add_f32_e32 v8, -0.5, v8
	v_mul_f32_e32 v5, 0x7800000, v5
	v_cmp_gt_u32_e32 vcc, s7, v1
	v_bfe_i32 v3, v3, 0, 16
	v_cndmask_b32_e32 v1, v5, v8, vcc
	v_and_or_b32 v1, v3, s16, v1
	v_trunc_f32_e32 v1, v1
	v_mul_f32_e64 v3, |v1|, s17
	v_floor_f32_e32 v3, v3
	s_mov_b32 s6, 0xcf800000
	v_fma_f32 v3, v3, s6, |v1|
	v_cvt_u32_f32_e32 v3, v3
	v_ashrrev_i32_e32 v1, 31, v1
	v_xor_b32_e32 v3, v3, v1
	v_sub_u32_e32 v15, v3, v1
.LBB23_2285:
	s_mov_b64 s[6:7], 0
	s_mov_b64 s[16:17], -1
.LBB23_2286:
	s_andn2_b64 vcc, exec, s[6:7]
	s_mov_b64 s[6:7], 0
	s_cbranch_vccnz .LBB23_2297
; %bb.2287:
	s_cmp_gt_i32 s21, 14
	s_cbranch_scc0 .LBB23_2290
; %bb.2288:
	s_cmp_eq_u32 s21, 15
	s_cbranch_scc0 .LBB23_2293
; %bb.2289:
	global_load_ushort v1, v[18:19], off
	s_mov_b32 s2, 0x2f800000
	s_mov_b32 s3, 0xcf800000
	s_mov_b64 s[16:17], -1
	s_waitcnt vmcnt(0)
	v_lshlrev_b32_e32 v1, 16, v1
	v_trunc_f32_e32 v1, v1
	v_mul_f32_e64 v3, |v1|, s2
	v_floor_f32_e32 v3, v3
	v_fma_f32 v3, v3, s3, |v1|
	v_cvt_u32_f32_e32 v3, v3
	v_ashrrev_i32_e32 v1, 31, v1
	s_mov_b64 s[2:3], 0
	v_xor_b32_e32 v3, v3, v1
	v_sub_u32_e32 v15, v3, v1
	s_branch .LBB23_2294
.LBB23_2290:
	s_mov_b64 s[18:19], -1
                                        ; implicit-def: $vgpr15
	s_branch .LBB23_2295
.LBB23_2291:
	s_andn2_saveexec_b64 s[6:7], s[6:7]
	s_cbranch_execz .LBB23_2272
.LBB23_2292:
	v_cmp_ne_u16_e32 vcc, 0, v1
	s_andn2_b64 s[16:17], s[16:17], exec
	s_and_b64 s[18:19], vcc, exec
	s_or_b64 s[16:17], s[16:17], s[18:19]
	s_or_b64 exec, exec, s[6:7]
	v_mov_b32_e32 v15, 0
	s_and_saveexec_b64 s[6:7], s[16:17]
	s_cbranch_execnz .LBB23_2273
	s_branch .LBB23_2274
.LBB23_2293:
	s_mov_b64 s[2:3], -1
                                        ; implicit-def: $vgpr15
.LBB23_2294:
	s_mov_b64 s[18:19], 0
.LBB23_2295:
	s_and_b64 vcc, exec, s[18:19]
	s_cbranch_vccz .LBB23_2297
; %bb.2296:
	s_cmp_lg_u32 s21, 11
	s_mov_b64 s[6:7], -1
	s_cselect_b64 s[2:3], -1, 0
.LBB23_2297:
	s_and_b64 vcc, exec, s[2:3]
	s_cbranch_vccnz .LBB23_2362
; %bb.2298:
	s_andn2_b64 vcc, exec, s[6:7]
	s_cbranch_vccnz .LBB23_2300
.LBB23_2299:
	global_load_ubyte v1, v[18:19], off
	s_mov_b64 s[16:17], -1
	s_waitcnt vmcnt(0)
	v_cmp_ne_u16_e32 vcc, 0, v1
	v_cndmask_b32_e64 v15, 0, 1, vcc
.LBB23_2300:
	s_mov_b64 s[2:3], 0
.LBB23_2301:
	s_and_b64 vcc, exec, s[2:3]
	s_cbranch_vccz .LBB23_2350
; %bb.2302:
	s_cmp_lt_i32 s21, 5
	s_cbranch_scc1 .LBB23_2307
; %bb.2303:
	s_cmp_lt_i32 s21, 8
	s_cbranch_scc1 .LBB23_2308
	;; [unrolled: 3-line block ×3, first 2 shown]
; %bb.2305:
	s_cmp_gt_i32 s21, 9
	s_cbranch_scc0 .LBB23_2310
; %bb.2306:
	global_load_dwordx2 v[15:16], v[18:19], off
	s_movk_i32 s2, 0xffe0
	s_waitcnt vmcnt(0)
	v_trunc_f64_e32 v[15:16], v[15:16]
	v_ldexp_f64 v[20:21], v[15:16], s2
	s_mov_b32 s2, 0
	s_mov_b32 s3, 0xc1f00000
	v_floor_f64_e32 v[20:21], v[20:21]
	v_fma_f64 v[15:16], v[20:21], s[2:3], v[15:16]
	s_mov_b64 s[2:3], 0
	v_cvt_u32_f64_e32 v15, v[15:16]
	s_branch .LBB23_2311
.LBB23_2307:
	s_mov_b64 s[2:3], -1
                                        ; implicit-def: $vgpr15
	s_branch .LBB23_2329
.LBB23_2308:
	s_mov_b64 s[2:3], -1
                                        ; implicit-def: $vgpr15
	s_branch .LBB23_2317
.LBB23_2309:
	s_mov_b64 s[2:3], -1
                                        ; implicit-def: $vgpr15
	s_branch .LBB23_2314
.LBB23_2310:
	s_mov_b64 s[2:3], -1
                                        ; implicit-def: $vgpr15
.LBB23_2311:
	s_andn2_b64 vcc, exec, s[2:3]
	s_cbranch_vccnz .LBB23_2313
; %bb.2312:
	global_load_dword v1, v[18:19], off
	s_mov_b32 s2, 0x2f800000
	s_waitcnt vmcnt(0)
	v_trunc_f32_e32 v1, v1
	v_mul_f32_e64 v3, |v1|, s2
	v_floor_f32_e32 v3, v3
	s_mov_b32 s2, 0xcf800000
	v_fma_f32 v3, v3, s2, |v1|
	v_cvt_u32_f32_e32 v3, v3
	v_ashrrev_i32_e32 v1, 31, v1
	v_xor_b32_e32 v3, v3, v1
	v_sub_u32_e32 v15, v3, v1
.LBB23_2313:
	s_mov_b64 s[2:3], 0
.LBB23_2314:
	s_andn2_b64 vcc, exec, s[2:3]
	s_cbranch_vccnz .LBB23_2316
; %bb.2315:
	global_load_dword v1, v[18:19], off
	s_waitcnt vmcnt(0)
	v_cvt_f32_f16_e32 v1, v1
	v_cvt_i32_f32_e32 v15, v1
.LBB23_2316:
	s_mov_b64 s[2:3], 0
.LBB23_2317:
	s_andn2_b64 vcc, exec, s[2:3]
	s_cbranch_vccnz .LBB23_2328
; %bb.2318:
	s_cmp_lt_i32 s21, 6
	s_cbranch_scc1 .LBB23_2321
; %bb.2319:
	s_cmp_gt_i32 s21, 6
	s_cbranch_scc0 .LBB23_2322
; %bb.2320:
	global_load_dwordx2 v[15:16], v[18:19], off
	s_movk_i32 s2, 0xffe0
	s_waitcnt vmcnt(0)
	v_trunc_f64_e32 v[15:16], v[15:16]
	v_ldexp_f64 v[20:21], v[15:16], s2
	s_mov_b32 s2, 0
	s_mov_b32 s3, 0xc1f00000
	v_floor_f64_e32 v[20:21], v[20:21]
	v_fma_f64 v[15:16], v[20:21], s[2:3], v[15:16]
	s_mov_b64 s[2:3], 0
	v_cvt_u32_f64_e32 v15, v[15:16]
	s_branch .LBB23_2323
.LBB23_2321:
	s_mov_b64 s[2:3], -1
                                        ; implicit-def: $vgpr15
	s_branch .LBB23_2326
.LBB23_2322:
	s_mov_b64 s[2:3], -1
                                        ; implicit-def: $vgpr15
.LBB23_2323:
	s_andn2_b64 vcc, exec, s[2:3]
	s_cbranch_vccnz .LBB23_2325
; %bb.2324:
	global_load_dword v1, v[18:19], off
	s_mov_b32 s2, 0x2f800000
	s_waitcnt vmcnt(0)
	v_trunc_f32_e32 v1, v1
	v_mul_f32_e64 v3, |v1|, s2
	v_floor_f32_e32 v3, v3
	s_mov_b32 s2, 0xcf800000
	v_fma_f32 v3, v3, s2, |v1|
	v_cvt_u32_f32_e32 v3, v3
	v_ashrrev_i32_e32 v1, 31, v1
	v_xor_b32_e32 v3, v3, v1
	v_sub_u32_e32 v15, v3, v1
.LBB23_2325:
	s_mov_b64 s[2:3], 0
.LBB23_2326:
	s_andn2_b64 vcc, exec, s[2:3]
	s_cbranch_vccnz .LBB23_2328
; %bb.2327:
	global_load_ushort v1, v[18:19], off
	s_waitcnt vmcnt(0)
	v_cvt_f32_f16_e32 v1, v1
	v_cvt_i32_f32_e32 v15, v1
.LBB23_2328:
	s_mov_b64 s[2:3], 0
.LBB23_2329:
	s_andn2_b64 vcc, exec, s[2:3]
	s_cbranch_vccnz .LBB23_2349
; %bb.2330:
	s_cmp_lt_i32 s21, 2
	s_cbranch_scc1 .LBB23_2334
; %bb.2331:
	s_cmp_lt_i32 s21, 3
	s_cbranch_scc1 .LBB23_2335
; %bb.2332:
	s_cmp_gt_i32 s21, 3
	s_cbranch_scc0 .LBB23_2336
; %bb.2333:
	global_load_dwordx2 v[15:16], v[18:19], off
	s_mov_b64 s[2:3], 0
	s_branch .LBB23_2337
.LBB23_2334:
	s_mov_b64 s[2:3], -1
                                        ; implicit-def: $vgpr15
	s_branch .LBB23_2343
.LBB23_2335:
	s_mov_b64 s[2:3], -1
                                        ; implicit-def: $vgpr15
	s_branch .LBB23_2340
.LBB23_2336:
	s_mov_b64 s[2:3], -1
                                        ; implicit-def: $vgpr15
.LBB23_2337:
	s_andn2_b64 vcc, exec, s[2:3]
	s_cbranch_vccnz .LBB23_2339
; %bb.2338:
	global_load_dword v15, v[18:19], off
.LBB23_2339:
	s_mov_b64 s[2:3], 0
.LBB23_2340:
	s_andn2_b64 vcc, exec, s[2:3]
	s_cbranch_vccnz .LBB23_2342
; %bb.2341:
	global_load_ushort v15, v[18:19], off
.LBB23_2342:
	s_mov_b64 s[2:3], 0
.LBB23_2343:
	s_andn2_b64 vcc, exec, s[2:3]
	s_cbranch_vccnz .LBB23_2349
; %bb.2344:
	s_cmp_gt_i32 s21, 0
	s_cbranch_scc0 .LBB23_2346
; %bb.2345:
	global_load_ubyte v15, v[18:19], off
	s_mov_b64 s[2:3], 0
	s_branch .LBB23_2347
.LBB23_2346:
	s_mov_b64 s[2:3], -1
                                        ; implicit-def: $vgpr15
.LBB23_2347:
	s_andn2_b64 vcc, exec, s[2:3]
	s_cbranch_vccnz .LBB23_2349
; %bb.2348:
	global_load_ubyte v15, v[18:19], off
.LBB23_2349:
	s_mov_b64 s[16:17], -1
.LBB23_2350:
	s_andn2_b64 vcc, exec, s[16:17]
	s_cbranch_vccnz .LBB23_3036
; %bb.2351:
	v_mov_b32_e32 v1, s11
	v_add_co_u32_e32 v18, vcc, s10, v13
	s_cmp_lt_i32 s22, 11
	v_addc_co_u32_e32 v19, vcc, 0, v1, vcc
	s_cbranch_scc1 .LBB23_2358
; %bb.2352:
	s_and_b32 s18, 0xffff, s22
	s_cmp_gt_i32 s18, 25
	s_mov_b64 s[6:7], 0
	s_cbranch_scc0 .LBB23_2359
; %bb.2353:
	s_cmp_gt_i32 s18, 28
	s_cbranch_scc0 .LBB23_2360
; %bb.2354:
	s_cmp_gt_i32 s18, 43
	;; [unrolled: 3-line block ×3, first 2 shown]
	s_cbranch_scc0 .LBB23_2363
; %bb.2356:
	s_cmp_eq_u32 s18, 46
	s_mov_b64 s[16:17], 0
	s_cbranch_scc0 .LBB23_2364
; %bb.2357:
	global_load_dword v1, v[18:19], off
	s_mov_b32 s2, 0x2f800000
	s_mov_b32 s3, 0xcf800000
	s_mov_b64 s[10:11], -1
	s_waitcnt vmcnt(0)
	v_lshlrev_b32_e32 v1, 16, v1
	v_trunc_f32_e32 v1, v1
	v_mul_f32_e64 v3, |v1|, s2
	v_floor_f32_e32 v3, v3
	v_fma_f32 v3, v3, s3, |v1|
	v_cvt_u32_f32_e32 v3, v3
	v_ashrrev_i32_e32 v1, 31, v1
	s_mov_b64 s[2:3], 0
	v_xor_b32_e32 v3, v3, v1
	v_sub_u32_e32 v12, v3, v1
	s_branch .LBB23_2365
.LBB23_2358:
	s_mov_b64 s[2:3], -1
	s_mov_b64 s[10:11], 0
                                        ; implicit-def: $vgpr12
	s_branch .LBB23_2427
.LBB23_2359:
	s_mov_b64 s[16:17], -1
	s_mov_b64 s[10:11], 0
	s_mov_b64 s[2:3], 0
                                        ; implicit-def: $vgpr12
	s_branch .LBB23_2392
.LBB23_2360:
	s_mov_b64 s[16:17], -1
	s_mov_b64 s[10:11], 0
	s_mov_b64 s[2:3], 0
                                        ; implicit-def: $vgpr12
	s_branch .LBB23_2375
.LBB23_2361:
	s_mov_b64 s[16:17], -1
	s_mov_b64 s[10:11], 0
	s_mov_b64 s[2:3], 0
                                        ; implicit-def: $vgpr12
	s_branch .LBB23_2370
.LBB23_2362:
	s_trap 2
	s_or_b64 s[4:5], s[4:5], exec
	s_cbranch_execz .LBB23_2299
	s_branch .LBB23_2300
.LBB23_2363:
	s_mov_b64 s[16:17], -1
	s_mov_b64 s[10:11], 0
	s_mov_b64 s[2:3], 0
                                        ; implicit-def: $vgpr12
	s_branch .LBB23_2365
.LBB23_2364:
	s_mov_b64 s[2:3], -1
                                        ; implicit-def: $vgpr12
	s_mov_b64 s[10:11], 0
.LBB23_2365:
	s_and_b64 vcc, exec, s[16:17]
	s_cbranch_vccz .LBB23_2369
; %bb.2366:
	s_cmp_eq_u32 s18, 44
	s_cbranch_scc0 .LBB23_2368
; %bb.2367:
	global_load_ubyte v1, v[18:19], off
	s_mov_b32 s2, 0x2f800000
	s_mov_b32 s3, 0xcf800000
	s_mov_b64 s[10:11], -1
	s_waitcnt vmcnt(0)
	v_lshlrev_b32_e32 v3, 23, v1
	v_trunc_f32_e32 v3, v3
	v_mul_f32_e64 v5, |v3|, s2
	v_floor_f32_e32 v5, v5
	v_fma_f32 v5, v5, s3, |v3|
	v_cvt_u32_f32_e32 v5, v5
	v_ashrrev_i32_e32 v3, 31, v3
	v_cmp_ne_u32_e32 vcc, 0, v1
	s_mov_b64 s[2:3], 0
	v_xor_b32_e32 v5, v5, v3
	v_sub_u32_e32 v3, v5, v3
	v_cndmask_b32_e32 v12, 0, v3, vcc
	s_branch .LBB23_2369
.LBB23_2368:
	s_mov_b64 s[2:3], -1
                                        ; implicit-def: $vgpr12
.LBB23_2369:
	s_mov_b64 s[16:17], 0
.LBB23_2370:
	s_and_b64 vcc, exec, s[16:17]
	s_cbranch_vccz .LBB23_2374
; %bb.2371:
	s_cmp_eq_u32 s18, 29
	s_cbranch_scc0 .LBB23_2373
; %bb.2372:
	global_load_dwordx2 v[12:13], v[18:19], off
	s_mov_b64 s[2:3], 0
	s_mov_b64 s[10:11], -1
	s_branch .LBB23_2374
.LBB23_2373:
	s_mov_b64 s[2:3], -1
                                        ; implicit-def: $vgpr12
.LBB23_2374:
	s_mov_b64 s[16:17], 0
.LBB23_2375:
	s_and_b64 vcc, exec, s[16:17]
	s_cbranch_vccz .LBB23_2391
; %bb.2376:
	s_cmp_lt_i32 s18, 27
	s_cbranch_scc1 .LBB23_2379
; %bb.2377:
	s_cmp_gt_i32 s18, 27
	s_cbranch_scc0 .LBB23_2380
; %bb.2378:
	global_load_dword v12, v[18:19], off
	s_mov_b64 s[10:11], 0
	s_branch .LBB23_2381
.LBB23_2379:
	s_mov_b64 s[10:11], -1
                                        ; implicit-def: $vgpr12
	s_branch .LBB23_2384
.LBB23_2380:
	s_mov_b64 s[10:11], -1
                                        ; implicit-def: $vgpr12
.LBB23_2381:
	s_andn2_b64 vcc, exec, s[10:11]
	s_cbranch_vccnz .LBB23_2383
; %bb.2382:
	global_load_ushort v12, v[18:19], off
.LBB23_2383:
	s_mov_b64 s[10:11], 0
.LBB23_2384:
	s_andn2_b64 vcc, exec, s[10:11]
	s_cbranch_vccnz .LBB23_2390
; %bb.2385:
	global_load_ubyte v1, v[18:19], off
	s_movk_i32 s10, 0x7f
	s_mov_b64 s[16:17], 0
	s_waitcnt vmcnt(0)
	v_cmp_lt_i16_e32 vcc, s10, v1
	s_and_saveexec_b64 s[10:11], vcc
	s_xor_b64 s[10:11], exec, s[10:11]
	s_cbranch_execz .LBB23_2402
; %bb.2386:
	s_movk_i32 s16, 0x80
	v_cmp_ne_u16_e32 vcc, s16, v1
	s_and_b64 s[16:17], vcc, exec
	s_andn2_saveexec_b64 s[10:11], s[10:11]
	s_cbranch_execnz .LBB23_2403
.LBB23_2387:
	s_or_b64 exec, exec, s[10:11]
	v_mov_b32_e32 v12, 0
	s_and_saveexec_b64 s[10:11], s[16:17]
	s_cbranch_execz .LBB23_2389
.LBB23_2388:
	v_lshlrev_b32_e32 v3, 24, v1
	v_and_b32_e32 v1, 0xffff, v1
	v_and_b32_e32 v5, 7, v1
	v_ffbh_u32_e32 v12, v5
	v_min_u32_e32 v12, 32, v12
	v_subrev_u32_e32 v13, 28, v12
	v_bfe_u32 v8, v1, 3, 4
	v_lshlrev_b32_e32 v1, v13, v1
	v_sub_u32_e32 v12, 29, v12
	v_and_b32_e32 v1, 7, v1
	v_cmp_eq_u32_e32 vcc, 0, v8
	v_cndmask_b32_e32 v8, v8, v12, vcc
	v_cndmask_b32_e32 v1, v5, v1, vcc
	v_mov_b32_e32 v5, 0x3b800000
	v_lshlrev_b32_e32 v1, 20, v1
	v_and_b32_e32 v3, 0x80000000, v3
	v_lshl_add_u32 v5, v8, 23, v5
	v_or3_b32 v1, v3, v5, v1
	v_trunc_f32_e32 v1, v1
	s_mov_b32 s16, 0x2f800000
	v_mul_f32_e64 v3, |v1|, s16
	v_floor_f32_e32 v3, v3
	s_mov_b32 s16, 0xcf800000
	v_fma_f32 v3, v3, s16, |v1|
	v_cvt_u32_f32_e32 v3, v3
	v_ashrrev_i32_e32 v1, 31, v1
	v_xor_b32_e32 v3, v3, v1
	v_sub_u32_e32 v12, v3, v1
.LBB23_2389:
	s_or_b64 exec, exec, s[10:11]
.LBB23_2390:
	s_mov_b64 s[10:11], -1
.LBB23_2391:
	s_mov_b64 s[16:17], 0
.LBB23_2392:
	s_and_b64 vcc, exec, s[16:17]
	s_cbranch_vccz .LBB23_2423
; %bb.2393:
	s_cmp_gt_i32 s18, 22
	s_cbranch_scc0 .LBB23_2401
; %bb.2394:
	s_cmp_lt_i32 s18, 24
	s_cbranch_scc1 .LBB23_2404
; %bb.2395:
	s_cmp_gt_i32 s18, 24
	s_cbranch_scc0 .LBB23_2405
; %bb.2396:
	global_load_ubyte v1, v[18:19], off
	s_movk_i32 s6, 0x7f
	s_mov_b64 s[10:11], 0
	s_waitcnt vmcnt(0)
	v_cmp_lt_i16_e32 vcc, s6, v1
	s_and_saveexec_b64 s[6:7], vcc
	s_xor_b64 s[6:7], exec, s[6:7]
	s_cbranch_execz .LBB23_2417
; %bb.2397:
	s_movk_i32 s10, 0x80
	v_cmp_ne_u16_e32 vcc, s10, v1
	s_and_b64 s[10:11], vcc, exec
	s_andn2_saveexec_b64 s[6:7], s[6:7]
	s_cbranch_execnz .LBB23_2418
.LBB23_2398:
	s_or_b64 exec, exec, s[6:7]
	v_mov_b32_e32 v12, 0
	s_and_saveexec_b64 s[6:7], s[10:11]
	s_cbranch_execz .LBB23_2400
.LBB23_2399:
	v_lshlrev_b32_e32 v3, 24, v1
	v_and_b32_e32 v1, 0xffff, v1
	v_and_b32_e32 v5, 3, v1
	v_ffbh_u32_e32 v12, v5
	v_min_u32_e32 v12, 32, v12
	v_subrev_u32_e32 v13, 29, v12
	v_bfe_u32 v8, v1, 2, 5
	v_lshlrev_b32_e32 v1, v13, v1
	v_sub_u32_e32 v12, 30, v12
	v_and_b32_e32 v1, 3, v1
	v_cmp_eq_u32_e32 vcc, 0, v8
	v_cndmask_b32_e32 v8, v8, v12, vcc
	v_cndmask_b32_e32 v1, v5, v1, vcc
	v_mov_b32_e32 v5, 0x37800000
	v_lshlrev_b32_e32 v1, 21, v1
	v_and_b32_e32 v3, 0x80000000, v3
	v_lshl_add_u32 v5, v8, 23, v5
	v_or3_b32 v1, v3, v5, v1
	v_trunc_f32_e32 v1, v1
	s_mov_b32 s10, 0x2f800000
	v_mul_f32_e64 v3, |v1|, s10
	v_floor_f32_e32 v3, v3
	s_mov_b32 s10, 0xcf800000
	v_fma_f32 v3, v3, s10, |v1|
	v_cvt_u32_f32_e32 v3, v3
	v_ashrrev_i32_e32 v1, 31, v1
	v_xor_b32_e32 v3, v3, v1
	v_sub_u32_e32 v12, v3, v1
.LBB23_2400:
	s_or_b64 exec, exec, s[6:7]
	s_mov_b64 s[6:7], 0
	s_branch .LBB23_2406
.LBB23_2401:
	s_mov_b64 s[6:7], -1
                                        ; implicit-def: $vgpr12
	s_branch .LBB23_2412
.LBB23_2402:
	s_andn2_saveexec_b64 s[10:11], s[10:11]
	s_cbranch_execz .LBB23_2387
.LBB23_2403:
	v_cmp_ne_u16_e32 vcc, 0, v1
	s_andn2_b64 s[16:17], s[16:17], exec
	s_and_b64 s[24:25], vcc, exec
	s_or_b64 s[16:17], s[16:17], s[24:25]
	s_or_b64 exec, exec, s[10:11]
	v_mov_b32_e32 v12, 0
	s_and_saveexec_b64 s[10:11], s[16:17]
	s_cbranch_execnz .LBB23_2388
	s_branch .LBB23_2389
.LBB23_2404:
	s_mov_b64 s[6:7], -1
                                        ; implicit-def: $vgpr12
	s_branch .LBB23_2409
.LBB23_2405:
	s_mov_b64 s[6:7], -1
                                        ; implicit-def: $vgpr12
.LBB23_2406:
	s_and_b64 vcc, exec, s[6:7]
	s_cbranch_vccz .LBB23_2408
; %bb.2407:
	global_load_ubyte v1, v[18:19], off
	s_mov_b32 s6, 0x7f800000
	s_brev_b32 s7, 1
	s_mov_b32 s10, 0x2f800000
	s_waitcnt vmcnt(0)
	v_lshlrev_b32_e32 v1, 24, v1
	v_and_b32_e32 v3, 0x7f000000, v1
	v_ffbh_u32_e32 v5, v3
	v_min_u32_e32 v5, 32, v5
	v_sub_u32_e64 v5, v5, 4 clamp
	v_lshlrev_b32_e32 v12, v5, v3
	v_lshlrev_b32_e32 v5, 23, v5
	v_lshrrev_b32_e32 v12, 4, v12
	v_add_u32_e32 v8, 0x1000000, v3
	v_sub_u32_e32 v5, v12, v5
	v_ashrrev_i32_e32 v8, 8, v8
	v_add_u32_e32 v5, 0x3c000000, v5
	v_and_or_b32 v5, v8, s6, v5
	v_cmp_ne_u32_e32 vcc, 0, v3
	v_cndmask_b32_e32 v3, 0, v5, vcc
	v_and_or_b32 v1, v1, s7, v3
	v_trunc_f32_e32 v1, v1
	v_mul_f32_e64 v3, |v1|, s10
	v_floor_f32_e32 v3, v3
	s_mov_b32 s6, 0xcf800000
	v_fma_f32 v3, v3, s6, |v1|
	v_cvt_u32_f32_e32 v3, v3
	v_ashrrev_i32_e32 v1, 31, v1
	v_xor_b32_e32 v3, v3, v1
	v_sub_u32_e32 v12, v3, v1
.LBB23_2408:
	s_mov_b64 s[6:7], 0
.LBB23_2409:
	s_andn2_b64 vcc, exec, s[6:7]
	s_cbranch_vccnz .LBB23_2411
; %bb.2410:
	global_load_ubyte v1, v[18:19], off
	s_movk_i32 s6, 0x7f00
	s_brev_b32 s7, 16
	s_brev_b32 s10, 1
	s_mov_b32 s11, 0x2f800000
	s_waitcnt vmcnt(0)
	v_lshlrev_b16_e32 v3, 8, v1
	v_lshlrev_b32_e32 v1, 25, v1
	v_lshrrev_b32_e32 v5, 4, v1
	v_and_or_b32 v8, v3, s6, 0.5
	v_or_b32_e32 v5, 0x70000000, v5
	v_add_f32_e32 v8, -0.5, v8
	v_mul_f32_e32 v5, 0x7800000, v5
	v_cmp_gt_u32_e32 vcc, s7, v1
	v_bfe_i32 v3, v3, 0, 16
	v_cndmask_b32_e32 v1, v5, v8, vcc
	v_and_or_b32 v1, v3, s10, v1
	v_trunc_f32_e32 v1, v1
	v_mul_f32_e64 v3, |v1|, s11
	v_floor_f32_e32 v3, v3
	s_mov_b32 s6, 0xcf800000
	v_fma_f32 v3, v3, s6, |v1|
	v_cvt_u32_f32_e32 v3, v3
	v_ashrrev_i32_e32 v1, 31, v1
	v_xor_b32_e32 v3, v3, v1
	v_sub_u32_e32 v12, v3, v1
.LBB23_2411:
	s_mov_b64 s[6:7], 0
	s_mov_b64 s[10:11], -1
.LBB23_2412:
	s_andn2_b64 vcc, exec, s[6:7]
	s_mov_b64 s[6:7], 0
	s_cbranch_vccnz .LBB23_2423
; %bb.2413:
	s_cmp_gt_i32 s18, 14
	s_cbranch_scc0 .LBB23_2416
; %bb.2414:
	s_cmp_eq_u32 s18, 15
	s_cbranch_scc0 .LBB23_2419
; %bb.2415:
	global_load_ushort v1, v[18:19], off
	s_mov_b32 s2, 0x2f800000
	s_mov_b32 s3, 0xcf800000
	s_mov_b64 s[10:11], -1
	s_waitcnt vmcnt(0)
	v_lshlrev_b32_e32 v1, 16, v1
	v_trunc_f32_e32 v1, v1
	v_mul_f32_e64 v3, |v1|, s2
	v_floor_f32_e32 v3, v3
	v_fma_f32 v3, v3, s3, |v1|
	v_cvt_u32_f32_e32 v3, v3
	v_ashrrev_i32_e32 v1, 31, v1
	s_mov_b64 s[2:3], 0
	v_xor_b32_e32 v3, v3, v1
	v_sub_u32_e32 v12, v3, v1
	s_branch .LBB23_2420
.LBB23_2416:
	s_mov_b64 s[16:17], -1
                                        ; implicit-def: $vgpr12
	s_branch .LBB23_2421
.LBB23_2417:
	s_andn2_saveexec_b64 s[6:7], s[6:7]
	s_cbranch_execz .LBB23_2398
.LBB23_2418:
	v_cmp_ne_u16_e32 vcc, 0, v1
	s_andn2_b64 s[10:11], s[10:11], exec
	s_and_b64 s[16:17], vcc, exec
	s_or_b64 s[10:11], s[10:11], s[16:17]
	s_or_b64 exec, exec, s[6:7]
	v_mov_b32_e32 v12, 0
	s_and_saveexec_b64 s[6:7], s[10:11]
	s_cbranch_execnz .LBB23_2399
	s_branch .LBB23_2400
.LBB23_2419:
	s_mov_b64 s[2:3], -1
                                        ; implicit-def: $vgpr12
.LBB23_2420:
	s_mov_b64 s[16:17], 0
.LBB23_2421:
	s_and_b64 vcc, exec, s[16:17]
	s_cbranch_vccz .LBB23_2423
; %bb.2422:
	s_cmp_lg_u32 s18, 11
	s_mov_b64 s[6:7], -1
	s_cselect_b64 s[2:3], -1, 0
.LBB23_2423:
	s_and_b64 vcc, exec, s[2:3]
	s_cbranch_vccnz .LBB23_2488
; %bb.2424:
	s_andn2_b64 vcc, exec, s[6:7]
	s_cbranch_vccnz .LBB23_2426
.LBB23_2425:
	global_load_ubyte v1, v[18:19], off
	s_mov_b64 s[10:11], -1
	s_waitcnt vmcnt(0)
	v_cmp_ne_u16_e32 vcc, 0, v1
	v_cndmask_b32_e64 v12, 0, 1, vcc
.LBB23_2426:
	s_mov_b64 s[2:3], 0
.LBB23_2427:
	s_and_b64 vcc, exec, s[2:3]
	s_cbranch_vccz .LBB23_2476
; %bb.2428:
	s_and_b32 s6, 0xffff, s22
	s_cmp_lt_i32 s6, 5
	s_cbranch_scc1 .LBB23_2433
; %bb.2429:
	s_cmp_lt_i32 s6, 8
	s_cbranch_scc1 .LBB23_2434
; %bb.2430:
	s_cmp_lt_i32 s6, 9
	s_cbranch_scc1 .LBB23_2435
; %bb.2431:
	s_cmp_gt_i32 s6, 9
	s_cbranch_scc0 .LBB23_2436
; %bb.2432:
	global_load_dwordx2 v[12:13], v[18:19], off
	s_movk_i32 s2, 0xffe0
	s_waitcnt vmcnt(0)
	v_trunc_f64_e32 v[12:13], v[12:13]
	v_ldexp_f64 v[20:21], v[12:13], s2
	s_mov_b32 s2, 0
	s_mov_b32 s3, 0xc1f00000
	v_floor_f64_e32 v[20:21], v[20:21]
	v_fma_f64 v[12:13], v[20:21], s[2:3], v[12:13]
	s_mov_b64 s[2:3], 0
	v_cvt_u32_f64_e32 v12, v[12:13]
	s_branch .LBB23_2437
.LBB23_2433:
	s_mov_b64 s[2:3], -1
                                        ; implicit-def: $vgpr12
	s_branch .LBB23_2455
.LBB23_2434:
	s_mov_b64 s[2:3], -1
                                        ; implicit-def: $vgpr12
	s_branch .LBB23_2443
.LBB23_2435:
	s_mov_b64 s[2:3], -1
                                        ; implicit-def: $vgpr12
	s_branch .LBB23_2440
.LBB23_2436:
	s_mov_b64 s[2:3], -1
                                        ; implicit-def: $vgpr12
.LBB23_2437:
	s_andn2_b64 vcc, exec, s[2:3]
	s_cbranch_vccnz .LBB23_2439
; %bb.2438:
	global_load_dword v1, v[18:19], off
	s_mov_b32 s2, 0x2f800000
	s_waitcnt vmcnt(0)
	v_trunc_f32_e32 v1, v1
	v_mul_f32_e64 v3, |v1|, s2
	v_floor_f32_e32 v3, v3
	s_mov_b32 s2, 0xcf800000
	v_fma_f32 v3, v3, s2, |v1|
	v_cvt_u32_f32_e32 v3, v3
	v_ashrrev_i32_e32 v1, 31, v1
	v_xor_b32_e32 v3, v3, v1
	v_sub_u32_e32 v12, v3, v1
.LBB23_2439:
	s_mov_b64 s[2:3], 0
.LBB23_2440:
	s_andn2_b64 vcc, exec, s[2:3]
	s_cbranch_vccnz .LBB23_2442
; %bb.2441:
	global_load_dword v1, v[18:19], off
	s_waitcnt vmcnt(0)
	v_cvt_f32_f16_e32 v1, v1
	v_cvt_i32_f32_e32 v12, v1
.LBB23_2442:
	s_mov_b64 s[2:3], 0
.LBB23_2443:
	s_andn2_b64 vcc, exec, s[2:3]
	s_cbranch_vccnz .LBB23_2454
; %bb.2444:
	s_cmp_lt_i32 s6, 6
	s_cbranch_scc1 .LBB23_2447
; %bb.2445:
	s_cmp_gt_i32 s6, 6
	s_cbranch_scc0 .LBB23_2448
; %bb.2446:
	global_load_dwordx2 v[12:13], v[18:19], off
	s_movk_i32 s2, 0xffe0
	s_waitcnt vmcnt(0)
	v_trunc_f64_e32 v[12:13], v[12:13]
	v_ldexp_f64 v[20:21], v[12:13], s2
	s_mov_b32 s2, 0
	s_mov_b32 s3, 0xc1f00000
	v_floor_f64_e32 v[20:21], v[20:21]
	v_fma_f64 v[12:13], v[20:21], s[2:3], v[12:13]
	s_mov_b64 s[2:3], 0
	v_cvt_u32_f64_e32 v12, v[12:13]
	s_branch .LBB23_2449
.LBB23_2447:
	s_mov_b64 s[2:3], -1
                                        ; implicit-def: $vgpr12
	s_branch .LBB23_2452
.LBB23_2448:
	s_mov_b64 s[2:3], -1
                                        ; implicit-def: $vgpr12
.LBB23_2449:
	s_andn2_b64 vcc, exec, s[2:3]
	s_cbranch_vccnz .LBB23_2451
; %bb.2450:
	global_load_dword v1, v[18:19], off
	s_mov_b32 s2, 0x2f800000
	s_waitcnt vmcnt(0)
	v_trunc_f32_e32 v1, v1
	v_mul_f32_e64 v3, |v1|, s2
	v_floor_f32_e32 v3, v3
	s_mov_b32 s2, 0xcf800000
	v_fma_f32 v3, v3, s2, |v1|
	v_cvt_u32_f32_e32 v3, v3
	v_ashrrev_i32_e32 v1, 31, v1
	v_xor_b32_e32 v3, v3, v1
	v_sub_u32_e32 v12, v3, v1
.LBB23_2451:
	s_mov_b64 s[2:3], 0
.LBB23_2452:
	s_andn2_b64 vcc, exec, s[2:3]
	s_cbranch_vccnz .LBB23_2454
; %bb.2453:
	global_load_ushort v1, v[18:19], off
	s_waitcnt vmcnt(0)
	v_cvt_f32_f16_e32 v1, v1
	v_cvt_i32_f32_e32 v12, v1
.LBB23_2454:
	s_mov_b64 s[2:3], 0
.LBB23_2455:
	s_andn2_b64 vcc, exec, s[2:3]
	s_cbranch_vccnz .LBB23_2475
; %bb.2456:
	s_cmp_lt_i32 s6, 2
	s_cbranch_scc1 .LBB23_2460
; %bb.2457:
	s_cmp_lt_i32 s6, 3
	s_cbranch_scc1 .LBB23_2461
; %bb.2458:
	s_cmp_gt_i32 s6, 3
	s_cbranch_scc0 .LBB23_2462
; %bb.2459:
	global_load_dwordx2 v[12:13], v[18:19], off
	s_mov_b64 s[2:3], 0
	s_branch .LBB23_2463
.LBB23_2460:
	s_mov_b64 s[2:3], -1
                                        ; implicit-def: $vgpr12
	s_branch .LBB23_2469
.LBB23_2461:
	s_mov_b64 s[2:3], -1
                                        ; implicit-def: $vgpr12
	s_branch .LBB23_2466
.LBB23_2462:
	s_mov_b64 s[2:3], -1
                                        ; implicit-def: $vgpr12
.LBB23_2463:
	s_andn2_b64 vcc, exec, s[2:3]
	s_cbranch_vccnz .LBB23_2465
; %bb.2464:
	global_load_dword v12, v[18:19], off
.LBB23_2465:
	s_mov_b64 s[2:3], 0
.LBB23_2466:
	s_andn2_b64 vcc, exec, s[2:3]
	s_cbranch_vccnz .LBB23_2468
; %bb.2467:
	global_load_ushort v12, v[18:19], off
.LBB23_2468:
	s_mov_b64 s[2:3], 0
.LBB23_2469:
	s_andn2_b64 vcc, exec, s[2:3]
	s_cbranch_vccnz .LBB23_2475
; %bb.2470:
	s_cmp_gt_i32 s6, 0
	s_cbranch_scc0 .LBB23_2472
; %bb.2471:
	global_load_ubyte v12, v[18:19], off
	s_mov_b64 s[2:3], 0
	s_branch .LBB23_2473
.LBB23_2472:
	s_mov_b64 s[2:3], -1
                                        ; implicit-def: $vgpr12
.LBB23_2473:
	s_andn2_b64 vcc, exec, s[2:3]
	s_cbranch_vccnz .LBB23_2475
; %bb.2474:
	global_load_ubyte v12, v[18:19], off
.LBB23_2475:
	s_mov_b64 s[10:11], -1
.LBB23_2476:
	s_andn2_b64 vcc, exec, s[10:11]
	s_cbranch_vccnz .LBB23_3036
; %bb.2477:
	v_mov_b32_e32 v1, s1
	v_add_co_u32_e32 v18, vcc, s0, v9
	s_cmp_lt_i32 s21, 11
	v_addc_co_u32_e32 v19, vcc, 0, v1, vcc
	s_cbranch_scc1 .LBB23_2484
; %bb.2478:
	s_cmp_gt_i32 s21, 25
	s_mov_b64 s[2:3], 0
	s_cbranch_scc0 .LBB23_2485
; %bb.2479:
	s_cmp_gt_i32 s21, 28
	s_cbranch_scc0 .LBB23_2486
; %bb.2480:
	s_cmp_gt_i32 s21, 43
	s_cbranch_scc0 .LBB23_2487
; %bb.2481:
	s_cmp_gt_i32 s21, 45
	s_cbranch_scc0 .LBB23_2489
; %bb.2482:
	s_cmp_eq_u32 s21, 46
	s_mov_b64 s[10:11], 0
	s_cbranch_scc0 .LBB23_2490
; %bb.2483:
	global_load_dword v1, v[18:19], off
	s_mov_b32 s0, 0x2f800000
	s_mov_b32 s1, 0xcf800000
	s_mov_b64 s[6:7], -1
	s_waitcnt vmcnt(0)
	v_lshlrev_b32_e32 v1, 16, v1
	v_trunc_f32_e32 v1, v1
	v_mul_f32_e64 v3, |v1|, s0
	v_floor_f32_e32 v3, v3
	v_fma_f32 v3, v3, s1, |v1|
	v_cvt_u32_f32_e32 v3, v3
	v_ashrrev_i32_e32 v1, 31, v1
	s_mov_b64 s[0:1], 0
	v_xor_b32_e32 v3, v3, v1
	v_sub_u32_e32 v8, v3, v1
	s_branch .LBB23_2491
.LBB23_2484:
	s_mov_b64 s[0:1], -1
	s_mov_b64 s[6:7], 0
                                        ; implicit-def: $vgpr8
	s_branch .LBB23_2553
.LBB23_2485:
	s_mov_b64 s[10:11], -1
	s_mov_b64 s[6:7], 0
	s_mov_b64 s[0:1], 0
                                        ; implicit-def: $vgpr8
	s_branch .LBB23_2518
.LBB23_2486:
	s_mov_b64 s[10:11], -1
	s_mov_b64 s[6:7], 0
	s_mov_b64 s[0:1], 0
                                        ; implicit-def: $vgpr8
	s_branch .LBB23_2501
.LBB23_2487:
	s_mov_b64 s[10:11], -1
	s_mov_b64 s[6:7], 0
	s_mov_b64 s[0:1], 0
                                        ; implicit-def: $vgpr8
	s_branch .LBB23_2496
.LBB23_2488:
	s_trap 2
	s_or_b64 s[4:5], s[4:5], exec
	s_cbranch_execz .LBB23_2425
	s_branch .LBB23_2426
.LBB23_2489:
	s_mov_b64 s[10:11], -1
	s_mov_b64 s[6:7], 0
	s_mov_b64 s[0:1], 0
                                        ; implicit-def: $vgpr8
	s_branch .LBB23_2491
.LBB23_2490:
	s_mov_b64 s[0:1], -1
                                        ; implicit-def: $vgpr8
	s_mov_b64 s[6:7], 0
.LBB23_2491:
	s_and_b64 vcc, exec, s[10:11]
	s_cbranch_vccz .LBB23_2495
; %bb.2492:
	s_cmp_eq_u32 s21, 44
	s_cbranch_scc0 .LBB23_2494
; %bb.2493:
	global_load_ubyte v1, v[18:19], off
	s_mov_b32 s0, 0x2f800000
	s_mov_b32 s1, 0xcf800000
	s_mov_b64 s[6:7], -1
	s_waitcnt vmcnt(0)
	v_lshlrev_b32_e32 v3, 23, v1
	v_trunc_f32_e32 v3, v3
	v_mul_f32_e64 v5, |v3|, s0
	v_floor_f32_e32 v5, v5
	v_fma_f32 v5, v5, s1, |v3|
	v_cvt_u32_f32_e32 v5, v5
	v_ashrrev_i32_e32 v3, 31, v3
	v_cmp_ne_u32_e32 vcc, 0, v1
	s_mov_b64 s[0:1], 0
	v_xor_b32_e32 v5, v5, v3
	v_sub_u32_e32 v3, v5, v3
	v_cndmask_b32_e32 v8, 0, v3, vcc
	s_branch .LBB23_2495
.LBB23_2494:
	s_mov_b64 s[0:1], -1
                                        ; implicit-def: $vgpr8
.LBB23_2495:
	s_mov_b64 s[10:11], 0
.LBB23_2496:
	s_and_b64 vcc, exec, s[10:11]
	s_cbranch_vccz .LBB23_2500
; %bb.2497:
	s_cmp_eq_u32 s21, 29
	s_cbranch_scc0 .LBB23_2499
; %bb.2498:
	global_load_dwordx2 v[8:9], v[18:19], off
	s_mov_b64 s[0:1], 0
	s_mov_b64 s[6:7], -1
	s_branch .LBB23_2500
.LBB23_2499:
	s_mov_b64 s[0:1], -1
                                        ; implicit-def: $vgpr8
.LBB23_2500:
	s_mov_b64 s[10:11], 0
.LBB23_2501:
	s_and_b64 vcc, exec, s[10:11]
	s_cbranch_vccz .LBB23_2517
; %bb.2502:
	s_cmp_lt_i32 s21, 27
	s_cbranch_scc1 .LBB23_2505
; %bb.2503:
	s_cmp_gt_i32 s21, 27
	s_cbranch_scc0 .LBB23_2506
; %bb.2504:
	global_load_dword v8, v[18:19], off
	s_mov_b64 s[6:7], 0
	s_branch .LBB23_2507
.LBB23_2505:
	s_mov_b64 s[6:7], -1
                                        ; implicit-def: $vgpr8
	s_branch .LBB23_2510
.LBB23_2506:
	s_mov_b64 s[6:7], -1
                                        ; implicit-def: $vgpr8
.LBB23_2507:
	s_andn2_b64 vcc, exec, s[6:7]
	s_cbranch_vccnz .LBB23_2509
; %bb.2508:
	global_load_ushort v8, v[18:19], off
.LBB23_2509:
	s_mov_b64 s[6:7], 0
.LBB23_2510:
	s_andn2_b64 vcc, exec, s[6:7]
	s_cbranch_vccnz .LBB23_2516
; %bb.2511:
	global_load_ubyte v1, v[18:19], off
	s_movk_i32 s6, 0x7f
	s_mov_b64 s[10:11], 0
	s_waitcnt vmcnt(0)
	v_cmp_lt_i16_e32 vcc, s6, v1
	s_and_saveexec_b64 s[6:7], vcc
	s_xor_b64 s[6:7], exec, s[6:7]
	s_cbranch_execz .LBB23_2528
; %bb.2512:
	s_movk_i32 s10, 0x80
	v_cmp_ne_u16_e32 vcc, s10, v1
	s_and_b64 s[10:11], vcc, exec
	s_andn2_saveexec_b64 s[6:7], s[6:7]
	s_cbranch_execnz .LBB23_2529
.LBB23_2513:
	s_or_b64 exec, exec, s[6:7]
	v_mov_b32_e32 v8, 0
	s_and_saveexec_b64 s[6:7], s[10:11]
	s_cbranch_execz .LBB23_2515
.LBB23_2514:
	v_lshlrev_b32_e32 v3, 24, v1
	v_and_b32_e32 v1, 0xffff, v1
	v_and_b32_e32 v5, 7, v1
	v_ffbh_u32_e32 v9, v5
	v_min_u32_e32 v9, 32, v9
	v_subrev_u32_e32 v13, 28, v9
	v_bfe_u32 v8, v1, 3, 4
	v_lshlrev_b32_e32 v1, v13, v1
	v_sub_u32_e32 v9, 29, v9
	v_and_b32_e32 v1, 7, v1
	v_cmp_eq_u32_e32 vcc, 0, v8
	v_cndmask_b32_e32 v8, v8, v9, vcc
	v_cndmask_b32_e32 v1, v5, v1, vcc
	v_mov_b32_e32 v5, 0x3b800000
	v_lshlrev_b32_e32 v1, 20, v1
	v_and_b32_e32 v3, 0x80000000, v3
	v_lshl_add_u32 v5, v8, 23, v5
	v_or3_b32 v1, v3, v5, v1
	v_trunc_f32_e32 v1, v1
	s_mov_b32 s10, 0x2f800000
	v_mul_f32_e64 v3, |v1|, s10
	v_floor_f32_e32 v3, v3
	s_mov_b32 s10, 0xcf800000
	v_fma_f32 v3, v3, s10, |v1|
	v_cvt_u32_f32_e32 v3, v3
	v_ashrrev_i32_e32 v1, 31, v1
	v_xor_b32_e32 v3, v3, v1
	v_sub_u32_e32 v8, v3, v1
.LBB23_2515:
	s_or_b64 exec, exec, s[6:7]
.LBB23_2516:
	s_mov_b64 s[6:7], -1
.LBB23_2517:
	s_mov_b64 s[10:11], 0
.LBB23_2518:
	s_and_b64 vcc, exec, s[10:11]
	s_cbranch_vccz .LBB23_2549
; %bb.2519:
	s_cmp_gt_i32 s21, 22
	s_cbranch_scc0 .LBB23_2527
; %bb.2520:
	s_cmp_lt_i32 s21, 24
	s_cbranch_scc1 .LBB23_2530
; %bb.2521:
	s_cmp_gt_i32 s21, 24
	s_cbranch_scc0 .LBB23_2531
; %bb.2522:
	global_load_ubyte v1, v[18:19], off
	s_movk_i32 s2, 0x7f
	s_mov_b64 s[6:7], 0
	s_waitcnt vmcnt(0)
	v_cmp_lt_i16_e32 vcc, s2, v1
	s_and_saveexec_b64 s[2:3], vcc
	s_xor_b64 s[2:3], exec, s[2:3]
	s_cbranch_execz .LBB23_2543
; %bb.2523:
	s_movk_i32 s6, 0x80
	v_cmp_ne_u16_e32 vcc, s6, v1
	s_and_b64 s[6:7], vcc, exec
	s_andn2_saveexec_b64 s[2:3], s[2:3]
	s_cbranch_execnz .LBB23_2544
.LBB23_2524:
	s_or_b64 exec, exec, s[2:3]
	v_mov_b32_e32 v8, 0
	s_and_saveexec_b64 s[2:3], s[6:7]
	s_cbranch_execz .LBB23_2526
.LBB23_2525:
	v_lshlrev_b32_e32 v3, 24, v1
	v_and_b32_e32 v1, 0xffff, v1
	v_and_b32_e32 v5, 3, v1
	v_ffbh_u32_e32 v9, v5
	v_min_u32_e32 v9, 32, v9
	v_subrev_u32_e32 v13, 29, v9
	v_bfe_u32 v8, v1, 2, 5
	v_lshlrev_b32_e32 v1, v13, v1
	v_sub_u32_e32 v9, 30, v9
	v_and_b32_e32 v1, 3, v1
	v_cmp_eq_u32_e32 vcc, 0, v8
	v_cndmask_b32_e32 v8, v8, v9, vcc
	v_cndmask_b32_e32 v1, v5, v1, vcc
	v_mov_b32_e32 v5, 0x37800000
	v_lshlrev_b32_e32 v1, 21, v1
	v_and_b32_e32 v3, 0x80000000, v3
	v_lshl_add_u32 v5, v8, 23, v5
	v_or3_b32 v1, v3, v5, v1
	v_trunc_f32_e32 v1, v1
	s_mov_b32 s6, 0x2f800000
	v_mul_f32_e64 v3, |v1|, s6
	v_floor_f32_e32 v3, v3
	s_mov_b32 s6, 0xcf800000
	v_fma_f32 v3, v3, s6, |v1|
	v_cvt_u32_f32_e32 v3, v3
	v_ashrrev_i32_e32 v1, 31, v1
	v_xor_b32_e32 v3, v3, v1
	v_sub_u32_e32 v8, v3, v1
.LBB23_2526:
	s_or_b64 exec, exec, s[2:3]
	s_mov_b64 s[2:3], 0
	s_branch .LBB23_2532
.LBB23_2527:
	s_mov_b64 s[2:3], -1
                                        ; implicit-def: $vgpr8
	s_branch .LBB23_2538
.LBB23_2528:
	s_andn2_saveexec_b64 s[6:7], s[6:7]
	s_cbranch_execz .LBB23_2513
.LBB23_2529:
	v_cmp_ne_u16_e32 vcc, 0, v1
	s_andn2_b64 s[10:11], s[10:11], exec
	s_and_b64 s[16:17], vcc, exec
	s_or_b64 s[10:11], s[10:11], s[16:17]
	s_or_b64 exec, exec, s[6:7]
	v_mov_b32_e32 v8, 0
	s_and_saveexec_b64 s[6:7], s[10:11]
	s_cbranch_execnz .LBB23_2514
	s_branch .LBB23_2515
.LBB23_2530:
	s_mov_b64 s[2:3], -1
                                        ; implicit-def: $vgpr8
	s_branch .LBB23_2535
.LBB23_2531:
	s_mov_b64 s[2:3], -1
                                        ; implicit-def: $vgpr8
.LBB23_2532:
	s_and_b64 vcc, exec, s[2:3]
	s_cbranch_vccz .LBB23_2534
; %bb.2533:
	global_load_ubyte v1, v[18:19], off
	s_mov_b32 s2, 0x7f800000
	s_brev_b32 s3, 1
	s_mov_b32 s6, 0x2f800000
	s_waitcnt vmcnt(0)
	v_lshlrev_b32_e32 v1, 24, v1
	v_and_b32_e32 v3, 0x7f000000, v1
	v_ffbh_u32_e32 v5, v3
	v_min_u32_e32 v5, 32, v5
	v_sub_u32_e64 v5, v5, 4 clamp
	v_lshlrev_b32_e32 v9, v5, v3
	v_lshlrev_b32_e32 v5, 23, v5
	v_lshrrev_b32_e32 v9, 4, v9
	v_add_u32_e32 v8, 0x1000000, v3
	v_sub_u32_e32 v5, v9, v5
	v_ashrrev_i32_e32 v8, 8, v8
	v_add_u32_e32 v5, 0x3c000000, v5
	v_and_or_b32 v5, v8, s2, v5
	v_cmp_ne_u32_e32 vcc, 0, v3
	v_cndmask_b32_e32 v3, 0, v5, vcc
	v_and_or_b32 v1, v1, s3, v3
	v_trunc_f32_e32 v1, v1
	v_mul_f32_e64 v3, |v1|, s6
	v_floor_f32_e32 v3, v3
	s_mov_b32 s2, 0xcf800000
	v_fma_f32 v3, v3, s2, |v1|
	v_cvt_u32_f32_e32 v3, v3
	v_ashrrev_i32_e32 v1, 31, v1
	v_xor_b32_e32 v3, v3, v1
	v_sub_u32_e32 v8, v3, v1
.LBB23_2534:
	s_mov_b64 s[2:3], 0
.LBB23_2535:
	s_andn2_b64 vcc, exec, s[2:3]
	s_cbranch_vccnz .LBB23_2537
; %bb.2536:
	global_load_ubyte v1, v[18:19], off
	s_movk_i32 s2, 0x7f00
	s_brev_b32 s3, 16
	s_brev_b32 s6, 1
	s_mov_b32 s7, 0x2f800000
	s_waitcnt vmcnt(0)
	v_lshlrev_b16_e32 v3, 8, v1
	v_lshlrev_b32_e32 v1, 25, v1
	v_lshrrev_b32_e32 v5, 4, v1
	v_and_or_b32 v8, v3, s2, 0.5
	v_or_b32_e32 v5, 0x70000000, v5
	v_add_f32_e32 v8, -0.5, v8
	v_mul_f32_e32 v5, 0x7800000, v5
	v_cmp_gt_u32_e32 vcc, s3, v1
	v_bfe_i32 v3, v3, 0, 16
	v_cndmask_b32_e32 v1, v5, v8, vcc
	v_and_or_b32 v1, v3, s6, v1
	v_trunc_f32_e32 v1, v1
	v_mul_f32_e64 v3, |v1|, s7
	v_floor_f32_e32 v3, v3
	s_mov_b32 s2, 0xcf800000
	v_fma_f32 v3, v3, s2, |v1|
	v_cvt_u32_f32_e32 v3, v3
	v_ashrrev_i32_e32 v1, 31, v1
	v_xor_b32_e32 v3, v3, v1
	v_sub_u32_e32 v8, v3, v1
.LBB23_2537:
	s_mov_b64 s[2:3], 0
	s_mov_b64 s[6:7], -1
.LBB23_2538:
	s_andn2_b64 vcc, exec, s[2:3]
	s_mov_b64 s[2:3], 0
	s_cbranch_vccnz .LBB23_2549
; %bb.2539:
	s_cmp_gt_i32 s21, 14
	s_cbranch_scc0 .LBB23_2542
; %bb.2540:
	s_cmp_eq_u32 s21, 15
	s_cbranch_scc0 .LBB23_2545
; %bb.2541:
	global_load_ushort v1, v[18:19], off
	s_mov_b32 s0, 0x2f800000
	s_mov_b32 s1, 0xcf800000
	s_mov_b64 s[6:7], -1
	s_waitcnt vmcnt(0)
	v_lshlrev_b32_e32 v1, 16, v1
	v_trunc_f32_e32 v1, v1
	v_mul_f32_e64 v3, |v1|, s0
	v_floor_f32_e32 v3, v3
	v_fma_f32 v3, v3, s1, |v1|
	v_cvt_u32_f32_e32 v3, v3
	v_ashrrev_i32_e32 v1, 31, v1
	s_mov_b64 s[0:1], 0
	v_xor_b32_e32 v3, v3, v1
	v_sub_u32_e32 v8, v3, v1
	s_branch .LBB23_2546
.LBB23_2542:
	s_mov_b64 s[10:11], -1
                                        ; implicit-def: $vgpr8
	s_branch .LBB23_2547
.LBB23_2543:
	s_andn2_saveexec_b64 s[2:3], s[2:3]
	s_cbranch_execz .LBB23_2524
.LBB23_2544:
	v_cmp_ne_u16_e32 vcc, 0, v1
	s_andn2_b64 s[6:7], s[6:7], exec
	s_and_b64 s[10:11], vcc, exec
	s_or_b64 s[6:7], s[6:7], s[10:11]
	s_or_b64 exec, exec, s[2:3]
	v_mov_b32_e32 v8, 0
	s_and_saveexec_b64 s[2:3], s[6:7]
	s_cbranch_execnz .LBB23_2525
	s_branch .LBB23_2526
.LBB23_2545:
	s_mov_b64 s[0:1], -1
                                        ; implicit-def: $vgpr8
.LBB23_2546:
	s_mov_b64 s[10:11], 0
.LBB23_2547:
	s_and_b64 vcc, exec, s[10:11]
	s_cbranch_vccz .LBB23_2549
; %bb.2548:
	s_cmp_lg_u32 s21, 11
	s_mov_b64 s[2:3], -1
	s_cselect_b64 s[0:1], -1, 0
.LBB23_2549:
	s_and_b64 vcc, exec, s[0:1]
	s_cbranch_vccnz .LBB23_3082
; %bb.2550:
	s_andn2_b64 vcc, exec, s[2:3]
	s_cbranch_vccnz .LBB23_2552
.LBB23_2551:
	global_load_ubyte v1, v[18:19], off
	s_mov_b64 s[6:7], -1
	s_waitcnt vmcnt(0)
	v_cmp_ne_u16_e32 vcc, 0, v1
	v_cndmask_b32_e64 v8, 0, 1, vcc
.LBB23_2552:
	s_mov_b64 s[0:1], 0
.LBB23_2553:
	s_and_b64 vcc, exec, s[0:1]
	s_cbranch_vccz .LBB23_2602
; %bb.2554:
	s_cmp_lt_i32 s21, 5
	s_cbranch_scc1 .LBB23_2559
; %bb.2555:
	s_cmp_lt_i32 s21, 8
	s_cbranch_scc1 .LBB23_2560
	;; [unrolled: 3-line block ×3, first 2 shown]
; %bb.2557:
	s_cmp_gt_i32 s21, 9
	s_cbranch_scc0 .LBB23_2562
; %bb.2558:
	global_load_dwordx2 v[8:9], v[18:19], off
	s_movk_i32 s0, 0xffe0
	s_waitcnt vmcnt(0)
	v_trunc_f64_e32 v[8:9], v[8:9]
	v_ldexp_f64 v[20:21], v[8:9], s0
	s_mov_b32 s0, 0
	s_mov_b32 s1, 0xc1f00000
	v_floor_f64_e32 v[20:21], v[20:21]
	v_fma_f64 v[8:9], v[20:21], s[0:1], v[8:9]
	s_mov_b64 s[0:1], 0
	v_cvt_u32_f64_e32 v8, v[8:9]
	s_branch .LBB23_2563
.LBB23_2559:
	s_mov_b64 s[0:1], -1
                                        ; implicit-def: $vgpr8
	s_branch .LBB23_2581
.LBB23_2560:
	s_mov_b64 s[0:1], -1
                                        ; implicit-def: $vgpr8
	s_branch .LBB23_2569
.LBB23_2561:
	s_mov_b64 s[0:1], -1
                                        ; implicit-def: $vgpr8
	s_branch .LBB23_2566
.LBB23_2562:
	s_mov_b64 s[0:1], -1
                                        ; implicit-def: $vgpr8
.LBB23_2563:
	s_andn2_b64 vcc, exec, s[0:1]
	s_cbranch_vccnz .LBB23_2565
; %bb.2564:
	global_load_dword v1, v[18:19], off
	s_mov_b32 s0, 0x2f800000
	s_waitcnt vmcnt(0)
	v_trunc_f32_e32 v1, v1
	v_mul_f32_e64 v3, |v1|, s0
	v_floor_f32_e32 v3, v3
	s_mov_b32 s0, 0xcf800000
	v_fma_f32 v3, v3, s0, |v1|
	v_cvt_u32_f32_e32 v3, v3
	v_ashrrev_i32_e32 v1, 31, v1
	v_xor_b32_e32 v3, v3, v1
	v_sub_u32_e32 v8, v3, v1
.LBB23_2565:
	s_mov_b64 s[0:1], 0
.LBB23_2566:
	s_andn2_b64 vcc, exec, s[0:1]
	s_cbranch_vccnz .LBB23_2568
; %bb.2567:
	global_load_dword v1, v[18:19], off
	s_waitcnt vmcnt(0)
	v_cvt_f32_f16_e32 v1, v1
	v_cvt_i32_f32_e32 v8, v1
.LBB23_2568:
	s_mov_b64 s[0:1], 0
.LBB23_2569:
	s_andn2_b64 vcc, exec, s[0:1]
	s_cbranch_vccnz .LBB23_2580
; %bb.2570:
	s_cmp_lt_i32 s21, 6
	s_cbranch_scc1 .LBB23_2573
; %bb.2571:
	s_cmp_gt_i32 s21, 6
	s_cbranch_scc0 .LBB23_2574
; %bb.2572:
	global_load_dwordx2 v[8:9], v[18:19], off
	s_movk_i32 s0, 0xffe0
	s_waitcnt vmcnt(0)
	v_trunc_f64_e32 v[8:9], v[8:9]
	v_ldexp_f64 v[20:21], v[8:9], s0
	s_mov_b32 s0, 0
	s_mov_b32 s1, 0xc1f00000
	v_floor_f64_e32 v[20:21], v[20:21]
	v_fma_f64 v[8:9], v[20:21], s[0:1], v[8:9]
	s_mov_b64 s[0:1], 0
	v_cvt_u32_f64_e32 v8, v[8:9]
	s_branch .LBB23_2575
.LBB23_2573:
	s_mov_b64 s[0:1], -1
                                        ; implicit-def: $vgpr8
	s_branch .LBB23_2578
.LBB23_2574:
	s_mov_b64 s[0:1], -1
                                        ; implicit-def: $vgpr8
.LBB23_2575:
	s_andn2_b64 vcc, exec, s[0:1]
	s_cbranch_vccnz .LBB23_2577
; %bb.2576:
	global_load_dword v1, v[18:19], off
	s_mov_b32 s0, 0x2f800000
	s_waitcnt vmcnt(0)
	v_trunc_f32_e32 v1, v1
	v_mul_f32_e64 v3, |v1|, s0
	v_floor_f32_e32 v3, v3
	s_mov_b32 s0, 0xcf800000
	v_fma_f32 v3, v3, s0, |v1|
	v_cvt_u32_f32_e32 v3, v3
	v_ashrrev_i32_e32 v1, 31, v1
	v_xor_b32_e32 v3, v3, v1
	v_sub_u32_e32 v8, v3, v1
.LBB23_2577:
	s_mov_b64 s[0:1], 0
.LBB23_2578:
	s_andn2_b64 vcc, exec, s[0:1]
	s_cbranch_vccnz .LBB23_2580
; %bb.2579:
	global_load_ushort v1, v[18:19], off
	s_waitcnt vmcnt(0)
	v_cvt_f32_f16_e32 v1, v1
	v_cvt_i32_f32_e32 v8, v1
.LBB23_2580:
	s_mov_b64 s[0:1], 0
.LBB23_2581:
	s_andn2_b64 vcc, exec, s[0:1]
	s_cbranch_vccnz .LBB23_2601
; %bb.2582:
	s_cmp_lt_i32 s21, 2
	s_cbranch_scc1 .LBB23_2586
; %bb.2583:
	s_cmp_lt_i32 s21, 3
	s_cbranch_scc1 .LBB23_2587
; %bb.2584:
	s_cmp_gt_i32 s21, 3
	s_cbranch_scc0 .LBB23_2588
; %bb.2585:
	global_load_dwordx2 v[8:9], v[18:19], off
	s_mov_b64 s[0:1], 0
	s_branch .LBB23_2589
.LBB23_2586:
	s_mov_b64 s[0:1], -1
                                        ; implicit-def: $vgpr8
	s_branch .LBB23_2595
.LBB23_2587:
	s_mov_b64 s[0:1], -1
                                        ; implicit-def: $vgpr8
	s_branch .LBB23_2592
.LBB23_2588:
	s_mov_b64 s[0:1], -1
                                        ; implicit-def: $vgpr8
.LBB23_2589:
	s_andn2_b64 vcc, exec, s[0:1]
	s_cbranch_vccnz .LBB23_2591
; %bb.2590:
	global_load_dword v8, v[18:19], off
.LBB23_2591:
	s_mov_b64 s[0:1], 0
.LBB23_2592:
	s_andn2_b64 vcc, exec, s[0:1]
	s_cbranch_vccnz .LBB23_2594
; %bb.2593:
	global_load_ushort v8, v[18:19], off
.LBB23_2594:
	s_mov_b64 s[0:1], 0
.LBB23_2595:
	s_andn2_b64 vcc, exec, s[0:1]
	s_cbranch_vccnz .LBB23_2601
; %bb.2596:
	s_cmp_gt_i32 s21, 0
	s_cbranch_scc0 .LBB23_2598
; %bb.2597:
	global_load_ubyte v8, v[18:19], off
	s_mov_b64 s[0:1], 0
	s_branch .LBB23_2599
.LBB23_2598:
	s_mov_b64 s[0:1], -1
                                        ; implicit-def: $vgpr8
.LBB23_2599:
	s_andn2_b64 vcc, exec, s[0:1]
	s_cbranch_vccnz .LBB23_2601
; %bb.2600:
	global_load_ubyte v8, v[18:19], off
.LBB23_2601:
	s_mov_b64 s[6:7], -1
.LBB23_2602:
	s_andn2_b64 vcc, exec, s[6:7]
	s_cbranch_vccnz .LBB23_3036
; %bb.2603:
	v_mov_b32_e32 v3, 8
	v_lshlrev_b32_e32 v1, v10, v7
	v_cmp_lt_u16_sdwa vcc, v10, v3 src0_sel:BYTE_0 src1_sel:DWORD
	s_bfe_u32 s18, s20, 0x80008
	v_cndmask_b32_e32 v1, 0, v1, vcc
	v_mov_b32_e32 v3, s9
	v_add_co_u32_e32 v5, vcc, s8, v6
	s_cmp_lt_i32 s18, 11
	v_addc_co_u32_e32 v6, vcc, 0, v3, vcc
	s_cbranch_scc1 .LBB23_2681
; %bb.2604:
	s_and_b32 s19, 0xffff, s18
	s_mov_b64 s[10:11], -1
	s_mov_b64 s[2:3], 0
	s_cmp_gt_i32 s19, 25
	s_mov_b64 s[6:7], 0
	s_mov_b64 s[0:1], 0
	s_cbranch_scc0 .LBB23_2637
; %bb.2605:
	s_cmp_gt_i32 s19, 28
	s_cbranch_scc0 .LBB23_2620
; %bb.2606:
	s_cmp_gt_i32 s19, 43
	;; [unrolled: 3-line block ×3, first 2 shown]
	s_cbranch_scc0 .LBB23_2610
; %bb.2608:
	s_mov_b64 s[0:1], -1
	s_mov_b64 s[10:11], 0
	s_cmp_eq_u32 s19, 46
	s_cbranch_scc0 .LBB23_2610
; %bb.2609:
	v_cvt_f32_ubyte0_e32 v3, v1
	v_bfe_u32 v7, v3, 16, 1
	s_movk_i32 s0, 0x7fff
	v_add3_u32 v3, v3, v7, s0
	v_lshrrev_b32_e32 v3, 16, v3
	global_store_dword v[5:6], v3, off
	s_mov_b64 s[0:1], 0
	s_mov_b64 s[6:7], -1
.LBB23_2610:
	s_and_b64 vcc, exec, s[10:11]
	s_cbranch_vccz .LBB23_2615
; %bb.2611:
	s_cmp_eq_u32 s19, 44
	s_mov_b64 s[0:1], -1
	s_cbranch_scc0 .LBB23_2615
; %bb.2612:
	v_cvt_f32_ubyte0_e32 v7, v1
	v_lshrrev_b32_e32 v3, 23, v7
	s_movk_i32 s0, 0xff
	v_cmp_ne_u32_e32 vcc, s0, v3
	s_waitcnt vmcnt(0)
	v_mov_b32_e32 v9, 0xff
	s_and_saveexec_b64 s[6:7], vcc
; %bb.2613:
	s_mov_b32 s0, 0x3fffff
	v_and_b32_e32 v9, 0x400000, v7
	v_and_or_b32 v7, v7, s0, v3
	v_cmp_ne_u32_e32 vcc, 0, v9
	v_cmp_ne_u32_e64 s[0:1], 0, v7
	s_and_b64 s[0:1], vcc, s[0:1]
	v_cndmask_b32_e64 v7, 0, 1, s[0:1]
	v_add_u32_e32 v9, v3, v7
; %bb.2614:
	s_or_b64 exec, exec, s[6:7]
	s_mov_b64 s[0:1], 0
	s_mov_b64 s[6:7], -1
	global_store_byte v[5:6], v9, off
.LBB23_2615:
	s_mov_b64 s[10:11], 0
.LBB23_2616:
	s_and_b64 vcc, exec, s[10:11]
	s_cbranch_vccz .LBB23_2619
; %bb.2617:
	s_cmp_eq_u32 s19, 29
	s_mov_b64 s[0:1], -1
	s_cbranch_scc0 .LBB23_2619
; %bb.2618:
	s_waitcnt vmcnt(0)
	v_and_b32_e32 v9, 0xff, v1
	v_mov_b32_e32 v10, 0
	global_store_dwordx2 v[5:6], v[9:10], off
	s_mov_b64 s[0:1], 0
	s_mov_b64 s[6:7], -1
.LBB23_2619:
	s_mov_b64 s[10:11], 0
.LBB23_2620:
	s_and_b64 vcc, exec, s[10:11]
	s_cbranch_vccz .LBB23_2636
; %bb.2621:
	s_cmp_lt_i32 s19, 27
	s_mov_b64 s[6:7], -1
	s_cbranch_scc1 .LBB23_2627
; %bb.2622:
	s_cmp_gt_i32 s19, 27
	s_cbranch_scc0 .LBB23_2624
; %bb.2623:
	v_and_b32_e32 v3, 0xff, v1
	s_mov_b64 s[6:7], 0
	global_store_dword v[5:6], v3, off
.LBB23_2624:
	s_andn2_b64 vcc, exec, s[6:7]
	s_cbranch_vccnz .LBB23_2626
; %bb.2625:
	v_and_b32_e32 v3, 0xff, v1
	global_store_short v[5:6], v3, off
.LBB23_2626:
	s_mov_b64 s[6:7], 0
.LBB23_2627:
	s_andn2_b64 vcc, exec, s[6:7]
	s_cbranch_vccnz .LBB23_2635
; %bb.2628:
	v_cvt_f32_ubyte0_e32 v7, v1
	s_mov_b32 s6, 0x43800000
	v_cmp_gt_u32_e32 vcc, s6, v7
	s_waitcnt vmcnt(0)
	v_mov_b32_e32 v9, 0x80
	s_and_saveexec_b64 s[6:7], vcc
	s_cbranch_execz .LBB23_2634
; %bb.2629:
	s_mov_b32 s10, 0x3bffffff
	v_cmp_lt_u32_e32 vcc, s10, v7
	s_mov_b64 s[10:11], 0
                                        ; implicit-def: $vgpr3
	s_and_saveexec_b64 s[16:17], vcc
	s_xor_b64 s[16:17], exec, s[16:17]
	s_cbranch_execz .LBB23_3083
; %bb.2630:
	v_bfe_u32 v3, v7, 20, 1
	s_mov_b32 s21, 0x487ffff
	v_add3_u32 v3, v7, v3, s21
	s_mov_b64 s[10:11], exec
	v_lshrrev_b32_e32 v3, 20, v3
                                        ; implicit-def: $vgpr7
	s_andn2_saveexec_b64 s[16:17], s[16:17]
	s_cbranch_execnz .LBB23_3084
.LBB23_2631:
	s_or_b64 exec, exec, s[16:17]
	v_mov_b32_e32 v9, 0
	s_and_saveexec_b64 s[16:17], s[10:11]
.LBB23_2632:
	v_mov_b32_e32 v9, v3
.LBB23_2633:
	s_or_b64 exec, exec, s[16:17]
.LBB23_2634:
	s_or_b64 exec, exec, s[6:7]
	global_store_byte v[5:6], v9, off
.LBB23_2635:
	s_mov_b64 s[6:7], -1
.LBB23_2636:
	s_mov_b64 s[10:11], 0
.LBB23_2637:
	s_and_b64 vcc, exec, s[10:11]
	s_cbranch_vccz .LBB23_2677
; %bb.2638:
	s_cmp_gt_i32 s19, 22
	s_mov_b64 s[2:3], -1
	s_cbranch_scc0 .LBB23_2670
; %bb.2639:
	s_cmp_lt_i32 s19, 24
	s_cbranch_scc1 .LBB23_2659
; %bb.2640:
	s_cmp_gt_i32 s19, 24
	s_cbranch_scc0 .LBB23_2648
; %bb.2641:
	v_cvt_f32_ubyte0_e32 v7, v1
	s_mov_b32 s2, 0x47800000
	v_cmp_gt_u32_e32 vcc, s2, v7
	s_waitcnt vmcnt(0)
	v_mov_b32_e32 v9, 0x80
	s_and_saveexec_b64 s[2:3], vcc
	s_cbranch_execz .LBB23_2647
; %bb.2642:
	s_mov_b32 s6, 0x37ffffff
	v_cmp_lt_u32_e32 vcc, s6, v7
	s_mov_b64 s[6:7], 0
                                        ; implicit-def: $vgpr3
	s_and_saveexec_b64 s[10:11], vcc
	s_xor_b64 s[10:11], exec, s[10:11]
	s_cbranch_execz .LBB23_3086
; %bb.2643:
	v_bfe_u32 v3, v7, 21, 1
	s_mov_b32 s16, 0x88fffff
	v_add3_u32 v3, v7, v3, s16
	s_mov_b64 s[6:7], exec
	v_lshrrev_b32_e32 v3, 21, v3
                                        ; implicit-def: $vgpr7
	s_andn2_saveexec_b64 s[10:11], s[10:11]
	s_cbranch_execnz .LBB23_3087
.LBB23_2644:
	s_or_b64 exec, exec, s[10:11]
	v_mov_b32_e32 v9, 0
	s_and_saveexec_b64 s[10:11], s[6:7]
.LBB23_2645:
	v_mov_b32_e32 v9, v3
.LBB23_2646:
	s_or_b64 exec, exec, s[10:11]
.LBB23_2647:
	s_or_b64 exec, exec, s[2:3]
	s_mov_b64 s[2:3], 0
	global_store_byte v[5:6], v9, off
.LBB23_2648:
	s_and_b64 vcc, exec, s[2:3]
	s_cbranch_vccz .LBB23_2658
; %bb.2649:
	v_cvt_f32_ubyte0_e32 v3, v1
	s_mov_b32 s2, 0x43f00000
	v_cmp_gt_u32_e32 vcc, s2, v3
                                        ; implicit-def: $vgpr7
	s_and_saveexec_b64 s[2:3], vcc
	s_xor_b64 s[2:3], exec, s[2:3]
	s_cbranch_execz .LBB23_2655
; %bb.2650:
	s_mov_b32 s6, 0x3c7fffff
	v_cmp_lt_u32_e32 vcc, s6, v3
                                        ; implicit-def: $vgpr7
	s_and_saveexec_b64 s[6:7], vcc
	s_xor_b64 s[6:7], exec, s[6:7]
	s_cbranch_execz .LBB23_2652
; %bb.2651:
	v_bfe_u32 v7, v3, 20, 1
	s_mov_b32 s10, 0x407ffff
	v_add3_u32 v3, v3, v7, s10
	v_lshrrev_b32_e32 v7, 20, v3
	v_and_b32_e32 v3, 0xff00000, v3
	s_mov_b32 s10, 0x7f00000
	s_waitcnt vmcnt(0)
	v_mov_b32_e32 v9, 0x7e
	v_cmp_ne_u32_e32 vcc, s10, v3
	v_cndmask_b32_e32 v7, v9, v7, vcc
                                        ; implicit-def: $vgpr3
.LBB23_2652:
	s_andn2_saveexec_b64 s[6:7], s[6:7]
; %bb.2653:
	v_add_f32_e32 v7, 0x46800000, v3
; %bb.2654:
	s_or_b64 exec, exec, s[6:7]
                                        ; implicit-def: $vgpr3
.LBB23_2655:
	s_andn2_saveexec_b64 s[2:3], s[2:3]
	s_cbranch_execz .LBB23_2657
; %bb.2656:
	s_mov_b32 s6, 0x7f800000
	v_mov_b32_e32 v7, 0x7e
	s_waitcnt vmcnt(0)
	v_mov_b32_e32 v9, 0x7f
	v_cmp_lt_u32_e32 vcc, s6, v3
	v_cndmask_b32_e32 v7, v7, v9, vcc
.LBB23_2657:
	s_or_b64 exec, exec, s[2:3]
	global_store_byte v[5:6], v7, off
.LBB23_2658:
	s_mov_b64 s[2:3], 0
.LBB23_2659:
	s_andn2_b64 vcc, exec, s[2:3]
	s_cbranch_vccnz .LBB23_2669
; %bb.2660:
	v_cvt_f32_ubyte0_e32 v3, v1
	s_mov_b32 s2, 0x47800000
	v_cmp_gt_u32_e32 vcc, s2, v3
                                        ; implicit-def: $vgpr7
	s_and_saveexec_b64 s[2:3], vcc
	s_xor_b64 s[2:3], exec, s[2:3]
	s_cbranch_execz .LBB23_2666
; %bb.2661:
	s_mov_b32 s6, 0x387fffff
	v_cmp_lt_u32_e32 vcc, s6, v3
                                        ; implicit-def: $vgpr7
	s_and_saveexec_b64 s[6:7], vcc
	s_xor_b64 s[6:7], exec, s[6:7]
; %bb.2662:
	v_bfe_u32 v7, v3, 21, 1
	s_mov_b32 s10, 0x80fffff
	v_add3_u32 v3, v3, v7, s10
	v_lshrrev_b32_e32 v7, 21, v3
                                        ; implicit-def: $vgpr3
; %bb.2663:
	s_andn2_saveexec_b64 s[6:7], s[6:7]
; %bb.2664:
	v_add_f32_e32 v7, 0x43000000, v3
; %bb.2665:
	s_or_b64 exec, exec, s[6:7]
                                        ; implicit-def: $vgpr3
.LBB23_2666:
	s_andn2_saveexec_b64 s[2:3], s[2:3]
	s_cbranch_execz .LBB23_2668
; %bb.2667:
	s_mov_b32 s6, 0x7f800000
	v_mov_b32_e32 v7, 0x7c
	s_waitcnt vmcnt(0)
	v_mov_b32_e32 v9, 0x7f
	v_cmp_lt_u32_e32 vcc, s6, v3
	v_cndmask_b32_e32 v7, v7, v9, vcc
.LBB23_2668:
	s_or_b64 exec, exec, s[2:3]
	global_store_byte v[5:6], v7, off
.LBB23_2669:
	s_mov_b64 s[2:3], 0
	s_mov_b64 s[6:7], -1
.LBB23_2670:
	s_andn2_b64 vcc, exec, s[2:3]
	s_mov_b64 s[2:3], 0
	s_cbranch_vccnz .LBB23_2677
; %bb.2671:
	s_cmp_gt_i32 s19, 14
	s_mov_b64 s[10:11], -1
	s_cbranch_scc0 .LBB23_2675
; %bb.2672:
	s_cmp_eq_u32 s19, 15
	s_mov_b64 s[0:1], -1
	s_cbranch_scc0 .LBB23_2674
; %bb.2673:
	v_cvt_f32_ubyte0_e32 v3, v1
	v_bfe_u32 v7, v3, 16, 1
	s_movk_i32 s0, 0x7fff
	v_add3_u32 v3, v3, v7, s0
	global_store_short_d16_hi v[5:6], v3, off
	s_mov_b64 s[0:1], 0
	s_mov_b64 s[6:7], -1
.LBB23_2674:
	s_mov_b64 s[10:11], 0
.LBB23_2675:
	s_and_b64 vcc, exec, s[10:11]
	s_cbranch_vccz .LBB23_2677
; %bb.2676:
	s_cmp_lg_u32 s19, 11
	s_mov_b64 s[2:3], -1
	s_cselect_b64 s[0:1], -1, 0
.LBB23_2677:
	s_and_b64 vcc, exec, s[0:1]
	s_cbranch_vccnz .LBB23_3085
; %bb.2678:
	s_andn2_b64 vcc, exec, s[2:3]
	s_cbranch_vccnz .LBB23_2680
.LBB23_2679:
	v_mov_b32_e32 v3, 0
	v_cmp_ne_u16_sdwa s[0:1], v1, v3 src0_sel:BYTE_0 src1_sel:DWORD
	v_cndmask_b32_e64 v3, 0, 1, s[0:1]
	s_mov_b64 s[6:7], -1
	global_store_byte v[5:6], v3, off
.LBB23_2680:
	s_mov_b64 s[0:1], 0
	s_branch .LBB23_2682
.LBB23_2681:
	s_mov_b64 s[0:1], -1
	s_mov_b64 s[6:7], 0
.LBB23_2682:
	s_and_b64 vcc, exec, s[0:1]
	s_cbranch_vccz .LBB23_2721
; %bb.2683:
	s_and_b32 s2, 0xffff, s18
	s_cmp_lt_i32 s2, 5
	s_mov_b64 s[0:1], -1
	s_cbranch_scc1 .LBB23_2704
; %bb.2684:
	s_cmp_lt_i32 s2, 8
	s_cbranch_scc1 .LBB23_2694
; %bb.2685:
	s_cmp_lt_i32 s2, 9
	s_cbranch_scc1 .LBB23_2691
; %bb.2686:
	s_cmp_gt_i32 s2, 9
	s_cbranch_scc0 .LBB23_2688
; %bb.2687:
	s_mov_b32 s0, 0xffff
	v_and_b32_sdwa v3, s0, v1 dst_sel:DWORD dst_unused:UNUSED_PAD src0_sel:DWORD src1_sel:BYTE_0
	v_cvt_f64_u32_e32 v[18:19], v3
	v_mov_b32_e32 v20, 0
	v_mov_b32_e32 v21, v20
	s_mov_b64 s[0:1], 0
	global_store_dwordx4 v[5:6], v[18:21], off
.LBB23_2688:
	s_andn2_b64 vcc, exec, s[0:1]
	s_cbranch_vccnz .LBB23_2690
; %bb.2689:
	s_waitcnt vmcnt(0)
	v_cvt_f32_ubyte0_e32 v9, v1
	v_mov_b32_e32 v10, 0
	global_store_dwordx2 v[5:6], v[9:10], off
.LBB23_2690:
	s_mov_b64 s[0:1], 0
.LBB23_2691:
	s_andn2_b64 vcc, exec, s[0:1]
	s_cbranch_vccnz .LBB23_2693
; %bb.2692:
	v_cvt_f16_u16_sdwa v3, v1 dst_sel:DWORD dst_unused:UNUSED_PAD src0_sel:BYTE_0
	global_store_dword v[5:6], v3, off
.LBB23_2693:
	s_mov_b64 s[0:1], 0
.LBB23_2694:
	s_andn2_b64 vcc, exec, s[0:1]
	s_cbranch_vccnz .LBB23_2703
; %bb.2695:
	s_cmp_lt_i32 s2, 6
	s_mov_b64 s[0:1], -1
	s_cbranch_scc1 .LBB23_2701
; %bb.2696:
	s_cmp_gt_i32 s2, 6
	s_cbranch_scc0 .LBB23_2698
; %bb.2697:
	s_mov_b32 s0, 0xffff
	v_and_b32_sdwa v3, s0, v1 dst_sel:DWORD dst_unused:UNUSED_PAD src0_sel:DWORD src1_sel:BYTE_0
	s_waitcnt vmcnt(0)
	v_cvt_f64_u32_e32 v[9:10], v3
	s_mov_b64 s[0:1], 0
	global_store_dwordx2 v[5:6], v[9:10], off
.LBB23_2698:
	s_andn2_b64 vcc, exec, s[0:1]
	s_cbranch_vccnz .LBB23_2700
; %bb.2699:
	v_cvt_f32_ubyte0_e32 v3, v1
	global_store_dword v[5:6], v3, off
.LBB23_2700:
	s_mov_b64 s[0:1], 0
.LBB23_2701:
	s_andn2_b64 vcc, exec, s[0:1]
	s_cbranch_vccnz .LBB23_2703
; %bb.2702:
	v_cvt_f16_u16_sdwa v3, v1 dst_sel:DWORD dst_unused:UNUSED_PAD src0_sel:BYTE_0
	global_store_short v[5:6], v3, off
.LBB23_2703:
	s_mov_b64 s[0:1], 0
.LBB23_2704:
	s_andn2_b64 vcc, exec, s[0:1]
	s_cbranch_vccnz .LBB23_2720
; %bb.2705:
	s_cmp_lt_i32 s2, 2
	s_mov_b64 s[0:1], -1
	s_cbranch_scc1 .LBB23_2715
; %bb.2706:
	s_cmp_lt_i32 s2, 3
	s_cbranch_scc1 .LBB23_2712
; %bb.2707:
	s_cmp_gt_i32 s2, 3
	s_cbranch_scc0 .LBB23_2709
; %bb.2708:
	s_waitcnt vmcnt(0)
	v_and_b32_e32 v9, 0xff, v1
	v_mov_b32_e32 v10, 0
	global_store_dwordx2 v[5:6], v[9:10], off
	s_mov_b64 s[0:1], 0
.LBB23_2709:
	s_andn2_b64 vcc, exec, s[0:1]
	s_cbranch_vccnz .LBB23_2711
; %bb.2710:
	v_and_b32_e32 v3, 0xff, v1
	global_store_dword v[5:6], v3, off
.LBB23_2711:
	s_mov_b64 s[0:1], 0
.LBB23_2712:
	s_andn2_b64 vcc, exec, s[0:1]
	s_cbranch_vccnz .LBB23_2714
; %bb.2713:
	v_and_b32_e32 v3, 0xff, v1
	global_store_short v[5:6], v3, off
.LBB23_2714:
	s_mov_b64 s[0:1], 0
.LBB23_2715:
	s_andn2_b64 vcc, exec, s[0:1]
	s_cbranch_vccnz .LBB23_2720
; %bb.2716:
	s_cmp_gt_i32 s2, 0
	s_mov_b64 s[0:1], -1
	s_cbranch_scc0 .LBB23_2718
; %bb.2717:
	global_store_byte v[5:6], v1, off
	s_mov_b64 s[0:1], 0
.LBB23_2718:
	s_andn2_b64 vcc, exec, s[0:1]
	s_cbranch_vccnz .LBB23_2720
; %bb.2719:
	global_store_byte v[5:6], v1, off
.LBB23_2720:
	s_mov_b64 s[6:7], -1
.LBB23_2721:
	s_andn2_b64 vcc, exec, s[6:7]
	s_cbranch_vccnz .LBB23_3036
; %bb.2722:
	v_mov_b32_e32 v3, 8
	s_lshr_b32 s0, s20, 8
	v_lshlrev_b32_e32 v1, v14, v11
	v_cmp_lt_u16_sdwa vcc, v14, v3 src0_sel:BYTE_0 src1_sel:DWORD
	s_and_b32 s18, s0, 0xff
	v_cndmask_b32_e32 v1, 0, v1, vcc
	v_mov_b32_e32 v5, s9
	v_add_co_u32_e32 v3, vcc, s8, v4
	s_cmp_lt_i32 s18, 11
	v_addc_co_u32_e32 v4, vcc, 0, v5, vcc
	s_cbranch_scc1 .LBB23_2800
; %bb.2723:
	s_and_b32 s19, 0xffff, s18
	s_mov_b64 s[10:11], -1
	s_mov_b64 s[2:3], 0
	s_cmp_gt_i32 s19, 25
	s_mov_b64 s[6:7], 0
	s_mov_b64 s[0:1], 0
	s_cbranch_scc0 .LBB23_2756
; %bb.2724:
	s_cmp_gt_i32 s19, 28
	s_cbranch_scc0 .LBB23_2739
; %bb.2725:
	s_cmp_gt_i32 s19, 43
	s_cbranch_scc0 .LBB23_2735
; %bb.2726:
	s_cmp_gt_i32 s19, 45
	s_cbranch_scc0 .LBB23_2729
; %bb.2727:
	s_mov_b64 s[0:1], -1
	s_mov_b64 s[10:11], 0
	s_cmp_eq_u32 s19, 46
	s_cbranch_scc0 .LBB23_2729
; %bb.2728:
	v_cvt_f32_ubyte0_e32 v5, v1
	v_bfe_u32 v6, v5, 16, 1
	s_movk_i32 s0, 0x7fff
	v_add3_u32 v5, v5, v6, s0
	v_lshrrev_b32_e32 v5, 16, v5
	global_store_dword v[3:4], v5, off
	s_mov_b64 s[0:1], 0
	s_mov_b64 s[6:7], -1
.LBB23_2729:
	s_and_b64 vcc, exec, s[10:11]
	s_cbranch_vccz .LBB23_2734
; %bb.2730:
	s_cmp_eq_u32 s19, 44
	s_mov_b64 s[0:1], -1
	s_cbranch_scc0 .LBB23_2734
; %bb.2731:
	v_cvt_f32_ubyte0_e32 v6, v1
	v_lshrrev_b32_e32 v5, 23, v6
	s_movk_i32 s0, 0xff
	v_cmp_ne_u32_e32 vcc, s0, v5
	v_mov_b32_e32 v7, 0xff
	s_and_saveexec_b64 s[6:7], vcc
; %bb.2732:
	s_mov_b32 s0, 0x3fffff
	v_and_b32_e32 v7, 0x400000, v6
	v_and_or_b32 v6, v6, s0, v5
	v_cmp_ne_u32_e32 vcc, 0, v7
	v_cmp_ne_u32_e64 s[0:1], 0, v6
	s_and_b64 s[0:1], vcc, s[0:1]
	v_cndmask_b32_e64 v6, 0, 1, s[0:1]
	v_add_u32_e32 v7, v5, v6
; %bb.2733:
	s_or_b64 exec, exec, s[6:7]
	s_mov_b64 s[0:1], 0
	s_mov_b64 s[6:7], -1
	global_store_byte v[3:4], v7, off
.LBB23_2734:
	s_mov_b64 s[10:11], 0
.LBB23_2735:
	s_and_b64 vcc, exec, s[10:11]
	s_cbranch_vccz .LBB23_2738
; %bb.2736:
	s_cmp_eq_u32 s19, 29
	s_mov_b64 s[0:1], -1
	s_cbranch_scc0 .LBB23_2738
; %bb.2737:
	v_and_b32_e32 v5, 0xff, v1
	v_mov_b32_e32 v6, 0
	global_store_dwordx2 v[3:4], v[5:6], off
	s_mov_b64 s[0:1], 0
	s_mov_b64 s[6:7], -1
.LBB23_2738:
	s_mov_b64 s[10:11], 0
.LBB23_2739:
	s_and_b64 vcc, exec, s[10:11]
	s_cbranch_vccz .LBB23_2755
; %bb.2740:
	s_cmp_lt_i32 s19, 27
	s_mov_b64 s[6:7], -1
	s_cbranch_scc1 .LBB23_2746
; %bb.2741:
	s_cmp_gt_i32 s19, 27
	s_cbranch_scc0 .LBB23_2743
; %bb.2742:
	v_and_b32_e32 v5, 0xff, v1
	s_mov_b64 s[6:7], 0
	global_store_dword v[3:4], v5, off
.LBB23_2743:
	s_andn2_b64 vcc, exec, s[6:7]
	s_cbranch_vccnz .LBB23_2745
; %bb.2744:
	v_and_b32_e32 v5, 0xff, v1
	global_store_short v[3:4], v5, off
.LBB23_2745:
	s_mov_b64 s[6:7], 0
.LBB23_2746:
	s_andn2_b64 vcc, exec, s[6:7]
	s_cbranch_vccnz .LBB23_2754
; %bb.2747:
	v_cvt_f32_ubyte0_e32 v6, v1
	s_mov_b32 s6, 0x43800000
	v_cmp_gt_u32_e32 vcc, s6, v6
	v_mov_b32_e32 v7, 0x80
	s_and_saveexec_b64 s[6:7], vcc
	s_cbranch_execz .LBB23_2753
; %bb.2748:
	s_mov_b32 s10, 0x3bffffff
	v_cmp_lt_u32_e32 vcc, s10, v6
	s_mov_b64 s[10:11], 0
                                        ; implicit-def: $vgpr5
	s_and_saveexec_b64 s[16:17], vcc
	s_xor_b64 s[16:17], exec, s[16:17]
	s_cbranch_execz .LBB23_3088
; %bb.2749:
	v_bfe_u32 v5, v6, 20, 1
	s_mov_b32 s20, 0x487ffff
	v_add3_u32 v5, v6, v5, s20
	s_mov_b64 s[10:11], exec
	v_lshrrev_b32_e32 v5, 20, v5
                                        ; implicit-def: $vgpr6
	s_andn2_saveexec_b64 s[16:17], s[16:17]
	s_cbranch_execnz .LBB23_3089
.LBB23_2750:
	s_or_b64 exec, exec, s[16:17]
	v_mov_b32_e32 v7, 0
	s_and_saveexec_b64 s[16:17], s[10:11]
.LBB23_2751:
	v_mov_b32_e32 v7, v5
.LBB23_2752:
	s_or_b64 exec, exec, s[16:17]
.LBB23_2753:
	s_or_b64 exec, exec, s[6:7]
	global_store_byte v[3:4], v7, off
.LBB23_2754:
	s_mov_b64 s[6:7], -1
.LBB23_2755:
	s_mov_b64 s[10:11], 0
.LBB23_2756:
	s_and_b64 vcc, exec, s[10:11]
	s_cbranch_vccz .LBB23_2796
; %bb.2757:
	s_cmp_gt_i32 s19, 22
	s_mov_b64 s[2:3], -1
	s_cbranch_scc0 .LBB23_2789
; %bb.2758:
	s_cmp_lt_i32 s19, 24
	s_cbranch_scc1 .LBB23_2778
; %bb.2759:
	s_cmp_gt_i32 s19, 24
	s_cbranch_scc0 .LBB23_2767
; %bb.2760:
	v_cvt_f32_ubyte0_e32 v6, v1
	s_mov_b32 s2, 0x47800000
	v_cmp_gt_u32_e32 vcc, s2, v6
	v_mov_b32_e32 v7, 0x80
	s_and_saveexec_b64 s[2:3], vcc
	s_cbranch_execz .LBB23_2766
; %bb.2761:
	s_mov_b32 s6, 0x37ffffff
	v_cmp_lt_u32_e32 vcc, s6, v6
	s_mov_b64 s[6:7], 0
                                        ; implicit-def: $vgpr5
	s_and_saveexec_b64 s[10:11], vcc
	s_xor_b64 s[10:11], exec, s[10:11]
	s_cbranch_execz .LBB23_3091
; %bb.2762:
	v_bfe_u32 v5, v6, 21, 1
	s_mov_b32 s16, 0x88fffff
	v_add3_u32 v5, v6, v5, s16
	s_mov_b64 s[6:7], exec
	v_lshrrev_b32_e32 v5, 21, v5
                                        ; implicit-def: $vgpr6
	s_andn2_saveexec_b64 s[10:11], s[10:11]
	s_cbranch_execnz .LBB23_3092
.LBB23_2763:
	s_or_b64 exec, exec, s[10:11]
	v_mov_b32_e32 v7, 0
	s_and_saveexec_b64 s[10:11], s[6:7]
.LBB23_2764:
	v_mov_b32_e32 v7, v5
.LBB23_2765:
	s_or_b64 exec, exec, s[10:11]
.LBB23_2766:
	s_or_b64 exec, exec, s[2:3]
	s_mov_b64 s[2:3], 0
	global_store_byte v[3:4], v7, off
.LBB23_2767:
	s_and_b64 vcc, exec, s[2:3]
	s_cbranch_vccz .LBB23_2777
; %bb.2768:
	v_cvt_f32_ubyte0_e32 v5, v1
	s_mov_b32 s2, 0x43f00000
	v_cmp_gt_u32_e32 vcc, s2, v5
                                        ; implicit-def: $vgpr6
	s_and_saveexec_b64 s[2:3], vcc
	s_xor_b64 s[2:3], exec, s[2:3]
	s_cbranch_execz .LBB23_2774
; %bb.2769:
	s_mov_b32 s6, 0x3c7fffff
	v_cmp_lt_u32_e32 vcc, s6, v5
                                        ; implicit-def: $vgpr6
	s_and_saveexec_b64 s[6:7], vcc
	s_xor_b64 s[6:7], exec, s[6:7]
; %bb.2770:
	v_bfe_u32 v6, v5, 20, 1
	s_mov_b32 s10, 0x407ffff
	v_add3_u32 v5, v5, v6, s10
	v_lshrrev_b32_e32 v6, 20, v5
	v_and_b32_e32 v5, 0xff00000, v5
	s_mov_b32 s10, 0x7f00000
	v_mov_b32_e32 v7, 0x7e
	v_cmp_ne_u32_e32 vcc, s10, v5
	v_cndmask_b32_e32 v6, v7, v6, vcc
                                        ; implicit-def: $vgpr5
; %bb.2771:
	s_andn2_saveexec_b64 s[6:7], s[6:7]
; %bb.2772:
	v_add_f32_e32 v6, 0x46800000, v5
; %bb.2773:
	s_or_b64 exec, exec, s[6:7]
                                        ; implicit-def: $vgpr5
.LBB23_2774:
	s_andn2_saveexec_b64 s[2:3], s[2:3]
; %bb.2775:
	s_mov_b32 s6, 0x7f800000
	v_mov_b32_e32 v6, 0x7e
	v_mov_b32_e32 v7, 0x7f
	v_cmp_lt_u32_e32 vcc, s6, v5
	v_cndmask_b32_e32 v6, v6, v7, vcc
; %bb.2776:
	s_or_b64 exec, exec, s[2:3]
	global_store_byte v[3:4], v6, off
.LBB23_2777:
	s_mov_b64 s[2:3], 0
.LBB23_2778:
	s_andn2_b64 vcc, exec, s[2:3]
	s_cbranch_vccnz .LBB23_2788
; %bb.2779:
	v_cvt_f32_ubyte0_e32 v5, v1
	s_mov_b32 s2, 0x47800000
	v_cmp_gt_u32_e32 vcc, s2, v5
                                        ; implicit-def: $vgpr6
	s_and_saveexec_b64 s[2:3], vcc
	s_xor_b64 s[2:3], exec, s[2:3]
	s_cbranch_execz .LBB23_2785
; %bb.2780:
	s_mov_b32 s6, 0x387fffff
	v_cmp_lt_u32_e32 vcc, s6, v5
                                        ; implicit-def: $vgpr6
	s_and_saveexec_b64 s[6:7], vcc
	s_xor_b64 s[6:7], exec, s[6:7]
; %bb.2781:
	v_bfe_u32 v6, v5, 21, 1
	s_mov_b32 s10, 0x80fffff
	v_add3_u32 v5, v5, v6, s10
	v_lshrrev_b32_e32 v6, 21, v5
                                        ; implicit-def: $vgpr5
; %bb.2782:
	s_andn2_saveexec_b64 s[6:7], s[6:7]
; %bb.2783:
	v_add_f32_e32 v6, 0x43000000, v5
; %bb.2784:
	s_or_b64 exec, exec, s[6:7]
                                        ; implicit-def: $vgpr5
.LBB23_2785:
	s_andn2_saveexec_b64 s[2:3], s[2:3]
; %bb.2786:
	s_mov_b32 s6, 0x7f800000
	v_mov_b32_e32 v6, 0x7c
	v_mov_b32_e32 v7, 0x7f
	v_cmp_lt_u32_e32 vcc, s6, v5
	v_cndmask_b32_e32 v6, v6, v7, vcc
; %bb.2787:
	s_or_b64 exec, exec, s[2:3]
	global_store_byte v[3:4], v6, off
.LBB23_2788:
	s_mov_b64 s[2:3], 0
	s_mov_b64 s[6:7], -1
.LBB23_2789:
	s_andn2_b64 vcc, exec, s[2:3]
	s_mov_b64 s[2:3], 0
	s_cbranch_vccnz .LBB23_2796
; %bb.2790:
	s_cmp_gt_i32 s19, 14
	s_mov_b64 s[10:11], -1
	s_cbranch_scc0 .LBB23_2794
; %bb.2791:
	s_cmp_eq_u32 s19, 15
	s_mov_b64 s[0:1], -1
	s_cbranch_scc0 .LBB23_2793
; %bb.2792:
	v_cvt_f32_ubyte0_e32 v5, v1
	v_bfe_u32 v6, v5, 16, 1
	s_movk_i32 s0, 0x7fff
	v_add3_u32 v5, v5, v6, s0
	global_store_short_d16_hi v[3:4], v5, off
	s_mov_b64 s[0:1], 0
	s_mov_b64 s[6:7], -1
.LBB23_2793:
	s_mov_b64 s[10:11], 0
.LBB23_2794:
	s_and_b64 vcc, exec, s[10:11]
	s_cbranch_vccz .LBB23_2796
; %bb.2795:
	s_cmp_lg_u32 s19, 11
	s_mov_b64 s[2:3], -1
	s_cselect_b64 s[0:1], -1, 0
.LBB23_2796:
	s_and_b64 vcc, exec, s[0:1]
	s_cbranch_vccnz .LBB23_3090
; %bb.2797:
	s_andn2_b64 vcc, exec, s[2:3]
	s_cbranch_vccnz .LBB23_2799
.LBB23_2798:
	v_mov_b32_e32 v5, 0
	v_cmp_ne_u16_sdwa s[0:1], v1, v5 src0_sel:BYTE_0 src1_sel:DWORD
	v_cndmask_b32_e64 v5, 0, 1, s[0:1]
	s_mov_b64 s[6:7], -1
	global_store_byte v[3:4], v5, off
.LBB23_2799:
	s_mov_b64 s[0:1], 0
	s_branch .LBB23_2801
.LBB23_2800:
	s_mov_b64 s[0:1], -1
	s_mov_b64 s[6:7], 0
.LBB23_2801:
	s_and_b64 vcc, exec, s[0:1]
	s_cbranch_vccz .LBB23_2840
; %bb.2802:
	s_and_b32 s2, 0xffff, s18
	s_cmp_lt_i32 s2, 5
	s_mov_b64 s[0:1], -1
	s_cbranch_scc1 .LBB23_2823
; %bb.2803:
	s_cmp_lt_i32 s2, 8
	s_cbranch_scc1 .LBB23_2813
; %bb.2804:
	s_cmp_lt_i32 s2, 9
	s_cbranch_scc1 .LBB23_2810
; %bb.2805:
	s_cmp_gt_i32 s2, 9
	s_cbranch_scc0 .LBB23_2807
; %bb.2806:
	s_mov_b32 s0, 0xffff
	v_and_b32_sdwa v5, s0, v1 dst_sel:DWORD dst_unused:UNUSED_PAD src0_sel:DWORD src1_sel:BYTE_0
	v_cvt_f64_u32_e32 v[18:19], v5
	v_mov_b32_e32 v20, 0
	v_mov_b32_e32 v21, v20
	s_mov_b64 s[0:1], 0
	global_store_dwordx4 v[3:4], v[18:21], off
.LBB23_2807:
	s_andn2_b64 vcc, exec, s[0:1]
	s_cbranch_vccnz .LBB23_2809
; %bb.2808:
	v_cvt_f32_ubyte0_e32 v5, v1
	v_mov_b32_e32 v6, 0
	global_store_dwordx2 v[3:4], v[5:6], off
.LBB23_2809:
	s_mov_b64 s[0:1], 0
.LBB23_2810:
	s_andn2_b64 vcc, exec, s[0:1]
	s_cbranch_vccnz .LBB23_2812
; %bb.2811:
	v_cvt_f16_u16_sdwa v5, v1 dst_sel:DWORD dst_unused:UNUSED_PAD src0_sel:BYTE_0
	global_store_dword v[3:4], v5, off
.LBB23_2812:
	s_mov_b64 s[0:1], 0
.LBB23_2813:
	s_andn2_b64 vcc, exec, s[0:1]
	s_cbranch_vccnz .LBB23_2822
; %bb.2814:
	s_cmp_lt_i32 s2, 6
	s_mov_b64 s[0:1], -1
	s_cbranch_scc1 .LBB23_2820
; %bb.2815:
	s_cmp_gt_i32 s2, 6
	s_cbranch_scc0 .LBB23_2817
; %bb.2816:
	s_mov_b32 s0, 0xffff
	v_and_b32_sdwa v5, s0, v1 dst_sel:DWORD dst_unused:UNUSED_PAD src0_sel:DWORD src1_sel:BYTE_0
	v_cvt_f64_u32_e32 v[5:6], v5
	s_mov_b64 s[0:1], 0
	global_store_dwordx2 v[3:4], v[5:6], off
.LBB23_2817:
	s_andn2_b64 vcc, exec, s[0:1]
	s_cbranch_vccnz .LBB23_2819
; %bb.2818:
	v_cvt_f32_ubyte0_e32 v5, v1
	global_store_dword v[3:4], v5, off
.LBB23_2819:
	s_mov_b64 s[0:1], 0
.LBB23_2820:
	s_andn2_b64 vcc, exec, s[0:1]
	s_cbranch_vccnz .LBB23_2822
; %bb.2821:
	v_cvt_f16_u16_sdwa v5, v1 dst_sel:DWORD dst_unused:UNUSED_PAD src0_sel:BYTE_0
	global_store_short v[3:4], v5, off
.LBB23_2822:
	s_mov_b64 s[0:1], 0
.LBB23_2823:
	s_andn2_b64 vcc, exec, s[0:1]
	s_cbranch_vccnz .LBB23_2839
; %bb.2824:
	s_cmp_lt_i32 s2, 2
	s_mov_b64 s[0:1], -1
	s_cbranch_scc1 .LBB23_2834
; %bb.2825:
	s_cmp_lt_i32 s2, 3
	s_cbranch_scc1 .LBB23_2831
; %bb.2826:
	s_cmp_gt_i32 s2, 3
	s_cbranch_scc0 .LBB23_2828
; %bb.2827:
	v_and_b32_e32 v5, 0xff, v1
	v_mov_b32_e32 v6, 0
	global_store_dwordx2 v[3:4], v[5:6], off
	s_mov_b64 s[0:1], 0
.LBB23_2828:
	s_andn2_b64 vcc, exec, s[0:1]
	s_cbranch_vccnz .LBB23_2830
; %bb.2829:
	v_and_b32_e32 v5, 0xff, v1
	global_store_dword v[3:4], v5, off
.LBB23_2830:
	s_mov_b64 s[0:1], 0
.LBB23_2831:
	s_andn2_b64 vcc, exec, s[0:1]
	s_cbranch_vccnz .LBB23_2833
; %bb.2832:
	v_and_b32_e32 v5, 0xff, v1
	global_store_short v[3:4], v5, off
.LBB23_2833:
	s_mov_b64 s[0:1], 0
.LBB23_2834:
	s_andn2_b64 vcc, exec, s[0:1]
	s_cbranch_vccnz .LBB23_2839
; %bb.2835:
	s_cmp_gt_i32 s2, 0
	s_mov_b64 s[0:1], -1
	s_cbranch_scc0 .LBB23_2837
; %bb.2836:
	global_store_byte v[3:4], v1, off
	s_mov_b64 s[0:1], 0
.LBB23_2837:
	s_andn2_b64 vcc, exec, s[0:1]
	s_cbranch_vccnz .LBB23_2839
; %bb.2838:
	global_store_byte v[3:4], v1, off
.LBB23_2839:
	s_mov_b64 s[6:7], -1
.LBB23_2840:
	s_andn2_b64 vcc, exec, s[6:7]
	s_cbranch_vccnz .LBB23_3036
; %bb.2841:
	v_mov_b32_e32 v3, 8
	s_waitcnt vmcnt(0)
	v_lshlrev_b32_e32 v1, v15, v17
	v_cmp_lt_u16_sdwa vcc, v15, v3 src0_sel:BYTE_0 src1_sel:DWORD
	v_cndmask_b32_e32 v3, 0, v1, vcc
	v_mov_b32_e32 v4, s9
	v_add_co_u32_e32 v1, vcc, s8, v2
	s_cmp_lt_i32 s18, 11
	v_addc_co_u32_e32 v2, vcc, 0, v4, vcc
	s_cbranch_scc1 .LBB23_2919
; %bb.2842:
	s_and_b32 s19, 0xffff, s18
	s_mov_b64 s[10:11], -1
	s_mov_b64 s[2:3], 0
	s_cmp_gt_i32 s19, 25
	s_mov_b64 s[6:7], 0
	s_mov_b64 s[0:1], 0
	s_cbranch_scc0 .LBB23_2875
; %bb.2843:
	s_cmp_gt_i32 s19, 28
	s_cbranch_scc0 .LBB23_2858
; %bb.2844:
	s_cmp_gt_i32 s19, 43
	;; [unrolled: 3-line block ×3, first 2 shown]
	s_cbranch_scc0 .LBB23_2848
; %bb.2846:
	s_mov_b64 s[0:1], -1
	s_mov_b64 s[10:11], 0
	s_cmp_eq_u32 s19, 46
	s_cbranch_scc0 .LBB23_2848
; %bb.2847:
	v_cvt_f32_ubyte0_e32 v4, v3
	v_bfe_u32 v5, v4, 16, 1
	s_movk_i32 s0, 0x7fff
	v_add3_u32 v4, v4, v5, s0
	v_lshrrev_b32_e32 v4, 16, v4
	global_store_dword v[1:2], v4, off
	s_mov_b64 s[0:1], 0
	s_mov_b64 s[6:7], -1
.LBB23_2848:
	s_and_b64 vcc, exec, s[10:11]
	s_cbranch_vccz .LBB23_2853
; %bb.2849:
	s_cmp_eq_u32 s19, 44
	s_mov_b64 s[0:1], -1
	s_cbranch_scc0 .LBB23_2853
; %bb.2850:
	v_cvt_f32_ubyte0_e32 v5, v3
	v_lshrrev_b32_e32 v4, 23, v5
	s_movk_i32 s0, 0xff
	v_cmp_ne_u32_e32 vcc, s0, v4
	v_mov_b32_e32 v6, 0xff
	s_and_saveexec_b64 s[6:7], vcc
; %bb.2851:
	s_mov_b32 s0, 0x3fffff
	v_and_b32_e32 v6, 0x400000, v5
	v_and_or_b32 v5, v5, s0, v4
	v_cmp_ne_u32_e32 vcc, 0, v6
	v_cmp_ne_u32_e64 s[0:1], 0, v5
	s_and_b64 s[0:1], vcc, s[0:1]
	v_cndmask_b32_e64 v5, 0, 1, s[0:1]
	v_add_u32_e32 v6, v4, v5
; %bb.2852:
	s_or_b64 exec, exec, s[6:7]
	s_mov_b64 s[0:1], 0
	s_mov_b64 s[6:7], -1
	global_store_byte v[1:2], v6, off
.LBB23_2853:
	s_mov_b64 s[10:11], 0
.LBB23_2854:
	s_and_b64 vcc, exec, s[10:11]
	s_cbranch_vccz .LBB23_2857
; %bb.2855:
	s_cmp_eq_u32 s19, 29
	s_mov_b64 s[0:1], -1
	s_cbranch_scc0 .LBB23_2857
; %bb.2856:
	v_and_b32_e32 v4, 0xff, v3
	v_mov_b32_e32 v5, 0
	global_store_dwordx2 v[1:2], v[4:5], off
	s_mov_b64 s[0:1], 0
	s_mov_b64 s[6:7], -1
.LBB23_2857:
	s_mov_b64 s[10:11], 0
.LBB23_2858:
	s_and_b64 vcc, exec, s[10:11]
	s_cbranch_vccz .LBB23_2874
; %bb.2859:
	s_cmp_lt_i32 s19, 27
	s_mov_b64 s[6:7], -1
	s_cbranch_scc1 .LBB23_2865
; %bb.2860:
	s_cmp_gt_i32 s19, 27
	s_cbranch_scc0 .LBB23_2862
; %bb.2861:
	v_and_b32_e32 v4, 0xff, v3
	s_mov_b64 s[6:7], 0
	global_store_dword v[1:2], v4, off
.LBB23_2862:
	s_andn2_b64 vcc, exec, s[6:7]
	s_cbranch_vccnz .LBB23_2864
; %bb.2863:
	v_and_b32_e32 v4, 0xff, v3
	global_store_short v[1:2], v4, off
.LBB23_2864:
	s_mov_b64 s[6:7], 0
.LBB23_2865:
	s_andn2_b64 vcc, exec, s[6:7]
	s_cbranch_vccnz .LBB23_2873
; %bb.2866:
	v_cvt_f32_ubyte0_e32 v5, v3
	s_mov_b32 s6, 0x43800000
	v_cmp_gt_u32_e32 vcc, s6, v5
	v_mov_b32_e32 v6, 0x80
	s_and_saveexec_b64 s[6:7], vcc
	s_cbranch_execz .LBB23_2872
; %bb.2867:
	s_mov_b32 s10, 0x3bffffff
	v_cmp_lt_u32_e32 vcc, s10, v5
	s_mov_b64 s[10:11], 0
                                        ; implicit-def: $vgpr4
	s_and_saveexec_b64 s[16:17], vcc
	s_xor_b64 s[16:17], exec, s[16:17]
	s_cbranch_execz .LBB23_3093
; %bb.2868:
	v_bfe_u32 v4, v5, 20, 1
	s_mov_b32 s20, 0x487ffff
	v_add3_u32 v4, v5, v4, s20
	s_mov_b64 s[10:11], exec
	v_lshrrev_b32_e32 v4, 20, v4
                                        ; implicit-def: $vgpr5
	s_andn2_saveexec_b64 s[16:17], s[16:17]
	s_cbranch_execnz .LBB23_3094
.LBB23_2869:
	s_or_b64 exec, exec, s[16:17]
	v_mov_b32_e32 v6, 0
	s_and_saveexec_b64 s[16:17], s[10:11]
.LBB23_2870:
	v_mov_b32_e32 v6, v4
.LBB23_2871:
	s_or_b64 exec, exec, s[16:17]
.LBB23_2872:
	s_or_b64 exec, exec, s[6:7]
	global_store_byte v[1:2], v6, off
.LBB23_2873:
	s_mov_b64 s[6:7], -1
.LBB23_2874:
	s_mov_b64 s[10:11], 0
.LBB23_2875:
	s_and_b64 vcc, exec, s[10:11]
	s_cbranch_vccz .LBB23_2915
; %bb.2876:
	s_cmp_gt_i32 s19, 22
	s_mov_b64 s[2:3], -1
	s_cbranch_scc0 .LBB23_2908
; %bb.2877:
	s_cmp_lt_i32 s19, 24
	s_cbranch_scc1 .LBB23_2897
; %bb.2878:
	s_cmp_gt_i32 s19, 24
	s_cbranch_scc0 .LBB23_2886
; %bb.2879:
	v_cvt_f32_ubyte0_e32 v5, v3
	s_mov_b32 s2, 0x47800000
	v_cmp_gt_u32_e32 vcc, s2, v5
	v_mov_b32_e32 v6, 0x80
	s_and_saveexec_b64 s[2:3], vcc
	s_cbranch_execz .LBB23_2885
; %bb.2880:
	s_mov_b32 s6, 0x37ffffff
	v_cmp_lt_u32_e32 vcc, s6, v5
	s_mov_b64 s[6:7], 0
                                        ; implicit-def: $vgpr4
	s_and_saveexec_b64 s[10:11], vcc
	s_xor_b64 s[10:11], exec, s[10:11]
	s_cbranch_execz .LBB23_3096
; %bb.2881:
	v_bfe_u32 v4, v5, 21, 1
	s_mov_b32 s16, 0x88fffff
	v_add3_u32 v4, v5, v4, s16
	s_mov_b64 s[6:7], exec
	v_lshrrev_b32_e32 v4, 21, v4
                                        ; implicit-def: $vgpr5
	s_andn2_saveexec_b64 s[10:11], s[10:11]
	s_cbranch_execnz .LBB23_3097
.LBB23_2882:
	s_or_b64 exec, exec, s[10:11]
	v_mov_b32_e32 v6, 0
	s_and_saveexec_b64 s[10:11], s[6:7]
.LBB23_2883:
	v_mov_b32_e32 v6, v4
.LBB23_2884:
	s_or_b64 exec, exec, s[10:11]
.LBB23_2885:
	s_or_b64 exec, exec, s[2:3]
	s_mov_b64 s[2:3], 0
	global_store_byte v[1:2], v6, off
.LBB23_2886:
	s_and_b64 vcc, exec, s[2:3]
	s_cbranch_vccz .LBB23_2896
; %bb.2887:
	v_cvt_f32_ubyte0_e32 v4, v3
	s_mov_b32 s2, 0x43f00000
	v_cmp_gt_u32_e32 vcc, s2, v4
                                        ; implicit-def: $vgpr5
	s_and_saveexec_b64 s[2:3], vcc
	s_xor_b64 s[2:3], exec, s[2:3]
	s_cbranch_execz .LBB23_2893
; %bb.2888:
	s_mov_b32 s6, 0x3c7fffff
	v_cmp_lt_u32_e32 vcc, s6, v4
                                        ; implicit-def: $vgpr5
	s_and_saveexec_b64 s[6:7], vcc
	s_xor_b64 s[6:7], exec, s[6:7]
; %bb.2889:
	v_bfe_u32 v5, v4, 20, 1
	s_mov_b32 s10, 0x407ffff
	v_add3_u32 v4, v4, v5, s10
	v_lshrrev_b32_e32 v5, 20, v4
	v_and_b32_e32 v4, 0xff00000, v4
	s_mov_b32 s10, 0x7f00000
	v_mov_b32_e32 v6, 0x7e
	v_cmp_ne_u32_e32 vcc, s10, v4
	v_cndmask_b32_e32 v5, v6, v5, vcc
                                        ; implicit-def: $vgpr4
; %bb.2890:
	s_andn2_saveexec_b64 s[6:7], s[6:7]
; %bb.2891:
	v_add_f32_e32 v5, 0x46800000, v4
; %bb.2892:
	s_or_b64 exec, exec, s[6:7]
                                        ; implicit-def: $vgpr4
.LBB23_2893:
	s_andn2_saveexec_b64 s[2:3], s[2:3]
; %bb.2894:
	s_mov_b32 s6, 0x7f800000
	v_mov_b32_e32 v5, 0x7e
	v_mov_b32_e32 v6, 0x7f
	v_cmp_lt_u32_e32 vcc, s6, v4
	v_cndmask_b32_e32 v5, v5, v6, vcc
; %bb.2895:
	s_or_b64 exec, exec, s[2:3]
	global_store_byte v[1:2], v5, off
.LBB23_2896:
	s_mov_b64 s[2:3], 0
.LBB23_2897:
	s_andn2_b64 vcc, exec, s[2:3]
	s_cbranch_vccnz .LBB23_2907
; %bb.2898:
	v_cvt_f32_ubyte0_e32 v4, v3
	s_mov_b32 s2, 0x47800000
	v_cmp_gt_u32_e32 vcc, s2, v4
                                        ; implicit-def: $vgpr5
	s_and_saveexec_b64 s[2:3], vcc
	s_xor_b64 s[2:3], exec, s[2:3]
	s_cbranch_execz .LBB23_2904
; %bb.2899:
	s_mov_b32 s6, 0x387fffff
	v_cmp_lt_u32_e32 vcc, s6, v4
                                        ; implicit-def: $vgpr5
	s_and_saveexec_b64 s[6:7], vcc
	s_xor_b64 s[6:7], exec, s[6:7]
; %bb.2900:
	v_bfe_u32 v5, v4, 21, 1
	s_mov_b32 s10, 0x80fffff
	v_add3_u32 v4, v4, v5, s10
	v_lshrrev_b32_e32 v5, 21, v4
                                        ; implicit-def: $vgpr4
; %bb.2901:
	s_andn2_saveexec_b64 s[6:7], s[6:7]
; %bb.2902:
	v_add_f32_e32 v5, 0x43000000, v4
; %bb.2903:
	s_or_b64 exec, exec, s[6:7]
                                        ; implicit-def: $vgpr4
.LBB23_2904:
	s_andn2_saveexec_b64 s[2:3], s[2:3]
; %bb.2905:
	s_mov_b32 s6, 0x7f800000
	v_mov_b32_e32 v5, 0x7c
	v_mov_b32_e32 v6, 0x7f
	v_cmp_lt_u32_e32 vcc, s6, v4
	v_cndmask_b32_e32 v5, v5, v6, vcc
; %bb.2906:
	s_or_b64 exec, exec, s[2:3]
	global_store_byte v[1:2], v5, off
.LBB23_2907:
	s_mov_b64 s[2:3], 0
	s_mov_b64 s[6:7], -1
.LBB23_2908:
	s_andn2_b64 vcc, exec, s[2:3]
	s_mov_b64 s[2:3], 0
	s_cbranch_vccnz .LBB23_2915
; %bb.2909:
	s_cmp_gt_i32 s19, 14
	s_mov_b64 s[10:11], -1
	s_cbranch_scc0 .LBB23_2913
; %bb.2910:
	s_cmp_eq_u32 s19, 15
	s_mov_b64 s[0:1], -1
	s_cbranch_scc0 .LBB23_2912
; %bb.2911:
	v_cvt_f32_ubyte0_e32 v4, v3
	v_bfe_u32 v5, v4, 16, 1
	s_movk_i32 s0, 0x7fff
	v_add3_u32 v4, v4, v5, s0
	global_store_short_d16_hi v[1:2], v4, off
	s_mov_b64 s[0:1], 0
	s_mov_b64 s[6:7], -1
.LBB23_2912:
	s_mov_b64 s[10:11], 0
.LBB23_2913:
	s_and_b64 vcc, exec, s[10:11]
	s_cbranch_vccz .LBB23_2915
; %bb.2914:
	s_cmp_lg_u32 s19, 11
	s_mov_b64 s[2:3], -1
	s_cselect_b64 s[0:1], -1, 0
.LBB23_2915:
	s_and_b64 vcc, exec, s[0:1]
	s_cbranch_vccnz .LBB23_3095
; %bb.2916:
	s_andn2_b64 vcc, exec, s[2:3]
	s_cbranch_vccnz .LBB23_2918
.LBB23_2917:
	v_mov_b32_e32 v4, 0
	v_cmp_ne_u16_sdwa s[0:1], v3, v4 src0_sel:BYTE_0 src1_sel:DWORD
	v_cndmask_b32_e64 v4, 0, 1, s[0:1]
	s_mov_b64 s[6:7], -1
	global_store_byte v[1:2], v4, off
.LBB23_2918:
	s_mov_b64 s[0:1], 0
	s_branch .LBB23_2920
.LBB23_2919:
	s_mov_b64 s[0:1], -1
	s_mov_b64 s[6:7], 0
.LBB23_2920:
	s_and_b64 vcc, exec, s[0:1]
	s_cbranch_vccz .LBB23_2959
; %bb.2921:
	s_and_b32 s2, 0xffff, s18
	s_cmp_lt_i32 s2, 5
	s_mov_b64 s[0:1], -1
	s_cbranch_scc1 .LBB23_2942
; %bb.2922:
	s_cmp_lt_i32 s2, 8
	s_cbranch_scc1 .LBB23_2932
; %bb.2923:
	s_cmp_lt_i32 s2, 9
	s_cbranch_scc1 .LBB23_2929
; %bb.2924:
	s_cmp_gt_i32 s2, 9
	s_cbranch_scc0 .LBB23_2926
; %bb.2925:
	s_mov_b32 s0, 0xffff
	v_and_b32_sdwa v4, s0, v3 dst_sel:DWORD dst_unused:UNUSED_PAD src0_sel:DWORD src1_sel:BYTE_0
	v_cvt_f64_u32_e32 v[4:5], v4
	v_mov_b32_e32 v6, 0
	v_mov_b32_e32 v7, v6
	s_mov_b64 s[0:1], 0
	global_store_dwordx4 v[1:2], v[4:7], off
.LBB23_2926:
	s_andn2_b64 vcc, exec, s[0:1]
	s_cbranch_vccnz .LBB23_2928
; %bb.2927:
	v_cvt_f32_ubyte0_e32 v4, v3
	v_mov_b32_e32 v5, 0
	global_store_dwordx2 v[1:2], v[4:5], off
.LBB23_2928:
	s_mov_b64 s[0:1], 0
.LBB23_2929:
	s_andn2_b64 vcc, exec, s[0:1]
	s_cbranch_vccnz .LBB23_2931
; %bb.2930:
	v_cvt_f16_u16_sdwa v4, v3 dst_sel:DWORD dst_unused:UNUSED_PAD src0_sel:BYTE_0
	global_store_dword v[1:2], v4, off
.LBB23_2931:
	s_mov_b64 s[0:1], 0
.LBB23_2932:
	s_andn2_b64 vcc, exec, s[0:1]
	s_cbranch_vccnz .LBB23_2941
; %bb.2933:
	s_cmp_lt_i32 s2, 6
	s_mov_b64 s[0:1], -1
	s_cbranch_scc1 .LBB23_2939
; %bb.2934:
	s_cmp_gt_i32 s2, 6
	s_cbranch_scc0 .LBB23_2936
; %bb.2935:
	s_mov_b32 s0, 0xffff
	v_and_b32_sdwa v4, s0, v3 dst_sel:DWORD dst_unused:UNUSED_PAD src0_sel:DWORD src1_sel:BYTE_0
	v_cvt_f64_u32_e32 v[4:5], v4
	s_mov_b64 s[0:1], 0
	global_store_dwordx2 v[1:2], v[4:5], off
.LBB23_2936:
	s_andn2_b64 vcc, exec, s[0:1]
	s_cbranch_vccnz .LBB23_2938
; %bb.2937:
	v_cvt_f32_ubyte0_e32 v4, v3
	global_store_dword v[1:2], v4, off
.LBB23_2938:
	s_mov_b64 s[0:1], 0
.LBB23_2939:
	s_andn2_b64 vcc, exec, s[0:1]
	s_cbranch_vccnz .LBB23_2941
; %bb.2940:
	v_cvt_f16_u16_sdwa v4, v3 dst_sel:DWORD dst_unused:UNUSED_PAD src0_sel:BYTE_0
	global_store_short v[1:2], v4, off
.LBB23_2941:
	s_mov_b64 s[0:1], 0
.LBB23_2942:
	s_andn2_b64 vcc, exec, s[0:1]
	s_cbranch_vccnz .LBB23_2958
; %bb.2943:
	s_cmp_lt_i32 s2, 2
	s_mov_b64 s[0:1], -1
	s_cbranch_scc1 .LBB23_2953
; %bb.2944:
	s_cmp_lt_i32 s2, 3
	s_cbranch_scc1 .LBB23_2950
; %bb.2945:
	s_cmp_gt_i32 s2, 3
	s_cbranch_scc0 .LBB23_2947
; %bb.2946:
	v_and_b32_e32 v4, 0xff, v3
	v_mov_b32_e32 v5, 0
	global_store_dwordx2 v[1:2], v[4:5], off
	s_mov_b64 s[0:1], 0
.LBB23_2947:
	s_andn2_b64 vcc, exec, s[0:1]
	s_cbranch_vccnz .LBB23_2949
; %bb.2948:
	v_and_b32_e32 v4, 0xff, v3
	global_store_dword v[1:2], v4, off
.LBB23_2949:
	s_mov_b64 s[0:1], 0
.LBB23_2950:
	s_andn2_b64 vcc, exec, s[0:1]
	s_cbranch_vccnz .LBB23_2952
; %bb.2951:
	v_and_b32_e32 v4, 0xff, v3
	global_store_short v[1:2], v4, off
.LBB23_2952:
	s_mov_b64 s[0:1], 0
.LBB23_2953:
	s_andn2_b64 vcc, exec, s[0:1]
	s_cbranch_vccnz .LBB23_2958
; %bb.2954:
	s_cmp_gt_i32 s2, 0
	s_mov_b64 s[0:1], -1
	s_cbranch_scc0 .LBB23_2956
; %bb.2955:
	global_store_byte v[1:2], v3, off
	s_mov_b64 s[0:1], 0
.LBB23_2956:
	s_andn2_b64 vcc, exec, s[0:1]
	s_cbranch_vccnz .LBB23_2958
; %bb.2957:
	global_store_byte v[1:2], v3, off
.LBB23_2958:
	s_mov_b64 s[6:7], -1
.LBB23_2959:
	s_andn2_b64 vcc, exec, s[6:7]
	s_cbranch_vccnz .LBB23_3036
; %bb.2960:
	v_mov_b32_e32 v2, 8
	v_lshlrev_b32_e32 v1, v8, v12
	v_cmp_lt_u16_sdwa vcc, v8, v2 src0_sel:BYTE_0 src1_sel:DWORD
	v_cndmask_b32_e32 v2, 0, v1, vcc
	v_mov_b32_e32 v1, s9
	v_add_co_u32_e32 v0, vcc, s8, v0
	s_cmp_lt_i32 s18, 11
	v_addc_co_u32_e32 v1, vcc, 0, v1, vcc
	s_cbranch_scc1 .LBB23_3081
; %bb.2961:
	s_and_b32 s16, 0xffff, s18
	s_mov_b64 s[6:7], -1
	s_mov_b64 s[2:3], 0
	s_cmp_gt_i32 s16, 25
	s_mov_b64 s[0:1], 0
	s_cbranch_scc0 .LBB23_2994
; %bb.2962:
	s_cmp_gt_i32 s16, 28
	s_cbranch_scc0 .LBB23_2978
; %bb.2963:
	s_cmp_gt_i32 s16, 43
	;; [unrolled: 3-line block ×3, first 2 shown]
	s_cbranch_scc0 .LBB23_2968
; %bb.2965:
	s_cmp_eq_u32 s16, 46
	s_mov_b64 s[0:1], -1
	s_cbranch_scc0 .LBB23_2967
; %bb.2966:
	v_cvt_f32_ubyte0_e32 v3, v2
	v_bfe_u32 v4, v3, 16, 1
	s_movk_i32 s0, 0x7fff
	v_add3_u32 v3, v3, v4, s0
	v_lshrrev_b32_e32 v3, 16, v3
	global_store_dword v[0:1], v3, off
	s_mov_b64 s[0:1], 0
.LBB23_2967:
	s_mov_b64 s[6:7], 0
.LBB23_2968:
	s_and_b64 vcc, exec, s[6:7]
	s_cbranch_vccz .LBB23_2973
; %bb.2969:
	s_cmp_eq_u32 s16, 44
	s_mov_b64 s[0:1], -1
	s_cbranch_scc0 .LBB23_2973
; %bb.2970:
	v_cvt_f32_ubyte0_e32 v4, v2
	v_lshrrev_b32_e32 v3, 23, v4
	s_movk_i32 s0, 0xff
	v_cmp_ne_u32_e32 vcc, s0, v3
	v_mov_b32_e32 v5, 0xff
	s_and_saveexec_b64 s[6:7], vcc
; %bb.2971:
	s_mov_b32 s0, 0x3fffff
	v_and_b32_e32 v5, 0x400000, v4
	v_and_or_b32 v4, v4, s0, v3
	v_cmp_ne_u32_e32 vcc, 0, v5
	v_cmp_ne_u32_e64 s[0:1], 0, v4
	s_and_b64 s[0:1], vcc, s[0:1]
	v_cndmask_b32_e64 v4, 0, 1, s[0:1]
	v_add_u32_e32 v5, v3, v4
; %bb.2972:
	s_or_b64 exec, exec, s[6:7]
	s_mov_b64 s[0:1], 0
	global_store_byte v[0:1], v5, off
.LBB23_2973:
	s_mov_b64 s[6:7], 0
.LBB23_2974:
	s_and_b64 vcc, exec, s[6:7]
	s_cbranch_vccz .LBB23_2977
; %bb.2975:
	s_cmp_eq_u32 s16, 29
	s_mov_b64 s[0:1], -1
	s_cbranch_scc0 .LBB23_2977
; %bb.2976:
	v_and_b32_e32 v3, 0xff, v2
	v_mov_b32_e32 v4, 0
	global_store_dwordx2 v[0:1], v[3:4], off
	s_mov_b64 s[0:1], 0
.LBB23_2977:
	s_mov_b64 s[6:7], 0
.LBB23_2978:
	s_and_b64 vcc, exec, s[6:7]
	s_cbranch_vccz .LBB23_2993
; %bb.2979:
	s_cmp_lt_i32 s16, 27
	s_mov_b64 s[6:7], -1
	s_cbranch_scc1 .LBB23_2985
; %bb.2980:
	s_cmp_gt_i32 s16, 27
	s_cbranch_scc0 .LBB23_2982
; %bb.2981:
	v_and_b32_e32 v3, 0xff, v2
	global_store_dword v[0:1], v3, off
	s_mov_b64 s[6:7], 0
.LBB23_2982:
	s_andn2_b64 vcc, exec, s[6:7]
	s_cbranch_vccnz .LBB23_2984
; %bb.2983:
	v_and_b32_e32 v3, 0xff, v2
	global_store_short v[0:1], v3, off
.LBB23_2984:
	s_mov_b64 s[6:7], 0
.LBB23_2985:
	s_andn2_b64 vcc, exec, s[6:7]
	s_cbranch_vccnz .LBB23_2993
; %bb.2986:
	v_cvt_f32_ubyte0_e32 v4, v2
	s_mov_b32 s6, 0x43800000
	v_cmp_gt_u32_e32 vcc, s6, v4
	v_mov_b32_e32 v5, 0x80
	s_and_saveexec_b64 s[6:7], vcc
	s_cbranch_execz .LBB23_2992
; %bb.2987:
	s_mov_b32 s8, 0x3bffffff
	v_cmp_lt_u32_e32 vcc, s8, v4
	s_mov_b64 s[8:9], 0
                                        ; implicit-def: $vgpr3
	s_and_saveexec_b64 s[10:11], vcc
	s_xor_b64 s[10:11], exec, s[10:11]
	s_cbranch_execz .LBB23_3098
; %bb.2988:
	v_bfe_u32 v3, v4, 20, 1
	s_mov_b32 s17, 0x487ffff
	v_add3_u32 v3, v4, v3, s17
	s_mov_b64 s[8:9], exec
	v_lshrrev_b32_e32 v3, 20, v3
                                        ; implicit-def: $vgpr4
	s_andn2_saveexec_b64 s[10:11], s[10:11]
	s_cbranch_execnz .LBB23_3099
.LBB23_2989:
	s_or_b64 exec, exec, s[10:11]
	v_mov_b32_e32 v5, 0
	s_and_saveexec_b64 s[10:11], s[8:9]
.LBB23_2990:
	v_mov_b32_e32 v5, v3
.LBB23_2991:
	s_or_b64 exec, exec, s[10:11]
.LBB23_2992:
	s_or_b64 exec, exec, s[6:7]
	global_store_byte v[0:1], v5, off
.LBB23_2993:
	s_mov_b64 s[6:7], 0
.LBB23_2994:
	s_and_b64 vcc, exec, s[6:7]
	s_cbranch_vccz .LBB23_3034
; %bb.2995:
	s_cmp_gt_i32 s16, 22
	s_mov_b64 s[2:3], -1
	s_cbranch_scc0 .LBB23_3027
; %bb.2996:
	s_cmp_lt_i32 s16, 24
	s_cbranch_scc1 .LBB23_3016
; %bb.2997:
	s_cmp_gt_i32 s16, 24
	s_cbranch_scc0 .LBB23_3005
; %bb.2998:
	v_cvt_f32_ubyte0_e32 v4, v2
	s_mov_b32 s2, 0x47800000
	v_cmp_gt_u32_e32 vcc, s2, v4
	v_mov_b32_e32 v5, 0x80
	s_and_saveexec_b64 s[2:3], vcc
	s_cbranch_execz .LBB23_3004
; %bb.2999:
	s_mov_b32 s6, 0x37ffffff
	v_cmp_lt_u32_e32 vcc, s6, v4
	s_mov_b64 s[6:7], 0
                                        ; implicit-def: $vgpr3
	s_and_saveexec_b64 s[8:9], vcc
	s_xor_b64 s[8:9], exec, s[8:9]
	s_cbranch_execz .LBB23_3101
; %bb.3000:
	v_bfe_u32 v3, v4, 21, 1
	s_mov_b32 s10, 0x88fffff
	v_add3_u32 v3, v4, v3, s10
	s_mov_b64 s[6:7], exec
	v_lshrrev_b32_e32 v3, 21, v3
                                        ; implicit-def: $vgpr4
	s_andn2_saveexec_b64 s[8:9], s[8:9]
	s_cbranch_execnz .LBB23_3102
.LBB23_3001:
	s_or_b64 exec, exec, s[8:9]
	v_mov_b32_e32 v5, 0
	s_and_saveexec_b64 s[8:9], s[6:7]
.LBB23_3002:
	v_mov_b32_e32 v5, v3
.LBB23_3003:
	s_or_b64 exec, exec, s[8:9]
.LBB23_3004:
	s_or_b64 exec, exec, s[2:3]
	s_mov_b64 s[2:3], 0
	global_store_byte v[0:1], v5, off
.LBB23_3005:
	s_and_b64 vcc, exec, s[2:3]
	s_cbranch_vccz .LBB23_3015
; %bb.3006:
	v_cvt_f32_ubyte0_e32 v3, v2
	s_mov_b32 s2, 0x43f00000
	v_cmp_gt_u32_e32 vcc, s2, v3
                                        ; implicit-def: $vgpr4
	s_and_saveexec_b64 s[2:3], vcc
	s_xor_b64 s[2:3], exec, s[2:3]
	s_cbranch_execz .LBB23_3012
; %bb.3007:
	s_mov_b32 s6, 0x3c7fffff
	v_cmp_lt_u32_e32 vcc, s6, v3
                                        ; implicit-def: $vgpr4
	s_and_saveexec_b64 s[6:7], vcc
	s_xor_b64 s[6:7], exec, s[6:7]
; %bb.3008:
	v_bfe_u32 v4, v3, 20, 1
	s_mov_b32 s8, 0x407ffff
	v_add3_u32 v3, v3, v4, s8
	v_lshrrev_b32_e32 v4, 20, v3
	v_and_b32_e32 v3, 0xff00000, v3
	s_mov_b32 s8, 0x7f00000
	v_mov_b32_e32 v5, 0x7e
	v_cmp_ne_u32_e32 vcc, s8, v3
	v_cndmask_b32_e32 v4, v5, v4, vcc
                                        ; implicit-def: $vgpr3
; %bb.3009:
	s_andn2_saveexec_b64 s[6:7], s[6:7]
; %bb.3010:
	v_add_f32_e32 v4, 0x46800000, v3
; %bb.3011:
	s_or_b64 exec, exec, s[6:7]
                                        ; implicit-def: $vgpr3
.LBB23_3012:
	s_andn2_saveexec_b64 s[2:3], s[2:3]
; %bb.3013:
	s_mov_b32 s6, 0x7f800000
	v_mov_b32_e32 v4, 0x7e
	v_mov_b32_e32 v5, 0x7f
	v_cmp_lt_u32_e32 vcc, s6, v3
	v_cndmask_b32_e32 v4, v4, v5, vcc
; %bb.3014:
	s_or_b64 exec, exec, s[2:3]
	global_store_byte v[0:1], v4, off
.LBB23_3015:
	s_mov_b64 s[2:3], 0
.LBB23_3016:
	s_andn2_b64 vcc, exec, s[2:3]
	s_cbranch_vccnz .LBB23_3026
; %bb.3017:
	v_cvt_f32_ubyte0_e32 v3, v2
	s_mov_b32 s2, 0x47800000
	v_cmp_gt_u32_e32 vcc, s2, v3
                                        ; implicit-def: $vgpr4
	s_and_saveexec_b64 s[2:3], vcc
	s_xor_b64 s[2:3], exec, s[2:3]
	s_cbranch_execz .LBB23_3023
; %bb.3018:
	s_mov_b32 s6, 0x387fffff
	v_cmp_lt_u32_e32 vcc, s6, v3
                                        ; implicit-def: $vgpr4
	s_and_saveexec_b64 s[6:7], vcc
	s_xor_b64 s[6:7], exec, s[6:7]
; %bb.3019:
	v_bfe_u32 v4, v3, 21, 1
	s_mov_b32 s8, 0x80fffff
	v_add3_u32 v3, v3, v4, s8
	v_lshrrev_b32_e32 v4, 21, v3
                                        ; implicit-def: $vgpr3
; %bb.3020:
	s_andn2_saveexec_b64 s[6:7], s[6:7]
; %bb.3021:
	v_add_f32_e32 v4, 0x43000000, v3
; %bb.3022:
	s_or_b64 exec, exec, s[6:7]
                                        ; implicit-def: $vgpr3
.LBB23_3023:
	s_andn2_saveexec_b64 s[2:3], s[2:3]
; %bb.3024:
	s_mov_b32 s6, 0x7f800000
	v_mov_b32_e32 v4, 0x7c
	v_mov_b32_e32 v5, 0x7f
	v_cmp_lt_u32_e32 vcc, s6, v3
	v_cndmask_b32_e32 v4, v4, v5, vcc
; %bb.3025:
	s_or_b64 exec, exec, s[2:3]
	global_store_byte v[0:1], v4, off
.LBB23_3026:
	s_mov_b64 s[2:3], 0
.LBB23_3027:
	s_andn2_b64 vcc, exec, s[2:3]
	s_mov_b64 s[2:3], 0
	s_cbranch_vccnz .LBB23_3034
; %bb.3028:
	s_cmp_gt_i32 s16, 14
	s_mov_b64 s[6:7], -1
	s_cbranch_scc0 .LBB23_3032
; %bb.3029:
	s_cmp_eq_u32 s16, 15
	s_mov_b64 s[0:1], -1
	s_cbranch_scc0 .LBB23_3031
; %bb.3030:
	v_cvt_f32_ubyte0_e32 v3, v2
	v_bfe_u32 v4, v3, 16, 1
	s_movk_i32 s0, 0x7fff
	v_add3_u32 v3, v3, v4, s0
	global_store_short_d16_hi v[0:1], v3, off
	s_mov_b64 s[0:1], 0
.LBB23_3031:
	s_mov_b64 s[6:7], 0
.LBB23_3032:
	s_and_b64 vcc, exec, s[6:7]
	s_cbranch_vccz .LBB23_3034
; %bb.3033:
	s_cmp_lg_u32 s16, 11
	s_mov_b64 s[2:3], -1
	s_cselect_b64 s[0:1], -1, 0
.LBB23_3034:
	s_and_b64 vcc, exec, s[0:1]
	s_cbranch_vccnz .LBB23_3100
.LBB23_3035:
	s_mov_b64 s[0:1], 0
	s_branch .LBB23_3037
.LBB23_3036:
	s_mov_b64 s[0:1], 0
	s_mov_b64 s[2:3], 0
                                        ; implicit-def: $vgpr0_vgpr1
                                        ; implicit-def: $sgpr18
                                        ; implicit-def: $vgpr2
.LBB23_3037:
	s_and_b64 s[6:7], s[2:3], exec
	s_andn2_b64 s[2:3], s[12:13], exec
	s_and_b64 s[4:5], s[4:5], exec
	s_and_b64 s[0:1], s[0:1], exec
	s_or_b64 s[12:13], s[2:3], s[4:5]
.LBB23_3038:
	s_or_b64 exec, exec, s[14:15]
	s_and_saveexec_b64 s[2:3], s[12:13]
	s_cbranch_execz .LBB23_3041
; %bb.3039:
	; divergent unreachable
	s_or_b64 exec, exec, s[2:3]
	s_and_saveexec_b64 s[2:3], s[6:7]
	s_xor_b64 s[2:3], exec, s[2:3]
	s_cbranch_execnz .LBB23_3042
.LBB23_3040:
	s_or_b64 exec, exec, s[2:3]
	s_and_saveexec_b64 s[2:3], s[0:1]
	s_cbranch_execnz .LBB23_3043
	s_branch .LBB23_3080
.LBB23_3041:
	s_or_b64 exec, exec, s[2:3]
	s_and_saveexec_b64 s[2:3], s[6:7]
	s_xor_b64 s[2:3], exec, s[2:3]
	s_cbranch_execz .LBB23_3040
.LBB23_3042:
	v_mov_b32_e32 v3, 0
	s_waitcnt vmcnt(0)
	v_cmp_ne_u16_sdwa s[4:5], v2, v3 src0_sel:BYTE_0 src1_sel:DWORD
	v_cndmask_b32_e64 v3, 0, 1, s[4:5]
	global_store_byte v[0:1], v3, off
	s_or_b64 exec, exec, s[2:3]
	s_and_saveexec_b64 s[2:3], s[0:1]
	s_cbranch_execz .LBB23_3080
.LBB23_3043:
	s_sext_i32_i16 s2, s18
	s_cmp_lt_i32 s2, 5
	s_mov_b64 s[0:1], -1
	s_cbranch_scc1 .LBB23_3064
; %bb.3044:
	s_cmp_lt_i32 s2, 8
	s_cbranch_scc1 .LBB23_3054
; %bb.3045:
	s_cmp_lt_i32 s2, 9
	s_cbranch_scc1 .LBB23_3051
; %bb.3046:
	s_cmp_gt_i32 s2, 9
	s_cbranch_scc0 .LBB23_3048
; %bb.3047:
	s_mov_b32 s0, 0xffff
	s_waitcnt vmcnt(0)
	v_and_b32_sdwa v3, s0, v2 dst_sel:DWORD dst_unused:UNUSED_PAD src0_sel:DWORD src1_sel:BYTE_0
	v_cvt_f64_u32_e32 v[3:4], v3
	v_mov_b32_e32 v5, 0
	v_mov_b32_e32 v6, v5
	s_mov_b64 s[0:1], 0
	global_store_dwordx4 v[0:1], v[3:6], off
.LBB23_3048:
	s_andn2_b64 vcc, exec, s[0:1]
	s_cbranch_vccnz .LBB23_3050
; %bb.3049:
	s_waitcnt vmcnt(0)
	v_cvt_f32_ubyte0_e32 v3, v2
	v_mov_b32_e32 v4, 0
	global_store_dwordx2 v[0:1], v[3:4], off
.LBB23_3050:
	s_mov_b64 s[0:1], 0
.LBB23_3051:
	s_andn2_b64 vcc, exec, s[0:1]
	s_cbranch_vccnz .LBB23_3053
; %bb.3052:
	s_waitcnt vmcnt(0)
	v_cvt_f16_u16_sdwa v3, v2 dst_sel:DWORD dst_unused:UNUSED_PAD src0_sel:BYTE_0
	global_store_dword v[0:1], v3, off
.LBB23_3053:
	s_mov_b64 s[0:1], 0
.LBB23_3054:
	s_andn2_b64 vcc, exec, s[0:1]
	s_cbranch_vccnz .LBB23_3063
; %bb.3055:
	s_sext_i32_i16 s2, s18
	s_cmp_lt_i32 s2, 6
	s_mov_b64 s[0:1], -1
	s_cbranch_scc1 .LBB23_3061
; %bb.3056:
	s_cmp_gt_i32 s2, 6
	s_cbranch_scc0 .LBB23_3058
; %bb.3057:
	s_mov_b32 s0, 0xffff
	s_waitcnt vmcnt(0)
	v_and_b32_sdwa v3, s0, v2 dst_sel:DWORD dst_unused:UNUSED_PAD src0_sel:DWORD src1_sel:BYTE_0
	v_cvt_f64_u32_e32 v[3:4], v3
	s_mov_b64 s[0:1], 0
	global_store_dwordx2 v[0:1], v[3:4], off
.LBB23_3058:
	s_andn2_b64 vcc, exec, s[0:1]
	s_cbranch_vccnz .LBB23_3060
; %bb.3059:
	s_waitcnt vmcnt(0)
	v_cvt_f32_ubyte0_e32 v3, v2
	global_store_dword v[0:1], v3, off
.LBB23_3060:
	s_mov_b64 s[0:1], 0
.LBB23_3061:
	s_andn2_b64 vcc, exec, s[0:1]
	s_cbranch_vccnz .LBB23_3063
; %bb.3062:
	s_waitcnt vmcnt(0)
	v_cvt_f16_u16_sdwa v3, v2 dst_sel:DWORD dst_unused:UNUSED_PAD src0_sel:BYTE_0
	global_store_short v[0:1], v3, off
.LBB23_3063:
	s_mov_b64 s[0:1], 0
.LBB23_3064:
	s_andn2_b64 vcc, exec, s[0:1]
	s_cbranch_vccnz .LBB23_3080
; %bb.3065:
	s_sext_i32_i16 s2, s18
	s_cmp_lt_i32 s2, 2
	s_mov_b64 s[0:1], -1
	s_cbranch_scc1 .LBB23_3075
; %bb.3066:
	s_cmp_lt_i32 s2, 3
	s_cbranch_scc1 .LBB23_3072
; %bb.3067:
	s_cmp_gt_i32 s2, 3
	s_cbranch_scc0 .LBB23_3069
; %bb.3068:
	s_waitcnt vmcnt(0)
	v_and_b32_e32 v3, 0xff, v2
	v_mov_b32_e32 v4, 0
	global_store_dwordx2 v[0:1], v[3:4], off
	s_mov_b64 s[0:1], 0
.LBB23_3069:
	s_andn2_b64 vcc, exec, s[0:1]
	s_cbranch_vccnz .LBB23_3071
; %bb.3070:
	s_waitcnt vmcnt(0)
	v_and_b32_e32 v3, 0xff, v2
	global_store_dword v[0:1], v3, off
.LBB23_3071:
	s_mov_b64 s[0:1], 0
.LBB23_3072:
	s_andn2_b64 vcc, exec, s[0:1]
	s_cbranch_vccnz .LBB23_3074
; %bb.3073:
	s_waitcnt vmcnt(0)
	v_and_b32_e32 v3, 0xff, v2
	global_store_short v[0:1], v3, off
.LBB23_3074:
	s_mov_b64 s[0:1], 0
.LBB23_3075:
	s_andn2_b64 vcc, exec, s[0:1]
	s_cbranch_vccnz .LBB23_3080
; %bb.3076:
	s_sext_i32_i16 s0, s18
	s_cmp_gt_i32 s0, 0
	s_mov_b64 s[0:1], -1
	s_cbranch_scc0 .LBB23_3078
; %bb.3077:
	s_waitcnt vmcnt(0)
	global_store_byte v[0:1], v2, off
	s_mov_b64 s[0:1], 0
.LBB23_3078:
	s_andn2_b64 vcc, exec, s[0:1]
	s_cbranch_vccnz .LBB23_3080
; %bb.3079:
	s_waitcnt vmcnt(0)
	global_store_byte v[0:1], v2, off
	s_endpgm
.LBB23_3080:
	s_endpgm
.LBB23_3081:
	s_mov_b64 s[2:3], 0
	s_mov_b64 s[0:1], -1
	s_branch .LBB23_3037
.LBB23_3082:
	s_trap 2
	s_or_b64 s[4:5], s[4:5], exec
	s_cbranch_execz .LBB23_2551
	s_branch .LBB23_2552
.LBB23_3083:
	s_andn2_saveexec_b64 s[16:17], s[16:17]
	s_cbranch_execz .LBB23_2631
.LBB23_3084:
	v_add_f32_e32 v3, 0x46000000, v7
	v_and_b32_e32 v3, 0xff, v3
	v_cmp_ne_u32_e32 vcc, 0, v3
	s_andn2_b64 s[10:11], s[10:11], exec
	s_and_b64 s[22:23], vcc, exec
	s_or_b64 s[10:11], s[10:11], s[22:23]
	s_or_b64 exec, exec, s[16:17]
	v_mov_b32_e32 v9, 0
	s_and_saveexec_b64 s[16:17], s[10:11]
	s_cbranch_execnz .LBB23_2632
	s_branch .LBB23_2633
.LBB23_3085:
	s_trap 2
	s_or_b64 s[4:5], s[4:5], exec
	s_cbranch_execz .LBB23_2679
	s_branch .LBB23_2680
.LBB23_3086:
	s_andn2_saveexec_b64 s[10:11], s[10:11]
	s_cbranch_execz .LBB23_2644
.LBB23_3087:
	v_add_f32_e32 v3, 0x42800000, v7
	v_and_b32_e32 v3, 0xff, v3
	v_cmp_ne_u32_e32 vcc, 0, v3
	s_andn2_b64 s[6:7], s[6:7], exec
	s_and_b64 s[16:17], vcc, exec
	s_or_b64 s[6:7], s[6:7], s[16:17]
	s_or_b64 exec, exec, s[10:11]
	v_mov_b32_e32 v9, 0
	s_and_saveexec_b64 s[10:11], s[6:7]
	s_cbranch_execnz .LBB23_2645
	s_branch .LBB23_2646
.LBB23_3088:
	s_andn2_saveexec_b64 s[16:17], s[16:17]
	s_cbranch_execz .LBB23_2750
.LBB23_3089:
	v_add_f32_e32 v5, 0x46000000, v6
	v_and_b32_e32 v5, 0xff, v5
	v_cmp_ne_u32_e32 vcc, 0, v5
	s_andn2_b64 s[10:11], s[10:11], exec
	s_and_b64 s[20:21], vcc, exec
	s_or_b64 s[10:11], s[10:11], s[20:21]
	s_or_b64 exec, exec, s[16:17]
	v_mov_b32_e32 v7, 0
	s_and_saveexec_b64 s[16:17], s[10:11]
	s_cbranch_execnz .LBB23_2751
	s_branch .LBB23_2752
.LBB23_3090:
	s_trap 2
	s_or_b64 s[4:5], s[4:5], exec
	s_cbranch_execz .LBB23_2798
	s_branch .LBB23_2799
.LBB23_3091:
	s_andn2_saveexec_b64 s[10:11], s[10:11]
	s_cbranch_execz .LBB23_2763
.LBB23_3092:
	v_add_f32_e32 v5, 0x42800000, v6
	v_and_b32_e32 v5, 0xff, v5
	v_cmp_ne_u32_e32 vcc, 0, v5
	s_andn2_b64 s[6:7], s[6:7], exec
	s_and_b64 s[16:17], vcc, exec
	s_or_b64 s[6:7], s[6:7], s[16:17]
	s_or_b64 exec, exec, s[10:11]
	v_mov_b32_e32 v7, 0
	s_and_saveexec_b64 s[10:11], s[6:7]
	s_cbranch_execnz .LBB23_2764
	s_branch .LBB23_2765
.LBB23_3093:
	s_andn2_saveexec_b64 s[16:17], s[16:17]
	s_cbranch_execz .LBB23_2869
.LBB23_3094:
	v_add_f32_e32 v4, 0x46000000, v5
	v_and_b32_e32 v4, 0xff, v4
	v_cmp_ne_u32_e32 vcc, 0, v4
	s_andn2_b64 s[10:11], s[10:11], exec
	s_and_b64 s[20:21], vcc, exec
	s_or_b64 s[10:11], s[10:11], s[20:21]
	s_or_b64 exec, exec, s[16:17]
	v_mov_b32_e32 v6, 0
	s_and_saveexec_b64 s[16:17], s[10:11]
	s_cbranch_execnz .LBB23_2870
	s_branch .LBB23_2871
.LBB23_3095:
	s_trap 2
	s_or_b64 s[4:5], s[4:5], exec
	s_cbranch_execz .LBB23_2917
	s_branch .LBB23_2918
.LBB23_3096:
	s_andn2_saveexec_b64 s[10:11], s[10:11]
	s_cbranch_execz .LBB23_2882
.LBB23_3097:
	v_add_f32_e32 v4, 0x42800000, v5
	v_and_b32_e32 v4, 0xff, v4
	v_cmp_ne_u32_e32 vcc, 0, v4
	s_andn2_b64 s[6:7], s[6:7], exec
	s_and_b64 s[16:17], vcc, exec
	s_or_b64 s[6:7], s[6:7], s[16:17]
	s_or_b64 exec, exec, s[10:11]
	v_mov_b32_e32 v6, 0
	s_and_saveexec_b64 s[10:11], s[6:7]
	s_cbranch_execnz .LBB23_2883
	s_branch .LBB23_2884
.LBB23_3098:
	s_andn2_saveexec_b64 s[10:11], s[10:11]
	s_cbranch_execz .LBB23_2989
.LBB23_3099:
	v_add_f32_e32 v3, 0x46000000, v4
	v_and_b32_e32 v3, 0xff, v3
	v_cmp_ne_u32_e32 vcc, 0, v3
	s_andn2_b64 s[8:9], s[8:9], exec
	s_and_b64 s[20:21], vcc, exec
	s_or_b64 s[8:9], s[8:9], s[20:21]
	s_or_b64 exec, exec, s[10:11]
	v_mov_b32_e32 v5, 0
	s_and_saveexec_b64 s[10:11], s[8:9]
	s_cbranch_execnz .LBB23_2990
	s_branch .LBB23_2991
.LBB23_3100:
	s_mov_b64 s[2:3], 0
	s_or_b64 s[4:5], s[4:5], exec
	s_trap 2
	s_branch .LBB23_3035
.LBB23_3101:
	s_andn2_saveexec_b64 s[8:9], s[8:9]
	s_cbranch_execz .LBB23_3001
.LBB23_3102:
	v_add_f32_e32 v3, 0x42800000, v4
	v_and_b32_e32 v3, 0xff, v3
	v_cmp_ne_u32_e32 vcc, 0, v3
	s_andn2_b64 s[6:7], s[6:7], exec
	s_and_b64 s[10:11], vcc, exec
	s_or_b64 s[6:7], s[6:7], s[10:11]
	s_or_b64 exec, exec, s[8:9]
	v_mov_b32_e32 v5, 0
	s_and_saveexec_b64 s[8:9], s[6:7]
	s_cbranch_execnz .LBB23_3002
	s_branch .LBB23_3003
	.section	.rodata,"a",@progbits
	.p2align	6, 0x0
	.amdhsa_kernel _ZN2at6native32elementwise_kernel_manual_unrollILi128ELi4EZNS0_15gpu_kernel_implINS0_13BinaryFunctorIhhhZZZNS0_18lshift_kernel_cudaERNS_18TensorIteratorBaseEENKUlvE_clEvENKUlvE_clEvEUlhhE_EEEEvS5_RKT_EUlibE0_EEviT1_
		.amdhsa_group_segment_fixed_size 0
		.amdhsa_private_segment_fixed_size 0
		.amdhsa_kernarg_size 432
		.amdhsa_user_sgpr_count 6
		.amdhsa_user_sgpr_private_segment_buffer 1
		.amdhsa_user_sgpr_dispatch_ptr 0
		.amdhsa_user_sgpr_queue_ptr 0
		.amdhsa_user_sgpr_kernarg_segment_ptr 1
		.amdhsa_user_sgpr_dispatch_id 0
		.amdhsa_user_sgpr_flat_scratch_init 0
		.amdhsa_user_sgpr_private_segment_size 0
		.amdhsa_uses_dynamic_stack 0
		.amdhsa_system_sgpr_private_segment_wavefront_offset 0
		.amdhsa_system_sgpr_workgroup_id_x 1
		.amdhsa_system_sgpr_workgroup_id_y 0
		.amdhsa_system_sgpr_workgroup_id_z 0
		.amdhsa_system_sgpr_workgroup_info 0
		.amdhsa_system_vgpr_workitem_id 0
		.amdhsa_next_free_vgpr 23
		.amdhsa_next_free_sgpr 80
		.amdhsa_reserve_vcc 1
		.amdhsa_reserve_flat_scratch 0
		.amdhsa_float_round_mode_32 0
		.amdhsa_float_round_mode_16_64 0
		.amdhsa_float_denorm_mode_32 3
		.amdhsa_float_denorm_mode_16_64 3
		.amdhsa_dx10_clamp 1
		.amdhsa_ieee_mode 1
		.amdhsa_fp16_overflow 0
		.amdhsa_exception_fp_ieee_invalid_op 0
		.amdhsa_exception_fp_denorm_src 0
		.amdhsa_exception_fp_ieee_div_zero 0
		.amdhsa_exception_fp_ieee_overflow 0
		.amdhsa_exception_fp_ieee_underflow 0
		.amdhsa_exception_fp_ieee_inexact 0
		.amdhsa_exception_int_div_zero 0
	.end_amdhsa_kernel
	.section	.text._ZN2at6native32elementwise_kernel_manual_unrollILi128ELi4EZNS0_15gpu_kernel_implINS0_13BinaryFunctorIhhhZZZNS0_18lshift_kernel_cudaERNS_18TensorIteratorBaseEENKUlvE_clEvENKUlvE_clEvEUlhhE_EEEEvS5_RKT_EUlibE0_EEviT1_,"axG",@progbits,_ZN2at6native32elementwise_kernel_manual_unrollILi128ELi4EZNS0_15gpu_kernel_implINS0_13BinaryFunctorIhhhZZZNS0_18lshift_kernel_cudaERNS_18TensorIteratorBaseEENKUlvE_clEvENKUlvE_clEvEUlhhE_EEEEvS5_RKT_EUlibE0_EEviT1_,comdat
.Lfunc_end23:
	.size	_ZN2at6native32elementwise_kernel_manual_unrollILi128ELi4EZNS0_15gpu_kernel_implINS0_13BinaryFunctorIhhhZZZNS0_18lshift_kernel_cudaERNS_18TensorIteratorBaseEENKUlvE_clEvENKUlvE_clEvEUlhhE_EEEEvS5_RKT_EUlibE0_EEviT1_, .Lfunc_end23-_ZN2at6native32elementwise_kernel_manual_unrollILi128ELi4EZNS0_15gpu_kernel_implINS0_13BinaryFunctorIhhhZZZNS0_18lshift_kernel_cudaERNS_18TensorIteratorBaseEENKUlvE_clEvENKUlvE_clEvEUlhhE_EEEEvS5_RKT_EUlibE0_EEviT1_
                                        ; -- End function
	.set _ZN2at6native32elementwise_kernel_manual_unrollILi128ELi4EZNS0_15gpu_kernel_implINS0_13BinaryFunctorIhhhZZZNS0_18lshift_kernel_cudaERNS_18TensorIteratorBaseEENKUlvE_clEvENKUlvE_clEvEUlhhE_EEEEvS5_RKT_EUlibE0_EEviT1_.num_vgpr, 23
	.set _ZN2at6native32elementwise_kernel_manual_unrollILi128ELi4EZNS0_15gpu_kernel_implINS0_13BinaryFunctorIhhhZZZNS0_18lshift_kernel_cudaERNS_18TensorIteratorBaseEENKUlvE_clEvENKUlvE_clEvEUlhhE_EEEEvS5_RKT_EUlibE0_EEviT1_.num_agpr, 0
	.set _ZN2at6native32elementwise_kernel_manual_unrollILi128ELi4EZNS0_15gpu_kernel_implINS0_13BinaryFunctorIhhhZZZNS0_18lshift_kernel_cudaERNS_18TensorIteratorBaseEENKUlvE_clEvENKUlvE_clEvEUlhhE_EEEEvS5_RKT_EUlibE0_EEviT1_.numbered_sgpr, 80
	.set _ZN2at6native32elementwise_kernel_manual_unrollILi128ELi4EZNS0_15gpu_kernel_implINS0_13BinaryFunctorIhhhZZZNS0_18lshift_kernel_cudaERNS_18TensorIteratorBaseEENKUlvE_clEvENKUlvE_clEvEUlhhE_EEEEvS5_RKT_EUlibE0_EEviT1_.num_named_barrier, 0
	.set _ZN2at6native32elementwise_kernel_manual_unrollILi128ELi4EZNS0_15gpu_kernel_implINS0_13BinaryFunctorIhhhZZZNS0_18lshift_kernel_cudaERNS_18TensorIteratorBaseEENKUlvE_clEvENKUlvE_clEvEUlhhE_EEEEvS5_RKT_EUlibE0_EEviT1_.private_seg_size, 0
	.set _ZN2at6native32elementwise_kernel_manual_unrollILi128ELi4EZNS0_15gpu_kernel_implINS0_13BinaryFunctorIhhhZZZNS0_18lshift_kernel_cudaERNS_18TensorIteratorBaseEENKUlvE_clEvENKUlvE_clEvEUlhhE_EEEEvS5_RKT_EUlibE0_EEviT1_.uses_vcc, 1
	.set _ZN2at6native32elementwise_kernel_manual_unrollILi128ELi4EZNS0_15gpu_kernel_implINS0_13BinaryFunctorIhhhZZZNS0_18lshift_kernel_cudaERNS_18TensorIteratorBaseEENKUlvE_clEvENKUlvE_clEvEUlhhE_EEEEvS5_RKT_EUlibE0_EEviT1_.uses_flat_scratch, 0
	.set _ZN2at6native32elementwise_kernel_manual_unrollILi128ELi4EZNS0_15gpu_kernel_implINS0_13BinaryFunctorIhhhZZZNS0_18lshift_kernel_cudaERNS_18TensorIteratorBaseEENKUlvE_clEvENKUlvE_clEvEUlhhE_EEEEvS5_RKT_EUlibE0_EEviT1_.has_dyn_sized_stack, 0
	.set _ZN2at6native32elementwise_kernel_manual_unrollILi128ELi4EZNS0_15gpu_kernel_implINS0_13BinaryFunctorIhhhZZZNS0_18lshift_kernel_cudaERNS_18TensorIteratorBaseEENKUlvE_clEvENKUlvE_clEvEUlhhE_EEEEvS5_RKT_EUlibE0_EEviT1_.has_recursion, 0
	.set _ZN2at6native32elementwise_kernel_manual_unrollILi128ELi4EZNS0_15gpu_kernel_implINS0_13BinaryFunctorIhhhZZZNS0_18lshift_kernel_cudaERNS_18TensorIteratorBaseEENKUlvE_clEvENKUlvE_clEvEUlhhE_EEEEvS5_RKT_EUlibE0_EEviT1_.has_indirect_call, 0
	.section	.AMDGPU.csdata,"",@progbits
; Kernel info:
; codeLenInByte = 56384
; TotalNumSgprs: 84
; NumVgprs: 23
; ScratchSize: 0
; MemoryBound: 1
; FloatMode: 240
; IeeeMode: 1
; LDSByteSize: 0 bytes/workgroup (compile time only)
; SGPRBlocks: 10
; VGPRBlocks: 5
; NumSGPRsForWavesPerEU: 84
; NumVGPRsForWavesPerEU: 23
; Occupancy: 9
; WaveLimiterHint : 1
; COMPUTE_PGM_RSRC2:SCRATCH_EN: 0
; COMPUTE_PGM_RSRC2:USER_SGPR: 6
; COMPUTE_PGM_RSRC2:TRAP_HANDLER: 0
; COMPUTE_PGM_RSRC2:TGID_X_EN: 1
; COMPUTE_PGM_RSRC2:TGID_Y_EN: 0
; COMPUTE_PGM_RSRC2:TGID_Z_EN: 0
; COMPUTE_PGM_RSRC2:TIDIG_COMP_CNT: 0
	.section	.text._ZN2at6native29vectorized_elementwise_kernelILi16ENS0_13AUnaryFunctorIaaaZZZNS0_18lshift_kernel_cudaERNS_18TensorIteratorBaseEENKUlvE_clEvENKUlvE0_clEvEUlaaE_EESt5arrayIPcLm2EEEEviT0_T1_,"axG",@progbits,_ZN2at6native29vectorized_elementwise_kernelILi16ENS0_13AUnaryFunctorIaaaZZZNS0_18lshift_kernel_cudaERNS_18TensorIteratorBaseEENKUlvE_clEvENKUlvE0_clEvEUlaaE_EESt5arrayIPcLm2EEEEviT0_T1_,comdat
	.globl	_ZN2at6native29vectorized_elementwise_kernelILi16ENS0_13AUnaryFunctorIaaaZZZNS0_18lshift_kernel_cudaERNS_18TensorIteratorBaseEENKUlvE_clEvENKUlvE0_clEvEUlaaE_EESt5arrayIPcLm2EEEEviT0_T1_ ; -- Begin function _ZN2at6native29vectorized_elementwise_kernelILi16ENS0_13AUnaryFunctorIaaaZZZNS0_18lshift_kernel_cudaERNS_18TensorIteratorBaseEENKUlvE_clEvENKUlvE0_clEvEUlaaE_EESt5arrayIPcLm2EEEEviT0_T1_
	.p2align	8
	.type	_ZN2at6native29vectorized_elementwise_kernelILi16ENS0_13AUnaryFunctorIaaaZZZNS0_18lshift_kernel_cudaERNS_18TensorIteratorBaseEENKUlvE_clEvENKUlvE0_clEvEUlaaE_EESt5arrayIPcLm2EEEEviT0_T1_,@function
_ZN2at6native29vectorized_elementwise_kernelILi16ENS0_13AUnaryFunctorIaaaZZZNS0_18lshift_kernel_cudaERNS_18TensorIteratorBaseEENKUlvE_clEvENKUlvE0_clEvEUlaaE_EESt5arrayIPcLm2EEEEviT0_T1_: ; @_ZN2at6native29vectorized_elementwise_kernelILi16ENS0_13AUnaryFunctorIaaaZZZNS0_18lshift_kernel_cudaERNS_18TensorIteratorBaseEENKUlvE_clEvENKUlvE0_clEvEUlaaE_EESt5arrayIPcLm2EEEEviT0_T1_
; %bb.0:
	v_mov_b32_e32 v1, 0
	global_load_ubyte v3, v1, s[4:5] offset:5
	s_load_dword s0, s[4:5], 0x0
	s_load_dwordx4 s[28:31], s[4:5], 0x8
	s_lshl_b32 s33, s6, 12
	s_waitcnt lgkmcnt(0)
	s_sub_i32 s38, s0, s33
	s_cmpk_gt_i32 s38, 0xfff
	s_mov_b64 s[0:1], -1
	s_cbranch_scc0 .LBB24_2
; %bb.1:
	s_ashr_i32 s35, s33, 31
	s_add_u32 s0, s30, s33
	s_addc_u32 s1, s31, s35
	v_lshlrev_b32_e32 v1, 4, v0
	global_load_dwordx4 v[4:7], v1, s[0:1]
	s_movk_i32 s22, 0xff
	v_mov_b32_e32 v2, 8
	s_add_u32 s34, s28, s33
	s_addc_u32 s35, s29, s35
	s_waitcnt vmcnt(0)
	v_lshlrev_b32_e32 v8, v4, v3
	v_lshlrev_b32_sdwa v9, v4, v3 dst_sel:DWORD dst_unused:UNUSED_PAD src0_sel:BYTE_1 src1_sel:DWORD
	v_lshlrev_b32_sdwa v10, v4, v3 dst_sel:DWORD dst_unused:UNUSED_PAD src0_sel:BYTE_3 src1_sel:DWORD
	v_cmp_lt_u16_sdwa vcc, v4, v2 src0_sel:BYTE_0 src1_sel:DWORD
	v_cmp_lt_u16_sdwa s[0:1], v4, v2 src0_sel:BYTE_1 src1_sel:DWORD
	v_cmp_lt_u16_sdwa s[2:3], v4, v2 src0_sel:BYTE_3 src1_sel:DWORD
	v_lshlrev_b32_e32 v11, v5, v3
	v_lshlrev_b32_sdwa v12, v5, v3 dst_sel:DWORD dst_unused:UNUSED_PAD src0_sel:BYTE_1 src1_sel:DWORD
	v_lshlrev_b32_sdwa v13, v5, v3 dst_sel:DWORD dst_unused:UNUSED_PAD src0_sel:BYTE_3 src1_sel:DWORD
	v_cmp_lt_u16_sdwa s[4:5], v5, v2 src0_sel:BYTE_0 src1_sel:DWORD
	v_cmp_lt_u16_sdwa s[6:7], v5, v2 src0_sel:BYTE_1 src1_sel:DWORD
	v_cmp_lt_u16_sdwa s[8:9], v5, v2 src0_sel:BYTE_3 src1_sel:DWORD
	v_lshlrev_b32_e32 v14, v6, v3
	v_lshlrev_b32_sdwa v15, v6, v3 dst_sel:DWORD dst_unused:UNUSED_PAD src0_sel:BYTE_1 src1_sel:DWORD
	v_lshlrev_b32_sdwa v16, v6, v3 dst_sel:DWORD dst_unused:UNUSED_PAD src0_sel:BYTE_3 src1_sel:DWORD
	v_cmp_lt_u16_sdwa s[10:11], v6, v2 src0_sel:BYTE_0 src1_sel:DWORD
	;; [unrolled: 6-line block ×3, first 2 shown]
	v_cmp_lt_u16_sdwa s[18:19], v7, v2 src0_sel:BYTE_1 src1_sel:DWORD
	v_cmp_lt_u16_sdwa s[20:21], v7, v2 src0_sel:BYTE_3 src1_sel:DWORD
	v_and_b32_sdwa v2, v4, s22 dst_sel:DWORD dst_unused:UNUSED_PAD src0_sel:WORD_1 src1_sel:DWORD
	v_and_b32_sdwa v20, v5, s22 dst_sel:DWORD dst_unused:UNUSED_PAD src0_sel:WORD_1 src1_sel:DWORD
	;; [unrolled: 1-line block ×4, first 2 shown]
	v_lshlrev_b32_sdwa v4, v4, v3 dst_sel:DWORD dst_unused:UNUSED_PAD src0_sel:WORD_1 src1_sel:DWORD
	v_lshlrev_b32_sdwa v5, v5, v3 dst_sel:DWORD dst_unused:UNUSED_PAD src0_sel:WORD_1 src1_sel:DWORD
	;; [unrolled: 1-line block ×4, first 2 shown]
	v_cmp_gt_u16_e64 s[22:23], 8, v2
	v_cmp_gt_u16_e64 s[24:25], 8, v20
	;; [unrolled: 1-line block ×3, first 2 shown]
	v_cndmask_b32_e32 v2, 0, v8, vcc
	v_cndmask_b32_e64 v8, 0, v9, s[0:1]
	v_cndmask_b32_e64 v9, 0, v10, s[2:3]
	;; [unrolled: 1-line block ×11, first 2 shown]
	v_cmp_gt_u16_e32 vcc, 8, v22
	v_cndmask_b32_e64 v4, 0, v4, s[22:23]
	v_cndmask_b32_e64 v5, 0, v5, s[24:25]
	;; [unrolled: 1-line block ×3, first 2 shown]
	v_cndmask_b32_e32 v7, 0, v7, vcc
	v_lshlrev_b16_e32 v8, 8, v8
	v_lshlrev_b16_e32 v9, 8, v9
	;; [unrolled: 1-line block ×8, first 2 shown]
	v_or_b32_sdwa v2, v2, v8 dst_sel:DWORD dst_unused:UNUSED_PAD src0_sel:BYTE_0 src1_sel:DWORD
	v_or_b32_sdwa v4, v4, v9 dst_sel:WORD_1 dst_unused:UNUSED_PAD src0_sel:BYTE_0 src1_sel:DWORD
	v_or_b32_sdwa v8, v10, v11 dst_sel:DWORD dst_unused:UNUSED_PAD src0_sel:BYTE_0 src1_sel:DWORD
	v_or_b32_sdwa v5, v5, v12 dst_sel:WORD_1 dst_unused:UNUSED_PAD src0_sel:BYTE_0 src1_sel:DWORD
	;; [unrolled: 2-line block ×4, first 2 shown]
	v_or_b32_sdwa v4, v2, v4 dst_sel:DWORD dst_unused:UNUSED_PAD src0_sel:WORD_0 src1_sel:DWORD
	v_or_b32_sdwa v5, v8, v5 dst_sel:DWORD dst_unused:UNUSED_PAD src0_sel:WORD_0 src1_sel:DWORD
	;; [unrolled: 1-line block ×4, first 2 shown]
	global_store_dwordx4 v1, v[4:7], s[34:35]
	s_mov_b64 s[0:1], 0
.LBB24_2:
	s_andn2_b64 vcc, exec, s[0:1]
	s_cbranch_vccnz .LBB24_52
; %bb.3:
	v_cmp_gt_i32_e64 s[0:1], s38, v0
	v_or_b32_e32 v4, 0x100, v0
	v_mov_b32_e32 v6, 0
	v_or_b32_e32 v5, s33, v0
	v_mov_b32_e32 v22, 0
	v_mov_b32_e32 v21, 0
	v_mov_b32_e32 v20, 0
	v_mov_b32_e32 v19, 0
	v_mov_b32_e32 v18, 0
	v_mov_b32_e32 v16, 0
	v_mov_b32_e32 v14, 0
	v_mov_b32_e32 v11, 0
	v_mov_b32_e32 v8, 0
	v_mov_b32_e32 v7, 0
	v_mov_b32_e32 v10, 0
	v_mov_b32_e32 v9, 0
	v_mov_b32_e32 v12, 0
	v_mov_b32_e32 v15, 0
	v_mov_b32_e32 v17, 0
	v_mov_b32_e32 v13, 0
	s_and_saveexec_b64 s[2:3], s[0:1]
	s_cbranch_execz .LBB24_35
; %bb.4:
	global_load_ubyte v13, v5, s[30:31]
	v_cmp_gt_u32_e32 vcc, s38, v4
	v_mov_b32_e32 v17, 0
	v_mov_b32_e32 v15, 0
	;; [unrolled: 1-line block ×15, first 2 shown]
	s_and_saveexec_b64 s[4:5], vcc
	s_cbranch_execz .LBB24_34
; %bb.5:
	v_add_u32_e32 v1, s33, v0
	global_load_ubyte v17, v1, s[30:31] offset:256
	v_or_b32_e32 v2, 0x200, v0
	v_mov_b32_e32 v15, 0
	v_cmp_gt_u32_e32 vcc, s38, v2
	v_mov_b32_e32 v12, 0
	v_mov_b32_e32 v9, 0
	;; [unrolled: 1-line block ×13, first 2 shown]
	s_and_saveexec_b64 s[6:7], vcc
	s_cbranch_execz .LBB24_33
; %bb.6:
	v_mov_b32_e32 v2, s31
	v_add_co_u32_e32 v1, vcc, s30, v1
	v_addc_co_u32_e32 v2, vcc, 0, v2, vcc
	global_load_ubyte v15, v[1:2], off offset:512
	v_or_b32_e32 v7, 0x300, v0
	v_cmp_gt_u32_e32 vcc, s38, v7
	v_mov_b32_e32 v12, 0
	v_mov_b32_e32 v9, 0
	;; [unrolled: 1-line block ×13, first 2 shown]
	s_and_saveexec_b64 s[8:9], vcc
	s_cbranch_execz .LBB24_32
; %bb.7:
	global_load_ubyte v12, v[1:2], off offset:768
	v_or_b32_e32 v7, 0x400, v0
	v_cmp_gt_u32_e32 vcc, s38, v7
	v_mov_b32_e32 v9, 0
	v_mov_b32_e32 v10, 0
	;; [unrolled: 1-line block ×12, first 2 shown]
	s_and_saveexec_b64 s[10:11], vcc
	s_cbranch_execz .LBB24_31
; %bb.8:
	global_load_ubyte v9, v[1:2], off offset:1024
	v_or_b32_e32 v7, 0x500, v0
	v_cmp_gt_u32_e32 vcc, s38, v7
	v_mov_b32_e32 v10, 0
	v_mov_b32_e32 v7, 0
	;; [unrolled: 1-line block ×11, first 2 shown]
	s_and_saveexec_b64 s[12:13], vcc
	s_cbranch_execz .LBB24_30
; %bb.9:
	global_load_ubyte v10, v[1:2], off offset:1280
	v_or_b32_e32 v7, 0x600, v0
	v_cmp_gt_u32_e32 vcc, s38, v7
	v_mov_b32_e32 v7, 0
	v_mov_b32_e32 v8, 0
	;; [unrolled: 1-line block ×10, first 2 shown]
	s_and_saveexec_b64 s[14:15], vcc
	s_cbranch_execz .LBB24_29
; %bb.10:
	global_load_ubyte v7, v[1:2], off offset:1536
	v_or_b32_e32 v8, 0x700, v0
	v_cmp_gt_u32_e32 vcc, s38, v8
	v_mov_b32_e32 v8, 0
	v_mov_b32_e32 v11, 0
	v_mov_b32_e32 v14, 0
	v_mov_b32_e32 v16, 0
	v_mov_b32_e32 v18, 0
	v_mov_b32_e32 v19, 0
	v_mov_b32_e32 v20, 0
	v_mov_b32_e32 v21, 0
	v_mov_b32_e32 v22, 0
	s_and_saveexec_b64 s[16:17], vcc
	s_cbranch_execz .LBB24_28
; %bb.11:
	global_load_ubyte v8, v[1:2], off offset:1792
	v_or_b32_e32 v11, 0x800, v0
	v_cmp_gt_u32_e32 vcc, s38, v11
	v_mov_b32_e32 v11, 0
	v_mov_b32_e32 v14, 0
	;; [unrolled: 1-line block ×8, first 2 shown]
	s_and_saveexec_b64 s[18:19], vcc
	s_cbranch_execz .LBB24_27
; %bb.12:
	global_load_ubyte v11, v[1:2], off offset:2048
	v_or_b32_e32 v14, 0x900, v0
	v_cmp_gt_u32_e32 vcc, s38, v14
	v_mov_b32_e32 v14, 0
	v_mov_b32_e32 v16, 0
	;; [unrolled: 1-line block ×7, first 2 shown]
	s_and_saveexec_b64 s[20:21], vcc
	s_cbranch_execz .LBB24_26
; %bb.13:
	global_load_ubyte v14, v[1:2], off offset:2304
	v_or_b32_e32 v16, 0xa00, v0
	v_cmp_gt_u32_e32 vcc, s38, v16
	v_mov_b32_e32 v16, 0
	v_mov_b32_e32 v18, 0
	;; [unrolled: 1-line block ×6, first 2 shown]
	s_and_saveexec_b64 s[22:23], vcc
	s_cbranch_execz .LBB24_25
; %bb.14:
	global_load_ubyte v16, v[1:2], off offset:2560
	v_or_b32_e32 v18, 0xb00, v0
	v_cmp_gt_u32_e32 vcc, s38, v18
	v_mov_b32_e32 v18, 0
	v_mov_b32_e32 v19, 0
	;; [unrolled: 1-line block ×5, first 2 shown]
	s_and_saveexec_b64 s[24:25], vcc
	s_cbranch_execz .LBB24_24
; %bb.15:
	global_load_ubyte v18, v[1:2], off offset:2816
	v_or_b32_e32 v19, 0xc00, v0
	v_cmp_gt_u32_e32 vcc, s38, v19
	v_mov_b32_e32 v19, 0
	v_mov_b32_e32 v20, 0
	;; [unrolled: 1-line block ×4, first 2 shown]
	s_and_saveexec_b64 s[26:27], vcc
	s_cbranch_execz .LBB24_23
; %bb.16:
	global_load_ubyte v19, v[1:2], off offset:3072
	v_or_b32_e32 v20, 0xd00, v0
	v_cmp_gt_u32_e32 vcc, s38, v20
	v_mov_b32_e32 v20, 0
	v_mov_b32_e32 v21, 0
	;; [unrolled: 1-line block ×3, first 2 shown]
	s_and_saveexec_b64 s[30:31], vcc
	s_cbranch_execz .LBB24_22
; %bb.17:
	global_load_ubyte v20, v[1:2], off offset:3328
	v_or_b32_e32 v21, 0xe00, v0
	v_cmp_gt_u32_e32 vcc, s38, v21
	v_mov_b32_e32 v21, 0
	v_mov_b32_e32 v22, 0
	s_and_saveexec_b64 s[34:35], vcc
	s_cbranch_execz .LBB24_21
; %bb.18:
	global_load_ubyte v21, v[1:2], off offset:3584
	v_or_b32_e32 v22, 0xf00, v0
	v_cmp_gt_u32_e32 vcc, s38, v22
	v_mov_b32_e32 v22, 0
	s_and_saveexec_b64 s[36:37], vcc
	s_cbranch_execz .LBB24_20
; %bb.19:
	global_load_ubyte v22, v[1:2], off offset:3840
.LBB24_20:
	s_or_b64 exec, exec, s[36:37]
.LBB24_21:
	s_or_b64 exec, exec, s[34:35]
.LBB24_22:
	s_or_b64 exec, exec, s[30:31]
.LBB24_23:
	s_or_b64 exec, exec, s[26:27]
.LBB24_24:
	s_or_b64 exec, exec, s[24:25]
.LBB24_25:
	s_or_b64 exec, exec, s[22:23]
.LBB24_26:
	s_or_b64 exec, exec, s[20:21]
.LBB24_27:
	s_or_b64 exec, exec, s[18:19]
.LBB24_28:
	s_or_b64 exec, exec, s[16:17]
.LBB24_29:
	s_or_b64 exec, exec, s[14:15]
.LBB24_30:
	s_or_b64 exec, exec, s[12:13]
.LBB24_31:
	s_or_b64 exec, exec, s[10:11]
.LBB24_32:
	s_or_b64 exec, exec, s[8:9]
.LBB24_33:
	s_or_b64 exec, exec, s[6:7]
.LBB24_34:
	s_or_b64 exec, exec, s[4:5]
.LBB24_35:
	s_or_b64 exec, exec, s[2:3]
	v_mov_b32_e32 v1, 8
	s_waitcnt vmcnt(0)
	v_lshlrev_b32_e32 v2, v17, v3
	v_cmp_lt_u16_sdwa vcc, v17, v1 src0_sel:BYTE_0 src1_sel:DWORD
	v_lshlrev_b32_e32 v17, v13, v3
	v_cmp_lt_u16_sdwa s[2:3], v13, v1 src0_sel:BYTE_0 src1_sel:DWORD
	v_cndmask_b32_e64 v13, 0, v17, s[2:3]
	s_mov_b32 s2, 0xffff
	v_and_b32_sdwa v13, s2, v13 dst_sel:DWORD dst_unused:UNUSED_PAD src0_sel:DWORD src1_sel:BYTE_0
	v_cndmask_b32_e32 v2, 0, v2, vcc
	v_cndmask_b32_e64 v13, 0, v13, s[0:1]
	v_lshlrev_b16_e32 v2, 8, v2
	v_or_b32_e32 v2, v13, v2
	v_and_b32_e32 v2, 0xffff, v2
	v_cmp_gt_i32_e32 vcc, s38, v4
	v_cndmask_b32_e32 v2, v13, v2, vcc
	v_lshlrev_b32_e32 v13, v15, v3
	v_cmp_lt_u16_sdwa vcc, v15, v1 src0_sel:BYTE_0 src1_sel:DWORD
	v_cndmask_b32_e32 v13, 0, v13, vcc
	s_mov_b32 s3, 0xc0c0304
	v_perm_b32 v13, v13, v2, s3
	v_or_b32_e32 v15, 0x200, v0
	v_lshl_or_b32 v13, v13, 16, v2
	v_cmp_gt_i32_e32 vcc, s38, v15
	v_cndmask_b32_e32 v2, v2, v13, vcc
	v_lshlrev_b32_e32 v13, v12, v3
	v_cmp_lt_u16_sdwa vcc, v12, v1 src0_sel:BYTE_0 src1_sel:DWORD
	s_movk_i32 s4, 0xff
	v_cndmask_b32_e32 v13, 0, v13, vcc
	v_and_b32_sdwa v12, v2, s4 dst_sel:DWORD dst_unused:UNUSED_PAD src0_sel:WORD_1 src1_sel:DWORD
	v_lshlrev_b16_e32 v13, 8, v13
	v_or_b32_sdwa v12, v12, v13 dst_sel:WORD_1 dst_unused:UNUSED_PAD src0_sel:DWORD src1_sel:DWORD
	v_or_b32_e32 v13, 0x300, v0
	v_and_or_b32 v12, v2, s2, v12
	v_cmp_gt_i32_e32 vcc, s38, v13
	v_cndmask_b32_e32 v12, v2, v12, vcc
	v_lshlrev_b32_e32 v2, v9, v3
	v_cmp_lt_u16_sdwa vcc, v9, v1 src0_sel:BYTE_0 src1_sel:DWORD
	v_cndmask_b32_e32 v2, 0, v2, vcc
	s_mov_b32 s5, 0x3020104
	v_or_b32_e32 v9, 0x400, v0
	v_perm_b32 v2, v2, 0, s5
	v_cmp_gt_i32_e32 vcc, s38, v9
	v_cndmask_b32_e32 v2, 0, v2, vcc
	v_lshlrev_b32_e32 v9, v10, v3
	v_cmp_lt_u16_sdwa vcc, v10, v1 src0_sel:BYTE_0 src1_sel:DWORD
	v_cndmask_b32_e32 v9, 0, v9, vcc
	v_lshlrev_b16_e32 v9, 8, v9
	v_or_b32_sdwa v9, v2, v9 dst_sel:DWORD dst_unused:UNUSED_PAD src0_sel:BYTE_0 src1_sel:DWORD
	v_and_b32_e32 v9, 0xffff, v9
	s_mov_b32 s6, 0xffff0000
	v_or_b32_e32 v10, 0x500, v0
	v_and_or_b32 v9, v2, s6, v9
	v_cmp_gt_i32_e32 vcc, s38, v10
	v_cndmask_b32_e32 v2, v2, v9, vcc
	v_lshlrev_b32_e32 v10, v7, v3
	v_cmp_lt_u16_sdwa vcc, v7, v1 src0_sel:BYTE_0 src1_sel:DWORD
	v_or_b32_e32 v9, 0x600, v0
	v_cndmask_b32_e32 v7, 0, v10, vcc
	s_mov_b32 s7, 0x7000504
	v_perm_b32 v7, v2, v7, s7
	v_cmp_gt_i32_e32 vcc, s38, v9
	v_cndmask_b32_e32 v2, v2, v7, vcc
	v_lshlrev_b32_e32 v10, v8, v3
	v_cmp_lt_u16_sdwa vcc, v8, v1 src0_sel:BYTE_0 src1_sel:DWORD
	v_cndmask_b32_e32 v8, 0, v10, vcc
	v_and_b32_sdwa v7, v2, s4 dst_sel:DWORD dst_unused:UNUSED_PAD src0_sel:WORD_1 src1_sel:DWORD
	v_lshlrev_b16_e32 v8, 8, v8
	v_or_b32_e32 v9, 0x700, v0
	v_or_b32_sdwa v7, v7, v8 dst_sel:WORD_1 dst_unused:UNUSED_PAD src0_sel:DWORD src1_sel:DWORD
	v_and_or_b32 v7, v2, s2, v7
	v_cmp_gt_i32_e32 vcc, s38, v9
	v_cndmask_b32_e32 v7, v2, v7, vcc
	v_lshlrev_b32_e32 v8, v11, v3
	v_cmp_lt_u16_sdwa vcc, v11, v1 src0_sel:BYTE_0 src1_sel:DWORD
	v_or_b32_e32 v2, 0x800, v0
	v_cndmask_b32_e32 v8, 0, v8, vcc
	v_and_b32_sdwa v8, s2, v8 dst_sel:DWORD dst_unused:UNUSED_PAD src0_sel:DWORD src1_sel:BYTE_0
	v_cmp_gt_i32_e32 vcc, s38, v2
	v_cndmask_b32_e32 v2, 0, v8, vcc
	v_lshlrev_b32_e32 v9, v14, v3
	v_cmp_lt_u16_sdwa vcc, v14, v1 src0_sel:BYTE_0 src1_sel:DWORD
	v_cndmask_b32_e32 v9, 0, v9, vcc
	v_lshlrev_b16_e32 v9, 8, v9
	v_or_b32_e32 v8, 0x900, v0
	v_or_b32_e32 v9, v2, v9
	v_and_b32_e32 v9, 0xffff, v9
	v_cmp_gt_i32_e32 vcc, s38, v8
	v_cndmask_b32_e32 v2, v2, v9, vcc
	v_lshlrev_b32_e32 v9, v16, v3
	v_cmp_lt_u16_sdwa vcc, v16, v1 src0_sel:BYTE_0 src1_sel:DWORD
	v_cndmask_b32_e32 v9, 0, v9, vcc
	v_or_b32_e32 v8, 0xa00, v0
	v_perm_b32 v9, v9, v2, s3
	v_lshl_or_b32 v9, v9, 16, v2
	v_cmp_gt_i32_e32 vcc, s38, v8
	v_cndmask_b32_e32 v2, v2, v9, vcc
	v_lshlrev_b32_e32 v10, v18, v3
	v_cmp_lt_u16_sdwa vcc, v18, v1 src0_sel:BYTE_0 src1_sel:DWORD
	v_cndmask_b32_e32 v10, 0, v10, vcc
	v_and_b32_sdwa v8, v2, s4 dst_sel:DWORD dst_unused:UNUSED_PAD src0_sel:WORD_1 src1_sel:DWORD
	v_lshlrev_b16_e32 v10, 8, v10
	v_or_b32_e32 v9, 0xb00, v0
	v_or_b32_sdwa v8, v8, v10 dst_sel:WORD_1 dst_unused:UNUSED_PAD src0_sel:DWORD src1_sel:DWORD
	v_and_or_b32 v8, v2, s2, v8
	v_cmp_gt_i32_e32 vcc, s38, v9
	v_cndmask_b32_e32 v2, v2, v8, vcc
	v_lshlrev_b32_e32 v8, v19, v3
	v_cmp_lt_u16_sdwa vcc, v19, v1 src0_sel:BYTE_0 src1_sel:DWORD
	v_cndmask_b32_e32 v8, 0, v8, vcc
	v_or_b32_e32 v9, 0xc00, v0
	v_perm_b32 v8, v8, 0, s5
	v_cmp_gt_i32_e32 vcc, s38, v9
	v_cndmask_b32_e32 v8, 0, v8, vcc
	v_lshlrev_b32_e32 v9, v20, v3
	v_cmp_lt_u16_sdwa vcc, v20, v1 src0_sel:BYTE_0 src1_sel:DWORD
	v_cndmask_b32_e32 v9, 0, v9, vcc
	v_lshlrev_b16_e32 v9, 8, v9
	v_or_b32_sdwa v9, v8, v9 dst_sel:DWORD dst_unused:UNUSED_PAD src0_sel:BYTE_0 src1_sel:DWORD
	v_and_b32_e32 v9, 0xffff, v9
	v_or_b32_e32 v10, 0xd00, v0
	v_and_or_b32 v9, v8, s6, v9
	v_cmp_gt_i32_e32 vcc, s38, v10
	v_cndmask_b32_e32 v8, v8, v9, vcc
	v_lshlrev_b32_e32 v10, v21, v3
	v_cmp_lt_u16_sdwa vcc, v21, v1 src0_sel:BYTE_0 src1_sel:DWORD
	v_or_b32_e32 v9, 0xe00, v0
	v_cndmask_b32_e32 v10, 0, v10, vcc
	v_perm_b32 v10, v8, v10, s7
	v_cmp_gt_i32_e32 vcc, s38, v9
	v_cndmask_b32_e32 v8, v8, v10, vcc
	v_lshlrev_b32_e32 v3, v22, v3
	v_cmp_lt_u16_sdwa vcc, v22, v1 src0_sel:BYTE_0 src1_sel:DWORD
	v_and_b32_sdwa v9, v8, s4 dst_sel:DWORD dst_unused:UNUSED_PAD src0_sel:WORD_1 src1_sel:DWORD
	v_cndmask_b32_sdwa v1, v6, v3, vcc dst_sel:BYTE_1 dst_unused:UNUSED_PAD src0_sel:DWORD src1_sel:DWORD
	v_or_b32_e32 v10, 0xf00, v0
	v_or_b32_sdwa v1, v9, v1 dst_sel:WORD_1 dst_unused:UNUSED_PAD src0_sel:DWORD src1_sel:DWORD
	v_and_or_b32 v1, v8, s2, v1
	v_cmp_gt_i32_e32 vcc, s38, v10
	v_cndmask_b32_e32 v1, v8, v1, vcc
	s_and_saveexec_b64 s[2:3], s[0:1]
	s_cbranch_execnz .LBB24_53
; %bb.36:
	s_or_b64 exec, exec, s[2:3]
	v_cmp_gt_i32_e32 vcc, s38, v0
	s_and_saveexec_b64 s[0:1], vcc
	s_cbranch_execnz .LBB24_54
.LBB24_37:
	s_or_b64 exec, exec, s[0:1]
	v_cmp_gt_i32_e32 vcc, s38, v0
	s_and_saveexec_b64 s[0:1], vcc
	s_cbranch_execnz .LBB24_55
.LBB24_38:
	s_or_b64 exec, exec, s[0:1]
	v_cmp_gt_i32_e32 vcc, s38, v0
	s_and_saveexec_b64 s[0:1], vcc
	s_cbranch_execnz .LBB24_56
.LBB24_39:
	s_or_b64 exec, exec, s[0:1]
	v_cmp_gt_i32_e32 vcc, s38, v0
	s_and_saveexec_b64 s[0:1], vcc
	s_cbranch_execnz .LBB24_57
.LBB24_40:
	s_or_b64 exec, exec, s[0:1]
	v_cmp_gt_i32_e32 vcc, s38, v0
	s_and_saveexec_b64 s[0:1], vcc
	s_cbranch_execnz .LBB24_58
.LBB24_41:
	s_or_b64 exec, exec, s[0:1]
	v_cmp_gt_i32_e32 vcc, s38, v0
	s_and_saveexec_b64 s[0:1], vcc
	s_cbranch_execnz .LBB24_59
.LBB24_42:
	s_or_b64 exec, exec, s[0:1]
	v_cmp_gt_i32_e32 vcc, s38, v0
	s_and_saveexec_b64 s[0:1], vcc
	s_cbranch_execnz .LBB24_60
.LBB24_43:
	s_or_b64 exec, exec, s[0:1]
	v_cmp_gt_i32_e32 vcc, s38, v0
	s_and_saveexec_b64 s[0:1], vcc
	s_cbranch_execnz .LBB24_61
.LBB24_44:
	s_or_b64 exec, exec, s[0:1]
	v_cmp_gt_i32_e32 vcc, s38, v0
	s_and_saveexec_b64 s[0:1], vcc
	s_cbranch_execnz .LBB24_62
.LBB24_45:
	s_or_b64 exec, exec, s[0:1]
	v_cmp_gt_i32_e32 vcc, s38, v0
	s_and_saveexec_b64 s[0:1], vcc
	s_cbranch_execnz .LBB24_63
.LBB24_46:
	s_or_b64 exec, exec, s[0:1]
	v_cmp_gt_i32_e32 vcc, s38, v0
	s_and_saveexec_b64 s[0:1], vcc
	s_cbranch_execnz .LBB24_64
.LBB24_47:
	s_or_b64 exec, exec, s[0:1]
	v_cmp_gt_i32_e32 vcc, s38, v0
	s_and_saveexec_b64 s[0:1], vcc
	s_cbranch_execnz .LBB24_65
.LBB24_48:
	s_or_b64 exec, exec, s[0:1]
	v_cmp_gt_i32_e32 vcc, s38, v0
	s_and_saveexec_b64 s[0:1], vcc
	s_cbranch_execnz .LBB24_66
.LBB24_49:
	s_or_b64 exec, exec, s[0:1]
	v_cmp_gt_i32_e32 vcc, s38, v0
	s_and_saveexec_b64 s[0:1], vcc
	s_cbranch_execnz .LBB24_67
.LBB24_50:
	s_or_b64 exec, exec, s[0:1]
	v_cmp_gt_i32_e32 vcc, s38, v0
	s_and_saveexec_b64 s[0:1], vcc
	s_cbranch_execz .LBB24_52
.LBB24_51:
	v_lshrrev_b32_e32 v1, 24, v1
	v_add_u32_e32 v0, s33, v0
	global_store_byte v0, v1, s[28:29]
.LBB24_52:
	s_endpgm
.LBB24_53:
	v_mov_b32_e32 v0, v4
	global_store_byte v5, v12, s[28:29]
	s_or_b64 exec, exec, s[2:3]
	v_cmp_gt_i32_e32 vcc, s38, v0
	s_and_saveexec_b64 s[0:1], vcc
	s_cbranch_execz .LBB24_37
.LBB24_54:
	v_lshrrev_b32_e32 v3, 8, v12
	v_add_u32_e32 v4, s33, v0
	v_add_u32_e32 v0, 0x100, v0
	global_store_byte v4, v3, s[28:29]
	s_or_b64 exec, exec, s[0:1]
	v_cmp_gt_i32_e32 vcc, s38, v0
	s_and_saveexec_b64 s[0:1], vcc
	s_cbranch_execz .LBB24_38
.LBB24_55:
	v_add_u32_e32 v3, s33, v0
	v_add_u32_e32 v0, 0x100, v0
	global_store_byte_d16_hi v3, v12, s[28:29]
	s_or_b64 exec, exec, s[0:1]
	v_cmp_gt_i32_e32 vcc, s38, v0
	s_and_saveexec_b64 s[0:1], vcc
	s_cbranch_execz .LBB24_39
.LBB24_56:
	v_lshrrev_b32_e32 v3, 24, v12
	v_add_u32_e32 v4, s33, v0
	v_add_u32_e32 v0, 0x100, v0
	global_store_byte v4, v3, s[28:29]
	s_or_b64 exec, exec, s[0:1]
	v_cmp_gt_i32_e32 vcc, s38, v0
	s_and_saveexec_b64 s[0:1], vcc
	s_cbranch_execz .LBB24_40
.LBB24_57:
	v_add_u32_e32 v3, s33, v0
	v_add_u32_e32 v0, 0x100, v0
	global_store_byte v3, v7, s[28:29]
	s_or_b64 exec, exec, s[0:1]
	v_cmp_gt_i32_e32 vcc, s38, v0
	s_and_saveexec_b64 s[0:1], vcc
	s_cbranch_execz .LBB24_41
.LBB24_58:
	v_lshrrev_b32_e32 v3, 8, v7
	v_add_u32_e32 v4, s33, v0
	v_add_u32_e32 v0, 0x100, v0
	global_store_byte v4, v3, s[28:29]
	s_or_b64 exec, exec, s[0:1]
	v_cmp_gt_i32_e32 vcc, s38, v0
	s_and_saveexec_b64 s[0:1], vcc
	s_cbranch_execz .LBB24_42
.LBB24_59:
	v_add_u32_e32 v3, s33, v0
	v_add_u32_e32 v0, 0x100, v0
	global_store_byte_d16_hi v3, v7, s[28:29]
	s_or_b64 exec, exec, s[0:1]
	v_cmp_gt_i32_e32 vcc, s38, v0
	s_and_saveexec_b64 s[0:1], vcc
	s_cbranch_execz .LBB24_43
.LBB24_60:
	v_lshrrev_b32_e32 v3, 24, v7
	v_add_u32_e32 v4, s33, v0
	v_add_u32_e32 v0, 0x100, v0
	global_store_byte v4, v3, s[28:29]
	s_or_b64 exec, exec, s[0:1]
	v_cmp_gt_i32_e32 vcc, s38, v0
	s_and_saveexec_b64 s[0:1], vcc
	s_cbranch_execz .LBB24_44
.LBB24_61:
	v_add_u32_e32 v3, s33, v0
	v_add_u32_e32 v0, 0x100, v0
	global_store_byte v3, v2, s[28:29]
	s_or_b64 exec, exec, s[0:1]
	v_cmp_gt_i32_e32 vcc, s38, v0
	s_and_saveexec_b64 s[0:1], vcc
	s_cbranch_execz .LBB24_45
.LBB24_62:
	v_lshrrev_b32_e32 v3, 8, v2
	v_add_u32_e32 v4, s33, v0
	v_add_u32_e32 v0, 0x100, v0
	global_store_byte v4, v3, s[28:29]
	s_or_b64 exec, exec, s[0:1]
	v_cmp_gt_i32_e32 vcc, s38, v0
	s_and_saveexec_b64 s[0:1], vcc
	s_cbranch_execz .LBB24_46
.LBB24_63:
	v_add_u32_e32 v3, s33, v0
	v_add_u32_e32 v0, 0x100, v0
	global_store_byte_d16_hi v3, v2, s[28:29]
	s_or_b64 exec, exec, s[0:1]
	v_cmp_gt_i32_e32 vcc, s38, v0
	s_and_saveexec_b64 s[0:1], vcc
	s_cbranch_execz .LBB24_47
.LBB24_64:
	v_lshrrev_b32_e32 v2, 24, v2
	v_add_u32_e32 v3, s33, v0
	v_add_u32_e32 v0, 0x100, v0
	global_store_byte v3, v2, s[28:29]
	s_or_b64 exec, exec, s[0:1]
	v_cmp_gt_i32_e32 vcc, s38, v0
	s_and_saveexec_b64 s[0:1], vcc
	s_cbranch_execz .LBB24_48
.LBB24_65:
	v_add_u32_e32 v2, s33, v0
	v_add_u32_e32 v0, 0x100, v0
	global_store_byte v2, v1, s[28:29]
	s_or_b64 exec, exec, s[0:1]
	v_cmp_gt_i32_e32 vcc, s38, v0
	s_and_saveexec_b64 s[0:1], vcc
	s_cbranch_execz .LBB24_49
.LBB24_66:
	v_lshrrev_b32_e32 v2, 8, v1
	v_add_u32_e32 v3, s33, v0
	v_add_u32_e32 v0, 0x100, v0
	global_store_byte v3, v2, s[28:29]
	s_or_b64 exec, exec, s[0:1]
	v_cmp_gt_i32_e32 vcc, s38, v0
	s_and_saveexec_b64 s[0:1], vcc
	s_cbranch_execz .LBB24_50
.LBB24_67:
	v_add_u32_e32 v2, s33, v0
	v_add_u32_e32 v0, 0x100, v0
	global_store_byte_d16_hi v2, v1, s[28:29]
	s_or_b64 exec, exec, s[0:1]
	v_cmp_gt_i32_e32 vcc, s38, v0
	s_and_saveexec_b64 s[0:1], vcc
	s_cbranch_execnz .LBB24_51
	s_branch .LBB24_52
	.section	.rodata,"a",@progbits
	.p2align	6, 0x0
	.amdhsa_kernel _ZN2at6native29vectorized_elementwise_kernelILi16ENS0_13AUnaryFunctorIaaaZZZNS0_18lshift_kernel_cudaERNS_18TensorIteratorBaseEENKUlvE_clEvENKUlvE0_clEvEUlaaE_EESt5arrayIPcLm2EEEEviT0_T1_
		.amdhsa_group_segment_fixed_size 0
		.amdhsa_private_segment_fixed_size 0
		.amdhsa_kernarg_size 24
		.amdhsa_user_sgpr_count 6
		.amdhsa_user_sgpr_private_segment_buffer 1
		.amdhsa_user_sgpr_dispatch_ptr 0
		.amdhsa_user_sgpr_queue_ptr 0
		.amdhsa_user_sgpr_kernarg_segment_ptr 1
		.amdhsa_user_sgpr_dispatch_id 0
		.amdhsa_user_sgpr_flat_scratch_init 0
		.amdhsa_user_sgpr_private_segment_size 0
		.amdhsa_uses_dynamic_stack 0
		.amdhsa_system_sgpr_private_segment_wavefront_offset 0
		.amdhsa_system_sgpr_workgroup_id_x 1
		.amdhsa_system_sgpr_workgroup_id_y 0
		.amdhsa_system_sgpr_workgroup_id_z 0
		.amdhsa_system_sgpr_workgroup_info 0
		.amdhsa_system_vgpr_workitem_id 0
		.amdhsa_next_free_vgpr 23
		.amdhsa_next_free_sgpr 39
		.amdhsa_reserve_vcc 1
		.amdhsa_reserve_flat_scratch 0
		.amdhsa_float_round_mode_32 0
		.amdhsa_float_round_mode_16_64 0
		.amdhsa_float_denorm_mode_32 3
		.amdhsa_float_denorm_mode_16_64 3
		.amdhsa_dx10_clamp 1
		.amdhsa_ieee_mode 1
		.amdhsa_fp16_overflow 0
		.amdhsa_exception_fp_ieee_invalid_op 0
		.amdhsa_exception_fp_denorm_src 0
		.amdhsa_exception_fp_ieee_div_zero 0
		.amdhsa_exception_fp_ieee_overflow 0
		.amdhsa_exception_fp_ieee_underflow 0
		.amdhsa_exception_fp_ieee_inexact 0
		.amdhsa_exception_int_div_zero 0
	.end_amdhsa_kernel
	.section	.text._ZN2at6native29vectorized_elementwise_kernelILi16ENS0_13AUnaryFunctorIaaaZZZNS0_18lshift_kernel_cudaERNS_18TensorIteratorBaseEENKUlvE_clEvENKUlvE0_clEvEUlaaE_EESt5arrayIPcLm2EEEEviT0_T1_,"axG",@progbits,_ZN2at6native29vectorized_elementwise_kernelILi16ENS0_13AUnaryFunctorIaaaZZZNS0_18lshift_kernel_cudaERNS_18TensorIteratorBaseEENKUlvE_clEvENKUlvE0_clEvEUlaaE_EESt5arrayIPcLm2EEEEviT0_T1_,comdat
.Lfunc_end24:
	.size	_ZN2at6native29vectorized_elementwise_kernelILi16ENS0_13AUnaryFunctorIaaaZZZNS0_18lshift_kernel_cudaERNS_18TensorIteratorBaseEENKUlvE_clEvENKUlvE0_clEvEUlaaE_EESt5arrayIPcLm2EEEEviT0_T1_, .Lfunc_end24-_ZN2at6native29vectorized_elementwise_kernelILi16ENS0_13AUnaryFunctorIaaaZZZNS0_18lshift_kernel_cudaERNS_18TensorIteratorBaseEENKUlvE_clEvENKUlvE0_clEvEUlaaE_EESt5arrayIPcLm2EEEEviT0_T1_
                                        ; -- End function
	.set _ZN2at6native29vectorized_elementwise_kernelILi16ENS0_13AUnaryFunctorIaaaZZZNS0_18lshift_kernel_cudaERNS_18TensorIteratorBaseEENKUlvE_clEvENKUlvE0_clEvEUlaaE_EESt5arrayIPcLm2EEEEviT0_T1_.num_vgpr, 23
	.set _ZN2at6native29vectorized_elementwise_kernelILi16ENS0_13AUnaryFunctorIaaaZZZNS0_18lshift_kernel_cudaERNS_18TensorIteratorBaseEENKUlvE_clEvENKUlvE0_clEvEUlaaE_EESt5arrayIPcLm2EEEEviT0_T1_.num_agpr, 0
	.set _ZN2at6native29vectorized_elementwise_kernelILi16ENS0_13AUnaryFunctorIaaaZZZNS0_18lshift_kernel_cudaERNS_18TensorIteratorBaseEENKUlvE_clEvENKUlvE0_clEvEUlaaE_EESt5arrayIPcLm2EEEEviT0_T1_.numbered_sgpr, 39
	.set _ZN2at6native29vectorized_elementwise_kernelILi16ENS0_13AUnaryFunctorIaaaZZZNS0_18lshift_kernel_cudaERNS_18TensorIteratorBaseEENKUlvE_clEvENKUlvE0_clEvEUlaaE_EESt5arrayIPcLm2EEEEviT0_T1_.num_named_barrier, 0
	.set _ZN2at6native29vectorized_elementwise_kernelILi16ENS0_13AUnaryFunctorIaaaZZZNS0_18lshift_kernel_cudaERNS_18TensorIteratorBaseEENKUlvE_clEvENKUlvE0_clEvEUlaaE_EESt5arrayIPcLm2EEEEviT0_T1_.private_seg_size, 0
	.set _ZN2at6native29vectorized_elementwise_kernelILi16ENS0_13AUnaryFunctorIaaaZZZNS0_18lshift_kernel_cudaERNS_18TensorIteratorBaseEENKUlvE_clEvENKUlvE0_clEvEUlaaE_EESt5arrayIPcLm2EEEEviT0_T1_.uses_vcc, 1
	.set _ZN2at6native29vectorized_elementwise_kernelILi16ENS0_13AUnaryFunctorIaaaZZZNS0_18lshift_kernel_cudaERNS_18TensorIteratorBaseEENKUlvE_clEvENKUlvE0_clEvEUlaaE_EESt5arrayIPcLm2EEEEviT0_T1_.uses_flat_scratch, 0
	.set _ZN2at6native29vectorized_elementwise_kernelILi16ENS0_13AUnaryFunctorIaaaZZZNS0_18lshift_kernel_cudaERNS_18TensorIteratorBaseEENKUlvE_clEvENKUlvE0_clEvEUlaaE_EESt5arrayIPcLm2EEEEviT0_T1_.has_dyn_sized_stack, 0
	.set _ZN2at6native29vectorized_elementwise_kernelILi16ENS0_13AUnaryFunctorIaaaZZZNS0_18lshift_kernel_cudaERNS_18TensorIteratorBaseEENKUlvE_clEvENKUlvE0_clEvEUlaaE_EESt5arrayIPcLm2EEEEviT0_T1_.has_recursion, 0
	.set _ZN2at6native29vectorized_elementwise_kernelILi16ENS0_13AUnaryFunctorIaaaZZZNS0_18lshift_kernel_cudaERNS_18TensorIteratorBaseEENKUlvE_clEvENKUlvE0_clEvEUlaaE_EESt5arrayIPcLm2EEEEviT0_T1_.has_indirect_call, 0
	.section	.AMDGPU.csdata,"",@progbits
; Kernel info:
; codeLenInByte = 3372
; TotalNumSgprs: 43
; NumVgprs: 23
; ScratchSize: 0
; MemoryBound: 0
; FloatMode: 240
; IeeeMode: 1
; LDSByteSize: 0 bytes/workgroup (compile time only)
; SGPRBlocks: 5
; VGPRBlocks: 5
; NumSGPRsForWavesPerEU: 43
; NumVGPRsForWavesPerEU: 23
; Occupancy: 10
; WaveLimiterHint : 0
; COMPUTE_PGM_RSRC2:SCRATCH_EN: 0
; COMPUTE_PGM_RSRC2:USER_SGPR: 6
; COMPUTE_PGM_RSRC2:TRAP_HANDLER: 0
; COMPUTE_PGM_RSRC2:TGID_X_EN: 1
; COMPUTE_PGM_RSRC2:TGID_Y_EN: 0
; COMPUTE_PGM_RSRC2:TGID_Z_EN: 0
; COMPUTE_PGM_RSRC2:TIDIG_COMP_CNT: 0
	.section	.text._ZN2at6native29vectorized_elementwise_kernelILi8ENS0_13AUnaryFunctorIaaaZZZNS0_18lshift_kernel_cudaERNS_18TensorIteratorBaseEENKUlvE_clEvENKUlvE0_clEvEUlaaE_EESt5arrayIPcLm2EEEEviT0_T1_,"axG",@progbits,_ZN2at6native29vectorized_elementwise_kernelILi8ENS0_13AUnaryFunctorIaaaZZZNS0_18lshift_kernel_cudaERNS_18TensorIteratorBaseEENKUlvE_clEvENKUlvE0_clEvEUlaaE_EESt5arrayIPcLm2EEEEviT0_T1_,comdat
	.globl	_ZN2at6native29vectorized_elementwise_kernelILi8ENS0_13AUnaryFunctorIaaaZZZNS0_18lshift_kernel_cudaERNS_18TensorIteratorBaseEENKUlvE_clEvENKUlvE0_clEvEUlaaE_EESt5arrayIPcLm2EEEEviT0_T1_ ; -- Begin function _ZN2at6native29vectorized_elementwise_kernelILi8ENS0_13AUnaryFunctorIaaaZZZNS0_18lshift_kernel_cudaERNS_18TensorIteratorBaseEENKUlvE_clEvENKUlvE0_clEvEUlaaE_EESt5arrayIPcLm2EEEEviT0_T1_
	.p2align	8
	.type	_ZN2at6native29vectorized_elementwise_kernelILi8ENS0_13AUnaryFunctorIaaaZZZNS0_18lshift_kernel_cudaERNS_18TensorIteratorBaseEENKUlvE_clEvENKUlvE0_clEvEUlaaE_EESt5arrayIPcLm2EEEEviT0_T1_,@function
_ZN2at6native29vectorized_elementwise_kernelILi8ENS0_13AUnaryFunctorIaaaZZZNS0_18lshift_kernel_cudaERNS_18TensorIteratorBaseEENKUlvE_clEvENKUlvE0_clEvEUlaaE_EESt5arrayIPcLm2EEEEviT0_T1_: ; @_ZN2at6native29vectorized_elementwise_kernelILi8ENS0_13AUnaryFunctorIaaaZZZNS0_18lshift_kernel_cudaERNS_18TensorIteratorBaseEENKUlvE_clEvENKUlvE0_clEvEUlaaE_EESt5arrayIPcLm2EEEEviT0_T1_
; %bb.0:
	v_mov_b32_e32 v1, 0
	global_load_ubyte v3, v1, s[4:5] offset:5
	s_load_dword s0, s[4:5], 0x0
	s_load_dwordx4 s[12:15], s[4:5], 0x8
	s_lshl_b32 s33, s6, 12
	s_waitcnt lgkmcnt(0)
	s_sub_i32 s38, s0, s33
	s_cmpk_gt_i32 s38, 0xfff
	s_mov_b64 s[0:1], -1
	s_cbranch_scc0 .LBB25_2
; %bb.1:
	s_ashr_i32 s16, s33, 31
	s_add_u32 s0, s14, s33
	s_addc_u32 s1, s15, s16
	v_lshlrev_b32_e32 v6, 3, v0
	global_load_dwordx2 v[1:2], v6, s[0:1]
	global_load_dwordx2 v[4:5], v6, s[0:1] offset:2048
	s_brev_b32 s17, 16
	s_waitcnt vmcnt(1)
	v_lshlrev_b32_sdwa v13, v1, v3 dst_sel:DWORD dst_unused:UNUSED_PAD src0_sel:BYTE_3 src1_sel:DWORD
	v_cmp_gt_u32_e32 vcc, s17, v1
	s_waitcnt vmcnt(0)
	v_and_b32_e32 v25, 0xf80000, v4
	v_lshlrev_b32_sdwa v26, v4, v3 dst_sel:DWORD dst_unused:UNUSED_PAD src0_sel:WORD_1 src1_sel:DWORD
	v_cndmask_b32_e32 v13, 0, v13, vcc
	v_cmp_eq_u32_e32 vcc, 0, v25
	v_and_b32_e32 v11, 0xf80000, v1
	v_lshlrev_b32_sdwa v19, v4, v3 dst_sel:DWORD dst_unused:UNUSED_PAD src0_sel:BYTE_3 src1_sel:DWORD
	v_and_b32_e32 v21, 0xf8, v4
	v_and_b32_e32 v27, 0xf8, v5
	v_cndmask_b32_e32 v25, 0, v26, vcc
	v_cmp_gt_u32_e32 vcc, s17, v4
	v_and_b32_e32 v7, 0xf8, v1
	v_lshlrev_b32_e32 v22, v4, v3
	v_lshrrev_b32_e32 v23, 8, v4
	v_and_b32_e32 v24, 0xf800, v4
	v_cmp_eq_u32_e64 s[2:3], 0, v11
	v_lshlrev_b32_e32 v11, v5, v3
	v_cmp_eq_u32_e64 s[8:9], 0, v21
	v_and_b32_e32 v21, 0xf80000, v5
	v_cndmask_b32_e32 v4, 0, v19, vcc
	v_cmp_eq_u32_e32 vcc, 0, v27
	v_cmp_eq_u32_e64 s[10:11], 0, v7
	v_lshlrev_b32_sdwa v7, v5, v3 dst_sel:DWORD dst_unused:UNUSED_PAD src0_sel:WORD_1 src1_sel:DWORD
	v_cndmask_b32_e32 v11, 0, v11, vcc
	v_cmp_eq_u32_e32 vcc, 0, v21
	v_lshlrev_b32_e32 v8, v1, v3
	v_lshrrev_b32_e32 v9, 8, v1
	v_and_b32_e32 v10, 0xf800, v1
	v_lshlrev_b32_sdwa v12, v1, v3 dst_sel:DWORD dst_unused:UNUSED_PAD src0_sel:WORD_1 src1_sel:DWORD
	v_and_b32_e32 v1, 0xf8, v2
	v_and_b32_e32 v17, 0xf80000, v2
	v_lshlrev_b32_sdwa v20, v5, v3 dst_sel:DWORD dst_unused:UNUSED_PAD src0_sel:BYTE_3 src1_sel:DWORD
	v_cndmask_b32_e32 v7, 0, v7, vcc
	v_cmp_gt_u32_e32 vcc, s17, v5
	v_lshrrev_b32_e32 v15, 8, v2
	v_and_b32_e32 v16, 0xf800, v2
	v_cmp_eq_u32_e64 s[4:5], 0, v1
	v_lshrrev_b32_e32 v1, 8, v5
	v_cmp_eq_u32_e64 s[6:7], 0, v17
	v_and_b32_e32 v17, 0xf800, v5
	v_lshlrev_b32_e32 v9, v9, v3
	v_cndmask_b32_e32 v5, 0, v20, vcc
	v_cmp_eq_u32_e32 vcc, 0, v10
	v_lshlrev_b32_e32 v15, v15, v3
	v_cndmask_b32_e32 v9, 0, v9, vcc
	v_cmp_eq_u32_e32 vcc, 0, v16
	;; [unrolled: 3-line block ×3, first 2 shown]
	v_lshlrev_b32_sdwa v18, v2, v3 dst_sel:DWORD dst_unused:UNUSED_PAD src0_sel:BYTE_3 src1_sel:DWORD
	v_cmp_gt_u32_e64 s[0:1], s17, v2
	v_lshlrev_b32_e32 v1, v1, v3
	v_cndmask_b32_e32 v15, 0, v23, vcc
	v_cmp_eq_u32_e32 vcc, 0, v17
	v_lshlrev_b32_e32 v14, v2, v3
	v_lshlrev_b32_sdwa v2, v2, v3 dst_sel:DWORD dst_unused:UNUSED_PAD src0_sel:WORD_1 src1_sel:DWORD
	v_cndmask_b32_e64 v18, 0, v18, s[0:1]
	v_cndmask_b32_e32 v1, 0, v1, vcc
	v_lshlrev_b16_e32 v5, 8, v5
	v_cndmask_b32_e64 v2, 0, v2, s[6:7]
	v_cndmask_b32_e64 v22, 0, v22, s[8:9]
	v_lshlrev_b16_e32 v4, 8, v4
	v_lshlrev_b16_e32 v16, 8, v18
	;; [unrolled: 1-line block ×3, first 2 shown]
	v_or_b32_sdwa v5, v7, v5 dst_sel:WORD_1 dst_unused:UNUSED_PAD src0_sel:BYTE_0 src1_sel:DWORD
	v_lshlrev_b16_e32 v7, 8, v15
	v_cndmask_b32_e64 v8, 0, v8, s[10:11]
	v_cndmask_b32_e64 v12, 0, v12, s[2:3]
	;; [unrolled: 1-line block ×3, first 2 shown]
	v_lshlrev_b16_e32 v13, 8, v13
	v_or_b32_sdwa v4, v25, v4 dst_sel:WORD_1 dst_unused:UNUSED_PAD src0_sel:BYTE_0 src1_sel:DWORD
	v_lshlrev_b16_e32 v10, 8, v10
	v_or_b32_sdwa v15, v2, v16 dst_sel:WORD_1 dst_unused:UNUSED_PAD src0_sel:BYTE_0 src1_sel:DWORD
	v_lshlrev_b16_e32 v2, 8, v9
	v_or_b32_sdwa v1, v11, v1 dst_sel:DWORD dst_unused:UNUSED_PAD src0_sel:BYTE_0 src1_sel:DWORD
	v_or_b32_sdwa v7, v22, v7 dst_sel:DWORD dst_unused:UNUSED_PAD src0_sel:BYTE_0 src1_sel:DWORD
	;; [unrolled: 1-line block ×4, first 2 shown]
	v_or_b32_sdwa v2, v1, v5 dst_sel:DWORD dst_unused:UNUSED_PAD src0_sel:WORD_0 src1_sel:DWORD
	v_or_b32_sdwa v1, v7, v4 dst_sel:DWORD dst_unused:UNUSED_PAD src0_sel:WORD_0 src1_sel:DWORD
	v_or_b32_sdwa v4, v12, v13 dst_sel:WORD_1 dst_unused:UNUSED_PAD src0_sel:BYTE_0 src1_sel:DWORD
	s_add_u32 s0, s12, s33
	v_or_b32_sdwa v5, v9, v15 dst_sel:DWORD dst_unused:UNUSED_PAD src0_sel:WORD_0 src1_sel:DWORD
	v_or_b32_sdwa v4, v8, v4 dst_sel:DWORD dst_unused:UNUSED_PAD src0_sel:WORD_0 src1_sel:DWORD
	s_addc_u32 s1, s13, s16
	global_store_dwordx2 v6, v[4:5], s[0:1]
	global_store_dwordx2 v6, v[1:2], s[0:1] offset:2048
	s_mov_b64 s[0:1], 0
.LBB25_2:
	s_andn2_b64 vcc, exec, s[0:1]
	s_cbranch_vccnz .LBB25_52
; %bb.3:
	v_cmp_gt_i32_e64 s[0:1], s38, v0
	v_or_b32_e32 v4, 0x100, v0
	v_mov_b32_e32 v6, 0
	v_or_b32_e32 v5, s33, v0
	v_mov_b32_e32 v22, 0
	v_mov_b32_e32 v21, 0
	v_mov_b32_e32 v20, 0
	v_mov_b32_e32 v19, 0
	v_mov_b32_e32 v18, 0
	v_mov_b32_e32 v17, 0
	v_mov_b32_e32 v13, 0
	v_mov_b32_e32 v12, 0
	v_mov_b32_e32 v8, 0
	v_mov_b32_e32 v7, 0
	v_mov_b32_e32 v11, 0
	v_mov_b32_e32 v9, 0
	v_mov_b32_e32 v10, 0
	v_mov_b32_e32 v16, 0
	v_mov_b32_e32 v15, 0
	v_mov_b32_e32 v14, 0
	s_and_saveexec_b64 s[2:3], s[0:1]
	s_cbranch_execz .LBB25_35
; %bb.4:
	global_load_ubyte v14, v5, s[14:15]
	v_cmp_gt_u32_e32 vcc, s38, v4
	v_mov_b32_e32 v15, 0
	v_mov_b32_e32 v16, 0
	;; [unrolled: 1-line block ×15, first 2 shown]
	s_and_saveexec_b64 s[4:5], vcc
	s_cbranch_execz .LBB25_34
; %bb.5:
	v_add_u32_e32 v1, s33, v0
	global_load_ubyte v15, v1, s[14:15] offset:256
	v_or_b32_e32 v2, 0x200, v0
	v_mov_b32_e32 v16, 0
	v_cmp_gt_u32_e32 vcc, s38, v2
	v_mov_b32_e32 v10, 0
	v_mov_b32_e32 v9, 0
	;; [unrolled: 1-line block ×13, first 2 shown]
	s_and_saveexec_b64 s[6:7], vcc
	s_cbranch_execz .LBB25_33
; %bb.6:
	v_mov_b32_e32 v2, s15
	v_add_co_u32_e32 v1, vcc, s14, v1
	v_addc_co_u32_e32 v2, vcc, 0, v2, vcc
	global_load_ubyte v16, v[1:2], off offset:512
	v_or_b32_e32 v7, 0x300, v0
	v_cmp_gt_u32_e32 vcc, s38, v7
	v_mov_b32_e32 v10, 0
	v_mov_b32_e32 v9, 0
	;; [unrolled: 1-line block ×13, first 2 shown]
	s_and_saveexec_b64 s[8:9], vcc
	s_cbranch_execz .LBB25_32
; %bb.7:
	global_load_ubyte v10, v[1:2], off offset:768
	v_or_b32_e32 v7, 0x400, v0
	v_cmp_gt_u32_e32 vcc, s38, v7
	v_mov_b32_e32 v9, 0
	v_mov_b32_e32 v11, 0
	;; [unrolled: 1-line block ×12, first 2 shown]
	s_and_saveexec_b64 s[10:11], vcc
	s_cbranch_execz .LBB25_31
; %bb.8:
	global_load_ubyte v9, v[1:2], off offset:1024
	v_or_b32_e32 v7, 0x500, v0
	v_cmp_gt_u32_e32 vcc, s38, v7
	v_mov_b32_e32 v11, 0
	v_mov_b32_e32 v7, 0
	;; [unrolled: 1-line block ×11, first 2 shown]
	s_and_saveexec_b64 s[14:15], vcc
	s_cbranch_execz .LBB25_30
; %bb.9:
	global_load_ubyte v11, v[1:2], off offset:1280
	v_or_b32_e32 v7, 0x600, v0
	v_cmp_gt_u32_e32 vcc, s38, v7
	v_mov_b32_e32 v7, 0
	v_mov_b32_e32 v8, 0
	;; [unrolled: 1-line block ×10, first 2 shown]
	s_and_saveexec_b64 s[16:17], vcc
	s_cbranch_execz .LBB25_29
; %bb.10:
	global_load_ubyte v7, v[1:2], off offset:1536
	v_or_b32_e32 v8, 0x700, v0
	v_cmp_gt_u32_e32 vcc, s38, v8
	v_mov_b32_e32 v8, 0
	v_mov_b32_e32 v12, 0
	;; [unrolled: 1-line block ×9, first 2 shown]
	s_and_saveexec_b64 s[18:19], vcc
	s_cbranch_execz .LBB25_28
; %bb.11:
	global_load_ubyte v8, v[1:2], off offset:1792
	v_or_b32_e32 v12, 0x800, v0
	v_cmp_gt_u32_e32 vcc, s38, v12
	v_mov_b32_e32 v12, 0
	v_mov_b32_e32 v13, 0
	v_mov_b32_e32 v17, 0
	v_mov_b32_e32 v18, 0
	v_mov_b32_e32 v19, 0
	v_mov_b32_e32 v20, 0
	v_mov_b32_e32 v21, 0
	v_mov_b32_e32 v22, 0
	s_and_saveexec_b64 s[20:21], vcc
	s_cbranch_execz .LBB25_27
; %bb.12:
	global_load_ubyte v12, v[1:2], off offset:2048
	v_or_b32_e32 v13, 0x900, v0
	v_cmp_gt_u32_e32 vcc, s38, v13
	v_mov_b32_e32 v13, 0
	v_mov_b32_e32 v17, 0
	;; [unrolled: 1-line block ×7, first 2 shown]
	s_and_saveexec_b64 s[22:23], vcc
	s_cbranch_execz .LBB25_26
; %bb.13:
	global_load_ubyte v13, v[1:2], off offset:2304
	v_or_b32_e32 v17, 0xa00, v0
	v_cmp_gt_u32_e32 vcc, s38, v17
	v_mov_b32_e32 v17, 0
	v_mov_b32_e32 v18, 0
	;; [unrolled: 1-line block ×6, first 2 shown]
	s_and_saveexec_b64 s[24:25], vcc
	s_cbranch_execz .LBB25_25
; %bb.14:
	global_load_ubyte v17, v[1:2], off offset:2560
	v_or_b32_e32 v18, 0xb00, v0
	v_cmp_gt_u32_e32 vcc, s38, v18
	v_mov_b32_e32 v18, 0
	v_mov_b32_e32 v19, 0
	;; [unrolled: 1-line block ×5, first 2 shown]
	s_and_saveexec_b64 s[26:27], vcc
	s_cbranch_execz .LBB25_24
; %bb.15:
	global_load_ubyte v18, v[1:2], off offset:2816
	v_or_b32_e32 v19, 0xc00, v0
	v_cmp_gt_u32_e32 vcc, s38, v19
	v_mov_b32_e32 v19, 0
	v_mov_b32_e32 v20, 0
	;; [unrolled: 1-line block ×4, first 2 shown]
	s_and_saveexec_b64 s[28:29], vcc
	s_cbranch_execz .LBB25_23
; %bb.16:
	global_load_ubyte v19, v[1:2], off offset:3072
	v_or_b32_e32 v20, 0xd00, v0
	v_cmp_gt_u32_e32 vcc, s38, v20
	v_mov_b32_e32 v20, 0
	v_mov_b32_e32 v21, 0
	;; [unrolled: 1-line block ×3, first 2 shown]
	s_and_saveexec_b64 s[30:31], vcc
	s_cbranch_execz .LBB25_22
; %bb.17:
	global_load_ubyte v20, v[1:2], off offset:3328
	v_or_b32_e32 v21, 0xe00, v0
	v_cmp_gt_u32_e32 vcc, s38, v21
	v_mov_b32_e32 v21, 0
	v_mov_b32_e32 v22, 0
	s_and_saveexec_b64 s[34:35], vcc
	s_cbranch_execz .LBB25_21
; %bb.18:
	global_load_ubyte v21, v[1:2], off offset:3584
	v_or_b32_e32 v22, 0xf00, v0
	v_cmp_gt_u32_e32 vcc, s38, v22
	v_mov_b32_e32 v22, 0
	s_and_saveexec_b64 s[36:37], vcc
	s_cbranch_execz .LBB25_20
; %bb.19:
	global_load_ubyte v22, v[1:2], off offset:3840
.LBB25_20:
	s_or_b64 exec, exec, s[36:37]
.LBB25_21:
	s_or_b64 exec, exec, s[34:35]
.LBB25_22:
	s_or_b64 exec, exec, s[30:31]
.LBB25_23:
	s_or_b64 exec, exec, s[28:29]
.LBB25_24:
	s_or_b64 exec, exec, s[26:27]
.LBB25_25:
	s_or_b64 exec, exec, s[24:25]
.LBB25_26:
	s_or_b64 exec, exec, s[22:23]
.LBB25_27:
	s_or_b64 exec, exec, s[20:21]
.LBB25_28:
	s_or_b64 exec, exec, s[18:19]
.LBB25_29:
	s_or_b64 exec, exec, s[16:17]
.LBB25_30:
	s_or_b64 exec, exec, s[14:15]
.LBB25_31:
	s_or_b64 exec, exec, s[10:11]
.LBB25_32:
	s_or_b64 exec, exec, s[8:9]
.LBB25_33:
	s_or_b64 exec, exec, s[6:7]
.LBB25_34:
	s_or_b64 exec, exec, s[4:5]
.LBB25_35:
	s_or_b64 exec, exec, s[2:3]
	v_mov_b32_e32 v1, 8
	s_waitcnt vmcnt(0)
	v_lshlrev_b32_e32 v23, v14, v3
	v_cmp_lt_u16_sdwa vcc, v14, v1 src0_sel:BYTE_0 src1_sel:DWORD
	v_lshlrev_b32_e32 v2, v15, v3
	v_cndmask_b32_e32 v14, 0, v23, vcc
	s_mov_b32 s2, 0xffff
	v_cmp_lt_u16_sdwa vcc, v15, v1 src0_sel:BYTE_0 src1_sel:DWORD
	v_and_b32_sdwa v14, s2, v14 dst_sel:DWORD dst_unused:UNUSED_PAD src0_sel:DWORD src1_sel:BYTE_0
	v_cndmask_b32_e32 v2, 0, v2, vcc
	v_cndmask_b32_e64 v14, 0, v14, s[0:1]
	v_lshlrev_b16_e32 v2, 8, v2
	v_or_b32_e32 v2, v14, v2
	v_and_b32_e32 v2, 0xffff, v2
	v_cmp_gt_i32_e32 vcc, s38, v4
	v_cndmask_b32_e32 v2, v14, v2, vcc
	v_lshlrev_b32_e32 v14, v16, v3
	v_cmp_lt_u16_sdwa vcc, v16, v1 src0_sel:BYTE_0 src1_sel:DWORD
	v_cndmask_b32_e32 v14, 0, v14, vcc
	s_mov_b32 s3, 0xc0c0304
	v_perm_b32 v14, v14, v2, s3
	v_or_b32_e32 v15, 0x200, v0
	v_lshl_or_b32 v14, v14, 16, v2
	v_cmp_gt_i32_e32 vcc, s38, v15
	v_cndmask_b32_e32 v2, v2, v14, vcc
	v_lshlrev_b32_e32 v14, v10, v3
	v_cmp_lt_u16_sdwa vcc, v10, v1 src0_sel:BYTE_0 src1_sel:DWORD
	s_movk_i32 s4, 0xff
	v_cndmask_b32_e32 v10, 0, v14, vcc
	v_and_b32_sdwa v15, v2, s4 dst_sel:DWORD dst_unused:UNUSED_PAD src0_sel:WORD_1 src1_sel:DWORD
	v_lshlrev_b16_e32 v10, 8, v10
	v_or_b32_sdwa v10, v15, v10 dst_sel:WORD_1 dst_unused:UNUSED_PAD src0_sel:DWORD src1_sel:DWORD
	v_or_b32_e32 v14, 0x300, v0
	v_and_or_b32 v10, v2, s2, v10
	v_cmp_gt_i32_e32 vcc, s38, v14
	v_cndmask_b32_e32 v10, v2, v10, vcc
	v_lshlrev_b32_e32 v2, v9, v3
	v_cmp_lt_u16_sdwa vcc, v9, v1 src0_sel:BYTE_0 src1_sel:DWORD
	v_cndmask_b32_e32 v2, 0, v2, vcc
	s_mov_b32 s5, 0x3020104
	v_or_b32_e32 v9, 0x400, v0
	v_perm_b32 v2, v2, 0, s5
	v_cmp_gt_i32_e32 vcc, s38, v9
	v_cndmask_b32_e32 v2, 0, v2, vcc
	v_lshlrev_b32_e32 v9, v11, v3
	v_cmp_lt_u16_sdwa vcc, v11, v1 src0_sel:BYTE_0 src1_sel:DWORD
	v_cndmask_b32_e32 v9, 0, v9, vcc
	v_lshlrev_b16_e32 v9, 8, v9
	v_or_b32_sdwa v9, v2, v9 dst_sel:DWORD dst_unused:UNUSED_PAD src0_sel:BYTE_0 src1_sel:DWORD
	v_and_b32_e32 v9, 0xffff, v9
	s_mov_b32 s6, 0xffff0000
	v_or_b32_e32 v11, 0x500, v0
	v_and_or_b32 v9, v2, s6, v9
	v_cmp_gt_i32_e32 vcc, s38, v11
	v_cndmask_b32_e32 v2, v2, v9, vcc
	v_lshlrev_b32_e32 v11, v7, v3
	v_cmp_lt_u16_sdwa vcc, v7, v1 src0_sel:BYTE_0 src1_sel:DWORD
	v_or_b32_e32 v9, 0x600, v0
	v_cndmask_b32_e32 v7, 0, v11, vcc
	s_mov_b32 s7, 0x7000504
	v_perm_b32 v7, v2, v7, s7
	v_cmp_gt_i32_e32 vcc, s38, v9
	v_cndmask_b32_e32 v2, v2, v7, vcc
	v_lshlrev_b32_e32 v11, v8, v3
	v_cmp_lt_u16_sdwa vcc, v8, v1 src0_sel:BYTE_0 src1_sel:DWORD
	v_cndmask_b32_e32 v8, 0, v11, vcc
	v_and_b32_sdwa v7, v2, s4 dst_sel:DWORD dst_unused:UNUSED_PAD src0_sel:WORD_1 src1_sel:DWORD
	v_lshlrev_b16_e32 v8, 8, v8
	v_or_b32_e32 v9, 0x700, v0
	v_or_b32_sdwa v7, v7, v8 dst_sel:WORD_1 dst_unused:UNUSED_PAD src0_sel:DWORD src1_sel:DWORD
	v_and_or_b32 v7, v2, s2, v7
	v_cmp_gt_i32_e32 vcc, s38, v9
	v_cndmask_b32_e32 v7, v2, v7, vcc
	v_lshlrev_b32_e32 v8, v12, v3
	v_cmp_lt_u16_sdwa vcc, v12, v1 src0_sel:BYTE_0 src1_sel:DWORD
	v_or_b32_e32 v2, 0x800, v0
	v_cndmask_b32_e32 v8, 0, v8, vcc
	v_and_b32_sdwa v8, s2, v8 dst_sel:DWORD dst_unused:UNUSED_PAD src0_sel:DWORD src1_sel:BYTE_0
	v_cmp_gt_i32_e32 vcc, s38, v2
	v_cndmask_b32_e32 v2, 0, v8, vcc
	v_lshlrev_b32_e32 v9, v13, v3
	v_cmp_lt_u16_sdwa vcc, v13, v1 src0_sel:BYTE_0 src1_sel:DWORD
	v_cndmask_b32_e32 v9, 0, v9, vcc
	v_lshlrev_b16_e32 v9, 8, v9
	v_or_b32_e32 v8, 0x900, v0
	v_or_b32_e32 v9, v2, v9
	v_and_b32_e32 v9, 0xffff, v9
	v_cmp_gt_i32_e32 vcc, s38, v8
	v_cndmask_b32_e32 v2, v2, v9, vcc
	v_lshlrev_b32_e32 v9, v17, v3
	v_cmp_lt_u16_sdwa vcc, v17, v1 src0_sel:BYTE_0 src1_sel:DWORD
	v_cndmask_b32_e32 v9, 0, v9, vcc
	v_or_b32_e32 v8, 0xa00, v0
	v_perm_b32 v9, v9, v2, s3
	v_lshl_or_b32 v9, v9, 16, v2
	v_cmp_gt_i32_e32 vcc, s38, v8
	v_cndmask_b32_e32 v2, v2, v9, vcc
	v_lshlrev_b32_e32 v11, v18, v3
	v_cmp_lt_u16_sdwa vcc, v18, v1 src0_sel:BYTE_0 src1_sel:DWORD
	v_cndmask_b32_e32 v11, 0, v11, vcc
	v_and_b32_sdwa v8, v2, s4 dst_sel:DWORD dst_unused:UNUSED_PAD src0_sel:WORD_1 src1_sel:DWORD
	v_lshlrev_b16_e32 v11, 8, v11
	v_or_b32_e32 v9, 0xb00, v0
	v_or_b32_sdwa v8, v8, v11 dst_sel:WORD_1 dst_unused:UNUSED_PAD src0_sel:DWORD src1_sel:DWORD
	v_and_or_b32 v8, v2, s2, v8
	v_cmp_gt_i32_e32 vcc, s38, v9
	v_cndmask_b32_e32 v2, v2, v8, vcc
	v_lshlrev_b32_e32 v8, v19, v3
	v_cmp_lt_u16_sdwa vcc, v19, v1 src0_sel:BYTE_0 src1_sel:DWORD
	v_cndmask_b32_e32 v8, 0, v8, vcc
	v_or_b32_e32 v9, 0xc00, v0
	v_perm_b32 v8, v8, 0, s5
	v_cmp_gt_i32_e32 vcc, s38, v9
	v_cndmask_b32_e32 v8, 0, v8, vcc
	v_lshlrev_b32_e32 v9, v20, v3
	v_cmp_lt_u16_sdwa vcc, v20, v1 src0_sel:BYTE_0 src1_sel:DWORD
	v_cndmask_b32_e32 v9, 0, v9, vcc
	v_lshlrev_b16_e32 v9, 8, v9
	v_or_b32_sdwa v9, v8, v9 dst_sel:DWORD dst_unused:UNUSED_PAD src0_sel:BYTE_0 src1_sel:DWORD
	v_and_b32_e32 v9, 0xffff, v9
	v_or_b32_e32 v11, 0xd00, v0
	v_and_or_b32 v9, v8, s6, v9
	v_cmp_gt_i32_e32 vcc, s38, v11
	v_cndmask_b32_e32 v8, v8, v9, vcc
	v_lshlrev_b32_e32 v11, v21, v3
	v_cmp_lt_u16_sdwa vcc, v21, v1 src0_sel:BYTE_0 src1_sel:DWORD
	v_or_b32_e32 v9, 0xe00, v0
	v_cndmask_b32_e32 v11, 0, v11, vcc
	v_perm_b32 v11, v8, v11, s7
	v_cmp_gt_i32_e32 vcc, s38, v9
	v_cndmask_b32_e32 v8, v8, v11, vcc
	v_lshlrev_b32_e32 v3, v22, v3
	v_cmp_lt_u16_sdwa vcc, v22, v1 src0_sel:BYTE_0 src1_sel:DWORD
	v_and_b32_sdwa v9, v8, s4 dst_sel:DWORD dst_unused:UNUSED_PAD src0_sel:WORD_1 src1_sel:DWORD
	v_cndmask_b32_sdwa v1, v6, v3, vcc dst_sel:BYTE_1 dst_unused:UNUSED_PAD src0_sel:DWORD src1_sel:DWORD
	v_or_b32_e32 v11, 0xf00, v0
	v_or_b32_sdwa v1, v9, v1 dst_sel:WORD_1 dst_unused:UNUSED_PAD src0_sel:DWORD src1_sel:DWORD
	v_and_or_b32 v1, v8, s2, v1
	v_cmp_gt_i32_e32 vcc, s38, v11
	v_cndmask_b32_e32 v1, v8, v1, vcc
	s_and_saveexec_b64 s[2:3], s[0:1]
	s_cbranch_execnz .LBB25_53
; %bb.36:
	s_or_b64 exec, exec, s[2:3]
	v_cmp_gt_i32_e32 vcc, s38, v0
	s_and_saveexec_b64 s[0:1], vcc
	s_cbranch_execnz .LBB25_54
.LBB25_37:
	s_or_b64 exec, exec, s[0:1]
	v_cmp_gt_i32_e32 vcc, s38, v0
	s_and_saveexec_b64 s[0:1], vcc
	s_cbranch_execnz .LBB25_55
.LBB25_38:
	s_or_b64 exec, exec, s[0:1]
	v_cmp_gt_i32_e32 vcc, s38, v0
	s_and_saveexec_b64 s[0:1], vcc
	s_cbranch_execnz .LBB25_56
.LBB25_39:
	s_or_b64 exec, exec, s[0:1]
	v_cmp_gt_i32_e32 vcc, s38, v0
	s_and_saveexec_b64 s[0:1], vcc
	s_cbranch_execnz .LBB25_57
.LBB25_40:
	s_or_b64 exec, exec, s[0:1]
	v_cmp_gt_i32_e32 vcc, s38, v0
	s_and_saveexec_b64 s[0:1], vcc
	s_cbranch_execnz .LBB25_58
.LBB25_41:
	s_or_b64 exec, exec, s[0:1]
	v_cmp_gt_i32_e32 vcc, s38, v0
	s_and_saveexec_b64 s[0:1], vcc
	s_cbranch_execnz .LBB25_59
.LBB25_42:
	s_or_b64 exec, exec, s[0:1]
	v_cmp_gt_i32_e32 vcc, s38, v0
	s_and_saveexec_b64 s[0:1], vcc
	s_cbranch_execnz .LBB25_60
.LBB25_43:
	s_or_b64 exec, exec, s[0:1]
	v_cmp_gt_i32_e32 vcc, s38, v0
	s_and_saveexec_b64 s[0:1], vcc
	s_cbranch_execnz .LBB25_61
.LBB25_44:
	s_or_b64 exec, exec, s[0:1]
	v_cmp_gt_i32_e32 vcc, s38, v0
	s_and_saveexec_b64 s[0:1], vcc
	s_cbranch_execnz .LBB25_62
.LBB25_45:
	s_or_b64 exec, exec, s[0:1]
	v_cmp_gt_i32_e32 vcc, s38, v0
	s_and_saveexec_b64 s[0:1], vcc
	s_cbranch_execnz .LBB25_63
.LBB25_46:
	s_or_b64 exec, exec, s[0:1]
	v_cmp_gt_i32_e32 vcc, s38, v0
	s_and_saveexec_b64 s[0:1], vcc
	s_cbranch_execnz .LBB25_64
.LBB25_47:
	s_or_b64 exec, exec, s[0:1]
	v_cmp_gt_i32_e32 vcc, s38, v0
	s_and_saveexec_b64 s[0:1], vcc
	s_cbranch_execnz .LBB25_65
.LBB25_48:
	s_or_b64 exec, exec, s[0:1]
	v_cmp_gt_i32_e32 vcc, s38, v0
	s_and_saveexec_b64 s[0:1], vcc
	s_cbranch_execnz .LBB25_66
.LBB25_49:
	s_or_b64 exec, exec, s[0:1]
	v_cmp_gt_i32_e32 vcc, s38, v0
	s_and_saveexec_b64 s[0:1], vcc
	s_cbranch_execnz .LBB25_67
.LBB25_50:
	s_or_b64 exec, exec, s[0:1]
	v_cmp_gt_i32_e32 vcc, s38, v0
	s_and_saveexec_b64 s[0:1], vcc
	s_cbranch_execz .LBB25_52
.LBB25_51:
	v_lshrrev_b32_e32 v1, 24, v1
	v_add_u32_e32 v0, s33, v0
	global_store_byte v0, v1, s[12:13]
.LBB25_52:
	s_endpgm
.LBB25_53:
	v_mov_b32_e32 v0, v4
	global_store_byte v5, v10, s[12:13]
	s_or_b64 exec, exec, s[2:3]
	v_cmp_gt_i32_e32 vcc, s38, v0
	s_and_saveexec_b64 s[0:1], vcc
	s_cbranch_execz .LBB25_37
.LBB25_54:
	v_lshrrev_b32_e32 v3, 8, v10
	v_add_u32_e32 v4, s33, v0
	v_add_u32_e32 v0, 0x100, v0
	global_store_byte v4, v3, s[12:13]
	s_or_b64 exec, exec, s[0:1]
	v_cmp_gt_i32_e32 vcc, s38, v0
	s_and_saveexec_b64 s[0:1], vcc
	s_cbranch_execz .LBB25_38
.LBB25_55:
	v_add_u32_e32 v3, s33, v0
	v_add_u32_e32 v0, 0x100, v0
	global_store_byte_d16_hi v3, v10, s[12:13]
	s_or_b64 exec, exec, s[0:1]
	v_cmp_gt_i32_e32 vcc, s38, v0
	s_and_saveexec_b64 s[0:1], vcc
	s_cbranch_execz .LBB25_39
.LBB25_56:
	v_lshrrev_b32_e32 v3, 24, v10
	v_add_u32_e32 v4, s33, v0
	v_add_u32_e32 v0, 0x100, v0
	global_store_byte v4, v3, s[12:13]
	s_or_b64 exec, exec, s[0:1]
	v_cmp_gt_i32_e32 vcc, s38, v0
	s_and_saveexec_b64 s[0:1], vcc
	s_cbranch_execz .LBB25_40
.LBB25_57:
	v_add_u32_e32 v3, s33, v0
	v_add_u32_e32 v0, 0x100, v0
	global_store_byte v3, v7, s[12:13]
	s_or_b64 exec, exec, s[0:1]
	v_cmp_gt_i32_e32 vcc, s38, v0
	s_and_saveexec_b64 s[0:1], vcc
	s_cbranch_execz .LBB25_41
.LBB25_58:
	v_lshrrev_b32_e32 v3, 8, v7
	v_add_u32_e32 v4, s33, v0
	v_add_u32_e32 v0, 0x100, v0
	global_store_byte v4, v3, s[12:13]
	s_or_b64 exec, exec, s[0:1]
	v_cmp_gt_i32_e32 vcc, s38, v0
	s_and_saveexec_b64 s[0:1], vcc
	s_cbranch_execz .LBB25_42
.LBB25_59:
	v_add_u32_e32 v3, s33, v0
	v_add_u32_e32 v0, 0x100, v0
	global_store_byte_d16_hi v3, v7, s[12:13]
	s_or_b64 exec, exec, s[0:1]
	v_cmp_gt_i32_e32 vcc, s38, v0
	s_and_saveexec_b64 s[0:1], vcc
	s_cbranch_execz .LBB25_43
.LBB25_60:
	v_lshrrev_b32_e32 v3, 24, v7
	v_add_u32_e32 v4, s33, v0
	v_add_u32_e32 v0, 0x100, v0
	global_store_byte v4, v3, s[12:13]
	s_or_b64 exec, exec, s[0:1]
	v_cmp_gt_i32_e32 vcc, s38, v0
	s_and_saveexec_b64 s[0:1], vcc
	s_cbranch_execz .LBB25_44
.LBB25_61:
	v_add_u32_e32 v3, s33, v0
	v_add_u32_e32 v0, 0x100, v0
	global_store_byte v3, v2, s[12:13]
	s_or_b64 exec, exec, s[0:1]
	v_cmp_gt_i32_e32 vcc, s38, v0
	s_and_saveexec_b64 s[0:1], vcc
	s_cbranch_execz .LBB25_45
.LBB25_62:
	v_lshrrev_b32_e32 v3, 8, v2
	v_add_u32_e32 v4, s33, v0
	v_add_u32_e32 v0, 0x100, v0
	global_store_byte v4, v3, s[12:13]
	s_or_b64 exec, exec, s[0:1]
	v_cmp_gt_i32_e32 vcc, s38, v0
	s_and_saveexec_b64 s[0:1], vcc
	s_cbranch_execz .LBB25_46
.LBB25_63:
	v_add_u32_e32 v3, s33, v0
	v_add_u32_e32 v0, 0x100, v0
	global_store_byte_d16_hi v3, v2, s[12:13]
	s_or_b64 exec, exec, s[0:1]
	v_cmp_gt_i32_e32 vcc, s38, v0
	s_and_saveexec_b64 s[0:1], vcc
	s_cbranch_execz .LBB25_47
.LBB25_64:
	v_lshrrev_b32_e32 v2, 24, v2
	v_add_u32_e32 v3, s33, v0
	v_add_u32_e32 v0, 0x100, v0
	global_store_byte v3, v2, s[12:13]
	s_or_b64 exec, exec, s[0:1]
	v_cmp_gt_i32_e32 vcc, s38, v0
	s_and_saveexec_b64 s[0:1], vcc
	s_cbranch_execz .LBB25_48
.LBB25_65:
	v_add_u32_e32 v2, s33, v0
	v_add_u32_e32 v0, 0x100, v0
	global_store_byte v2, v1, s[12:13]
	s_or_b64 exec, exec, s[0:1]
	v_cmp_gt_i32_e32 vcc, s38, v0
	s_and_saveexec_b64 s[0:1], vcc
	s_cbranch_execz .LBB25_49
.LBB25_66:
	v_lshrrev_b32_e32 v2, 8, v1
	v_add_u32_e32 v3, s33, v0
	v_add_u32_e32 v0, 0x100, v0
	global_store_byte v3, v2, s[12:13]
	s_or_b64 exec, exec, s[0:1]
	v_cmp_gt_i32_e32 vcc, s38, v0
	s_and_saveexec_b64 s[0:1], vcc
	s_cbranch_execz .LBB25_50
.LBB25_67:
	v_add_u32_e32 v2, s33, v0
	v_add_u32_e32 v0, 0x100, v0
	global_store_byte_d16_hi v2, v1, s[12:13]
	s_or_b64 exec, exec, s[0:1]
	v_cmp_gt_i32_e32 vcc, s38, v0
	s_and_saveexec_b64 s[0:1], vcc
	s_cbranch_execnz .LBB25_51
	s_branch .LBB25_52
	.section	.rodata,"a",@progbits
	.p2align	6, 0x0
	.amdhsa_kernel _ZN2at6native29vectorized_elementwise_kernelILi8ENS0_13AUnaryFunctorIaaaZZZNS0_18lshift_kernel_cudaERNS_18TensorIteratorBaseEENKUlvE_clEvENKUlvE0_clEvEUlaaE_EESt5arrayIPcLm2EEEEviT0_T1_
		.amdhsa_group_segment_fixed_size 0
		.amdhsa_private_segment_fixed_size 0
		.amdhsa_kernarg_size 24
		.amdhsa_user_sgpr_count 6
		.amdhsa_user_sgpr_private_segment_buffer 1
		.amdhsa_user_sgpr_dispatch_ptr 0
		.amdhsa_user_sgpr_queue_ptr 0
		.amdhsa_user_sgpr_kernarg_segment_ptr 1
		.amdhsa_user_sgpr_dispatch_id 0
		.amdhsa_user_sgpr_flat_scratch_init 0
		.amdhsa_user_sgpr_private_segment_size 0
		.amdhsa_uses_dynamic_stack 0
		.amdhsa_system_sgpr_private_segment_wavefront_offset 0
		.amdhsa_system_sgpr_workgroup_id_x 1
		.amdhsa_system_sgpr_workgroup_id_y 0
		.amdhsa_system_sgpr_workgroup_id_z 0
		.amdhsa_system_sgpr_workgroup_info 0
		.amdhsa_system_vgpr_workitem_id 0
		.amdhsa_next_free_vgpr 28
		.amdhsa_next_free_sgpr 39
		.amdhsa_reserve_vcc 1
		.amdhsa_reserve_flat_scratch 0
		.amdhsa_float_round_mode_32 0
		.amdhsa_float_round_mode_16_64 0
		.amdhsa_float_denorm_mode_32 3
		.amdhsa_float_denorm_mode_16_64 3
		.amdhsa_dx10_clamp 1
		.amdhsa_ieee_mode 1
		.amdhsa_fp16_overflow 0
		.amdhsa_exception_fp_ieee_invalid_op 0
		.amdhsa_exception_fp_denorm_src 0
		.amdhsa_exception_fp_ieee_div_zero 0
		.amdhsa_exception_fp_ieee_overflow 0
		.amdhsa_exception_fp_ieee_underflow 0
		.amdhsa_exception_fp_ieee_inexact 0
		.amdhsa_exception_int_div_zero 0
	.end_amdhsa_kernel
	.section	.text._ZN2at6native29vectorized_elementwise_kernelILi8ENS0_13AUnaryFunctorIaaaZZZNS0_18lshift_kernel_cudaERNS_18TensorIteratorBaseEENKUlvE_clEvENKUlvE0_clEvEUlaaE_EESt5arrayIPcLm2EEEEviT0_T1_,"axG",@progbits,_ZN2at6native29vectorized_elementwise_kernelILi8ENS0_13AUnaryFunctorIaaaZZZNS0_18lshift_kernel_cudaERNS_18TensorIteratorBaseEENKUlvE_clEvENKUlvE0_clEvEUlaaE_EESt5arrayIPcLm2EEEEviT0_T1_,comdat
.Lfunc_end25:
	.size	_ZN2at6native29vectorized_elementwise_kernelILi8ENS0_13AUnaryFunctorIaaaZZZNS0_18lshift_kernel_cudaERNS_18TensorIteratorBaseEENKUlvE_clEvENKUlvE0_clEvEUlaaE_EESt5arrayIPcLm2EEEEviT0_T1_, .Lfunc_end25-_ZN2at6native29vectorized_elementwise_kernelILi8ENS0_13AUnaryFunctorIaaaZZZNS0_18lshift_kernel_cudaERNS_18TensorIteratorBaseEENKUlvE_clEvENKUlvE0_clEvEUlaaE_EESt5arrayIPcLm2EEEEviT0_T1_
                                        ; -- End function
	.set _ZN2at6native29vectorized_elementwise_kernelILi8ENS0_13AUnaryFunctorIaaaZZZNS0_18lshift_kernel_cudaERNS_18TensorIteratorBaseEENKUlvE_clEvENKUlvE0_clEvEUlaaE_EESt5arrayIPcLm2EEEEviT0_T1_.num_vgpr, 28
	.set _ZN2at6native29vectorized_elementwise_kernelILi8ENS0_13AUnaryFunctorIaaaZZZNS0_18lshift_kernel_cudaERNS_18TensorIteratorBaseEENKUlvE_clEvENKUlvE0_clEvEUlaaE_EESt5arrayIPcLm2EEEEviT0_T1_.num_agpr, 0
	.set _ZN2at6native29vectorized_elementwise_kernelILi8ENS0_13AUnaryFunctorIaaaZZZNS0_18lshift_kernel_cudaERNS_18TensorIteratorBaseEENKUlvE_clEvENKUlvE0_clEvEUlaaE_EESt5arrayIPcLm2EEEEviT0_T1_.numbered_sgpr, 39
	.set _ZN2at6native29vectorized_elementwise_kernelILi8ENS0_13AUnaryFunctorIaaaZZZNS0_18lshift_kernel_cudaERNS_18TensorIteratorBaseEENKUlvE_clEvENKUlvE0_clEvEUlaaE_EESt5arrayIPcLm2EEEEviT0_T1_.num_named_barrier, 0
	.set _ZN2at6native29vectorized_elementwise_kernelILi8ENS0_13AUnaryFunctorIaaaZZZNS0_18lshift_kernel_cudaERNS_18TensorIteratorBaseEENKUlvE_clEvENKUlvE0_clEvEUlaaE_EESt5arrayIPcLm2EEEEviT0_T1_.private_seg_size, 0
	.set _ZN2at6native29vectorized_elementwise_kernelILi8ENS0_13AUnaryFunctorIaaaZZZNS0_18lshift_kernel_cudaERNS_18TensorIteratorBaseEENKUlvE_clEvENKUlvE0_clEvEUlaaE_EESt5arrayIPcLm2EEEEviT0_T1_.uses_vcc, 1
	.set _ZN2at6native29vectorized_elementwise_kernelILi8ENS0_13AUnaryFunctorIaaaZZZNS0_18lshift_kernel_cudaERNS_18TensorIteratorBaseEENKUlvE_clEvENKUlvE0_clEvEUlaaE_EESt5arrayIPcLm2EEEEviT0_T1_.uses_flat_scratch, 0
	.set _ZN2at6native29vectorized_elementwise_kernelILi8ENS0_13AUnaryFunctorIaaaZZZNS0_18lshift_kernel_cudaERNS_18TensorIteratorBaseEENKUlvE_clEvENKUlvE0_clEvEUlaaE_EESt5arrayIPcLm2EEEEviT0_T1_.has_dyn_sized_stack, 0
	.set _ZN2at6native29vectorized_elementwise_kernelILi8ENS0_13AUnaryFunctorIaaaZZZNS0_18lshift_kernel_cudaERNS_18TensorIteratorBaseEENKUlvE_clEvENKUlvE0_clEvEUlaaE_EESt5arrayIPcLm2EEEEviT0_T1_.has_recursion, 0
	.set _ZN2at6native29vectorized_elementwise_kernelILi8ENS0_13AUnaryFunctorIaaaZZZNS0_18lshift_kernel_cudaERNS_18TensorIteratorBaseEENKUlvE_clEvENKUlvE0_clEvEUlaaE_EESt5arrayIPcLm2EEEEviT0_T1_.has_indirect_call, 0
	.section	.AMDGPU.csdata,"",@progbits
; Kernel info:
; codeLenInByte = 3380
; TotalNumSgprs: 43
; NumVgprs: 28
; ScratchSize: 0
; MemoryBound: 0
; FloatMode: 240
; IeeeMode: 1
; LDSByteSize: 0 bytes/workgroup (compile time only)
; SGPRBlocks: 5
; VGPRBlocks: 6
; NumSGPRsForWavesPerEU: 43
; NumVGPRsForWavesPerEU: 28
; Occupancy: 9
; WaveLimiterHint : 1
; COMPUTE_PGM_RSRC2:SCRATCH_EN: 0
; COMPUTE_PGM_RSRC2:USER_SGPR: 6
; COMPUTE_PGM_RSRC2:TRAP_HANDLER: 0
; COMPUTE_PGM_RSRC2:TGID_X_EN: 1
; COMPUTE_PGM_RSRC2:TGID_Y_EN: 0
; COMPUTE_PGM_RSRC2:TGID_Z_EN: 0
; COMPUTE_PGM_RSRC2:TIDIG_COMP_CNT: 0
	.section	.text._ZN2at6native29vectorized_elementwise_kernelILi4ENS0_13AUnaryFunctorIaaaZZZNS0_18lshift_kernel_cudaERNS_18TensorIteratorBaseEENKUlvE_clEvENKUlvE0_clEvEUlaaE_EESt5arrayIPcLm2EEEEviT0_T1_,"axG",@progbits,_ZN2at6native29vectorized_elementwise_kernelILi4ENS0_13AUnaryFunctorIaaaZZZNS0_18lshift_kernel_cudaERNS_18TensorIteratorBaseEENKUlvE_clEvENKUlvE0_clEvEUlaaE_EESt5arrayIPcLm2EEEEviT0_T1_,comdat
	.globl	_ZN2at6native29vectorized_elementwise_kernelILi4ENS0_13AUnaryFunctorIaaaZZZNS0_18lshift_kernel_cudaERNS_18TensorIteratorBaseEENKUlvE_clEvENKUlvE0_clEvEUlaaE_EESt5arrayIPcLm2EEEEviT0_T1_ ; -- Begin function _ZN2at6native29vectorized_elementwise_kernelILi4ENS0_13AUnaryFunctorIaaaZZZNS0_18lshift_kernel_cudaERNS_18TensorIteratorBaseEENKUlvE_clEvENKUlvE0_clEvEUlaaE_EESt5arrayIPcLm2EEEEviT0_T1_
	.p2align	8
	.type	_ZN2at6native29vectorized_elementwise_kernelILi4ENS0_13AUnaryFunctorIaaaZZZNS0_18lshift_kernel_cudaERNS_18TensorIteratorBaseEENKUlvE_clEvENKUlvE0_clEvEUlaaE_EESt5arrayIPcLm2EEEEviT0_T1_,@function
_ZN2at6native29vectorized_elementwise_kernelILi4ENS0_13AUnaryFunctorIaaaZZZNS0_18lshift_kernel_cudaERNS_18TensorIteratorBaseEENKUlvE_clEvENKUlvE0_clEvEUlaaE_EESt5arrayIPcLm2EEEEviT0_T1_: ; @_ZN2at6native29vectorized_elementwise_kernelILi4ENS0_13AUnaryFunctorIaaaZZZNS0_18lshift_kernel_cudaERNS_18TensorIteratorBaseEENKUlvE_clEvENKUlvE0_clEvEUlaaE_EESt5arrayIPcLm2EEEEviT0_T1_
; %bb.0:
	v_mov_b32_e32 v1, 0
	global_load_ubyte v3, v1, s[4:5] offset:5
	s_load_dword s0, s[4:5], 0x0
	s_load_dwordx4 s[28:31], s[4:5], 0x8
	s_lshl_b32 s33, s6, 12
	s_waitcnt lgkmcnt(0)
	s_sub_i32 s38, s0, s33
	s_cmpk_gt_i32 s38, 0xfff
	s_mov_b64 s[0:1], -1
	s_cbranch_scc0 .LBB26_2
; %bb.1:
	s_ashr_i32 s34, s33, 31
	s_add_u32 s0, s30, s33
	s_addc_u32 s1, s31, s34
	v_lshlrev_b32_e32 v1, 2, v0
	global_load_dword v2, v1, s[0:1]
	global_load_dword v4, v1, s[0:1] offset:1024
	global_load_dword v5, v1, s[0:1] offset:2048
	;; [unrolled: 1-line block ×3, first 2 shown]
	s_brev_b32 s26, 16
	s_waitcnt vmcnt(3)
	v_and_b32_e32 v7, 0xf8, v2
	v_lshlrev_b32_e32 v8, v2, v3
	v_lshrrev_b32_e32 v9, 8, v2
	v_and_b32_e32 v10, 0xf800, v2
	v_and_b32_e32 v11, 0xf80000, v2
	v_lshlrev_b32_sdwa v12, v2, v3 dst_sel:DWORD dst_unused:UNUSED_PAD src0_sel:WORD_1 src1_sel:DWORD
	v_lshlrev_b32_sdwa v13, v2, v3 dst_sel:DWORD dst_unused:UNUSED_PAD src0_sel:BYTE_3 src1_sel:DWORD
	v_cmp_gt_u32_e32 vcc, s26, v2
	s_waitcnt vmcnt(2)
	v_and_b32_e32 v2, 0xf8, v4
	v_and_b32_e32 v17, 0xf80000, v4
	v_cmp_eq_u32_e64 s[8:9], 0, v2
	s_waitcnt vmcnt(1)
	v_and_b32_e32 v2, 0xf80000, v5
	v_lshlrev_b32_e32 v14, v4, v3
	v_lshrrev_b32_e32 v15, 8, v4
	v_and_b32_e32 v16, 0xf800, v4
	v_lshlrev_b32_sdwa v18, v4, v3 dst_sel:DWORD dst_unused:UNUSED_PAD src0_sel:WORD_1 src1_sel:DWORD
	v_lshlrev_b32_sdwa v19, v4, v3 dst_sel:DWORD dst_unused:UNUSED_PAD src0_sel:BYTE_3 src1_sel:DWORD
	v_cmp_gt_u32_e64 s[0:1], s26, v4
	v_and_b32_e32 v4, 0xf8, v5
	v_cmp_eq_u32_e64 s[6:7], 0, v11
	v_and_b32_e32 v11, 0xf800, v5
	v_cmp_eq_u32_e64 s[14:15], 0, v17
	s_waitcnt vmcnt(0)
	v_and_b32_e32 v17, 0xf8, v6
	v_cmp_eq_u32_e64 s[20:21], 0, v2
	v_and_b32_e32 v2, 0xf80000, v6
	v_cmp_eq_u32_e64 s[4:5], 0, v10
	v_lshrrev_b32_e32 v10, 8, v5
	v_cmp_eq_u32_e64 s[10:11], 0, v16
	v_lshlrev_b32_sdwa v16, v5, v3 dst_sel:DWORD dst_unused:UNUSED_PAD src0_sel:BYTE_3 src1_sel:DWORD
	v_cmp_gt_u32_e64 s[12:13], s26, v5
	v_cmp_eq_u32_e64 s[16:17], 0, v4
	v_lshlrev_b32_e32 v4, v6, v3
	v_cmp_eq_u32_e64 s[18:19], 0, v11
	v_lshrrev_b32_e32 v11, 8, v6
	v_cmp_eq_u32_e64 s[22:23], 0, v17
	v_lshlrev_b32_sdwa v17, v6, v3 dst_sel:DWORD dst_unused:UNUSED_PAD src0_sel:WORD_1 src1_sel:DWORD
	v_cmp_eq_u32_e64 s[24:25], 0, v2
	v_lshlrev_b32_sdwa v2, v6, v3 dst_sel:DWORD dst_unused:UNUSED_PAD src0_sel:BYTE_3 src1_sel:DWORD
	v_cmp_gt_u32_e64 s[26:27], s26, v6
	v_and_b32_e32 v6, 0xf800, v6
	v_cmp_eq_u32_e64 s[2:3], 0, v7
	v_lshlrev_b32_e32 v7, v5, v3
	v_lshlrev_b32_e32 v15, v15, v3
	v_lshlrev_b32_sdwa v5, v5, v3 dst_sel:DWORD dst_unused:UNUSED_PAD src0_sel:WORD_1 src1_sel:DWORD
	v_lshlrev_b32_e32 v10, v10, v3
	v_cndmask_b32_e32 v13, 0, v13, vcc
	v_cndmask_b32_e64 v16, 0, v16, s[12:13]
	v_lshlrev_b32_e32 v11, v11, v3
	v_cmp_eq_u32_e32 vcc, 0, v6
	v_cndmask_b32_e64 v19, 0, v19, s[0:1]
	v_cndmask_b32_e64 v5, 0, v5, s[20:21]
	v_cndmask_b32_e64 v2, 0, v2, s[26:27]
	v_cndmask_b32_e64 v15, 0, v15, s[10:11]
	v_cndmask_b32_e64 v10, 0, v10, s[18:19]
	v_cndmask_b32_e32 v6, 0, v11, vcc
	v_lshlrev_b16_e32 v11, 8, v16
	v_lshlrev_b32_e32 v9, v9, v3
	v_cndmask_b32_e64 v14, 0, v14, s[8:9]
	v_cndmask_b32_e64 v18, 0, v18, s[14:15]
	;; [unrolled: 1-line block ×5, first 2 shown]
	v_lshlrev_b16_e32 v2, 8, v2
	v_lshlrev_b16_e32 v16, 8, v19
	v_lshlrev_b16_e32 v6, 8, v6
	v_lshlrev_b16_e32 v10, 8, v10
	v_or_b32_sdwa v5, v5, v11 dst_sel:WORD_1 dst_unused:UNUSED_PAD src0_sel:BYTE_0 src1_sel:DWORD
	v_lshlrev_b16_e32 v11, 8, v15
	v_cndmask_b32_e64 v9, 0, v9, s[4:5]
	v_or_b32_sdwa v2, v17, v2 dst_sel:WORD_1 dst_unused:UNUSED_PAD src0_sel:BYTE_0 src1_sel:DWORD
	v_or_b32_sdwa v15, v18, v16 dst_sel:WORD_1 dst_unused:UNUSED_PAD src0_sel:BYTE_0 src1_sel:DWORD
	v_or_b32_sdwa v4, v4, v6 dst_sel:DWORD dst_unused:UNUSED_PAD src0_sel:BYTE_0 src1_sel:DWORD
	v_or_b32_sdwa v6, v7, v10 dst_sel:DWORD dst_unused:UNUSED_PAD src0_sel:BYTE_0 src1_sel:DWORD
	;; [unrolled: 1-line block ×3, first 2 shown]
	v_cndmask_b32_e64 v8, 0, v8, s[2:3]
	v_cndmask_b32_e64 v12, 0, v12, s[6:7]
	v_lshlrev_b16_e32 v9, 8, v9
	v_or_b32_sdwa v2, v4, v2 dst_sel:DWORD dst_unused:UNUSED_PAD src0_sel:WORD_0 src1_sel:DWORD
	v_or_b32_sdwa v4, v6, v5 dst_sel:DWORD dst_unused:UNUSED_PAD src0_sel:WORD_0 src1_sel:DWORD
	;; [unrolled: 1-line block ×3, first 2 shown]
	v_lshlrev_b16_e32 v7, 8, v13
	v_or_b32_sdwa v6, v8, v9 dst_sel:DWORD dst_unused:UNUSED_PAD src0_sel:BYTE_0 src1_sel:DWORD
	v_or_b32_sdwa v7, v12, v7 dst_sel:WORD_1 dst_unused:UNUSED_PAD src0_sel:BYTE_0 src1_sel:DWORD
	s_add_u32 s0, s28, s33
	v_or_b32_sdwa v6, v6, v7 dst_sel:DWORD dst_unused:UNUSED_PAD src0_sel:WORD_0 src1_sel:DWORD
	s_addc_u32 s1, s29, s34
	global_store_dword v1, v6, s[0:1]
	global_store_dword v1, v5, s[0:1] offset:1024
	global_store_dword v1, v4, s[0:1] offset:2048
	;; [unrolled: 1-line block ×3, first 2 shown]
	s_mov_b64 s[0:1], 0
.LBB26_2:
	s_andn2_b64 vcc, exec, s[0:1]
	s_cbranch_vccnz .LBB26_52
; %bb.3:
	v_cmp_gt_i32_e64 s[0:1], s38, v0
	v_or_b32_e32 v4, 0x100, v0
	v_mov_b32_e32 v6, 0
	v_or_b32_e32 v5, s33, v0
	v_mov_b32_e32 v22, 0
	v_mov_b32_e32 v21, 0
	v_mov_b32_e32 v20, 0
	v_mov_b32_e32 v19, 0
	v_mov_b32_e32 v18, 0
	v_mov_b32_e32 v16, 0
	v_mov_b32_e32 v14, 0
	v_mov_b32_e32 v11, 0
	v_mov_b32_e32 v8, 0
	v_mov_b32_e32 v7, 0
	v_mov_b32_e32 v10, 0
	v_mov_b32_e32 v9, 0
	v_mov_b32_e32 v12, 0
	v_mov_b32_e32 v15, 0
	v_mov_b32_e32 v17, 0
	v_mov_b32_e32 v13, 0
	s_and_saveexec_b64 s[2:3], s[0:1]
	s_cbranch_execz .LBB26_35
; %bb.4:
	global_load_ubyte v13, v5, s[30:31]
	v_cmp_gt_u32_e32 vcc, s38, v4
	v_mov_b32_e32 v17, 0
	v_mov_b32_e32 v15, 0
	;; [unrolled: 1-line block ×15, first 2 shown]
	s_and_saveexec_b64 s[4:5], vcc
	s_cbranch_execz .LBB26_34
; %bb.5:
	v_add_u32_e32 v1, s33, v0
	global_load_ubyte v17, v1, s[30:31] offset:256
	v_or_b32_e32 v2, 0x200, v0
	v_mov_b32_e32 v15, 0
	v_cmp_gt_u32_e32 vcc, s38, v2
	v_mov_b32_e32 v12, 0
	v_mov_b32_e32 v9, 0
	;; [unrolled: 1-line block ×13, first 2 shown]
	s_and_saveexec_b64 s[6:7], vcc
	s_cbranch_execz .LBB26_33
; %bb.6:
	v_mov_b32_e32 v2, s31
	v_add_co_u32_e32 v1, vcc, s30, v1
	v_addc_co_u32_e32 v2, vcc, 0, v2, vcc
	global_load_ubyte v15, v[1:2], off offset:512
	v_or_b32_e32 v7, 0x300, v0
	v_cmp_gt_u32_e32 vcc, s38, v7
	v_mov_b32_e32 v12, 0
	v_mov_b32_e32 v9, 0
	;; [unrolled: 1-line block ×13, first 2 shown]
	s_and_saveexec_b64 s[8:9], vcc
	s_cbranch_execz .LBB26_32
; %bb.7:
	global_load_ubyte v12, v[1:2], off offset:768
	v_or_b32_e32 v7, 0x400, v0
	v_cmp_gt_u32_e32 vcc, s38, v7
	v_mov_b32_e32 v9, 0
	v_mov_b32_e32 v10, 0
	;; [unrolled: 1-line block ×12, first 2 shown]
	s_and_saveexec_b64 s[10:11], vcc
	s_cbranch_execz .LBB26_31
; %bb.8:
	global_load_ubyte v9, v[1:2], off offset:1024
	v_or_b32_e32 v7, 0x500, v0
	v_cmp_gt_u32_e32 vcc, s38, v7
	v_mov_b32_e32 v10, 0
	v_mov_b32_e32 v7, 0
	;; [unrolled: 1-line block ×11, first 2 shown]
	s_and_saveexec_b64 s[12:13], vcc
	s_cbranch_execz .LBB26_30
; %bb.9:
	global_load_ubyte v10, v[1:2], off offset:1280
	v_or_b32_e32 v7, 0x600, v0
	v_cmp_gt_u32_e32 vcc, s38, v7
	v_mov_b32_e32 v7, 0
	v_mov_b32_e32 v8, 0
	;; [unrolled: 1-line block ×10, first 2 shown]
	s_and_saveexec_b64 s[14:15], vcc
	s_cbranch_execz .LBB26_29
; %bb.10:
	global_load_ubyte v7, v[1:2], off offset:1536
	v_or_b32_e32 v8, 0x700, v0
	v_cmp_gt_u32_e32 vcc, s38, v8
	v_mov_b32_e32 v8, 0
	v_mov_b32_e32 v11, 0
	;; [unrolled: 1-line block ×9, first 2 shown]
	s_and_saveexec_b64 s[16:17], vcc
	s_cbranch_execz .LBB26_28
; %bb.11:
	global_load_ubyte v8, v[1:2], off offset:1792
	v_or_b32_e32 v11, 0x800, v0
	v_cmp_gt_u32_e32 vcc, s38, v11
	v_mov_b32_e32 v11, 0
	v_mov_b32_e32 v14, 0
	;; [unrolled: 1-line block ×8, first 2 shown]
	s_and_saveexec_b64 s[18:19], vcc
	s_cbranch_execz .LBB26_27
; %bb.12:
	global_load_ubyte v11, v[1:2], off offset:2048
	v_or_b32_e32 v14, 0x900, v0
	v_cmp_gt_u32_e32 vcc, s38, v14
	v_mov_b32_e32 v14, 0
	v_mov_b32_e32 v16, 0
	v_mov_b32_e32 v18, 0
	v_mov_b32_e32 v19, 0
	v_mov_b32_e32 v20, 0
	v_mov_b32_e32 v21, 0
	v_mov_b32_e32 v22, 0
	s_and_saveexec_b64 s[20:21], vcc
	s_cbranch_execz .LBB26_26
; %bb.13:
	global_load_ubyte v14, v[1:2], off offset:2304
	v_or_b32_e32 v16, 0xa00, v0
	v_cmp_gt_u32_e32 vcc, s38, v16
	v_mov_b32_e32 v16, 0
	v_mov_b32_e32 v18, 0
	;; [unrolled: 1-line block ×6, first 2 shown]
	s_and_saveexec_b64 s[22:23], vcc
	s_cbranch_execz .LBB26_25
; %bb.14:
	global_load_ubyte v16, v[1:2], off offset:2560
	v_or_b32_e32 v18, 0xb00, v0
	v_cmp_gt_u32_e32 vcc, s38, v18
	v_mov_b32_e32 v18, 0
	v_mov_b32_e32 v19, 0
	;; [unrolled: 1-line block ×5, first 2 shown]
	s_and_saveexec_b64 s[24:25], vcc
	s_cbranch_execz .LBB26_24
; %bb.15:
	global_load_ubyte v18, v[1:2], off offset:2816
	v_or_b32_e32 v19, 0xc00, v0
	v_cmp_gt_u32_e32 vcc, s38, v19
	v_mov_b32_e32 v19, 0
	v_mov_b32_e32 v20, 0
	;; [unrolled: 1-line block ×4, first 2 shown]
	s_and_saveexec_b64 s[26:27], vcc
	s_cbranch_execz .LBB26_23
; %bb.16:
	global_load_ubyte v19, v[1:2], off offset:3072
	v_or_b32_e32 v20, 0xd00, v0
	v_cmp_gt_u32_e32 vcc, s38, v20
	v_mov_b32_e32 v20, 0
	v_mov_b32_e32 v21, 0
	;; [unrolled: 1-line block ×3, first 2 shown]
	s_and_saveexec_b64 s[30:31], vcc
	s_cbranch_execz .LBB26_22
; %bb.17:
	global_load_ubyte v20, v[1:2], off offset:3328
	v_or_b32_e32 v21, 0xe00, v0
	v_cmp_gt_u32_e32 vcc, s38, v21
	v_mov_b32_e32 v21, 0
	v_mov_b32_e32 v22, 0
	s_and_saveexec_b64 s[34:35], vcc
	s_cbranch_execz .LBB26_21
; %bb.18:
	global_load_ubyte v21, v[1:2], off offset:3584
	v_or_b32_e32 v22, 0xf00, v0
	v_cmp_gt_u32_e32 vcc, s38, v22
	v_mov_b32_e32 v22, 0
	s_and_saveexec_b64 s[36:37], vcc
	s_cbranch_execz .LBB26_20
; %bb.19:
	global_load_ubyte v22, v[1:2], off offset:3840
.LBB26_20:
	s_or_b64 exec, exec, s[36:37]
.LBB26_21:
	s_or_b64 exec, exec, s[34:35]
.LBB26_22:
	s_or_b64 exec, exec, s[30:31]
.LBB26_23:
	s_or_b64 exec, exec, s[26:27]
.LBB26_24:
	s_or_b64 exec, exec, s[24:25]
.LBB26_25:
	s_or_b64 exec, exec, s[22:23]
.LBB26_26:
	s_or_b64 exec, exec, s[20:21]
.LBB26_27:
	s_or_b64 exec, exec, s[18:19]
.LBB26_28:
	s_or_b64 exec, exec, s[16:17]
.LBB26_29:
	s_or_b64 exec, exec, s[14:15]
.LBB26_30:
	s_or_b64 exec, exec, s[12:13]
.LBB26_31:
	s_or_b64 exec, exec, s[10:11]
.LBB26_32:
	s_or_b64 exec, exec, s[8:9]
.LBB26_33:
	s_or_b64 exec, exec, s[6:7]
.LBB26_34:
	s_or_b64 exec, exec, s[4:5]
.LBB26_35:
	s_or_b64 exec, exec, s[2:3]
	v_mov_b32_e32 v1, 8
	s_waitcnt vmcnt(0)
	v_lshlrev_b32_e32 v2, v17, v3
	v_cmp_lt_u16_sdwa vcc, v17, v1 src0_sel:BYTE_0 src1_sel:DWORD
	v_lshlrev_b32_e32 v17, v13, v3
	v_cmp_lt_u16_sdwa s[2:3], v13, v1 src0_sel:BYTE_0 src1_sel:DWORD
	v_cndmask_b32_e64 v13, 0, v17, s[2:3]
	s_mov_b32 s2, 0xffff
	v_and_b32_sdwa v13, s2, v13 dst_sel:DWORD dst_unused:UNUSED_PAD src0_sel:DWORD src1_sel:BYTE_0
	v_cndmask_b32_e32 v2, 0, v2, vcc
	v_cndmask_b32_e64 v13, 0, v13, s[0:1]
	v_lshlrev_b16_e32 v2, 8, v2
	v_or_b32_e32 v2, v13, v2
	v_and_b32_e32 v2, 0xffff, v2
	v_cmp_gt_i32_e32 vcc, s38, v4
	v_cndmask_b32_e32 v2, v13, v2, vcc
	v_lshlrev_b32_e32 v13, v15, v3
	v_cmp_lt_u16_sdwa vcc, v15, v1 src0_sel:BYTE_0 src1_sel:DWORD
	v_cndmask_b32_e32 v13, 0, v13, vcc
	s_mov_b32 s3, 0xc0c0304
	v_perm_b32 v13, v13, v2, s3
	v_or_b32_e32 v15, 0x200, v0
	v_lshl_or_b32 v13, v13, 16, v2
	v_cmp_gt_i32_e32 vcc, s38, v15
	v_cndmask_b32_e32 v2, v2, v13, vcc
	v_lshlrev_b32_e32 v13, v12, v3
	v_cmp_lt_u16_sdwa vcc, v12, v1 src0_sel:BYTE_0 src1_sel:DWORD
	s_movk_i32 s4, 0xff
	v_cndmask_b32_e32 v13, 0, v13, vcc
	v_and_b32_sdwa v12, v2, s4 dst_sel:DWORD dst_unused:UNUSED_PAD src0_sel:WORD_1 src1_sel:DWORD
	v_lshlrev_b16_e32 v13, 8, v13
	v_or_b32_sdwa v12, v12, v13 dst_sel:WORD_1 dst_unused:UNUSED_PAD src0_sel:DWORD src1_sel:DWORD
	v_or_b32_e32 v13, 0x300, v0
	v_and_or_b32 v12, v2, s2, v12
	v_cmp_gt_i32_e32 vcc, s38, v13
	v_cndmask_b32_e32 v12, v2, v12, vcc
	v_lshlrev_b32_e32 v2, v9, v3
	v_cmp_lt_u16_sdwa vcc, v9, v1 src0_sel:BYTE_0 src1_sel:DWORD
	v_cndmask_b32_e32 v2, 0, v2, vcc
	s_mov_b32 s5, 0x3020104
	v_or_b32_e32 v9, 0x400, v0
	v_perm_b32 v2, v2, 0, s5
	v_cmp_gt_i32_e32 vcc, s38, v9
	v_cndmask_b32_e32 v2, 0, v2, vcc
	v_lshlrev_b32_e32 v9, v10, v3
	v_cmp_lt_u16_sdwa vcc, v10, v1 src0_sel:BYTE_0 src1_sel:DWORD
	v_cndmask_b32_e32 v9, 0, v9, vcc
	v_lshlrev_b16_e32 v9, 8, v9
	v_or_b32_sdwa v9, v2, v9 dst_sel:DWORD dst_unused:UNUSED_PAD src0_sel:BYTE_0 src1_sel:DWORD
	v_and_b32_e32 v9, 0xffff, v9
	s_mov_b32 s6, 0xffff0000
	v_or_b32_e32 v10, 0x500, v0
	v_and_or_b32 v9, v2, s6, v9
	v_cmp_gt_i32_e32 vcc, s38, v10
	v_cndmask_b32_e32 v2, v2, v9, vcc
	v_lshlrev_b32_e32 v10, v7, v3
	v_cmp_lt_u16_sdwa vcc, v7, v1 src0_sel:BYTE_0 src1_sel:DWORD
	v_or_b32_e32 v9, 0x600, v0
	v_cndmask_b32_e32 v7, 0, v10, vcc
	s_mov_b32 s7, 0x7000504
	v_perm_b32 v7, v2, v7, s7
	v_cmp_gt_i32_e32 vcc, s38, v9
	v_cndmask_b32_e32 v2, v2, v7, vcc
	v_lshlrev_b32_e32 v10, v8, v3
	v_cmp_lt_u16_sdwa vcc, v8, v1 src0_sel:BYTE_0 src1_sel:DWORD
	v_cndmask_b32_e32 v8, 0, v10, vcc
	v_and_b32_sdwa v7, v2, s4 dst_sel:DWORD dst_unused:UNUSED_PAD src0_sel:WORD_1 src1_sel:DWORD
	v_lshlrev_b16_e32 v8, 8, v8
	v_or_b32_e32 v9, 0x700, v0
	v_or_b32_sdwa v7, v7, v8 dst_sel:WORD_1 dst_unused:UNUSED_PAD src0_sel:DWORD src1_sel:DWORD
	v_and_or_b32 v7, v2, s2, v7
	v_cmp_gt_i32_e32 vcc, s38, v9
	v_cndmask_b32_e32 v7, v2, v7, vcc
	v_lshlrev_b32_e32 v8, v11, v3
	v_cmp_lt_u16_sdwa vcc, v11, v1 src0_sel:BYTE_0 src1_sel:DWORD
	v_or_b32_e32 v2, 0x800, v0
	v_cndmask_b32_e32 v8, 0, v8, vcc
	v_and_b32_sdwa v8, s2, v8 dst_sel:DWORD dst_unused:UNUSED_PAD src0_sel:DWORD src1_sel:BYTE_0
	v_cmp_gt_i32_e32 vcc, s38, v2
	v_cndmask_b32_e32 v2, 0, v8, vcc
	v_lshlrev_b32_e32 v9, v14, v3
	v_cmp_lt_u16_sdwa vcc, v14, v1 src0_sel:BYTE_0 src1_sel:DWORD
	v_cndmask_b32_e32 v9, 0, v9, vcc
	v_lshlrev_b16_e32 v9, 8, v9
	v_or_b32_e32 v8, 0x900, v0
	v_or_b32_e32 v9, v2, v9
	v_and_b32_e32 v9, 0xffff, v9
	v_cmp_gt_i32_e32 vcc, s38, v8
	v_cndmask_b32_e32 v2, v2, v9, vcc
	v_lshlrev_b32_e32 v9, v16, v3
	v_cmp_lt_u16_sdwa vcc, v16, v1 src0_sel:BYTE_0 src1_sel:DWORD
	v_cndmask_b32_e32 v9, 0, v9, vcc
	v_or_b32_e32 v8, 0xa00, v0
	v_perm_b32 v9, v9, v2, s3
	v_lshl_or_b32 v9, v9, 16, v2
	v_cmp_gt_i32_e32 vcc, s38, v8
	v_cndmask_b32_e32 v2, v2, v9, vcc
	v_lshlrev_b32_e32 v10, v18, v3
	v_cmp_lt_u16_sdwa vcc, v18, v1 src0_sel:BYTE_0 src1_sel:DWORD
	v_cndmask_b32_e32 v10, 0, v10, vcc
	v_and_b32_sdwa v8, v2, s4 dst_sel:DWORD dst_unused:UNUSED_PAD src0_sel:WORD_1 src1_sel:DWORD
	v_lshlrev_b16_e32 v10, 8, v10
	v_or_b32_e32 v9, 0xb00, v0
	v_or_b32_sdwa v8, v8, v10 dst_sel:WORD_1 dst_unused:UNUSED_PAD src0_sel:DWORD src1_sel:DWORD
	v_and_or_b32 v8, v2, s2, v8
	v_cmp_gt_i32_e32 vcc, s38, v9
	v_cndmask_b32_e32 v2, v2, v8, vcc
	v_lshlrev_b32_e32 v8, v19, v3
	v_cmp_lt_u16_sdwa vcc, v19, v1 src0_sel:BYTE_0 src1_sel:DWORD
	v_cndmask_b32_e32 v8, 0, v8, vcc
	v_or_b32_e32 v9, 0xc00, v0
	v_perm_b32 v8, v8, 0, s5
	v_cmp_gt_i32_e32 vcc, s38, v9
	v_cndmask_b32_e32 v8, 0, v8, vcc
	v_lshlrev_b32_e32 v9, v20, v3
	v_cmp_lt_u16_sdwa vcc, v20, v1 src0_sel:BYTE_0 src1_sel:DWORD
	v_cndmask_b32_e32 v9, 0, v9, vcc
	v_lshlrev_b16_e32 v9, 8, v9
	v_or_b32_sdwa v9, v8, v9 dst_sel:DWORD dst_unused:UNUSED_PAD src0_sel:BYTE_0 src1_sel:DWORD
	v_and_b32_e32 v9, 0xffff, v9
	v_or_b32_e32 v10, 0xd00, v0
	v_and_or_b32 v9, v8, s6, v9
	v_cmp_gt_i32_e32 vcc, s38, v10
	v_cndmask_b32_e32 v8, v8, v9, vcc
	v_lshlrev_b32_e32 v10, v21, v3
	v_cmp_lt_u16_sdwa vcc, v21, v1 src0_sel:BYTE_0 src1_sel:DWORD
	v_or_b32_e32 v9, 0xe00, v0
	v_cndmask_b32_e32 v10, 0, v10, vcc
	v_perm_b32 v10, v8, v10, s7
	v_cmp_gt_i32_e32 vcc, s38, v9
	v_cndmask_b32_e32 v8, v8, v10, vcc
	v_lshlrev_b32_e32 v3, v22, v3
	v_cmp_lt_u16_sdwa vcc, v22, v1 src0_sel:BYTE_0 src1_sel:DWORD
	v_and_b32_sdwa v9, v8, s4 dst_sel:DWORD dst_unused:UNUSED_PAD src0_sel:WORD_1 src1_sel:DWORD
	v_cndmask_b32_sdwa v1, v6, v3, vcc dst_sel:BYTE_1 dst_unused:UNUSED_PAD src0_sel:DWORD src1_sel:DWORD
	v_or_b32_e32 v10, 0xf00, v0
	v_or_b32_sdwa v1, v9, v1 dst_sel:WORD_1 dst_unused:UNUSED_PAD src0_sel:DWORD src1_sel:DWORD
	v_and_or_b32 v1, v8, s2, v1
	v_cmp_gt_i32_e32 vcc, s38, v10
	v_cndmask_b32_e32 v1, v8, v1, vcc
	s_and_saveexec_b64 s[2:3], s[0:1]
	s_cbranch_execnz .LBB26_53
; %bb.36:
	s_or_b64 exec, exec, s[2:3]
	v_cmp_gt_i32_e32 vcc, s38, v0
	s_and_saveexec_b64 s[0:1], vcc
	s_cbranch_execnz .LBB26_54
.LBB26_37:
	s_or_b64 exec, exec, s[0:1]
	v_cmp_gt_i32_e32 vcc, s38, v0
	s_and_saveexec_b64 s[0:1], vcc
	s_cbranch_execnz .LBB26_55
.LBB26_38:
	s_or_b64 exec, exec, s[0:1]
	v_cmp_gt_i32_e32 vcc, s38, v0
	s_and_saveexec_b64 s[0:1], vcc
	s_cbranch_execnz .LBB26_56
.LBB26_39:
	s_or_b64 exec, exec, s[0:1]
	v_cmp_gt_i32_e32 vcc, s38, v0
	s_and_saveexec_b64 s[0:1], vcc
	s_cbranch_execnz .LBB26_57
.LBB26_40:
	s_or_b64 exec, exec, s[0:1]
	v_cmp_gt_i32_e32 vcc, s38, v0
	s_and_saveexec_b64 s[0:1], vcc
	s_cbranch_execnz .LBB26_58
.LBB26_41:
	s_or_b64 exec, exec, s[0:1]
	v_cmp_gt_i32_e32 vcc, s38, v0
	s_and_saveexec_b64 s[0:1], vcc
	s_cbranch_execnz .LBB26_59
.LBB26_42:
	s_or_b64 exec, exec, s[0:1]
	v_cmp_gt_i32_e32 vcc, s38, v0
	s_and_saveexec_b64 s[0:1], vcc
	s_cbranch_execnz .LBB26_60
.LBB26_43:
	s_or_b64 exec, exec, s[0:1]
	v_cmp_gt_i32_e32 vcc, s38, v0
	s_and_saveexec_b64 s[0:1], vcc
	s_cbranch_execnz .LBB26_61
.LBB26_44:
	s_or_b64 exec, exec, s[0:1]
	v_cmp_gt_i32_e32 vcc, s38, v0
	s_and_saveexec_b64 s[0:1], vcc
	s_cbranch_execnz .LBB26_62
.LBB26_45:
	s_or_b64 exec, exec, s[0:1]
	v_cmp_gt_i32_e32 vcc, s38, v0
	s_and_saveexec_b64 s[0:1], vcc
	s_cbranch_execnz .LBB26_63
.LBB26_46:
	s_or_b64 exec, exec, s[0:1]
	v_cmp_gt_i32_e32 vcc, s38, v0
	s_and_saveexec_b64 s[0:1], vcc
	s_cbranch_execnz .LBB26_64
.LBB26_47:
	s_or_b64 exec, exec, s[0:1]
	v_cmp_gt_i32_e32 vcc, s38, v0
	s_and_saveexec_b64 s[0:1], vcc
	s_cbranch_execnz .LBB26_65
.LBB26_48:
	s_or_b64 exec, exec, s[0:1]
	v_cmp_gt_i32_e32 vcc, s38, v0
	s_and_saveexec_b64 s[0:1], vcc
	s_cbranch_execnz .LBB26_66
.LBB26_49:
	s_or_b64 exec, exec, s[0:1]
	v_cmp_gt_i32_e32 vcc, s38, v0
	s_and_saveexec_b64 s[0:1], vcc
	s_cbranch_execnz .LBB26_67
.LBB26_50:
	s_or_b64 exec, exec, s[0:1]
	v_cmp_gt_i32_e32 vcc, s38, v0
	s_and_saveexec_b64 s[0:1], vcc
	s_cbranch_execz .LBB26_52
.LBB26_51:
	v_lshrrev_b32_e32 v1, 24, v1
	v_add_u32_e32 v0, s33, v0
	global_store_byte v0, v1, s[28:29]
.LBB26_52:
	s_endpgm
.LBB26_53:
	v_mov_b32_e32 v0, v4
	global_store_byte v5, v12, s[28:29]
	s_or_b64 exec, exec, s[2:3]
	v_cmp_gt_i32_e32 vcc, s38, v0
	s_and_saveexec_b64 s[0:1], vcc
	s_cbranch_execz .LBB26_37
.LBB26_54:
	v_lshrrev_b32_e32 v3, 8, v12
	v_add_u32_e32 v4, s33, v0
	v_add_u32_e32 v0, 0x100, v0
	global_store_byte v4, v3, s[28:29]
	s_or_b64 exec, exec, s[0:1]
	v_cmp_gt_i32_e32 vcc, s38, v0
	s_and_saveexec_b64 s[0:1], vcc
	s_cbranch_execz .LBB26_38
.LBB26_55:
	v_add_u32_e32 v3, s33, v0
	v_add_u32_e32 v0, 0x100, v0
	global_store_byte_d16_hi v3, v12, s[28:29]
	s_or_b64 exec, exec, s[0:1]
	v_cmp_gt_i32_e32 vcc, s38, v0
	s_and_saveexec_b64 s[0:1], vcc
	s_cbranch_execz .LBB26_39
.LBB26_56:
	v_lshrrev_b32_e32 v3, 24, v12
	v_add_u32_e32 v4, s33, v0
	v_add_u32_e32 v0, 0x100, v0
	global_store_byte v4, v3, s[28:29]
	s_or_b64 exec, exec, s[0:1]
	v_cmp_gt_i32_e32 vcc, s38, v0
	s_and_saveexec_b64 s[0:1], vcc
	s_cbranch_execz .LBB26_40
.LBB26_57:
	v_add_u32_e32 v3, s33, v0
	v_add_u32_e32 v0, 0x100, v0
	global_store_byte v3, v7, s[28:29]
	s_or_b64 exec, exec, s[0:1]
	v_cmp_gt_i32_e32 vcc, s38, v0
	s_and_saveexec_b64 s[0:1], vcc
	s_cbranch_execz .LBB26_41
.LBB26_58:
	v_lshrrev_b32_e32 v3, 8, v7
	v_add_u32_e32 v4, s33, v0
	v_add_u32_e32 v0, 0x100, v0
	global_store_byte v4, v3, s[28:29]
	s_or_b64 exec, exec, s[0:1]
	v_cmp_gt_i32_e32 vcc, s38, v0
	s_and_saveexec_b64 s[0:1], vcc
	s_cbranch_execz .LBB26_42
.LBB26_59:
	v_add_u32_e32 v3, s33, v0
	v_add_u32_e32 v0, 0x100, v0
	global_store_byte_d16_hi v3, v7, s[28:29]
	s_or_b64 exec, exec, s[0:1]
	v_cmp_gt_i32_e32 vcc, s38, v0
	s_and_saveexec_b64 s[0:1], vcc
	s_cbranch_execz .LBB26_43
.LBB26_60:
	v_lshrrev_b32_e32 v3, 24, v7
	v_add_u32_e32 v4, s33, v0
	v_add_u32_e32 v0, 0x100, v0
	global_store_byte v4, v3, s[28:29]
	s_or_b64 exec, exec, s[0:1]
	v_cmp_gt_i32_e32 vcc, s38, v0
	s_and_saveexec_b64 s[0:1], vcc
	s_cbranch_execz .LBB26_44
.LBB26_61:
	v_add_u32_e32 v3, s33, v0
	v_add_u32_e32 v0, 0x100, v0
	global_store_byte v3, v2, s[28:29]
	s_or_b64 exec, exec, s[0:1]
	v_cmp_gt_i32_e32 vcc, s38, v0
	s_and_saveexec_b64 s[0:1], vcc
	s_cbranch_execz .LBB26_45
.LBB26_62:
	v_lshrrev_b32_e32 v3, 8, v2
	v_add_u32_e32 v4, s33, v0
	v_add_u32_e32 v0, 0x100, v0
	global_store_byte v4, v3, s[28:29]
	s_or_b64 exec, exec, s[0:1]
	v_cmp_gt_i32_e32 vcc, s38, v0
	s_and_saveexec_b64 s[0:1], vcc
	s_cbranch_execz .LBB26_46
.LBB26_63:
	v_add_u32_e32 v3, s33, v0
	v_add_u32_e32 v0, 0x100, v0
	global_store_byte_d16_hi v3, v2, s[28:29]
	s_or_b64 exec, exec, s[0:1]
	v_cmp_gt_i32_e32 vcc, s38, v0
	s_and_saveexec_b64 s[0:1], vcc
	s_cbranch_execz .LBB26_47
.LBB26_64:
	v_lshrrev_b32_e32 v2, 24, v2
	v_add_u32_e32 v3, s33, v0
	v_add_u32_e32 v0, 0x100, v0
	global_store_byte v3, v2, s[28:29]
	s_or_b64 exec, exec, s[0:1]
	v_cmp_gt_i32_e32 vcc, s38, v0
	s_and_saveexec_b64 s[0:1], vcc
	s_cbranch_execz .LBB26_48
.LBB26_65:
	v_add_u32_e32 v2, s33, v0
	v_add_u32_e32 v0, 0x100, v0
	global_store_byte v2, v1, s[28:29]
	s_or_b64 exec, exec, s[0:1]
	v_cmp_gt_i32_e32 vcc, s38, v0
	s_and_saveexec_b64 s[0:1], vcc
	s_cbranch_execz .LBB26_49
.LBB26_66:
	v_lshrrev_b32_e32 v2, 8, v1
	v_add_u32_e32 v3, s33, v0
	v_add_u32_e32 v0, 0x100, v0
	global_store_byte v3, v2, s[28:29]
	s_or_b64 exec, exec, s[0:1]
	v_cmp_gt_i32_e32 vcc, s38, v0
	s_and_saveexec_b64 s[0:1], vcc
	s_cbranch_execz .LBB26_50
.LBB26_67:
	v_add_u32_e32 v2, s33, v0
	v_add_u32_e32 v0, 0x100, v0
	global_store_byte_d16_hi v2, v1, s[28:29]
	s_or_b64 exec, exec, s[0:1]
	v_cmp_gt_i32_e32 vcc, s38, v0
	s_and_saveexec_b64 s[0:1], vcc
	s_cbranch_execnz .LBB26_51
	s_branch .LBB26_52
	.section	.rodata,"a",@progbits
	.p2align	6, 0x0
	.amdhsa_kernel _ZN2at6native29vectorized_elementwise_kernelILi4ENS0_13AUnaryFunctorIaaaZZZNS0_18lshift_kernel_cudaERNS_18TensorIteratorBaseEENKUlvE_clEvENKUlvE0_clEvEUlaaE_EESt5arrayIPcLm2EEEEviT0_T1_
		.amdhsa_group_segment_fixed_size 0
		.amdhsa_private_segment_fixed_size 0
		.amdhsa_kernarg_size 24
		.amdhsa_user_sgpr_count 6
		.amdhsa_user_sgpr_private_segment_buffer 1
		.amdhsa_user_sgpr_dispatch_ptr 0
		.amdhsa_user_sgpr_queue_ptr 0
		.amdhsa_user_sgpr_kernarg_segment_ptr 1
		.amdhsa_user_sgpr_dispatch_id 0
		.amdhsa_user_sgpr_flat_scratch_init 0
		.amdhsa_user_sgpr_private_segment_size 0
		.amdhsa_uses_dynamic_stack 0
		.amdhsa_system_sgpr_private_segment_wavefront_offset 0
		.amdhsa_system_sgpr_workgroup_id_x 1
		.amdhsa_system_sgpr_workgroup_id_y 0
		.amdhsa_system_sgpr_workgroup_id_z 0
		.amdhsa_system_sgpr_workgroup_info 0
		.amdhsa_system_vgpr_workitem_id 0
		.amdhsa_next_free_vgpr 23
		.amdhsa_next_free_sgpr 39
		.amdhsa_reserve_vcc 1
		.amdhsa_reserve_flat_scratch 0
		.amdhsa_float_round_mode_32 0
		.amdhsa_float_round_mode_16_64 0
		.amdhsa_float_denorm_mode_32 3
		.amdhsa_float_denorm_mode_16_64 3
		.amdhsa_dx10_clamp 1
		.amdhsa_ieee_mode 1
		.amdhsa_fp16_overflow 0
		.amdhsa_exception_fp_ieee_invalid_op 0
		.amdhsa_exception_fp_denorm_src 0
		.amdhsa_exception_fp_ieee_div_zero 0
		.amdhsa_exception_fp_ieee_overflow 0
		.amdhsa_exception_fp_ieee_underflow 0
		.amdhsa_exception_fp_ieee_inexact 0
		.amdhsa_exception_int_div_zero 0
	.end_amdhsa_kernel
	.section	.text._ZN2at6native29vectorized_elementwise_kernelILi4ENS0_13AUnaryFunctorIaaaZZZNS0_18lshift_kernel_cudaERNS_18TensorIteratorBaseEENKUlvE_clEvENKUlvE0_clEvEUlaaE_EESt5arrayIPcLm2EEEEviT0_T1_,"axG",@progbits,_ZN2at6native29vectorized_elementwise_kernelILi4ENS0_13AUnaryFunctorIaaaZZZNS0_18lshift_kernel_cudaERNS_18TensorIteratorBaseEENKUlvE_clEvENKUlvE0_clEvEUlaaE_EESt5arrayIPcLm2EEEEviT0_T1_,comdat
.Lfunc_end26:
	.size	_ZN2at6native29vectorized_elementwise_kernelILi4ENS0_13AUnaryFunctorIaaaZZZNS0_18lshift_kernel_cudaERNS_18TensorIteratorBaseEENKUlvE_clEvENKUlvE0_clEvEUlaaE_EESt5arrayIPcLm2EEEEviT0_T1_, .Lfunc_end26-_ZN2at6native29vectorized_elementwise_kernelILi4ENS0_13AUnaryFunctorIaaaZZZNS0_18lshift_kernel_cudaERNS_18TensorIteratorBaseEENKUlvE_clEvENKUlvE0_clEvEUlaaE_EESt5arrayIPcLm2EEEEviT0_T1_
                                        ; -- End function
	.set _ZN2at6native29vectorized_elementwise_kernelILi4ENS0_13AUnaryFunctorIaaaZZZNS0_18lshift_kernel_cudaERNS_18TensorIteratorBaseEENKUlvE_clEvENKUlvE0_clEvEUlaaE_EESt5arrayIPcLm2EEEEviT0_T1_.num_vgpr, 23
	.set _ZN2at6native29vectorized_elementwise_kernelILi4ENS0_13AUnaryFunctorIaaaZZZNS0_18lshift_kernel_cudaERNS_18TensorIteratorBaseEENKUlvE_clEvENKUlvE0_clEvEUlaaE_EESt5arrayIPcLm2EEEEviT0_T1_.num_agpr, 0
	.set _ZN2at6native29vectorized_elementwise_kernelILi4ENS0_13AUnaryFunctorIaaaZZZNS0_18lshift_kernel_cudaERNS_18TensorIteratorBaseEENKUlvE_clEvENKUlvE0_clEvEUlaaE_EESt5arrayIPcLm2EEEEviT0_T1_.numbered_sgpr, 39
	.set _ZN2at6native29vectorized_elementwise_kernelILi4ENS0_13AUnaryFunctorIaaaZZZNS0_18lshift_kernel_cudaERNS_18TensorIteratorBaseEENKUlvE_clEvENKUlvE0_clEvEUlaaE_EESt5arrayIPcLm2EEEEviT0_T1_.num_named_barrier, 0
	.set _ZN2at6native29vectorized_elementwise_kernelILi4ENS0_13AUnaryFunctorIaaaZZZNS0_18lshift_kernel_cudaERNS_18TensorIteratorBaseEENKUlvE_clEvENKUlvE0_clEvEUlaaE_EESt5arrayIPcLm2EEEEviT0_T1_.private_seg_size, 0
	.set _ZN2at6native29vectorized_elementwise_kernelILi4ENS0_13AUnaryFunctorIaaaZZZNS0_18lshift_kernel_cudaERNS_18TensorIteratorBaseEENKUlvE_clEvENKUlvE0_clEvEUlaaE_EESt5arrayIPcLm2EEEEviT0_T1_.uses_vcc, 1
	.set _ZN2at6native29vectorized_elementwise_kernelILi4ENS0_13AUnaryFunctorIaaaZZZNS0_18lshift_kernel_cudaERNS_18TensorIteratorBaseEENKUlvE_clEvENKUlvE0_clEvEUlaaE_EESt5arrayIPcLm2EEEEviT0_T1_.uses_flat_scratch, 0
	.set _ZN2at6native29vectorized_elementwise_kernelILi4ENS0_13AUnaryFunctorIaaaZZZNS0_18lshift_kernel_cudaERNS_18TensorIteratorBaseEENKUlvE_clEvENKUlvE0_clEvEUlaaE_EESt5arrayIPcLm2EEEEviT0_T1_.has_dyn_sized_stack, 0
	.set _ZN2at6native29vectorized_elementwise_kernelILi4ENS0_13AUnaryFunctorIaaaZZZNS0_18lshift_kernel_cudaERNS_18TensorIteratorBaseEENKUlvE_clEvENKUlvE0_clEvEUlaaE_EESt5arrayIPcLm2EEEEviT0_T1_.has_recursion, 0
	.set _ZN2at6native29vectorized_elementwise_kernelILi4ENS0_13AUnaryFunctorIaaaZZZNS0_18lshift_kernel_cudaERNS_18TensorIteratorBaseEENKUlvE_clEvENKUlvE0_clEvEUlaaE_EESt5arrayIPcLm2EEEEviT0_T1_.has_indirect_call, 0
	.section	.AMDGPU.csdata,"",@progbits
; Kernel info:
; codeLenInByte = 3488
; TotalNumSgprs: 43
; NumVgprs: 23
; ScratchSize: 0
; MemoryBound: 0
; FloatMode: 240
; IeeeMode: 1
; LDSByteSize: 0 bytes/workgroup (compile time only)
; SGPRBlocks: 5
; VGPRBlocks: 5
; NumSGPRsForWavesPerEU: 43
; NumVGPRsForWavesPerEU: 23
; Occupancy: 10
; WaveLimiterHint : 1
; COMPUTE_PGM_RSRC2:SCRATCH_EN: 0
; COMPUTE_PGM_RSRC2:USER_SGPR: 6
; COMPUTE_PGM_RSRC2:TRAP_HANDLER: 0
; COMPUTE_PGM_RSRC2:TGID_X_EN: 1
; COMPUTE_PGM_RSRC2:TGID_Y_EN: 0
; COMPUTE_PGM_RSRC2:TGID_Z_EN: 0
; COMPUTE_PGM_RSRC2:TIDIG_COMP_CNT: 0
	.section	.text._ZN2at6native29vectorized_elementwise_kernelILi2ENS0_13AUnaryFunctorIaaaZZZNS0_18lshift_kernel_cudaERNS_18TensorIteratorBaseEENKUlvE_clEvENKUlvE0_clEvEUlaaE_EESt5arrayIPcLm2EEEEviT0_T1_,"axG",@progbits,_ZN2at6native29vectorized_elementwise_kernelILi2ENS0_13AUnaryFunctorIaaaZZZNS0_18lshift_kernel_cudaERNS_18TensorIteratorBaseEENKUlvE_clEvENKUlvE0_clEvEUlaaE_EESt5arrayIPcLm2EEEEviT0_T1_,comdat
	.globl	_ZN2at6native29vectorized_elementwise_kernelILi2ENS0_13AUnaryFunctorIaaaZZZNS0_18lshift_kernel_cudaERNS_18TensorIteratorBaseEENKUlvE_clEvENKUlvE0_clEvEUlaaE_EESt5arrayIPcLm2EEEEviT0_T1_ ; -- Begin function _ZN2at6native29vectorized_elementwise_kernelILi2ENS0_13AUnaryFunctorIaaaZZZNS0_18lshift_kernel_cudaERNS_18TensorIteratorBaseEENKUlvE_clEvENKUlvE0_clEvEUlaaE_EESt5arrayIPcLm2EEEEviT0_T1_
	.p2align	8
	.type	_ZN2at6native29vectorized_elementwise_kernelILi2ENS0_13AUnaryFunctorIaaaZZZNS0_18lshift_kernel_cudaERNS_18TensorIteratorBaseEENKUlvE_clEvENKUlvE0_clEvEUlaaE_EESt5arrayIPcLm2EEEEviT0_T1_,@function
_ZN2at6native29vectorized_elementwise_kernelILi2ENS0_13AUnaryFunctorIaaaZZZNS0_18lshift_kernel_cudaERNS_18TensorIteratorBaseEENKUlvE_clEvENKUlvE0_clEvEUlaaE_EESt5arrayIPcLm2EEEEviT0_T1_: ; @_ZN2at6native29vectorized_elementwise_kernelILi2ENS0_13AUnaryFunctorIaaaZZZNS0_18lshift_kernel_cudaERNS_18TensorIteratorBaseEENKUlvE_clEvENKUlvE0_clEvEUlaaE_EESt5arrayIPcLm2EEEEviT0_T1_
; %bb.0:
	v_mov_b32_e32 v1, 0
	global_load_ubyte v3, v1, s[4:5] offset:5
	s_load_dword s0, s[4:5], 0x0
	s_load_dwordx4 s[28:31], s[4:5], 0x8
	s_lshl_b32 s33, s6, 12
	s_waitcnt lgkmcnt(0)
	s_sub_i32 s38, s0, s33
	s_cmpk_gt_i32 s38, 0xfff
	s_mov_b64 s[0:1], -1
	s_cbranch_scc0 .LBB27_2
; %bb.1:
	s_ashr_i32 s34, s33, 31
	s_add_u32 s0, s30, s33
	s_addc_u32 s1, s31, s34
	v_lshlrev_b32_e32 v1, 1, v0
	global_load_ushort v2, v1, s[0:1]
	global_load_ushort v4, v1, s[0:1] offset:512
	global_load_ushort v5, v1, s[0:1] offset:1024
	global_load_ushort v6, v1, s[0:1] offset:1536
	global_load_ushort v7, v1, s[0:1] offset:2048
	global_load_ushort v8, v1, s[0:1] offset:2560
	global_load_ushort v9, v1, s[0:1] offset:3072
	global_load_ushort v10, v1, s[0:1] offset:3584
	s_mov_b32 s35, 0xffff
	s_movk_i32 s26, 0x800
	s_waitcnt vmcnt(7)
	v_and_b32_e32 v11, 0xf8, v2
	v_and_b32_sdwa v12, s35, v2 dst_sel:DWORD dst_unused:UNUSED_PAD src0_sel:DWORD src1_sel:BYTE_0
	v_lshlrev_b32_sdwa v13, v2, v3 dst_sel:DWORD dst_unused:UNUSED_PAD src0_sel:BYTE_1 src1_sel:DWORD
	v_cmp_gt_u16_e32 vcc, s26, v2
	s_waitcnt vmcnt(6)
	v_and_b32_e32 v2, 0xf8, v4
	v_and_b32_sdwa v14, s35, v4 dst_sel:DWORD dst_unused:UNUSED_PAD src0_sel:DWORD src1_sel:BYTE_0
	v_lshlrev_b32_sdwa v15, v4, v3 dst_sel:DWORD dst_unused:UNUSED_PAD src0_sel:BYTE_1 src1_sel:DWORD
	v_cmp_gt_u16_e64 s[0:1], s26, v4
	s_waitcnt vmcnt(5)
	v_and_b32_e32 v4, 0xf8, v5
	v_and_b32_sdwa v16, s35, v5 dst_sel:DWORD dst_unused:UNUSED_PAD src0_sel:DWORD src1_sel:BYTE_0
	v_lshlrev_b32_sdwa v17, v5, v3 dst_sel:DWORD dst_unused:UNUSED_PAD src0_sel:BYTE_1 src1_sel:DWORD
	v_cmp_gt_u16_e64 s[2:3], s26, v5
	;; [unrolled: 5-line block ×3, first 2 shown]
	s_waitcnt vmcnt(3)
	v_and_b32_e32 v6, 0xf8, v7
	v_cmp_eq_u16_e64 s[10:11], 0, v2
	s_waitcnt vmcnt(2)
	v_and_b32_e32 v2, 0xf8, v8
	v_cmp_eq_u16_e64 s[16:17], 0, v5
	;; [unrolled: 3-line block ×3, first 2 shown]
	v_lshlrev_b32_sdwa v11, v7, v3 dst_sel:DWORD dst_unused:UNUSED_PAD src0_sel:BYTE_1 src1_sel:DWORD
	v_cmp_gt_u16_e64 s[8:9], s26, v7
	v_and_b32_sdwa v7, s35, v7 dst_sel:DWORD dst_unused:UNUSED_PAD src0_sel:DWORD src1_sel:BYTE_0
	v_cmp_gt_u16_e64 s[14:15], s26, v8
	v_cmp_eq_u16_e64 s[18:19], 0, v6
	v_lshlrev_b32_sdwa v6, v9, v3 dst_sel:DWORD dst_unused:UNUSED_PAD src0_sel:BYTE_1 src1_sel:DWORD
	v_cmp_gt_u16_e64 s[20:21], s26, v9
	v_and_b32_sdwa v9, s35, v9 dst_sel:DWORD dst_unused:UNUSED_PAD src0_sel:DWORD src1_sel:BYTE_0
	v_cmp_eq_u16_e64 s[22:23], 0, v2
	s_waitcnt vmcnt(0)
	v_and_b32_e32 v2, 0xf8, v10
	v_cmp_eq_u16_e64 s[24:25], 0, v5
	v_lshlrev_b32_sdwa v5, v10, v3 dst_sel:DWORD dst_unused:UNUSED_PAD src0_sel:BYTE_1 src1_sel:DWORD
	v_cmp_gt_u16_e64 s[26:27], s26, v10
	v_and_b32_sdwa v10, s35, v10 dst_sel:DWORD dst_unused:UNUSED_PAD src0_sel:DWORD src1_sel:BYTE_0
	v_cmp_eq_u16_e64 s[12:13], 0, v4
	v_lshlrev_b32_sdwa v4, v8, v3 dst_sel:DWORD dst_unused:UNUSED_PAD src0_sel:BYTE_1 src1_sel:DWORD
	v_and_b32_sdwa v8, s35, v8 dst_sel:DWORD dst_unused:UNUSED_PAD src0_sel:DWORD src1_sel:BYTE_0
	v_lshlrev_b32_e32 v7, v7, v3
	v_lshlrev_b32_e32 v9, v9, v3
	v_cndmask_b32_e32 v13, 0, v13, vcc
	v_cndmask_b32_e64 v11, 0, v11, s[8:9]
	v_cndmask_b32_e64 v6, 0, v6, s[20:21]
	v_lshlrev_b32_e32 v10, v10, v3
	v_cndmask_b32_e64 v5, 0, v5, s[26:27]
	v_cmp_eq_u16_e32 vcc, 0, v2
	v_lshlrev_b32_e32 v12, v12, v3
	v_lshlrev_b32_e32 v8, v8, v3
	v_cndmask_b32_e64 v4, 0, v4, s[14:15]
	v_cndmask_b32_e64 v7, 0, v7, s[18:19]
	;; [unrolled: 1-line block ×3, first 2 shown]
	v_cndmask_b32_e32 v2, 0, v10, vcc
	v_lshlrev_b16_e32 v5, 8, v5
	v_lshlrev_b16_e32 v6, 8, v6
	;; [unrolled: 1-line block ×3, first 2 shown]
	v_lshlrev_b32_e32 v14, v14, v3
	v_lshlrev_b32_e32 v16, v16, v3
	;; [unrolled: 1-line block ×3, first 2 shown]
	v_cndmask_b32_e64 v15, 0, v15, s[0:1]
	v_cndmask_b32_e64 v17, 0, v17, s[2:3]
	;; [unrolled: 1-line block ×5, first 2 shown]
	v_lshlrev_b16_e32 v4, 8, v4
	v_or_b32_sdwa v2, v2, v5 dst_sel:DWORD dst_unused:UNUSED_PAD src0_sel:BYTE_0 src1_sel:DWORD
	v_or_b32_sdwa v5, v9, v6 dst_sel:DWORD dst_unused:UNUSED_PAD src0_sel:BYTE_0 src1_sel:DWORD
	;; [unrolled: 1-line block ×3, first 2 shown]
	v_lshlrev_b16_e32 v10, 8, v13
	s_add_u32 s0, s28, s33
	v_cndmask_b32_e64 v14, 0, v14, s[10:11]
	v_cndmask_b32_e64 v16, 0, v16, s[12:13]
	;; [unrolled: 1-line block ×3, first 2 shown]
	v_lshlrev_b16_e32 v11, 8, v19
	v_or_b32_sdwa v4, v8, v4 dst_sel:DWORD dst_unused:UNUSED_PAD src0_sel:BYTE_0 src1_sel:DWORD
	v_lshlrev_b16_e32 v8, 8, v17
	v_lshlrev_b16_e32 v9, 8, v15
	v_or_b32_sdwa v10, v12, v10 dst_sel:DWORD dst_unused:UNUSED_PAD src0_sel:BYTE_0 src1_sel:DWORD
	s_addc_u32 s1, s29, s34
	v_or_b32_sdwa v7, v18, v11 dst_sel:DWORD dst_unused:UNUSED_PAD src0_sel:BYTE_0 src1_sel:DWORD
	v_or_b32_sdwa v8, v16, v8 dst_sel:DWORD dst_unused:UNUSED_PAD src0_sel:BYTE_0 src1_sel:DWORD
	;; [unrolled: 1-line block ×3, first 2 shown]
	global_store_short v1, v10, s[0:1]
	global_store_short v1, v9, s[0:1] offset:512
	global_store_short v1, v8, s[0:1] offset:1024
	;; [unrolled: 1-line block ×7, first 2 shown]
	s_mov_b64 s[0:1], 0
.LBB27_2:
	s_andn2_b64 vcc, exec, s[0:1]
	s_cbranch_vccnz .LBB27_52
; %bb.3:
	v_cmp_gt_i32_e64 s[0:1], s38, v0
	v_or_b32_e32 v4, 0x100, v0
	v_mov_b32_e32 v6, 0
	v_or_b32_e32 v5, s33, v0
	v_mov_b32_e32 v22, 0
	v_mov_b32_e32 v21, 0
	;; [unrolled: 1-line block ×16, first 2 shown]
	s_and_saveexec_b64 s[2:3], s[0:1]
	s_cbranch_execz .LBB27_35
; %bb.4:
	global_load_ubyte v13, v5, s[30:31]
	v_cmp_gt_u32_e32 vcc, s38, v4
	v_mov_b32_e32 v17, 0
	v_mov_b32_e32 v15, 0
	;; [unrolled: 1-line block ×15, first 2 shown]
	s_and_saveexec_b64 s[4:5], vcc
	s_cbranch_execz .LBB27_34
; %bb.5:
	v_add_u32_e32 v1, s33, v0
	global_load_ubyte v17, v1, s[30:31] offset:256
	v_or_b32_e32 v2, 0x200, v0
	v_mov_b32_e32 v15, 0
	v_cmp_gt_u32_e32 vcc, s38, v2
	v_mov_b32_e32 v12, 0
	v_mov_b32_e32 v9, 0
	;; [unrolled: 1-line block ×13, first 2 shown]
	s_and_saveexec_b64 s[6:7], vcc
	s_cbranch_execz .LBB27_33
; %bb.6:
	v_mov_b32_e32 v2, s31
	v_add_co_u32_e32 v1, vcc, s30, v1
	v_addc_co_u32_e32 v2, vcc, 0, v2, vcc
	global_load_ubyte v15, v[1:2], off offset:512
	v_or_b32_e32 v7, 0x300, v0
	v_cmp_gt_u32_e32 vcc, s38, v7
	v_mov_b32_e32 v12, 0
	v_mov_b32_e32 v9, 0
	;; [unrolled: 1-line block ×13, first 2 shown]
	s_and_saveexec_b64 s[8:9], vcc
	s_cbranch_execz .LBB27_32
; %bb.7:
	global_load_ubyte v12, v[1:2], off offset:768
	v_or_b32_e32 v7, 0x400, v0
	v_cmp_gt_u32_e32 vcc, s38, v7
	v_mov_b32_e32 v9, 0
	v_mov_b32_e32 v10, 0
	;; [unrolled: 1-line block ×12, first 2 shown]
	s_and_saveexec_b64 s[10:11], vcc
	s_cbranch_execz .LBB27_31
; %bb.8:
	global_load_ubyte v9, v[1:2], off offset:1024
	v_or_b32_e32 v7, 0x500, v0
	v_cmp_gt_u32_e32 vcc, s38, v7
	v_mov_b32_e32 v10, 0
	v_mov_b32_e32 v7, 0
	;; [unrolled: 1-line block ×11, first 2 shown]
	s_and_saveexec_b64 s[12:13], vcc
	s_cbranch_execz .LBB27_30
; %bb.9:
	global_load_ubyte v10, v[1:2], off offset:1280
	v_or_b32_e32 v7, 0x600, v0
	v_cmp_gt_u32_e32 vcc, s38, v7
	v_mov_b32_e32 v7, 0
	v_mov_b32_e32 v8, 0
	;; [unrolled: 1-line block ×10, first 2 shown]
	s_and_saveexec_b64 s[14:15], vcc
	s_cbranch_execz .LBB27_29
; %bb.10:
	global_load_ubyte v7, v[1:2], off offset:1536
	v_or_b32_e32 v8, 0x700, v0
	v_cmp_gt_u32_e32 vcc, s38, v8
	v_mov_b32_e32 v8, 0
	v_mov_b32_e32 v11, 0
	;; [unrolled: 1-line block ×9, first 2 shown]
	s_and_saveexec_b64 s[16:17], vcc
	s_cbranch_execz .LBB27_28
; %bb.11:
	global_load_ubyte v8, v[1:2], off offset:1792
	v_or_b32_e32 v11, 0x800, v0
	v_cmp_gt_u32_e32 vcc, s38, v11
	v_mov_b32_e32 v11, 0
	v_mov_b32_e32 v14, 0
	v_mov_b32_e32 v16, 0
	v_mov_b32_e32 v18, 0
	v_mov_b32_e32 v19, 0
	v_mov_b32_e32 v20, 0
	v_mov_b32_e32 v21, 0
	v_mov_b32_e32 v22, 0
	s_and_saveexec_b64 s[18:19], vcc
	s_cbranch_execz .LBB27_27
; %bb.12:
	global_load_ubyte v11, v[1:2], off offset:2048
	v_or_b32_e32 v14, 0x900, v0
	v_cmp_gt_u32_e32 vcc, s38, v14
	v_mov_b32_e32 v14, 0
	v_mov_b32_e32 v16, 0
	;; [unrolled: 1-line block ×7, first 2 shown]
	s_and_saveexec_b64 s[20:21], vcc
	s_cbranch_execz .LBB27_26
; %bb.13:
	global_load_ubyte v14, v[1:2], off offset:2304
	v_or_b32_e32 v16, 0xa00, v0
	v_cmp_gt_u32_e32 vcc, s38, v16
	v_mov_b32_e32 v16, 0
	v_mov_b32_e32 v18, 0
	;; [unrolled: 1-line block ×6, first 2 shown]
	s_and_saveexec_b64 s[22:23], vcc
	s_cbranch_execz .LBB27_25
; %bb.14:
	global_load_ubyte v16, v[1:2], off offset:2560
	v_or_b32_e32 v18, 0xb00, v0
	v_cmp_gt_u32_e32 vcc, s38, v18
	v_mov_b32_e32 v18, 0
	v_mov_b32_e32 v19, 0
	;; [unrolled: 1-line block ×5, first 2 shown]
	s_and_saveexec_b64 s[24:25], vcc
	s_cbranch_execz .LBB27_24
; %bb.15:
	global_load_ubyte v18, v[1:2], off offset:2816
	v_or_b32_e32 v19, 0xc00, v0
	v_cmp_gt_u32_e32 vcc, s38, v19
	v_mov_b32_e32 v19, 0
	v_mov_b32_e32 v20, 0
	;; [unrolled: 1-line block ×4, first 2 shown]
	s_and_saveexec_b64 s[26:27], vcc
	s_cbranch_execz .LBB27_23
; %bb.16:
	global_load_ubyte v19, v[1:2], off offset:3072
	v_or_b32_e32 v20, 0xd00, v0
	v_cmp_gt_u32_e32 vcc, s38, v20
	v_mov_b32_e32 v20, 0
	v_mov_b32_e32 v21, 0
	;; [unrolled: 1-line block ×3, first 2 shown]
	s_and_saveexec_b64 s[30:31], vcc
	s_cbranch_execz .LBB27_22
; %bb.17:
	global_load_ubyte v20, v[1:2], off offset:3328
	v_or_b32_e32 v21, 0xe00, v0
	v_cmp_gt_u32_e32 vcc, s38, v21
	v_mov_b32_e32 v21, 0
	v_mov_b32_e32 v22, 0
	s_and_saveexec_b64 s[34:35], vcc
	s_cbranch_execz .LBB27_21
; %bb.18:
	global_load_ubyte v21, v[1:2], off offset:3584
	v_or_b32_e32 v22, 0xf00, v0
	v_cmp_gt_u32_e32 vcc, s38, v22
	v_mov_b32_e32 v22, 0
	s_and_saveexec_b64 s[36:37], vcc
	s_cbranch_execz .LBB27_20
; %bb.19:
	global_load_ubyte v22, v[1:2], off offset:3840
.LBB27_20:
	s_or_b64 exec, exec, s[36:37]
.LBB27_21:
	s_or_b64 exec, exec, s[34:35]
.LBB27_22:
	s_or_b64 exec, exec, s[30:31]
.LBB27_23:
	s_or_b64 exec, exec, s[26:27]
.LBB27_24:
	s_or_b64 exec, exec, s[24:25]
.LBB27_25:
	s_or_b64 exec, exec, s[22:23]
.LBB27_26:
	s_or_b64 exec, exec, s[20:21]
.LBB27_27:
	s_or_b64 exec, exec, s[18:19]
.LBB27_28:
	s_or_b64 exec, exec, s[16:17]
.LBB27_29:
	s_or_b64 exec, exec, s[14:15]
.LBB27_30:
	s_or_b64 exec, exec, s[12:13]
.LBB27_31:
	s_or_b64 exec, exec, s[10:11]
.LBB27_32:
	s_or_b64 exec, exec, s[8:9]
.LBB27_33:
	s_or_b64 exec, exec, s[6:7]
.LBB27_34:
	s_or_b64 exec, exec, s[4:5]
.LBB27_35:
	s_or_b64 exec, exec, s[2:3]
	v_mov_b32_e32 v1, 8
	s_waitcnt vmcnt(0)
	v_lshlrev_b32_e32 v2, v17, v3
	v_cmp_lt_u16_sdwa vcc, v17, v1 src0_sel:BYTE_0 src1_sel:DWORD
	v_lshlrev_b32_e32 v17, v13, v3
	v_cmp_lt_u16_sdwa s[2:3], v13, v1 src0_sel:BYTE_0 src1_sel:DWORD
	v_cndmask_b32_e64 v13, 0, v17, s[2:3]
	s_mov_b32 s2, 0xffff
	v_and_b32_sdwa v13, s2, v13 dst_sel:DWORD dst_unused:UNUSED_PAD src0_sel:DWORD src1_sel:BYTE_0
	v_cndmask_b32_e32 v2, 0, v2, vcc
	v_cndmask_b32_e64 v13, 0, v13, s[0:1]
	v_lshlrev_b16_e32 v2, 8, v2
	v_or_b32_e32 v2, v13, v2
	v_and_b32_e32 v2, 0xffff, v2
	v_cmp_gt_i32_e32 vcc, s38, v4
	v_cndmask_b32_e32 v2, v13, v2, vcc
	v_lshlrev_b32_e32 v13, v15, v3
	v_cmp_lt_u16_sdwa vcc, v15, v1 src0_sel:BYTE_0 src1_sel:DWORD
	v_cndmask_b32_e32 v13, 0, v13, vcc
	s_mov_b32 s3, 0xc0c0304
	v_perm_b32 v13, v13, v2, s3
	v_or_b32_e32 v15, 0x200, v0
	v_lshl_or_b32 v13, v13, 16, v2
	v_cmp_gt_i32_e32 vcc, s38, v15
	v_cndmask_b32_e32 v2, v2, v13, vcc
	v_lshlrev_b32_e32 v13, v12, v3
	v_cmp_lt_u16_sdwa vcc, v12, v1 src0_sel:BYTE_0 src1_sel:DWORD
	s_movk_i32 s4, 0xff
	v_cndmask_b32_e32 v13, 0, v13, vcc
	v_and_b32_sdwa v12, v2, s4 dst_sel:DWORD dst_unused:UNUSED_PAD src0_sel:WORD_1 src1_sel:DWORD
	v_lshlrev_b16_e32 v13, 8, v13
	v_or_b32_sdwa v12, v12, v13 dst_sel:WORD_1 dst_unused:UNUSED_PAD src0_sel:DWORD src1_sel:DWORD
	v_or_b32_e32 v13, 0x300, v0
	v_and_or_b32 v12, v2, s2, v12
	v_cmp_gt_i32_e32 vcc, s38, v13
	v_cndmask_b32_e32 v12, v2, v12, vcc
	v_lshlrev_b32_e32 v2, v9, v3
	v_cmp_lt_u16_sdwa vcc, v9, v1 src0_sel:BYTE_0 src1_sel:DWORD
	v_cndmask_b32_e32 v2, 0, v2, vcc
	s_mov_b32 s5, 0x3020104
	v_or_b32_e32 v9, 0x400, v0
	v_perm_b32 v2, v2, 0, s5
	v_cmp_gt_i32_e32 vcc, s38, v9
	v_cndmask_b32_e32 v2, 0, v2, vcc
	v_lshlrev_b32_e32 v9, v10, v3
	v_cmp_lt_u16_sdwa vcc, v10, v1 src0_sel:BYTE_0 src1_sel:DWORD
	v_cndmask_b32_e32 v9, 0, v9, vcc
	v_lshlrev_b16_e32 v9, 8, v9
	v_or_b32_sdwa v9, v2, v9 dst_sel:DWORD dst_unused:UNUSED_PAD src0_sel:BYTE_0 src1_sel:DWORD
	v_and_b32_e32 v9, 0xffff, v9
	s_mov_b32 s6, 0xffff0000
	v_or_b32_e32 v10, 0x500, v0
	v_and_or_b32 v9, v2, s6, v9
	v_cmp_gt_i32_e32 vcc, s38, v10
	v_cndmask_b32_e32 v2, v2, v9, vcc
	v_lshlrev_b32_e32 v10, v7, v3
	v_cmp_lt_u16_sdwa vcc, v7, v1 src0_sel:BYTE_0 src1_sel:DWORD
	v_or_b32_e32 v9, 0x600, v0
	v_cndmask_b32_e32 v7, 0, v10, vcc
	s_mov_b32 s7, 0x7000504
	v_perm_b32 v7, v2, v7, s7
	v_cmp_gt_i32_e32 vcc, s38, v9
	v_cndmask_b32_e32 v2, v2, v7, vcc
	v_lshlrev_b32_e32 v10, v8, v3
	v_cmp_lt_u16_sdwa vcc, v8, v1 src0_sel:BYTE_0 src1_sel:DWORD
	v_cndmask_b32_e32 v8, 0, v10, vcc
	v_and_b32_sdwa v7, v2, s4 dst_sel:DWORD dst_unused:UNUSED_PAD src0_sel:WORD_1 src1_sel:DWORD
	v_lshlrev_b16_e32 v8, 8, v8
	v_or_b32_e32 v9, 0x700, v0
	v_or_b32_sdwa v7, v7, v8 dst_sel:WORD_1 dst_unused:UNUSED_PAD src0_sel:DWORD src1_sel:DWORD
	v_and_or_b32 v7, v2, s2, v7
	v_cmp_gt_i32_e32 vcc, s38, v9
	v_cndmask_b32_e32 v7, v2, v7, vcc
	v_lshlrev_b32_e32 v8, v11, v3
	v_cmp_lt_u16_sdwa vcc, v11, v1 src0_sel:BYTE_0 src1_sel:DWORD
	v_or_b32_e32 v2, 0x800, v0
	v_cndmask_b32_e32 v8, 0, v8, vcc
	v_and_b32_sdwa v8, s2, v8 dst_sel:DWORD dst_unused:UNUSED_PAD src0_sel:DWORD src1_sel:BYTE_0
	v_cmp_gt_i32_e32 vcc, s38, v2
	v_cndmask_b32_e32 v2, 0, v8, vcc
	v_lshlrev_b32_e32 v9, v14, v3
	v_cmp_lt_u16_sdwa vcc, v14, v1 src0_sel:BYTE_0 src1_sel:DWORD
	v_cndmask_b32_e32 v9, 0, v9, vcc
	v_lshlrev_b16_e32 v9, 8, v9
	v_or_b32_e32 v8, 0x900, v0
	v_or_b32_e32 v9, v2, v9
	v_and_b32_e32 v9, 0xffff, v9
	v_cmp_gt_i32_e32 vcc, s38, v8
	v_cndmask_b32_e32 v2, v2, v9, vcc
	v_lshlrev_b32_e32 v9, v16, v3
	v_cmp_lt_u16_sdwa vcc, v16, v1 src0_sel:BYTE_0 src1_sel:DWORD
	v_cndmask_b32_e32 v9, 0, v9, vcc
	v_or_b32_e32 v8, 0xa00, v0
	v_perm_b32 v9, v9, v2, s3
	v_lshl_or_b32 v9, v9, 16, v2
	v_cmp_gt_i32_e32 vcc, s38, v8
	v_cndmask_b32_e32 v2, v2, v9, vcc
	v_lshlrev_b32_e32 v10, v18, v3
	v_cmp_lt_u16_sdwa vcc, v18, v1 src0_sel:BYTE_0 src1_sel:DWORD
	v_cndmask_b32_e32 v10, 0, v10, vcc
	v_and_b32_sdwa v8, v2, s4 dst_sel:DWORD dst_unused:UNUSED_PAD src0_sel:WORD_1 src1_sel:DWORD
	v_lshlrev_b16_e32 v10, 8, v10
	v_or_b32_e32 v9, 0xb00, v0
	v_or_b32_sdwa v8, v8, v10 dst_sel:WORD_1 dst_unused:UNUSED_PAD src0_sel:DWORD src1_sel:DWORD
	v_and_or_b32 v8, v2, s2, v8
	v_cmp_gt_i32_e32 vcc, s38, v9
	v_cndmask_b32_e32 v2, v2, v8, vcc
	v_lshlrev_b32_e32 v8, v19, v3
	v_cmp_lt_u16_sdwa vcc, v19, v1 src0_sel:BYTE_0 src1_sel:DWORD
	v_cndmask_b32_e32 v8, 0, v8, vcc
	v_or_b32_e32 v9, 0xc00, v0
	v_perm_b32 v8, v8, 0, s5
	v_cmp_gt_i32_e32 vcc, s38, v9
	v_cndmask_b32_e32 v8, 0, v8, vcc
	v_lshlrev_b32_e32 v9, v20, v3
	v_cmp_lt_u16_sdwa vcc, v20, v1 src0_sel:BYTE_0 src1_sel:DWORD
	v_cndmask_b32_e32 v9, 0, v9, vcc
	v_lshlrev_b16_e32 v9, 8, v9
	v_or_b32_sdwa v9, v8, v9 dst_sel:DWORD dst_unused:UNUSED_PAD src0_sel:BYTE_0 src1_sel:DWORD
	v_and_b32_e32 v9, 0xffff, v9
	v_or_b32_e32 v10, 0xd00, v0
	v_and_or_b32 v9, v8, s6, v9
	v_cmp_gt_i32_e32 vcc, s38, v10
	v_cndmask_b32_e32 v8, v8, v9, vcc
	v_lshlrev_b32_e32 v10, v21, v3
	v_cmp_lt_u16_sdwa vcc, v21, v1 src0_sel:BYTE_0 src1_sel:DWORD
	v_or_b32_e32 v9, 0xe00, v0
	v_cndmask_b32_e32 v10, 0, v10, vcc
	v_perm_b32 v10, v8, v10, s7
	v_cmp_gt_i32_e32 vcc, s38, v9
	v_cndmask_b32_e32 v8, v8, v10, vcc
	v_lshlrev_b32_e32 v3, v22, v3
	v_cmp_lt_u16_sdwa vcc, v22, v1 src0_sel:BYTE_0 src1_sel:DWORD
	v_and_b32_sdwa v9, v8, s4 dst_sel:DWORD dst_unused:UNUSED_PAD src0_sel:WORD_1 src1_sel:DWORD
	v_cndmask_b32_sdwa v1, v6, v3, vcc dst_sel:BYTE_1 dst_unused:UNUSED_PAD src0_sel:DWORD src1_sel:DWORD
	v_or_b32_e32 v10, 0xf00, v0
	v_or_b32_sdwa v1, v9, v1 dst_sel:WORD_1 dst_unused:UNUSED_PAD src0_sel:DWORD src1_sel:DWORD
	v_and_or_b32 v1, v8, s2, v1
	v_cmp_gt_i32_e32 vcc, s38, v10
	v_cndmask_b32_e32 v1, v8, v1, vcc
	s_and_saveexec_b64 s[2:3], s[0:1]
	s_cbranch_execnz .LBB27_53
; %bb.36:
	s_or_b64 exec, exec, s[2:3]
	v_cmp_gt_i32_e32 vcc, s38, v0
	s_and_saveexec_b64 s[0:1], vcc
	s_cbranch_execnz .LBB27_54
.LBB27_37:
	s_or_b64 exec, exec, s[0:1]
	v_cmp_gt_i32_e32 vcc, s38, v0
	s_and_saveexec_b64 s[0:1], vcc
	s_cbranch_execnz .LBB27_55
.LBB27_38:
	s_or_b64 exec, exec, s[0:1]
	v_cmp_gt_i32_e32 vcc, s38, v0
	s_and_saveexec_b64 s[0:1], vcc
	s_cbranch_execnz .LBB27_56
.LBB27_39:
	s_or_b64 exec, exec, s[0:1]
	v_cmp_gt_i32_e32 vcc, s38, v0
	s_and_saveexec_b64 s[0:1], vcc
	s_cbranch_execnz .LBB27_57
.LBB27_40:
	s_or_b64 exec, exec, s[0:1]
	v_cmp_gt_i32_e32 vcc, s38, v0
	s_and_saveexec_b64 s[0:1], vcc
	s_cbranch_execnz .LBB27_58
.LBB27_41:
	s_or_b64 exec, exec, s[0:1]
	v_cmp_gt_i32_e32 vcc, s38, v0
	s_and_saveexec_b64 s[0:1], vcc
	s_cbranch_execnz .LBB27_59
.LBB27_42:
	s_or_b64 exec, exec, s[0:1]
	v_cmp_gt_i32_e32 vcc, s38, v0
	s_and_saveexec_b64 s[0:1], vcc
	s_cbranch_execnz .LBB27_60
.LBB27_43:
	s_or_b64 exec, exec, s[0:1]
	v_cmp_gt_i32_e32 vcc, s38, v0
	s_and_saveexec_b64 s[0:1], vcc
	s_cbranch_execnz .LBB27_61
.LBB27_44:
	s_or_b64 exec, exec, s[0:1]
	v_cmp_gt_i32_e32 vcc, s38, v0
	s_and_saveexec_b64 s[0:1], vcc
	s_cbranch_execnz .LBB27_62
.LBB27_45:
	s_or_b64 exec, exec, s[0:1]
	v_cmp_gt_i32_e32 vcc, s38, v0
	s_and_saveexec_b64 s[0:1], vcc
	s_cbranch_execnz .LBB27_63
.LBB27_46:
	s_or_b64 exec, exec, s[0:1]
	v_cmp_gt_i32_e32 vcc, s38, v0
	s_and_saveexec_b64 s[0:1], vcc
	s_cbranch_execnz .LBB27_64
.LBB27_47:
	s_or_b64 exec, exec, s[0:1]
	v_cmp_gt_i32_e32 vcc, s38, v0
	s_and_saveexec_b64 s[0:1], vcc
	s_cbranch_execnz .LBB27_65
.LBB27_48:
	s_or_b64 exec, exec, s[0:1]
	v_cmp_gt_i32_e32 vcc, s38, v0
	s_and_saveexec_b64 s[0:1], vcc
	s_cbranch_execnz .LBB27_66
.LBB27_49:
	s_or_b64 exec, exec, s[0:1]
	v_cmp_gt_i32_e32 vcc, s38, v0
	s_and_saveexec_b64 s[0:1], vcc
	s_cbranch_execnz .LBB27_67
.LBB27_50:
	s_or_b64 exec, exec, s[0:1]
	v_cmp_gt_i32_e32 vcc, s38, v0
	s_and_saveexec_b64 s[0:1], vcc
	s_cbranch_execz .LBB27_52
.LBB27_51:
	v_lshrrev_b32_e32 v1, 24, v1
	v_add_u32_e32 v0, s33, v0
	global_store_byte v0, v1, s[28:29]
.LBB27_52:
	s_endpgm
.LBB27_53:
	v_mov_b32_e32 v0, v4
	global_store_byte v5, v12, s[28:29]
	s_or_b64 exec, exec, s[2:3]
	v_cmp_gt_i32_e32 vcc, s38, v0
	s_and_saveexec_b64 s[0:1], vcc
	s_cbranch_execz .LBB27_37
.LBB27_54:
	v_lshrrev_b32_e32 v3, 8, v12
	v_add_u32_e32 v4, s33, v0
	v_add_u32_e32 v0, 0x100, v0
	global_store_byte v4, v3, s[28:29]
	s_or_b64 exec, exec, s[0:1]
	v_cmp_gt_i32_e32 vcc, s38, v0
	s_and_saveexec_b64 s[0:1], vcc
	s_cbranch_execz .LBB27_38
.LBB27_55:
	v_add_u32_e32 v3, s33, v0
	v_add_u32_e32 v0, 0x100, v0
	global_store_byte_d16_hi v3, v12, s[28:29]
	s_or_b64 exec, exec, s[0:1]
	v_cmp_gt_i32_e32 vcc, s38, v0
	s_and_saveexec_b64 s[0:1], vcc
	s_cbranch_execz .LBB27_39
.LBB27_56:
	v_lshrrev_b32_e32 v3, 24, v12
	v_add_u32_e32 v4, s33, v0
	v_add_u32_e32 v0, 0x100, v0
	global_store_byte v4, v3, s[28:29]
	s_or_b64 exec, exec, s[0:1]
	v_cmp_gt_i32_e32 vcc, s38, v0
	s_and_saveexec_b64 s[0:1], vcc
	s_cbranch_execz .LBB27_40
.LBB27_57:
	v_add_u32_e32 v3, s33, v0
	v_add_u32_e32 v0, 0x100, v0
	global_store_byte v3, v7, s[28:29]
	s_or_b64 exec, exec, s[0:1]
	v_cmp_gt_i32_e32 vcc, s38, v0
	s_and_saveexec_b64 s[0:1], vcc
	s_cbranch_execz .LBB27_41
.LBB27_58:
	v_lshrrev_b32_e32 v3, 8, v7
	v_add_u32_e32 v4, s33, v0
	v_add_u32_e32 v0, 0x100, v0
	global_store_byte v4, v3, s[28:29]
	s_or_b64 exec, exec, s[0:1]
	v_cmp_gt_i32_e32 vcc, s38, v0
	s_and_saveexec_b64 s[0:1], vcc
	s_cbranch_execz .LBB27_42
.LBB27_59:
	v_add_u32_e32 v3, s33, v0
	v_add_u32_e32 v0, 0x100, v0
	global_store_byte_d16_hi v3, v7, s[28:29]
	s_or_b64 exec, exec, s[0:1]
	v_cmp_gt_i32_e32 vcc, s38, v0
	s_and_saveexec_b64 s[0:1], vcc
	s_cbranch_execz .LBB27_43
.LBB27_60:
	v_lshrrev_b32_e32 v3, 24, v7
	v_add_u32_e32 v4, s33, v0
	v_add_u32_e32 v0, 0x100, v0
	global_store_byte v4, v3, s[28:29]
	s_or_b64 exec, exec, s[0:1]
	v_cmp_gt_i32_e32 vcc, s38, v0
	s_and_saveexec_b64 s[0:1], vcc
	s_cbranch_execz .LBB27_44
.LBB27_61:
	v_add_u32_e32 v3, s33, v0
	v_add_u32_e32 v0, 0x100, v0
	global_store_byte v3, v2, s[28:29]
	s_or_b64 exec, exec, s[0:1]
	v_cmp_gt_i32_e32 vcc, s38, v0
	s_and_saveexec_b64 s[0:1], vcc
	s_cbranch_execz .LBB27_45
.LBB27_62:
	v_lshrrev_b32_e32 v3, 8, v2
	v_add_u32_e32 v4, s33, v0
	v_add_u32_e32 v0, 0x100, v0
	global_store_byte v4, v3, s[28:29]
	s_or_b64 exec, exec, s[0:1]
	v_cmp_gt_i32_e32 vcc, s38, v0
	s_and_saveexec_b64 s[0:1], vcc
	s_cbranch_execz .LBB27_46
.LBB27_63:
	v_add_u32_e32 v3, s33, v0
	v_add_u32_e32 v0, 0x100, v0
	global_store_byte_d16_hi v3, v2, s[28:29]
	s_or_b64 exec, exec, s[0:1]
	v_cmp_gt_i32_e32 vcc, s38, v0
	s_and_saveexec_b64 s[0:1], vcc
	s_cbranch_execz .LBB27_47
.LBB27_64:
	v_lshrrev_b32_e32 v2, 24, v2
	v_add_u32_e32 v3, s33, v0
	v_add_u32_e32 v0, 0x100, v0
	global_store_byte v3, v2, s[28:29]
	s_or_b64 exec, exec, s[0:1]
	v_cmp_gt_i32_e32 vcc, s38, v0
	s_and_saveexec_b64 s[0:1], vcc
	s_cbranch_execz .LBB27_48
.LBB27_65:
	v_add_u32_e32 v2, s33, v0
	v_add_u32_e32 v0, 0x100, v0
	global_store_byte v2, v1, s[28:29]
	s_or_b64 exec, exec, s[0:1]
	v_cmp_gt_i32_e32 vcc, s38, v0
	s_and_saveexec_b64 s[0:1], vcc
	s_cbranch_execz .LBB27_49
.LBB27_66:
	v_lshrrev_b32_e32 v2, 8, v1
	v_add_u32_e32 v3, s33, v0
	v_add_u32_e32 v0, 0x100, v0
	global_store_byte v3, v2, s[28:29]
	s_or_b64 exec, exec, s[0:1]
	v_cmp_gt_i32_e32 vcc, s38, v0
	s_and_saveexec_b64 s[0:1], vcc
	s_cbranch_execz .LBB27_50
.LBB27_67:
	v_add_u32_e32 v2, s33, v0
	v_add_u32_e32 v0, 0x100, v0
	global_store_byte_d16_hi v2, v1, s[28:29]
	s_or_b64 exec, exec, s[0:1]
	v_cmp_gt_i32_e32 vcc, s38, v0
	s_and_saveexec_b64 s[0:1], vcc
	s_cbranch_execnz .LBB27_51
	s_branch .LBB27_52
	.section	.rodata,"a",@progbits
	.p2align	6, 0x0
	.amdhsa_kernel _ZN2at6native29vectorized_elementwise_kernelILi2ENS0_13AUnaryFunctorIaaaZZZNS0_18lshift_kernel_cudaERNS_18TensorIteratorBaseEENKUlvE_clEvENKUlvE0_clEvEUlaaE_EESt5arrayIPcLm2EEEEviT0_T1_
		.amdhsa_group_segment_fixed_size 0
		.amdhsa_private_segment_fixed_size 0
		.amdhsa_kernarg_size 24
		.amdhsa_user_sgpr_count 6
		.amdhsa_user_sgpr_private_segment_buffer 1
		.amdhsa_user_sgpr_dispatch_ptr 0
		.amdhsa_user_sgpr_queue_ptr 0
		.amdhsa_user_sgpr_kernarg_segment_ptr 1
		.amdhsa_user_sgpr_dispatch_id 0
		.amdhsa_user_sgpr_flat_scratch_init 0
		.amdhsa_user_sgpr_private_segment_size 0
		.amdhsa_uses_dynamic_stack 0
		.amdhsa_system_sgpr_private_segment_wavefront_offset 0
		.amdhsa_system_sgpr_workgroup_id_x 1
		.amdhsa_system_sgpr_workgroup_id_y 0
		.amdhsa_system_sgpr_workgroup_id_z 0
		.amdhsa_system_sgpr_workgroup_info 0
		.amdhsa_system_vgpr_workitem_id 0
		.amdhsa_next_free_vgpr 23
		.amdhsa_next_free_sgpr 39
		.amdhsa_reserve_vcc 1
		.amdhsa_reserve_flat_scratch 0
		.amdhsa_float_round_mode_32 0
		.amdhsa_float_round_mode_16_64 0
		.amdhsa_float_denorm_mode_32 3
		.amdhsa_float_denorm_mode_16_64 3
		.amdhsa_dx10_clamp 1
		.amdhsa_ieee_mode 1
		.amdhsa_fp16_overflow 0
		.amdhsa_exception_fp_ieee_invalid_op 0
		.amdhsa_exception_fp_denorm_src 0
		.amdhsa_exception_fp_ieee_div_zero 0
		.amdhsa_exception_fp_ieee_overflow 0
		.amdhsa_exception_fp_ieee_underflow 0
		.amdhsa_exception_fp_ieee_inexact 0
		.amdhsa_exception_int_div_zero 0
	.end_amdhsa_kernel
	.section	.text._ZN2at6native29vectorized_elementwise_kernelILi2ENS0_13AUnaryFunctorIaaaZZZNS0_18lshift_kernel_cudaERNS_18TensorIteratorBaseEENKUlvE_clEvENKUlvE0_clEvEUlaaE_EESt5arrayIPcLm2EEEEviT0_T1_,"axG",@progbits,_ZN2at6native29vectorized_elementwise_kernelILi2ENS0_13AUnaryFunctorIaaaZZZNS0_18lshift_kernel_cudaERNS_18TensorIteratorBaseEENKUlvE_clEvENKUlvE0_clEvEUlaaE_EESt5arrayIPcLm2EEEEviT0_T1_,comdat
.Lfunc_end27:
	.size	_ZN2at6native29vectorized_elementwise_kernelILi2ENS0_13AUnaryFunctorIaaaZZZNS0_18lshift_kernel_cudaERNS_18TensorIteratorBaseEENKUlvE_clEvENKUlvE0_clEvEUlaaE_EESt5arrayIPcLm2EEEEviT0_T1_, .Lfunc_end27-_ZN2at6native29vectorized_elementwise_kernelILi2ENS0_13AUnaryFunctorIaaaZZZNS0_18lshift_kernel_cudaERNS_18TensorIteratorBaseEENKUlvE_clEvENKUlvE0_clEvEUlaaE_EESt5arrayIPcLm2EEEEviT0_T1_
                                        ; -- End function
	.set _ZN2at6native29vectorized_elementwise_kernelILi2ENS0_13AUnaryFunctorIaaaZZZNS0_18lshift_kernel_cudaERNS_18TensorIteratorBaseEENKUlvE_clEvENKUlvE0_clEvEUlaaE_EESt5arrayIPcLm2EEEEviT0_T1_.num_vgpr, 23
	.set _ZN2at6native29vectorized_elementwise_kernelILi2ENS0_13AUnaryFunctorIaaaZZZNS0_18lshift_kernel_cudaERNS_18TensorIteratorBaseEENKUlvE_clEvENKUlvE0_clEvEUlaaE_EESt5arrayIPcLm2EEEEviT0_T1_.num_agpr, 0
	.set _ZN2at6native29vectorized_elementwise_kernelILi2ENS0_13AUnaryFunctorIaaaZZZNS0_18lshift_kernel_cudaERNS_18TensorIteratorBaseEENKUlvE_clEvENKUlvE0_clEvEUlaaE_EESt5arrayIPcLm2EEEEviT0_T1_.numbered_sgpr, 39
	.set _ZN2at6native29vectorized_elementwise_kernelILi2ENS0_13AUnaryFunctorIaaaZZZNS0_18lshift_kernel_cudaERNS_18TensorIteratorBaseEENKUlvE_clEvENKUlvE0_clEvEUlaaE_EESt5arrayIPcLm2EEEEviT0_T1_.num_named_barrier, 0
	.set _ZN2at6native29vectorized_elementwise_kernelILi2ENS0_13AUnaryFunctorIaaaZZZNS0_18lshift_kernel_cudaERNS_18TensorIteratorBaseEENKUlvE_clEvENKUlvE0_clEvEUlaaE_EESt5arrayIPcLm2EEEEviT0_T1_.private_seg_size, 0
	.set _ZN2at6native29vectorized_elementwise_kernelILi2ENS0_13AUnaryFunctorIaaaZZZNS0_18lshift_kernel_cudaERNS_18TensorIteratorBaseEENKUlvE_clEvENKUlvE0_clEvEUlaaE_EESt5arrayIPcLm2EEEEviT0_T1_.uses_vcc, 1
	.set _ZN2at6native29vectorized_elementwise_kernelILi2ENS0_13AUnaryFunctorIaaaZZZNS0_18lshift_kernel_cudaERNS_18TensorIteratorBaseEENKUlvE_clEvENKUlvE0_clEvEUlaaE_EESt5arrayIPcLm2EEEEviT0_T1_.uses_flat_scratch, 0
	.set _ZN2at6native29vectorized_elementwise_kernelILi2ENS0_13AUnaryFunctorIaaaZZZNS0_18lshift_kernel_cudaERNS_18TensorIteratorBaseEENKUlvE_clEvENKUlvE0_clEvEUlaaE_EESt5arrayIPcLm2EEEEviT0_T1_.has_dyn_sized_stack, 0
	.set _ZN2at6native29vectorized_elementwise_kernelILi2ENS0_13AUnaryFunctorIaaaZZZNS0_18lshift_kernel_cudaERNS_18TensorIteratorBaseEENKUlvE_clEvENKUlvE0_clEvEUlaaE_EESt5arrayIPcLm2EEEEviT0_T1_.has_recursion, 0
	.set _ZN2at6native29vectorized_elementwise_kernelILi2ENS0_13AUnaryFunctorIaaaZZZNS0_18lshift_kernel_cudaERNS_18TensorIteratorBaseEENKUlvE_clEvENKUlvE0_clEvEUlaaE_EESt5arrayIPcLm2EEEEviT0_T1_.has_indirect_call, 0
	.section	.AMDGPU.csdata,"",@progbits
; Kernel info:
; codeLenInByte = 3560
; TotalNumSgprs: 43
; NumVgprs: 23
; ScratchSize: 0
; MemoryBound: 0
; FloatMode: 240
; IeeeMode: 1
; LDSByteSize: 0 bytes/workgroup (compile time only)
; SGPRBlocks: 5
; VGPRBlocks: 5
; NumSGPRsForWavesPerEU: 43
; NumVGPRsForWavesPerEU: 23
; Occupancy: 10
; WaveLimiterHint : 1
; COMPUTE_PGM_RSRC2:SCRATCH_EN: 0
; COMPUTE_PGM_RSRC2:USER_SGPR: 6
; COMPUTE_PGM_RSRC2:TRAP_HANDLER: 0
; COMPUTE_PGM_RSRC2:TGID_X_EN: 1
; COMPUTE_PGM_RSRC2:TGID_Y_EN: 0
; COMPUTE_PGM_RSRC2:TGID_Z_EN: 0
; COMPUTE_PGM_RSRC2:TIDIG_COMP_CNT: 0
	.section	.text._ZN2at6native27unrolled_elementwise_kernelINS0_13AUnaryFunctorIaaaZZZNS0_18lshift_kernel_cudaERNS_18TensorIteratorBaseEENKUlvE_clEvENKUlvE0_clEvEUlaaE_EESt5arrayIPcLm2EELi4E23TrivialOffsetCalculatorILi1EjESD_NS0_6memory15LoadWithoutCastENSE_16StoreWithoutCastEEEviT_T0_T2_T3_T4_T5_,"axG",@progbits,_ZN2at6native27unrolled_elementwise_kernelINS0_13AUnaryFunctorIaaaZZZNS0_18lshift_kernel_cudaERNS_18TensorIteratorBaseEENKUlvE_clEvENKUlvE0_clEvEUlaaE_EESt5arrayIPcLm2EELi4E23TrivialOffsetCalculatorILi1EjESD_NS0_6memory15LoadWithoutCastENSE_16StoreWithoutCastEEEviT_T0_T2_T3_T4_T5_,comdat
	.globl	_ZN2at6native27unrolled_elementwise_kernelINS0_13AUnaryFunctorIaaaZZZNS0_18lshift_kernel_cudaERNS_18TensorIteratorBaseEENKUlvE_clEvENKUlvE0_clEvEUlaaE_EESt5arrayIPcLm2EELi4E23TrivialOffsetCalculatorILi1EjESD_NS0_6memory15LoadWithoutCastENSE_16StoreWithoutCastEEEviT_T0_T2_T3_T4_T5_ ; -- Begin function _ZN2at6native27unrolled_elementwise_kernelINS0_13AUnaryFunctorIaaaZZZNS0_18lshift_kernel_cudaERNS_18TensorIteratorBaseEENKUlvE_clEvENKUlvE0_clEvEUlaaE_EESt5arrayIPcLm2EELi4E23TrivialOffsetCalculatorILi1EjESD_NS0_6memory15LoadWithoutCastENSE_16StoreWithoutCastEEEviT_T0_T2_T3_T4_T5_
	.p2align	8
	.type	_ZN2at6native27unrolled_elementwise_kernelINS0_13AUnaryFunctorIaaaZZZNS0_18lshift_kernel_cudaERNS_18TensorIteratorBaseEENKUlvE_clEvENKUlvE0_clEvEUlaaE_EESt5arrayIPcLm2EELi4E23TrivialOffsetCalculatorILi1EjESD_NS0_6memory15LoadWithoutCastENSE_16StoreWithoutCastEEEviT_T0_T2_T3_T4_T5_,@function
_ZN2at6native27unrolled_elementwise_kernelINS0_13AUnaryFunctorIaaaZZZNS0_18lshift_kernel_cudaERNS_18TensorIteratorBaseEENKUlvE_clEvENKUlvE0_clEvEUlaaE_EESt5arrayIPcLm2EELi4E23TrivialOffsetCalculatorILi1EjESD_NS0_6memory15LoadWithoutCastENSE_16StoreWithoutCastEEEviT_T0_T2_T3_T4_T5_: ; @_ZN2at6native27unrolled_elementwise_kernelINS0_13AUnaryFunctorIaaaZZZNS0_18lshift_kernel_cudaERNS_18TensorIteratorBaseEENKUlvE_clEvENKUlvE0_clEvEUlaaE_EESt5arrayIPcLm2EELi4E23TrivialOffsetCalculatorILi1EjESD_NS0_6memory15LoadWithoutCastENSE_16StoreWithoutCastEEEviT_T0_T2_T3_T4_T5_
; %bb.0:
	v_mov_b32_e32 v3, 0
	global_load_ushort v4, v3, s[4:5] offset:4
	s_load_dword s0, s[4:5], 0x0
	s_load_dwordx4 s[8:11], s[4:5], 0x8
	s_lshl_b32 s14, s6, 10
	v_or_b32_e32 v1, 0x100, v0
	v_or_b32_e32 v2, s14, v0
	s_waitcnt lgkmcnt(0)
	s_sub_i32 s15, s0, s14
	v_cmp_gt_i32_e64 s[0:1], s15, v0
	v_mov_b32_e32 v5, 0
	v_mov_b32_e32 v6, 0
	;; [unrolled: 1-line block ×4, first 2 shown]
	s_and_saveexec_b64 s[2:3], s[0:1]
	s_cbranch_execz .LBB28_8
; %bb.1:
	global_load_ubyte v8, v2, s[10:11]
	v_cmp_gt_u32_e32 vcc, s15, v1
	v_mov_b32_e32 v7, 0
	v_mov_b32_e32 v6, 0
	;; [unrolled: 1-line block ×3, first 2 shown]
	s_and_saveexec_b64 s[4:5], vcc
	s_cbranch_execz .LBB28_7
; %bb.2:
	v_add_u32_e32 v5, s14, v1
	global_load_ubyte v7, v5, s[10:11]
	v_or_b32_e32 v9, 0x200, v0
	v_cmp_gt_u32_e32 vcc, s15, v9
	v_mov_b32_e32 v6, 0
	v_mov_b32_e32 v5, 0
	s_and_saveexec_b64 s[6:7], vcc
	s_cbranch_execz .LBB28_6
; %bb.3:
	v_add_u32_e32 v5, s14, v9
	global_load_ubyte v6, v5, s[10:11]
	v_or_b32_e32 v9, 0x300, v0
	v_cmp_gt_u32_e32 vcc, s15, v9
	v_mov_b32_e32 v5, 0
	s_and_saveexec_b64 s[12:13], vcc
	s_cbranch_execz .LBB28_5
; %bb.4:
	v_add_u32_e32 v5, s14, v9
	global_load_ubyte v5, v5, s[10:11]
.LBB28_5:
	s_or_b64 exec, exec, s[12:13]
.LBB28_6:
	s_or_b64 exec, exec, s[6:7]
.LBB28_7:
	s_or_b64 exec, exec, s[4:5]
.LBB28_8:
	s_or_b64 exec, exec, s[2:3]
	v_mov_b32_e32 v9, 8
	s_waitcnt vmcnt(0)
	v_lshrrev_b32_sdwa v4, v9, v4 dst_sel:DWORD dst_unused:UNUSED_PAD src0_sel:DWORD src1_sel:WORD_0
	v_lshlrev_b32_e32 v10, v8, v4
	v_cmp_lt_u16_sdwa vcc, v8, v9 src0_sel:BYTE_0 src1_sel:DWORD
	s_mov_b32 s2, 0xffff
	v_cndmask_b32_e32 v8, 0, v10, vcc
	v_lshlrev_b32_e32 v10, v7, v4
	v_cmp_lt_u16_sdwa vcc, v7, v9 src0_sel:BYTE_0 src1_sel:DWORD
	v_and_b32_sdwa v8, s2, v8 dst_sel:DWORD dst_unused:UNUSED_PAD src0_sel:DWORD src1_sel:BYTE_0
	v_cndmask_b32_e32 v7, 0, v10, vcc
	v_cndmask_b32_e64 v8, 0, v8, s[0:1]
	v_lshlrev_b16_e32 v7, 8, v7
	v_or_b32_e32 v7, v8, v7
	v_and_b32_e32 v7, 0xffff, v7
	v_cmp_gt_i32_e32 vcc, s15, v1
	v_cndmask_b32_e32 v7, v8, v7, vcc
	v_lshlrev_b32_e32 v10, v6, v4
	v_cmp_lt_u16_sdwa vcc, v6, v9 src0_sel:BYTE_0 src1_sel:DWORD
	v_cndmask_b32_e32 v6, 0, v10, vcc
	s_mov_b32 s4, 0xc0c0304
	v_or_b32_e32 v8, 0x200, v0
	v_perm_b32 v6, v6, v7, s4
	v_lshl_or_b32 v6, v6, 16, v7
	v_cmp_gt_i32_e32 vcc, s15, v8
	s_movk_i32 s3, 0xff
	v_cndmask_b32_e32 v6, v7, v6, vcc
	v_lshlrev_b32_e32 v4, v5, v4
	v_cmp_lt_u16_sdwa vcc, v5, v9 src0_sel:BYTE_0 src1_sel:DWORD
	v_and_b32_sdwa v7, v6, s3 dst_sel:DWORD dst_unused:UNUSED_PAD src0_sel:WORD_1 src1_sel:DWORD
	v_cndmask_b32_sdwa v3, v3, v4, vcc dst_sel:BYTE_1 dst_unused:UNUSED_PAD src0_sel:DWORD src1_sel:DWORD
	v_or_b32_e32 v8, 0x300, v0
	v_or_b32_sdwa v3, v7, v3 dst_sel:WORD_1 dst_unused:UNUSED_PAD src0_sel:DWORD src1_sel:DWORD
	v_and_or_b32 v3, v6, s2, v3
	v_cmp_gt_i32_e32 vcc, s15, v8
	v_cndmask_b32_e32 v3, v6, v3, vcc
	s_and_saveexec_b64 s[2:3], s[0:1]
	s_cbranch_execnz .LBB28_13
; %bb.9:
	s_or_b64 exec, exec, s[2:3]
	v_cmp_gt_i32_e32 vcc, s15, v0
	s_and_saveexec_b64 s[0:1], vcc
	s_cbranch_execnz .LBB28_14
.LBB28_10:
	s_or_b64 exec, exec, s[0:1]
	v_cmp_gt_i32_e32 vcc, s15, v0
	s_and_saveexec_b64 s[0:1], vcc
	s_cbranch_execnz .LBB28_15
.LBB28_11:
	s_or_b64 exec, exec, s[0:1]
	v_cmp_gt_i32_e32 vcc, s15, v0
	s_and_saveexec_b64 s[0:1], vcc
	s_cbranch_execnz .LBB28_16
.LBB28_12:
	s_endpgm
.LBB28_13:
	v_mov_b32_e32 v0, v1
	global_store_byte v2, v3, s[8:9]
	s_or_b64 exec, exec, s[2:3]
	v_cmp_gt_i32_e32 vcc, s15, v0
	s_and_saveexec_b64 s[0:1], vcc
	s_cbranch_execz .LBB28_10
.LBB28_14:
	v_add_u32_e32 v1, 0x100, v0
	v_add_u32_e32 v0, s14, v0
	v_lshrrev_b32_e32 v2, 8, v3
	global_store_byte v0, v2, s[8:9]
	v_mov_b32_e32 v0, v1
	s_or_b64 exec, exec, s[0:1]
	v_cmp_gt_i32_e32 vcc, s15, v0
	s_and_saveexec_b64 s[0:1], vcc
	s_cbranch_execz .LBB28_11
.LBB28_15:
	v_add_u32_e32 v1, 0x100, v0
	v_add_u32_e32 v0, s14, v0
	global_store_byte_d16_hi v0, v3, s[8:9]
	v_mov_b32_e32 v0, v1
	s_or_b64 exec, exec, s[0:1]
	v_cmp_gt_i32_e32 vcc, s15, v0
	s_and_saveexec_b64 s[0:1], vcc
	s_cbranch_execz .LBB28_12
.LBB28_16:
	v_add_u32_e32 v0, s14, v0
	v_lshrrev_b32_e32 v1, 24, v3
	global_store_byte v0, v1, s[8:9]
	s_endpgm
	.section	.rodata,"a",@progbits
	.p2align	6, 0x0
	.amdhsa_kernel _ZN2at6native27unrolled_elementwise_kernelINS0_13AUnaryFunctorIaaaZZZNS0_18lshift_kernel_cudaERNS_18TensorIteratorBaseEENKUlvE_clEvENKUlvE0_clEvEUlaaE_EESt5arrayIPcLm2EELi4E23TrivialOffsetCalculatorILi1EjESD_NS0_6memory15LoadWithoutCastENSE_16StoreWithoutCastEEEviT_T0_T2_T3_T4_T5_
		.amdhsa_group_segment_fixed_size 0
		.amdhsa_private_segment_fixed_size 0
		.amdhsa_kernarg_size 28
		.amdhsa_user_sgpr_count 6
		.amdhsa_user_sgpr_private_segment_buffer 1
		.amdhsa_user_sgpr_dispatch_ptr 0
		.amdhsa_user_sgpr_queue_ptr 0
		.amdhsa_user_sgpr_kernarg_segment_ptr 1
		.amdhsa_user_sgpr_dispatch_id 0
		.amdhsa_user_sgpr_flat_scratch_init 0
		.amdhsa_user_sgpr_private_segment_size 0
		.amdhsa_uses_dynamic_stack 0
		.amdhsa_system_sgpr_private_segment_wavefront_offset 0
		.amdhsa_system_sgpr_workgroup_id_x 1
		.amdhsa_system_sgpr_workgroup_id_y 0
		.amdhsa_system_sgpr_workgroup_id_z 0
		.amdhsa_system_sgpr_workgroup_info 0
		.amdhsa_system_vgpr_workitem_id 0
		.amdhsa_next_free_vgpr 11
		.amdhsa_next_free_sgpr 16
		.amdhsa_reserve_vcc 1
		.amdhsa_reserve_flat_scratch 0
		.amdhsa_float_round_mode_32 0
		.amdhsa_float_round_mode_16_64 0
		.amdhsa_float_denorm_mode_32 3
		.amdhsa_float_denorm_mode_16_64 3
		.amdhsa_dx10_clamp 1
		.amdhsa_ieee_mode 1
		.amdhsa_fp16_overflow 0
		.amdhsa_exception_fp_ieee_invalid_op 0
		.amdhsa_exception_fp_denorm_src 0
		.amdhsa_exception_fp_ieee_div_zero 0
		.amdhsa_exception_fp_ieee_overflow 0
		.amdhsa_exception_fp_ieee_underflow 0
		.amdhsa_exception_fp_ieee_inexact 0
		.amdhsa_exception_int_div_zero 0
	.end_amdhsa_kernel
	.section	.text._ZN2at6native27unrolled_elementwise_kernelINS0_13AUnaryFunctorIaaaZZZNS0_18lshift_kernel_cudaERNS_18TensorIteratorBaseEENKUlvE_clEvENKUlvE0_clEvEUlaaE_EESt5arrayIPcLm2EELi4E23TrivialOffsetCalculatorILi1EjESD_NS0_6memory15LoadWithoutCastENSE_16StoreWithoutCastEEEviT_T0_T2_T3_T4_T5_,"axG",@progbits,_ZN2at6native27unrolled_elementwise_kernelINS0_13AUnaryFunctorIaaaZZZNS0_18lshift_kernel_cudaERNS_18TensorIteratorBaseEENKUlvE_clEvENKUlvE0_clEvEUlaaE_EESt5arrayIPcLm2EELi4E23TrivialOffsetCalculatorILi1EjESD_NS0_6memory15LoadWithoutCastENSE_16StoreWithoutCastEEEviT_T0_T2_T3_T4_T5_,comdat
.Lfunc_end28:
	.size	_ZN2at6native27unrolled_elementwise_kernelINS0_13AUnaryFunctorIaaaZZZNS0_18lshift_kernel_cudaERNS_18TensorIteratorBaseEENKUlvE_clEvENKUlvE0_clEvEUlaaE_EESt5arrayIPcLm2EELi4E23TrivialOffsetCalculatorILi1EjESD_NS0_6memory15LoadWithoutCastENSE_16StoreWithoutCastEEEviT_T0_T2_T3_T4_T5_, .Lfunc_end28-_ZN2at6native27unrolled_elementwise_kernelINS0_13AUnaryFunctorIaaaZZZNS0_18lshift_kernel_cudaERNS_18TensorIteratorBaseEENKUlvE_clEvENKUlvE0_clEvEUlaaE_EESt5arrayIPcLm2EELi4E23TrivialOffsetCalculatorILi1EjESD_NS0_6memory15LoadWithoutCastENSE_16StoreWithoutCastEEEviT_T0_T2_T3_T4_T5_
                                        ; -- End function
	.set _ZN2at6native27unrolled_elementwise_kernelINS0_13AUnaryFunctorIaaaZZZNS0_18lshift_kernel_cudaERNS_18TensorIteratorBaseEENKUlvE_clEvENKUlvE0_clEvEUlaaE_EESt5arrayIPcLm2EELi4E23TrivialOffsetCalculatorILi1EjESD_NS0_6memory15LoadWithoutCastENSE_16StoreWithoutCastEEEviT_T0_T2_T3_T4_T5_.num_vgpr, 11
	.set _ZN2at6native27unrolled_elementwise_kernelINS0_13AUnaryFunctorIaaaZZZNS0_18lshift_kernel_cudaERNS_18TensorIteratorBaseEENKUlvE_clEvENKUlvE0_clEvEUlaaE_EESt5arrayIPcLm2EELi4E23TrivialOffsetCalculatorILi1EjESD_NS0_6memory15LoadWithoutCastENSE_16StoreWithoutCastEEEviT_T0_T2_T3_T4_T5_.num_agpr, 0
	.set _ZN2at6native27unrolled_elementwise_kernelINS0_13AUnaryFunctorIaaaZZZNS0_18lshift_kernel_cudaERNS_18TensorIteratorBaseEENKUlvE_clEvENKUlvE0_clEvEUlaaE_EESt5arrayIPcLm2EELi4E23TrivialOffsetCalculatorILi1EjESD_NS0_6memory15LoadWithoutCastENSE_16StoreWithoutCastEEEviT_T0_T2_T3_T4_T5_.numbered_sgpr, 16
	.set _ZN2at6native27unrolled_elementwise_kernelINS0_13AUnaryFunctorIaaaZZZNS0_18lshift_kernel_cudaERNS_18TensorIteratorBaseEENKUlvE_clEvENKUlvE0_clEvEUlaaE_EESt5arrayIPcLm2EELi4E23TrivialOffsetCalculatorILi1EjESD_NS0_6memory15LoadWithoutCastENSE_16StoreWithoutCastEEEviT_T0_T2_T3_T4_T5_.num_named_barrier, 0
	.set _ZN2at6native27unrolled_elementwise_kernelINS0_13AUnaryFunctorIaaaZZZNS0_18lshift_kernel_cudaERNS_18TensorIteratorBaseEENKUlvE_clEvENKUlvE0_clEvEUlaaE_EESt5arrayIPcLm2EELi4E23TrivialOffsetCalculatorILi1EjESD_NS0_6memory15LoadWithoutCastENSE_16StoreWithoutCastEEEviT_T0_T2_T3_T4_T5_.private_seg_size, 0
	.set _ZN2at6native27unrolled_elementwise_kernelINS0_13AUnaryFunctorIaaaZZZNS0_18lshift_kernel_cudaERNS_18TensorIteratorBaseEENKUlvE_clEvENKUlvE0_clEvEUlaaE_EESt5arrayIPcLm2EELi4E23TrivialOffsetCalculatorILi1EjESD_NS0_6memory15LoadWithoutCastENSE_16StoreWithoutCastEEEviT_T0_T2_T3_T4_T5_.uses_vcc, 1
	.set _ZN2at6native27unrolled_elementwise_kernelINS0_13AUnaryFunctorIaaaZZZNS0_18lshift_kernel_cudaERNS_18TensorIteratorBaseEENKUlvE_clEvENKUlvE0_clEvEUlaaE_EESt5arrayIPcLm2EELi4E23TrivialOffsetCalculatorILi1EjESD_NS0_6memory15LoadWithoutCastENSE_16StoreWithoutCastEEEviT_T0_T2_T3_T4_T5_.uses_flat_scratch, 0
	.set _ZN2at6native27unrolled_elementwise_kernelINS0_13AUnaryFunctorIaaaZZZNS0_18lshift_kernel_cudaERNS_18TensorIteratorBaseEENKUlvE_clEvENKUlvE0_clEvEUlaaE_EESt5arrayIPcLm2EELi4E23TrivialOffsetCalculatorILi1EjESD_NS0_6memory15LoadWithoutCastENSE_16StoreWithoutCastEEEviT_T0_T2_T3_T4_T5_.has_dyn_sized_stack, 0
	.set _ZN2at6native27unrolled_elementwise_kernelINS0_13AUnaryFunctorIaaaZZZNS0_18lshift_kernel_cudaERNS_18TensorIteratorBaseEENKUlvE_clEvENKUlvE0_clEvEUlaaE_EESt5arrayIPcLm2EELi4E23TrivialOffsetCalculatorILi1EjESD_NS0_6memory15LoadWithoutCastENSE_16StoreWithoutCastEEEviT_T0_T2_T3_T4_T5_.has_recursion, 0
	.set _ZN2at6native27unrolled_elementwise_kernelINS0_13AUnaryFunctorIaaaZZZNS0_18lshift_kernel_cudaERNS_18TensorIteratorBaseEENKUlvE_clEvENKUlvE0_clEvEUlaaE_EESt5arrayIPcLm2EELi4E23TrivialOffsetCalculatorILi1EjESD_NS0_6memory15LoadWithoutCastENSE_16StoreWithoutCastEEEviT_T0_T2_T3_T4_T5_.has_indirect_call, 0
	.section	.AMDGPU.csdata,"",@progbits
; Kernel info:
; codeLenInByte = 628
; TotalNumSgprs: 20
; NumVgprs: 11
; ScratchSize: 0
; MemoryBound: 0
; FloatMode: 240
; IeeeMode: 1
; LDSByteSize: 0 bytes/workgroup (compile time only)
; SGPRBlocks: 2
; VGPRBlocks: 2
; NumSGPRsForWavesPerEU: 20
; NumVGPRsForWavesPerEU: 11
; Occupancy: 10
; WaveLimiterHint : 0
; COMPUTE_PGM_RSRC2:SCRATCH_EN: 0
; COMPUTE_PGM_RSRC2:USER_SGPR: 6
; COMPUTE_PGM_RSRC2:TRAP_HANDLER: 0
; COMPUTE_PGM_RSRC2:TGID_X_EN: 1
; COMPUTE_PGM_RSRC2:TGID_Y_EN: 0
; COMPUTE_PGM_RSRC2:TGID_Z_EN: 0
; COMPUTE_PGM_RSRC2:TIDIG_COMP_CNT: 0
	.section	.text._ZN2at6native32elementwise_kernel_manual_unrollILi128ELi8EZNS0_22gpu_kernel_impl_nocastINS0_13AUnaryFunctorIaaaZZZNS0_18lshift_kernel_cudaERNS_18TensorIteratorBaseEENKUlvE_clEvENKUlvE0_clEvEUlaaE_EEEEvS5_RKT_EUlibE_EEviT1_,"axG",@progbits,_ZN2at6native32elementwise_kernel_manual_unrollILi128ELi8EZNS0_22gpu_kernel_impl_nocastINS0_13AUnaryFunctorIaaaZZZNS0_18lshift_kernel_cudaERNS_18TensorIteratorBaseEENKUlvE_clEvENKUlvE0_clEvEUlaaE_EEEEvS5_RKT_EUlibE_EEviT1_,comdat
	.globl	_ZN2at6native32elementwise_kernel_manual_unrollILi128ELi8EZNS0_22gpu_kernel_impl_nocastINS0_13AUnaryFunctorIaaaZZZNS0_18lshift_kernel_cudaERNS_18TensorIteratorBaseEENKUlvE_clEvENKUlvE0_clEvEUlaaE_EEEEvS5_RKT_EUlibE_EEviT1_ ; -- Begin function _ZN2at6native32elementwise_kernel_manual_unrollILi128ELi8EZNS0_22gpu_kernel_impl_nocastINS0_13AUnaryFunctorIaaaZZZNS0_18lshift_kernel_cudaERNS_18TensorIteratorBaseEENKUlvE_clEvENKUlvE0_clEvEUlaaE_EEEEvS5_RKT_EUlibE_EEviT1_
	.p2align	8
	.type	_ZN2at6native32elementwise_kernel_manual_unrollILi128ELi8EZNS0_22gpu_kernel_impl_nocastINS0_13AUnaryFunctorIaaaZZZNS0_18lshift_kernel_cudaERNS_18TensorIteratorBaseEENKUlvE_clEvENKUlvE0_clEvEUlaaE_EEEEvS5_RKT_EUlibE_EEviT1_,@function
_ZN2at6native32elementwise_kernel_manual_unrollILi128ELi8EZNS0_22gpu_kernel_impl_nocastINS0_13AUnaryFunctorIaaaZZZNS0_18lshift_kernel_cudaERNS_18TensorIteratorBaseEENKUlvE_clEvENKUlvE0_clEvEUlaaE_EEEEvS5_RKT_EUlibE_EEviT1_: ; @_ZN2at6native32elementwise_kernel_manual_unrollILi128ELi8EZNS0_22gpu_kernel_impl_nocastINS0_13AUnaryFunctorIaaaZZZNS0_18lshift_kernel_cudaERNS_18TensorIteratorBaseEENKUlvE_clEvENKUlvE0_clEvEUlaaE_EEEEvS5_RKT_EUlibE_EEviT1_
; %bb.0:
	s_load_dword s58, s[4:5], 0x0
	s_load_dword s33, s[4:5], 0x8
	s_add_u32 s34, s4, 8
	s_addc_u32 s35, s5, 0
	v_lshl_or_b32 v19, s6, 10, v0
	v_or_b32_e32 v25, 0x380, v19
	s_waitcnt lgkmcnt(0)
	s_add_i32 s56, s33, -1
	s_cmp_gt_u32 s56, 1
	v_cmp_le_i32_e32 vcc, s58, v25
	s_cselect_b64 s[6:7], -1, 0
	s_and_saveexec_b64 s[0:1], vcc
	s_xor_b64 s[40:41], exec, s[0:1]
	s_cbranch_execz .LBB29_7
; %bb.1:
	s_cmp_lg_u32 s33, 0
	s_cselect_b64 s[48:49], -1, 0
	s_add_u32 s46, s34, 0xc4
	s_load_dwordx4 s[24:27], s[34:35], 0x4
	s_load_dwordx2 s[42:43], s[34:35], 0x14
	s_load_dword s8, s[4:5], 0x160
	s_load_dwordx4 s[28:31], s[34:35], 0xc4
	s_load_dwordx4 s[0:3], s[34:35], 0x148
	s_addc_u32 s47, s35, 0
	s_min_u32 s59, s56, 15
	s_cmp_gt_u32 s33, 1
	s_cselect_b64 s[44:45], -1, 0
	s_waitcnt lgkmcnt(0)
	s_bfe_u32 s57, s8, 0x80008
	v_cmp_gt_i32_e32 vcc, s58, v19
	s_and_saveexec_b64 s[50:51], vcc
	s_cbranch_execz .LBB29_14
; %bb.2:
	s_andn2_b64 vcc, exec, s[6:7]
	s_cbranch_vccnz .LBB29_21
; %bb.3:
	s_andn2_b64 vcc, exec, s[48:49]
	s_cbranch_vccnz .LBB29_129
; %bb.4:
	s_add_i32 s61, s59, 1
	s_cmp_eq_u32 s56, 2
	s_cbranch_scc1 .LBB29_131
; %bb.5:
	s_and_b32 s60, s61, 28
	v_mov_b32_e32 v2, 0
	s_mov_b32 s62, 0
	s_mov_b64 s[52:53], s[34:35]
	s_mov_b64 s[54:55], s[46:47]
	v_mov_b32_e32 v0, 0
	v_mov_b32_e32 v1, v19
.LBB29_6:                               ; =>This Inner Loop Header: Depth=1
	s_load_dwordx8 s[16:23], s[52:53], 0x4
	s_load_dwordx4 s[36:39], s[52:53], 0x24
	s_load_dwordx8 s[8:15], s[54:55], 0x0
	s_add_u32 s52, s52, 48
	s_addc_u32 s53, s53, 0
	s_waitcnt lgkmcnt(0)
	v_mul_hi_u32 v3, s17, v1
	s_add_i32 s62, s62, 4
	s_add_u32 s54, s54, 32
	s_addc_u32 s55, s55, 0
	v_add_u32_e32 v3, v1, v3
	v_lshrrev_b32_e32 v3, s18, v3
	v_mul_lo_u32 v4, v3, s16
	v_mul_hi_u32 v5, s20, v3
	s_cmp_lg_u32 s60, s62
	v_sub_u32_e32 v1, v1, v4
	v_add_u32_e32 v4, v3, v5
	v_mul_lo_u32 v5, v1, s8
	v_mul_lo_u32 v6, v1, s9
	v_lshrrev_b32_e32 v1, s21, v4
	v_mul_lo_u32 v4, v1, s19
	v_mul_hi_u32 v7, s23, v1
	v_sub_u32_e32 v3, v3, v4
	v_add_u32_e32 v4, v1, v7
	v_lshrrev_b32_e32 v4, s36, v4
	v_mul_hi_u32 v8, s38, v4
	v_mul_lo_u32 v9, v4, s22
	v_mul_lo_u32 v7, v3, s10
	v_mul_lo_u32 v3, v3, s11
	v_sub_u32_e32 v9, v1, v9
	v_add_u32_e32 v1, v4, v8
	v_lshrrev_b32_e32 v1, s39, v1
	v_mul_lo_u32 v8, v1, s37
	v_mul_lo_u32 v10, v9, s12
	;; [unrolled: 1-line block ×3, first 2 shown]
	v_add3_u32 v0, v5, v0, v7
	v_sub_u32_e32 v4, v4, v8
	v_mul_lo_u32 v8, v4, s14
	v_mul_lo_u32 v4, v4, s15
	v_add3_u32 v2, v6, v2, v3
	v_add3_u32 v0, v10, v0, v8
	;; [unrolled: 1-line block ×3, first 2 shown]
	s_cbranch_scc1 .LBB29_6
	s_branch .LBB29_132
.LBB29_7:
	s_andn2_saveexec_b64 s[0:1], s[40:41]
	s_cbranch_execz .LBB29_221
.LBB29_8:
	v_cndmask_b32_e64 v0, 0, 1, s[6:7]
	v_cmp_ne_u32_e64 s[0:1], 1, v0
	s_andn2_b64 vcc, exec, s[6:7]
	s_cbranch_vccnz .LBB29_20
; %bb.9:
	s_cmp_lg_u32 s33, 0
	s_mov_b32 s28, 0
	s_cbranch_scc0 .LBB29_23
; %bb.10:
	s_min_u32 s29, s56, 15
	s_add_i32 s29, s29, 1
	s_cmp_eq_u32 s56, 2
	s_cbranch_scc1 .LBB29_24
; %bb.11:
	s_and_b32 s28, s29, 28
	s_add_u32 s2, s34, 0xc4
	s_addc_u32 s3, s35, 0
	v_mov_b32_e32 v2, 0
	s_mov_b32 s30, 0
	s_mov_b64 s[6:7], s[34:35]
	v_mov_b32_e32 v0, 0
	v_mov_b32_e32 v1, v19
.LBB29_12:                              ; =>This Inner Loop Header: Depth=1
	s_load_dwordx8 s[16:23], s[6:7], 0x4
	s_load_dwordx4 s[24:27], s[6:7], 0x24
	s_load_dwordx8 s[8:15], s[2:3], 0x0
	s_add_u32 s6, s6, 48
	s_addc_u32 s7, s7, 0
	s_waitcnt lgkmcnt(0)
	v_mul_hi_u32 v3, s17, v1
	s_add_i32 s30, s30, 4
	s_add_u32 s2, s2, 32
	s_addc_u32 s3, s3, 0
	v_add_u32_e32 v3, v1, v3
	v_lshrrev_b32_e32 v3, s18, v3
	v_mul_lo_u32 v4, v3, s16
	v_mul_hi_u32 v5, s20, v3
	s_cmp_lg_u32 s28, s30
	v_sub_u32_e32 v1, v1, v4
	v_add_u32_e32 v4, v3, v5
	v_mul_lo_u32 v5, v1, s8
	v_mul_lo_u32 v6, v1, s9
	v_lshrrev_b32_e32 v1, s21, v4
	v_mul_lo_u32 v4, v1, s19
	v_mul_hi_u32 v7, s23, v1
	v_sub_u32_e32 v3, v3, v4
	v_add_u32_e32 v4, v1, v7
	v_lshrrev_b32_e32 v4, s24, v4
	v_mul_hi_u32 v8, s26, v4
	v_mul_lo_u32 v9, v4, s22
	v_mul_lo_u32 v7, v3, s10
	;; [unrolled: 1-line block ×3, first 2 shown]
	v_sub_u32_e32 v9, v1, v9
	v_add_u32_e32 v1, v4, v8
	v_lshrrev_b32_e32 v1, s27, v1
	v_mul_lo_u32 v8, v1, s25
	v_mul_lo_u32 v10, v9, s12
	v_mul_lo_u32 v9, v9, s13
	v_add3_u32 v0, v5, v0, v7
	v_sub_u32_e32 v4, v4, v8
	v_mul_lo_u32 v8, v4, s14
	v_mul_lo_u32 v4, v4, s15
	v_add3_u32 v2, v6, v2, v3
	v_add3_u32 v0, v10, v0, v8
	;; [unrolled: 1-line block ×3, first 2 shown]
	s_cbranch_scc1 .LBB29_12
; %bb.13:
	s_and_b32 s8, s29, 3
	s_cmp_eq_u32 s8, 0
	s_cbranch_scc0 .LBB29_25
	s_branch .LBB29_27
.LBB29_14:
	s_or_b64 exec, exec, s[50:51]
	v_cmp_gt_i32_e32 vcc, s58, v19
	s_and_saveexec_b64 s[50:51], vcc
	s_cbranch_execz .LBB29_139
.LBB29_15:
	s_andn2_b64 vcc, exec, s[6:7]
	s_cbranch_vccnz .LBB29_22
; %bb.16:
	s_andn2_b64 vcc, exec, s[48:49]
	s_cbranch_vccnz .LBB29_130
; %bb.17:
	s_add_i32 s61, s59, 1
	s_cmp_eq_u32 s56, 2
	s_cbranch_scc1 .LBB29_147
; %bb.18:
	s_and_b32 s60, s61, 28
	v_mov_b32_e32 v2, 0
	s_mov_b32 s62, 0
	s_mov_b64 s[52:53], s[34:35]
	s_mov_b64 s[54:55], s[46:47]
	v_mov_b32_e32 v0, 0
	v_mov_b32_e32 v1, v19
.LBB29_19:                              ; =>This Inner Loop Header: Depth=1
	s_load_dwordx8 s[16:23], s[52:53], 0x4
	s_load_dwordx4 s[36:39], s[52:53], 0x24
	s_load_dwordx8 s[8:15], s[54:55], 0x0
	s_add_u32 s52, s52, 48
	s_addc_u32 s53, s53, 0
	s_waitcnt lgkmcnt(0)
	v_mul_hi_u32 v3, s17, v1
	s_add_i32 s62, s62, 4
	s_add_u32 s54, s54, 32
	s_addc_u32 s55, s55, 0
	v_add_u32_e32 v3, v1, v3
	v_lshrrev_b32_e32 v3, s18, v3
	v_mul_lo_u32 v4, v3, s16
	v_mul_hi_u32 v5, s20, v3
	s_cmp_eq_u32 s60, s62
	v_sub_u32_e32 v1, v1, v4
	v_add_u32_e32 v4, v3, v5
	v_mul_lo_u32 v5, v1, s8
	v_mul_lo_u32 v6, v1, s9
	v_lshrrev_b32_e32 v1, s21, v4
	v_mul_lo_u32 v4, v1, s19
	v_mul_hi_u32 v7, s23, v1
	v_sub_u32_e32 v3, v3, v4
	v_add_u32_e32 v4, v1, v7
	v_lshrrev_b32_e32 v4, s36, v4
	v_mul_hi_u32 v8, s38, v4
	v_mul_lo_u32 v9, v4, s22
	v_mul_lo_u32 v7, v3, s10
	;; [unrolled: 1-line block ×3, first 2 shown]
	v_sub_u32_e32 v9, v1, v9
	v_add_u32_e32 v1, v4, v8
	v_lshrrev_b32_e32 v1, s39, v1
	v_mul_lo_u32 v8, v1, s37
	v_mul_lo_u32 v10, v9, s12
	;; [unrolled: 1-line block ×3, first 2 shown]
	v_add3_u32 v0, v5, v0, v7
	v_sub_u32_e32 v4, v4, v8
	v_mul_lo_u32 v8, v4, s14
	v_mul_lo_u32 v4, v4, s15
	v_add3_u32 v2, v6, v2, v3
	v_add3_u32 v0, v10, v0, v8
	;; [unrolled: 1-line block ×3, first 2 shown]
	s_cbranch_scc0 .LBB29_19
	s_branch .LBB29_148
.LBB29_20:
                                        ; implicit-def: $vgpr0
                                        ; implicit-def: $vgpr2
	s_branch .LBB29_28
.LBB29_21:
                                        ; implicit-def: $vgpr0
                                        ; implicit-def: $vgpr2
	s_branch .LBB29_136
.LBB29_22:
                                        ; implicit-def: $vgpr0
                                        ; implicit-def: $vgpr2
	s_branch .LBB29_152
.LBB29_23:
	v_mov_b32_e32 v0, 0
	v_mov_b32_e32 v2, 0
	s_branch .LBB29_27
.LBB29_24:
	v_mov_b32_e32 v0, 0
	v_mov_b32_e32 v2, 0
	;; [unrolled: 1-line block ×3, first 2 shown]
	s_and_b32 s8, s29, 3
	s_cmp_eq_u32 s8, 0
	s_cbranch_scc1 .LBB29_27
.LBB29_25:
	s_lshl_b32 s2, s28, 3
	s_add_u32 s2, s34, s2
	s_addc_u32 s3, s35, 0
	s_add_u32 s2, s2, 0xc4
	s_addc_u32 s3, s3, 0
	s_mul_i32 s6, s28, 12
	s_add_u32 s6, s34, s6
	s_addc_u32 s7, s35, 0
.LBB29_26:                              ; =>This Inner Loop Header: Depth=1
	s_load_dwordx2 s[10:11], s[6:7], 0x4
	s_load_dword s9, s[6:7], 0xc
	s_load_dwordx2 s[12:13], s[2:3], 0x0
	s_add_u32 s6, s6, 12
	s_addc_u32 s7, s7, 0
	s_waitcnt lgkmcnt(0)
	v_mul_hi_u32 v4, s11, v1
	s_add_u32 s2, s2, 8
	s_addc_u32 s3, s3, 0
	s_add_i32 s8, s8, -1
	v_add_u32_e32 v4, v1, v4
	v_lshrrev_b32_e32 v4, s9, v4
	v_mul_lo_u32 v5, v4, s10
	s_cmp_lg_u32 s8, 0
	v_sub_u32_e32 v5, v1, v5
	v_mad_u64_u32 v[0:1], s[10:11], v5, s12, v[0:1]
	v_mad_u64_u32 v[2:3], s[10:11], v5, s13, v[2:3]
	v_mov_b32_e32 v1, v4
	s_cbranch_scc1 .LBB29_26
.LBB29_27:
	s_cbranch_execnz .LBB29_30
.LBB29_28:
	s_load_dwordx4 s[8:11], s[34:35], 0x4
	s_load_dwordx2 s[2:3], s[34:35], 0xc4
	s_cmp_lt_u32 s33, 2
	s_waitcnt lgkmcnt(0)
	v_mul_hi_u32 v0, s9, v19
	v_add_u32_e32 v0, v19, v0
	v_lshrrev_b32_e32 v1, s10, v0
	v_mul_lo_u32 v0, v1, s8
	v_sub_u32_e32 v2, v19, v0
	v_mul_lo_u32 v0, v2, s2
	v_mul_lo_u32 v2, v2, s3
	s_cbranch_scc1 .LBB29_30
; %bb.29:
	s_load_dwordx4 s[8:11], s[34:35], 0x10
	s_load_dwordx2 s[2:3], s[34:35], 0xcc
	s_waitcnt lgkmcnt(0)
	v_mul_hi_u32 v3, s9, v1
	v_add_u32_e32 v3, v1, v3
	v_lshrrev_b32_e32 v3, s10, v3
	v_mul_lo_u32 v3, v3, s8
	v_sub_u32_e32 v3, v1, v3
	v_mad_u64_u32 v[0:1], s[6:7], v3, s2, v[0:1]
	v_mad_u64_u32 v[2:3], s[2:3], v3, s3, v[2:3]
.LBB29_30:
	s_and_b64 vcc, exec, s[0:1]
	v_add_u32_e32 v1, 0x80, v19
	s_cbranch_vccnz .LBB29_36
; %bb.31:
	s_cmp_lg_u32 s33, 0
	s_mov_b32 s28, 0
	s_cbranch_scc0 .LBB29_37
; %bb.32:
	s_min_u32 s29, s56, 15
	s_add_i32 s29, s29, 1
	s_cmp_eq_u32 s56, 2
	s_cbranch_scc1 .LBB29_38
; %bb.33:
	s_and_b32 s28, s29, 28
	s_add_u32 s2, s34, 0xc4
	s_addc_u32 s3, s35, 0
	v_mov_b32_e32 v5, 0
	s_mov_b32 s30, 0
	s_mov_b64 s[6:7], s[34:35]
	v_mov_b32_e32 v3, 0
	v_mov_b32_e32 v4, v1
.LBB29_34:                              ; =>This Inner Loop Header: Depth=1
	s_load_dwordx8 s[16:23], s[6:7], 0x4
	s_load_dwordx4 s[24:27], s[6:7], 0x24
	s_load_dwordx8 s[8:15], s[2:3], 0x0
	s_add_u32 s6, s6, 48
	s_addc_u32 s7, s7, 0
	s_waitcnt lgkmcnt(0)
	v_mul_hi_u32 v6, s17, v4
	s_add_i32 s30, s30, 4
	s_add_u32 s2, s2, 32
	s_addc_u32 s3, s3, 0
	v_add_u32_e32 v6, v4, v6
	v_lshrrev_b32_e32 v6, s18, v6
	v_mul_lo_u32 v7, v6, s16
	v_mul_hi_u32 v8, s20, v6
	s_cmp_lg_u32 s28, s30
	v_sub_u32_e32 v4, v4, v7
	v_add_u32_e32 v7, v6, v8
	v_mul_lo_u32 v8, v4, s8
	v_mul_lo_u32 v9, v4, s9
	v_lshrrev_b32_e32 v4, s21, v7
	v_mul_lo_u32 v7, v4, s19
	v_mul_hi_u32 v10, s23, v4
	v_sub_u32_e32 v6, v6, v7
	v_add_u32_e32 v7, v4, v10
	v_lshrrev_b32_e32 v7, s24, v7
	v_mul_hi_u32 v11, s26, v7
	v_mul_lo_u32 v12, v7, s22
	v_mul_lo_u32 v10, v6, s10
	v_mul_lo_u32 v6, v6, s11
	v_sub_u32_e32 v12, v4, v12
	v_add_u32_e32 v4, v7, v11
	v_lshrrev_b32_e32 v4, s27, v4
	v_mul_lo_u32 v11, v4, s25
	v_mul_lo_u32 v13, v12, s12
	;; [unrolled: 1-line block ×3, first 2 shown]
	v_add3_u32 v3, v8, v3, v10
	v_sub_u32_e32 v7, v7, v11
	v_mul_lo_u32 v11, v7, s14
	v_mul_lo_u32 v7, v7, s15
	v_add3_u32 v5, v9, v5, v6
	v_add3_u32 v3, v13, v3, v11
	;; [unrolled: 1-line block ×3, first 2 shown]
	s_cbranch_scc1 .LBB29_34
; %bb.35:
	s_and_b32 s8, s29, 3
	s_cmp_eq_u32 s8, 0
	s_cbranch_scc0 .LBB29_39
	s_branch .LBB29_41
.LBB29_36:
                                        ; implicit-def: $vgpr3
                                        ; implicit-def: $vgpr5
	s_branch .LBB29_42
.LBB29_37:
	v_mov_b32_e32 v3, 0
	v_mov_b32_e32 v5, 0
	s_branch .LBB29_41
.LBB29_38:
	v_mov_b32_e32 v3, 0
	v_mov_b32_e32 v5, 0
	;; [unrolled: 1-line block ×3, first 2 shown]
	s_and_b32 s8, s29, 3
	s_cmp_eq_u32 s8, 0
	s_cbranch_scc1 .LBB29_41
.LBB29_39:
	s_lshl_b32 s2, s28, 3
	s_add_u32 s2, s34, s2
	s_addc_u32 s3, s35, 0
	s_add_u32 s2, s2, 0xc4
	s_addc_u32 s3, s3, 0
	s_mul_i32 s6, s28, 12
	s_add_u32 s6, s34, s6
	s_addc_u32 s7, s35, 0
.LBB29_40:                              ; =>This Inner Loop Header: Depth=1
	s_load_dwordx2 s[10:11], s[6:7], 0x4
	s_load_dword s9, s[6:7], 0xc
	s_load_dwordx2 s[12:13], s[2:3], 0x0
	s_add_u32 s6, s6, 12
	s_addc_u32 s7, s7, 0
	s_waitcnt lgkmcnt(0)
	v_mul_hi_u32 v7, s11, v4
	s_add_u32 s2, s2, 8
	s_addc_u32 s3, s3, 0
	s_add_i32 s8, s8, -1
	v_add_u32_e32 v7, v4, v7
	v_lshrrev_b32_e32 v7, s9, v7
	v_mul_lo_u32 v8, v7, s10
	s_cmp_lg_u32 s8, 0
	v_sub_u32_e32 v8, v4, v8
	v_mad_u64_u32 v[3:4], s[10:11], v8, s12, v[3:4]
	v_mad_u64_u32 v[5:6], s[10:11], v8, s13, v[5:6]
	v_mov_b32_e32 v4, v7
	s_cbranch_scc1 .LBB29_40
.LBB29_41:
	s_cbranch_execnz .LBB29_44
.LBB29_42:
	s_load_dwordx4 s[8:11], s[34:35], 0x4
	s_load_dwordx2 s[2:3], s[34:35], 0xc4
	s_cmp_lt_u32 s33, 2
	s_waitcnt lgkmcnt(0)
	v_mul_hi_u32 v3, s9, v1
	v_add_u32_e32 v3, v1, v3
	v_lshrrev_b32_e32 v4, s10, v3
	v_mul_lo_u32 v3, v4, s8
	v_sub_u32_e32 v1, v1, v3
	v_mul_lo_u32 v3, v1, s2
	v_mul_lo_u32 v5, v1, s3
	s_cbranch_scc1 .LBB29_44
; %bb.43:
	s_load_dwordx4 s[8:11], s[34:35], 0x10
	s_load_dwordx2 s[2:3], s[34:35], 0xcc
	s_waitcnt lgkmcnt(0)
	v_mul_hi_u32 v1, s9, v4
	v_add_u32_e32 v1, v4, v1
	v_lshrrev_b32_e32 v1, s10, v1
	v_mul_lo_u32 v1, v1, s8
	v_sub_u32_e32 v1, v4, v1
	v_mad_u64_u32 v[3:4], s[6:7], v1, s2, v[3:4]
	v_mad_u64_u32 v[5:6], s[2:3], v1, s3, v[5:6]
.LBB29_44:
	s_and_b64 vcc, exec, s[0:1]
	v_add_u32_e32 v1, 0x100, v19
	s_cbranch_vccnz .LBB29_50
; %bb.45:
	s_cmp_lg_u32 s33, 0
	s_mov_b32 s28, 0
	s_cbranch_scc0 .LBB29_51
; %bb.46:
	s_min_u32 s29, s56, 15
	s_add_i32 s29, s29, 1
	s_cmp_eq_u32 s56, 2
	s_cbranch_scc1 .LBB29_52
; %bb.47:
	s_and_b32 s28, s29, 28
	s_add_u32 s2, s34, 0xc4
	s_addc_u32 s3, s35, 0
	v_mov_b32_e32 v8, 0
	s_mov_b32 s30, 0
	s_mov_b64 s[6:7], s[34:35]
	v_mov_b32_e32 v6, 0
	v_mov_b32_e32 v4, v1
.LBB29_48:                              ; =>This Inner Loop Header: Depth=1
	s_load_dwordx8 s[16:23], s[6:7], 0x4
	s_load_dwordx4 s[24:27], s[6:7], 0x24
	s_load_dwordx8 s[8:15], s[2:3], 0x0
	s_add_u32 s6, s6, 48
	s_addc_u32 s7, s7, 0
	s_waitcnt lgkmcnt(0)
	v_mul_hi_u32 v7, s17, v4
	s_add_i32 s30, s30, 4
	s_add_u32 s2, s2, 32
	s_addc_u32 s3, s3, 0
	v_add_u32_e32 v7, v4, v7
	v_lshrrev_b32_e32 v7, s18, v7
	v_mul_lo_u32 v9, v7, s16
	v_mul_hi_u32 v10, s20, v7
	s_cmp_lg_u32 s28, s30
	v_sub_u32_e32 v4, v4, v9
	v_add_u32_e32 v9, v7, v10
	v_mul_lo_u32 v10, v4, s8
	v_mul_lo_u32 v11, v4, s9
	v_lshrrev_b32_e32 v4, s21, v9
	v_mul_lo_u32 v9, v4, s19
	v_mul_hi_u32 v12, s23, v4
	v_sub_u32_e32 v7, v7, v9
	v_add_u32_e32 v9, v4, v12
	v_lshrrev_b32_e32 v9, s24, v9
	v_mul_hi_u32 v13, s26, v9
	v_mul_lo_u32 v14, v9, s22
	v_mul_lo_u32 v12, v7, s10
	;; [unrolled: 1-line block ×3, first 2 shown]
	v_sub_u32_e32 v14, v4, v14
	v_add_u32_e32 v4, v9, v13
	v_lshrrev_b32_e32 v4, s27, v4
	v_mul_lo_u32 v13, v4, s25
	v_mul_lo_u32 v15, v14, s12
	;; [unrolled: 1-line block ×3, first 2 shown]
	v_add3_u32 v6, v10, v6, v12
	v_sub_u32_e32 v9, v9, v13
	v_mul_lo_u32 v13, v9, s14
	v_mul_lo_u32 v9, v9, s15
	v_add3_u32 v7, v11, v8, v7
	v_add3_u32 v6, v15, v6, v13
	;; [unrolled: 1-line block ×3, first 2 shown]
	s_cbranch_scc1 .LBB29_48
; %bb.49:
	s_and_b32 s8, s29, 3
	s_cmp_eq_u32 s8, 0
	s_cbranch_scc0 .LBB29_53
	s_branch .LBB29_55
.LBB29_50:
                                        ; implicit-def: $vgpr6
                                        ; implicit-def: $vgpr8
	s_branch .LBB29_56
.LBB29_51:
	v_mov_b32_e32 v6, 0
	v_mov_b32_e32 v8, 0
	s_branch .LBB29_55
.LBB29_52:
	v_mov_b32_e32 v6, 0
	v_mov_b32_e32 v8, 0
	;; [unrolled: 1-line block ×3, first 2 shown]
	s_and_b32 s8, s29, 3
	s_cmp_eq_u32 s8, 0
	s_cbranch_scc1 .LBB29_55
.LBB29_53:
	s_lshl_b32 s2, s28, 3
	s_add_u32 s2, s34, s2
	s_addc_u32 s3, s35, 0
	s_add_u32 s2, s2, 0xc4
	s_addc_u32 s3, s3, 0
	s_mul_i32 s6, s28, 12
	s_add_u32 s6, s34, s6
	s_addc_u32 s7, s35, 0
.LBB29_54:                              ; =>This Inner Loop Header: Depth=1
	s_load_dwordx2 s[10:11], s[6:7], 0x4
	s_load_dword s9, s[6:7], 0xc
	s_load_dwordx2 s[12:13], s[2:3], 0x0
	s_add_u32 s6, s6, 12
	s_addc_u32 s7, s7, 0
	s_waitcnt lgkmcnt(0)
	v_mul_hi_u32 v7, s11, v4
	s_add_u32 s2, s2, 8
	s_addc_u32 s3, s3, 0
	s_add_i32 s8, s8, -1
	v_add_u32_e32 v7, v4, v7
	v_lshrrev_b32_e32 v10, s9, v7
	v_mul_lo_u32 v7, v10, s10
	s_cmp_lg_u32 s8, 0
	v_sub_u32_e32 v4, v4, v7
	v_mad_u64_u32 v[6:7], s[10:11], v4, s12, v[6:7]
	v_mad_u64_u32 v[8:9], s[10:11], v4, s13, v[8:9]
	v_mov_b32_e32 v4, v10
	s_cbranch_scc1 .LBB29_54
.LBB29_55:
	s_cbranch_execnz .LBB29_58
.LBB29_56:
	s_load_dwordx4 s[8:11], s[34:35], 0x4
	s_load_dwordx2 s[2:3], s[34:35], 0xc4
	s_cmp_lt_u32 s33, 2
	s_waitcnt lgkmcnt(0)
	v_mul_hi_u32 v4, s9, v1
	v_add_u32_e32 v4, v1, v4
	v_lshrrev_b32_e32 v4, s10, v4
	v_mul_lo_u32 v6, v4, s8
	v_sub_u32_e32 v1, v1, v6
	v_mul_lo_u32 v6, v1, s2
	v_mul_lo_u32 v8, v1, s3
	s_cbranch_scc1 .LBB29_58
; %bb.57:
	s_load_dwordx4 s[8:11], s[34:35], 0x10
	s_load_dwordx2 s[2:3], s[34:35], 0xcc
	s_waitcnt lgkmcnt(0)
	v_mul_hi_u32 v1, s9, v4
	v_add_u32_e32 v1, v4, v1
	v_lshrrev_b32_e32 v1, s10, v1
	v_mul_lo_u32 v1, v1, s8
	v_sub_u32_e32 v1, v4, v1
	v_mad_u64_u32 v[6:7], s[6:7], v1, s2, v[6:7]
	v_mad_u64_u32 v[8:9], s[2:3], v1, s3, v[8:9]
.LBB29_58:
	s_and_b64 vcc, exec, s[0:1]
	v_add_u32_e32 v1, 0x180, v19
	s_cbranch_vccnz .LBB29_64
; %bb.59:
	s_cmp_lg_u32 s33, 0
	s_mov_b32 s28, 0
	s_cbranch_scc0 .LBB29_65
; %bb.60:
	s_min_u32 s29, s56, 15
	s_add_i32 s29, s29, 1
	s_cmp_eq_u32 s56, 2
	s_cbranch_scc1 .LBB29_66
; %bb.61:
	s_and_b32 s28, s29, 28
	s_add_u32 s2, s34, 0xc4
	s_addc_u32 s3, s35, 0
	v_mov_b32_e32 v11, 0
	s_mov_b32 s30, 0
	s_mov_b64 s[6:7], s[34:35]
	v_mov_b32_e32 v9, 0
	v_mov_b32_e32 v4, v1
.LBB29_62:                              ; =>This Inner Loop Header: Depth=1
	s_load_dwordx8 s[16:23], s[6:7], 0x4
	s_load_dwordx4 s[24:27], s[6:7], 0x24
	s_load_dwordx8 s[8:15], s[2:3], 0x0
	s_add_u32 s6, s6, 48
	s_addc_u32 s7, s7, 0
	s_waitcnt lgkmcnt(0)
	v_mul_hi_u32 v7, s17, v4
	s_add_i32 s30, s30, 4
	s_add_u32 s2, s2, 32
	s_addc_u32 s3, s3, 0
	v_add_u32_e32 v7, v4, v7
	v_lshrrev_b32_e32 v7, s18, v7
	v_mul_lo_u32 v10, v7, s16
	v_mul_hi_u32 v12, s20, v7
	s_cmp_lg_u32 s28, s30
	v_sub_u32_e32 v4, v4, v10
	v_add_u32_e32 v10, v7, v12
	v_mul_lo_u32 v12, v4, s8
	v_mul_lo_u32 v13, v4, s9
	v_lshrrev_b32_e32 v4, s21, v10
	v_mul_lo_u32 v10, v4, s19
	v_mul_hi_u32 v14, s23, v4
	v_sub_u32_e32 v7, v7, v10
	v_add_u32_e32 v10, v4, v14
	v_lshrrev_b32_e32 v10, s24, v10
	v_mul_hi_u32 v15, s26, v10
	v_mul_lo_u32 v16, v10, s22
	v_mul_lo_u32 v14, v7, s10
	;; [unrolled: 1-line block ×3, first 2 shown]
	v_sub_u32_e32 v16, v4, v16
	v_add_u32_e32 v4, v10, v15
	v_lshrrev_b32_e32 v4, s27, v4
	v_mul_lo_u32 v15, v4, s25
	v_mul_lo_u32 v17, v16, s12
	;; [unrolled: 1-line block ×3, first 2 shown]
	v_add3_u32 v9, v12, v9, v14
	v_sub_u32_e32 v10, v10, v15
	v_mul_lo_u32 v15, v10, s14
	v_mul_lo_u32 v10, v10, s15
	v_add3_u32 v7, v13, v11, v7
	v_add3_u32 v9, v17, v9, v15
	;; [unrolled: 1-line block ×3, first 2 shown]
	s_cbranch_scc1 .LBB29_62
; %bb.63:
	s_and_b32 s8, s29, 3
	s_cmp_eq_u32 s8, 0
	s_cbranch_scc0 .LBB29_67
	s_branch .LBB29_69
.LBB29_64:
                                        ; implicit-def: $vgpr9
                                        ; implicit-def: $vgpr11
	s_branch .LBB29_70
.LBB29_65:
	v_mov_b32_e32 v9, 0
	v_mov_b32_e32 v11, 0
	s_branch .LBB29_69
.LBB29_66:
	v_mov_b32_e32 v9, 0
	v_mov_b32_e32 v11, 0
	;; [unrolled: 1-line block ×3, first 2 shown]
	s_and_b32 s8, s29, 3
	s_cmp_eq_u32 s8, 0
	s_cbranch_scc1 .LBB29_69
.LBB29_67:
	s_lshl_b32 s2, s28, 3
	s_add_u32 s2, s34, s2
	s_addc_u32 s3, s35, 0
	s_add_u32 s2, s2, 0xc4
	s_addc_u32 s3, s3, 0
	s_mul_i32 s6, s28, 12
	s_add_u32 s6, s34, s6
	s_addc_u32 s7, s35, 0
.LBB29_68:                              ; =>This Inner Loop Header: Depth=1
	s_load_dwordx2 s[10:11], s[6:7], 0x4
	s_load_dword s9, s[6:7], 0xc
	s_load_dwordx2 s[12:13], s[2:3], 0x0
	s_add_u32 s6, s6, 12
	s_addc_u32 s7, s7, 0
	s_waitcnt lgkmcnt(0)
	v_mul_hi_u32 v7, s11, v4
	s_add_u32 s2, s2, 8
	s_addc_u32 s3, s3, 0
	s_add_i32 s8, s8, -1
	v_add_u32_e32 v7, v4, v7
	v_lshrrev_b32_e32 v7, s9, v7
	v_mul_lo_u32 v10, v7, s10
	s_cmp_lg_u32 s8, 0
	v_sub_u32_e32 v4, v4, v10
	v_mad_u64_u32 v[9:10], s[10:11], v4, s12, v[9:10]
	v_mad_u64_u32 v[11:12], s[10:11], v4, s13, v[11:12]
	v_mov_b32_e32 v4, v7
	s_cbranch_scc1 .LBB29_68
.LBB29_69:
	s_cbranch_execnz .LBB29_72
.LBB29_70:
	s_load_dwordx4 s[8:11], s[34:35], 0x4
	s_load_dwordx2 s[2:3], s[34:35], 0xc4
	s_cmp_lt_u32 s33, 2
	s_waitcnt lgkmcnt(0)
	v_mul_hi_u32 v4, s9, v1
	v_add_u32_e32 v4, v1, v4
	v_lshrrev_b32_e32 v4, s10, v4
	v_mul_lo_u32 v7, v4, s8
	v_sub_u32_e32 v1, v1, v7
	v_mul_lo_u32 v9, v1, s2
	v_mul_lo_u32 v11, v1, s3
	s_cbranch_scc1 .LBB29_72
; %bb.71:
	s_load_dwordx4 s[8:11], s[34:35], 0x10
	s_load_dwordx2 s[2:3], s[34:35], 0xcc
	s_waitcnt lgkmcnt(0)
	v_mul_hi_u32 v1, s9, v4
	v_add_u32_e32 v1, v4, v1
	v_lshrrev_b32_e32 v1, s10, v1
	v_mul_lo_u32 v1, v1, s8
	v_sub_u32_e32 v1, v4, v1
	v_mad_u64_u32 v[9:10], s[6:7], v1, s2, v[9:10]
	v_mad_u64_u32 v[11:12], s[2:3], v1, s3, v[11:12]
.LBB29_72:
	s_and_b64 vcc, exec, s[0:1]
	v_add_u32_e32 v1, 0x200, v19
	s_cbranch_vccnz .LBB29_78
; %bb.73:
	s_cmp_lg_u32 s33, 0
	s_mov_b32 s28, 0
	s_cbranch_scc0 .LBB29_79
; %bb.74:
	s_min_u32 s29, s56, 15
	s_add_i32 s29, s29, 1
	s_cmp_eq_u32 s56, 2
	s_cbranch_scc1 .LBB29_80
; %bb.75:
	s_and_b32 s28, s29, 28
	s_add_u32 s2, s34, 0xc4
	s_addc_u32 s3, s35, 0
	v_mov_b32_e32 v14, 0
	s_mov_b32 s30, 0
	s_mov_b64 s[6:7], s[34:35]
	v_mov_b32_e32 v12, 0
	v_mov_b32_e32 v4, v1
.LBB29_76:                              ; =>This Inner Loop Header: Depth=1
	s_load_dwordx8 s[16:23], s[6:7], 0x4
	s_load_dwordx4 s[24:27], s[6:7], 0x24
	s_load_dwordx8 s[8:15], s[2:3], 0x0
	s_add_u32 s6, s6, 48
	s_addc_u32 s7, s7, 0
	s_waitcnt lgkmcnt(0)
	v_mul_hi_u32 v7, s17, v4
	s_add_i32 s30, s30, 4
	s_add_u32 s2, s2, 32
	s_addc_u32 s3, s3, 0
	v_add_u32_e32 v7, v4, v7
	v_lshrrev_b32_e32 v7, s18, v7
	v_mul_lo_u32 v10, v7, s16
	v_mul_hi_u32 v13, s20, v7
	s_cmp_lg_u32 s28, s30
	v_sub_u32_e32 v4, v4, v10
	v_add_u32_e32 v10, v7, v13
	v_mul_lo_u32 v13, v4, s8
	v_mul_lo_u32 v15, v4, s9
	v_lshrrev_b32_e32 v4, s21, v10
	v_mul_lo_u32 v10, v4, s19
	v_mul_hi_u32 v16, s23, v4
	v_sub_u32_e32 v7, v7, v10
	v_add_u32_e32 v10, v4, v16
	v_lshrrev_b32_e32 v10, s24, v10
	v_mul_hi_u32 v17, s26, v10
	v_mul_lo_u32 v18, v10, s22
	v_mul_lo_u32 v16, v7, s10
	;; [unrolled: 1-line block ×3, first 2 shown]
	v_sub_u32_e32 v18, v4, v18
	v_add_u32_e32 v4, v10, v17
	v_lshrrev_b32_e32 v4, s27, v4
	v_mul_lo_u32 v17, v4, s25
	v_mul_lo_u32 v20, v18, s12
	;; [unrolled: 1-line block ×3, first 2 shown]
	v_add3_u32 v12, v13, v12, v16
	v_sub_u32_e32 v10, v10, v17
	v_mul_lo_u32 v17, v10, s14
	v_mul_lo_u32 v10, v10, s15
	v_add3_u32 v7, v15, v14, v7
	v_add3_u32 v12, v20, v12, v17
	;; [unrolled: 1-line block ×3, first 2 shown]
	s_cbranch_scc1 .LBB29_76
; %bb.77:
	s_and_b32 s8, s29, 3
	s_cmp_eq_u32 s8, 0
	s_cbranch_scc0 .LBB29_81
	s_branch .LBB29_83
.LBB29_78:
                                        ; implicit-def: $vgpr12
                                        ; implicit-def: $vgpr14
	s_branch .LBB29_84
.LBB29_79:
	v_mov_b32_e32 v12, 0
	v_mov_b32_e32 v14, 0
	s_branch .LBB29_83
.LBB29_80:
	v_mov_b32_e32 v12, 0
	v_mov_b32_e32 v14, 0
	;; [unrolled: 1-line block ×3, first 2 shown]
	s_and_b32 s8, s29, 3
	s_cmp_eq_u32 s8, 0
	s_cbranch_scc1 .LBB29_83
.LBB29_81:
	s_lshl_b32 s2, s28, 3
	s_add_u32 s2, s34, s2
	s_addc_u32 s3, s35, 0
	s_add_u32 s2, s2, 0xc4
	s_addc_u32 s3, s3, 0
	s_mul_i32 s6, s28, 12
	s_add_u32 s6, s34, s6
	s_addc_u32 s7, s35, 0
.LBB29_82:                              ; =>This Inner Loop Header: Depth=1
	s_load_dwordx2 s[10:11], s[6:7], 0x4
	s_load_dword s9, s[6:7], 0xc
	s_load_dwordx2 s[12:13], s[2:3], 0x0
	s_add_u32 s6, s6, 12
	s_addc_u32 s7, s7, 0
	s_waitcnt lgkmcnt(0)
	v_mul_hi_u32 v7, s11, v4
	s_add_u32 s2, s2, 8
	s_addc_u32 s3, s3, 0
	s_add_i32 s8, s8, -1
	v_add_u32_e32 v7, v4, v7
	v_lshrrev_b32_e32 v7, s9, v7
	v_mul_lo_u32 v10, v7, s10
	s_cmp_lg_u32 s8, 0
	v_sub_u32_e32 v4, v4, v10
	v_mad_u64_u32 v[12:13], s[10:11], v4, s12, v[12:13]
	v_mad_u64_u32 v[14:15], s[10:11], v4, s13, v[14:15]
	v_mov_b32_e32 v4, v7
	s_cbranch_scc1 .LBB29_82
.LBB29_83:
	s_cbranch_execnz .LBB29_86
.LBB29_84:
	s_load_dwordx4 s[8:11], s[34:35], 0x4
	s_load_dwordx2 s[2:3], s[34:35], 0xc4
	s_cmp_lt_u32 s33, 2
	s_waitcnt lgkmcnt(0)
	v_mul_hi_u32 v4, s9, v1
	v_add_u32_e32 v4, v1, v4
	v_lshrrev_b32_e32 v4, s10, v4
	v_mul_lo_u32 v7, v4, s8
	v_sub_u32_e32 v1, v1, v7
	v_mul_lo_u32 v12, v1, s2
	v_mul_lo_u32 v14, v1, s3
	s_cbranch_scc1 .LBB29_86
; %bb.85:
	s_load_dwordx4 s[8:11], s[34:35], 0x10
	s_load_dwordx2 s[2:3], s[34:35], 0xcc
	s_waitcnt lgkmcnt(0)
	v_mul_hi_u32 v1, s9, v4
	v_add_u32_e32 v1, v4, v1
	v_lshrrev_b32_e32 v1, s10, v1
	v_mul_lo_u32 v1, v1, s8
	v_sub_u32_e32 v1, v4, v1
	v_mad_u64_u32 v[12:13], s[6:7], v1, s2, v[12:13]
	v_mad_u64_u32 v[14:15], s[2:3], v1, s3, v[14:15]
.LBB29_86:
	s_and_b64 vcc, exec, s[0:1]
	v_add_u32_e32 v1, 0x280, v19
	s_cbranch_vccnz .LBB29_92
; %bb.87:
	s_cmp_lg_u32 s33, 0
	s_mov_b32 s28, 0
	s_cbranch_scc0 .LBB29_93
; %bb.88:
	s_min_u32 s29, s56, 15
	s_add_i32 s29, s29, 1
	s_cmp_eq_u32 s56, 2
	s_cbranch_scc1 .LBB29_94
; %bb.89:
	s_and_b32 s28, s29, 28
	s_add_u32 s2, s34, 0xc4
	s_addc_u32 s3, s35, 0
	v_mov_b32_e32 v17, 0
	s_mov_b32 s30, 0
	s_mov_b64 s[6:7], s[34:35]
	v_mov_b32_e32 v15, 0
	v_mov_b32_e32 v4, v1
.LBB29_90:                              ; =>This Inner Loop Header: Depth=1
	s_load_dwordx8 s[16:23], s[6:7], 0x4
	s_load_dwordx4 s[24:27], s[6:7], 0x24
	s_load_dwordx8 s[8:15], s[2:3], 0x0
	s_add_u32 s6, s6, 48
	s_addc_u32 s7, s7, 0
	s_waitcnt lgkmcnt(0)
	v_mul_hi_u32 v7, s17, v4
	s_add_i32 s30, s30, 4
	s_add_u32 s2, s2, 32
	s_addc_u32 s3, s3, 0
	v_add_u32_e32 v7, v4, v7
	v_lshrrev_b32_e32 v7, s18, v7
	v_mul_lo_u32 v10, v7, s16
	v_mul_hi_u32 v13, s20, v7
	s_cmp_lg_u32 s28, s30
	v_sub_u32_e32 v4, v4, v10
	v_add_u32_e32 v10, v7, v13
	v_mul_lo_u32 v13, v4, s8
	v_mul_lo_u32 v16, v4, s9
	v_lshrrev_b32_e32 v4, s21, v10
	v_mul_lo_u32 v10, v4, s19
	v_mul_hi_u32 v18, s23, v4
	v_sub_u32_e32 v7, v7, v10
	v_add_u32_e32 v10, v4, v18
	v_lshrrev_b32_e32 v10, s24, v10
	v_mul_hi_u32 v20, s26, v10
	v_mul_lo_u32 v21, v10, s22
	v_mul_lo_u32 v18, v7, s10
	;; [unrolled: 1-line block ×3, first 2 shown]
	v_sub_u32_e32 v21, v4, v21
	v_add_u32_e32 v4, v10, v20
	v_lshrrev_b32_e32 v4, s27, v4
	v_mul_lo_u32 v20, v4, s25
	v_mul_lo_u32 v22, v21, s12
	;; [unrolled: 1-line block ×3, first 2 shown]
	v_add3_u32 v13, v13, v15, v18
	v_sub_u32_e32 v10, v10, v20
	v_mul_lo_u32 v20, v10, s14
	v_mul_lo_u32 v10, v10, s15
	v_add3_u32 v7, v16, v17, v7
	v_add3_u32 v15, v22, v13, v20
	;; [unrolled: 1-line block ×3, first 2 shown]
	s_cbranch_scc1 .LBB29_90
; %bb.91:
	s_and_b32 s8, s29, 3
	s_cmp_eq_u32 s8, 0
	s_cbranch_scc0 .LBB29_95
	s_branch .LBB29_97
.LBB29_92:
                                        ; implicit-def: $vgpr15
                                        ; implicit-def: $vgpr17
	s_branch .LBB29_98
.LBB29_93:
	v_mov_b32_e32 v15, 0
	v_mov_b32_e32 v17, 0
	s_branch .LBB29_97
.LBB29_94:
	v_mov_b32_e32 v15, 0
	v_mov_b32_e32 v17, 0
	;; [unrolled: 1-line block ×3, first 2 shown]
	s_and_b32 s8, s29, 3
	s_cmp_eq_u32 s8, 0
	s_cbranch_scc1 .LBB29_97
.LBB29_95:
	s_lshl_b32 s2, s28, 3
	s_add_u32 s2, s34, s2
	s_addc_u32 s3, s35, 0
	s_add_u32 s2, s2, 0xc4
	s_addc_u32 s3, s3, 0
	s_mul_i32 s6, s28, 12
	s_add_u32 s6, s34, s6
	s_addc_u32 s7, s35, 0
.LBB29_96:                              ; =>This Inner Loop Header: Depth=1
	s_load_dwordx2 s[10:11], s[6:7], 0x4
	s_load_dword s9, s[6:7], 0xc
	s_load_dwordx2 s[12:13], s[2:3], 0x0
	s_add_u32 s6, s6, 12
	s_addc_u32 s7, s7, 0
	s_waitcnt lgkmcnt(0)
	v_mul_hi_u32 v7, s11, v4
	s_add_u32 s2, s2, 8
	s_addc_u32 s3, s3, 0
	s_add_i32 s8, s8, -1
	v_add_u32_e32 v7, v4, v7
	v_lshrrev_b32_e32 v7, s9, v7
	v_mul_lo_u32 v10, v7, s10
	s_cmp_lg_u32 s8, 0
	v_sub_u32_e32 v4, v4, v10
	v_mad_u64_u32 v[15:16], s[10:11], v4, s12, v[15:16]
	v_mad_u64_u32 v[17:18], s[10:11], v4, s13, v[17:18]
	v_mov_b32_e32 v4, v7
	s_cbranch_scc1 .LBB29_96
.LBB29_97:
	s_cbranch_execnz .LBB29_100
.LBB29_98:
	s_load_dwordx4 s[8:11], s[34:35], 0x4
	s_load_dwordx2 s[2:3], s[34:35], 0xc4
	s_cmp_lt_u32 s33, 2
	s_waitcnt lgkmcnt(0)
	v_mul_hi_u32 v4, s9, v1
	v_add_u32_e32 v4, v1, v4
	v_lshrrev_b32_e32 v4, s10, v4
	v_mul_lo_u32 v7, v4, s8
	v_sub_u32_e32 v1, v1, v7
	v_mul_lo_u32 v15, v1, s2
	v_mul_lo_u32 v17, v1, s3
	s_cbranch_scc1 .LBB29_100
; %bb.99:
	s_load_dwordx4 s[8:11], s[34:35], 0x10
	s_load_dwordx2 s[2:3], s[34:35], 0xcc
	s_waitcnt lgkmcnt(0)
	v_mul_hi_u32 v1, s9, v4
	v_add_u32_e32 v1, v4, v1
	v_lshrrev_b32_e32 v1, s10, v1
	v_mul_lo_u32 v1, v1, s8
	v_sub_u32_e32 v1, v4, v1
	v_mad_u64_u32 v[15:16], s[6:7], v1, s2, v[15:16]
	v_mad_u64_u32 v[17:18], s[2:3], v1, s3, v[17:18]
.LBB29_100:
	s_and_b64 vcc, exec, s[0:1]
	v_add_u32_e32 v1, 0x300, v19
	s_cbranch_vccnz .LBB29_106
; %bb.101:
	s_cmp_lg_u32 s33, 0
	s_mov_b32 s28, 0
	s_cbranch_scc0 .LBB29_107
; %bb.102:
	s_min_u32 s29, s56, 15
	s_add_i32 s29, s29, 1
	s_cmp_eq_u32 s56, 2
	s_cbranch_scc1 .LBB29_108
; %bb.103:
	s_and_b32 s28, s29, 28
	s_add_u32 s2, s34, 0xc4
	s_addc_u32 s3, s35, 0
	v_mov_b32_e32 v20, 0
	s_mov_b32 s30, 0
	s_mov_b64 s[6:7], s[34:35]
	v_mov_b32_e32 v18, 0
	v_mov_b32_e32 v4, v1
.LBB29_104:                             ; =>This Inner Loop Header: Depth=1
	s_load_dwordx8 s[16:23], s[6:7], 0x4
	s_load_dwordx4 s[24:27], s[6:7], 0x24
	s_load_dwordx8 s[8:15], s[2:3], 0x0
	s_add_u32 s6, s6, 48
	s_addc_u32 s7, s7, 0
	s_waitcnt lgkmcnt(0)
	v_mul_hi_u32 v7, s17, v4
	s_add_i32 s30, s30, 4
	s_add_u32 s2, s2, 32
	s_addc_u32 s3, s3, 0
	v_add_u32_e32 v7, v4, v7
	v_lshrrev_b32_e32 v7, s18, v7
	v_mul_lo_u32 v10, v7, s16
	v_mul_hi_u32 v13, s20, v7
	s_cmp_lg_u32 s28, s30
	v_sub_u32_e32 v4, v4, v10
	v_add_u32_e32 v10, v7, v13
	v_mul_lo_u32 v13, v4, s8
	v_mul_lo_u32 v16, v4, s9
	v_lshrrev_b32_e32 v4, s21, v10
	v_mul_lo_u32 v10, v4, s19
	v_mul_hi_u32 v19, s23, v4
	v_sub_u32_e32 v7, v7, v10
	v_add_u32_e32 v10, v4, v19
	v_lshrrev_b32_e32 v10, s24, v10
	v_mul_hi_u32 v21, s26, v10
	v_mul_lo_u32 v22, v10, s22
	v_mul_lo_u32 v19, v7, s10
	;; [unrolled: 1-line block ×3, first 2 shown]
	v_sub_u32_e32 v22, v4, v22
	v_add_u32_e32 v4, v10, v21
	v_lshrrev_b32_e32 v4, s27, v4
	v_mul_lo_u32 v21, v4, s25
	v_mul_lo_u32 v23, v22, s12
	;; [unrolled: 1-line block ×3, first 2 shown]
	v_add3_u32 v13, v13, v18, v19
	v_sub_u32_e32 v10, v10, v21
	v_mul_lo_u32 v21, v10, s14
	v_mul_lo_u32 v10, v10, s15
	v_add3_u32 v7, v16, v20, v7
	v_add3_u32 v18, v23, v13, v21
	v_add3_u32 v20, v22, v7, v10
	s_cbranch_scc1 .LBB29_104
; %bb.105:
	s_and_b32 s8, s29, 3
	s_cmp_eq_u32 s8, 0
	s_cbranch_scc0 .LBB29_109
	s_branch .LBB29_111
.LBB29_106:
                                        ; implicit-def: $vgpr18
                                        ; implicit-def: $vgpr20
	s_branch .LBB29_112
.LBB29_107:
	v_mov_b32_e32 v18, 0
	v_mov_b32_e32 v20, 0
	s_branch .LBB29_111
.LBB29_108:
	v_mov_b32_e32 v18, 0
	v_mov_b32_e32 v20, 0
	;; [unrolled: 1-line block ×3, first 2 shown]
	s_and_b32 s8, s29, 3
	s_cmp_eq_u32 s8, 0
	s_cbranch_scc1 .LBB29_111
.LBB29_109:
	s_lshl_b32 s2, s28, 3
	s_add_u32 s2, s34, s2
	s_addc_u32 s3, s35, 0
	s_add_u32 s2, s2, 0xc4
	s_addc_u32 s3, s3, 0
	s_mul_i32 s6, s28, 12
	s_add_u32 s6, s34, s6
	s_addc_u32 s7, s35, 0
.LBB29_110:                             ; =>This Inner Loop Header: Depth=1
	s_load_dwordx2 s[10:11], s[6:7], 0x4
	s_load_dword s9, s[6:7], 0xc
	s_load_dwordx2 s[12:13], s[2:3], 0x0
	s_add_u32 s6, s6, 12
	s_addc_u32 s7, s7, 0
	s_waitcnt lgkmcnt(0)
	v_mul_hi_u32 v7, s11, v4
	s_add_u32 s2, s2, 8
	s_addc_u32 s3, s3, 0
	s_add_i32 s8, s8, -1
	v_add_u32_e32 v7, v4, v7
	v_lshrrev_b32_e32 v7, s9, v7
	v_mul_lo_u32 v10, v7, s10
	s_cmp_lg_u32 s8, 0
	v_sub_u32_e32 v4, v4, v10
	v_mad_u64_u32 v[18:19], s[10:11], v4, s12, v[18:19]
	v_mad_u64_u32 v[20:21], s[10:11], v4, s13, v[20:21]
	v_mov_b32_e32 v4, v7
	s_cbranch_scc1 .LBB29_110
.LBB29_111:
	s_cbranch_execnz .LBB29_114
.LBB29_112:
	s_load_dwordx4 s[8:11], s[34:35], 0x4
	s_load_dwordx2 s[2:3], s[34:35], 0xc4
	s_cmp_lt_u32 s33, 2
	s_waitcnt lgkmcnt(0)
	v_mul_hi_u32 v4, s9, v1
	v_add_u32_e32 v4, v1, v4
	v_lshrrev_b32_e32 v4, s10, v4
	v_mul_lo_u32 v7, v4, s8
	v_sub_u32_e32 v1, v1, v7
	v_mul_lo_u32 v18, v1, s2
	v_mul_lo_u32 v20, v1, s3
	s_cbranch_scc1 .LBB29_114
; %bb.113:
	s_load_dwordx4 s[8:11], s[34:35], 0x10
	s_load_dwordx2 s[2:3], s[34:35], 0xcc
	s_waitcnt lgkmcnt(0)
	v_mul_hi_u32 v1, s9, v4
	v_add_u32_e32 v1, v4, v1
	v_lshrrev_b32_e32 v1, s10, v1
	v_mul_lo_u32 v1, v1, s8
	v_sub_u32_e32 v1, v4, v1
	v_mad_u64_u32 v[18:19], s[6:7], v1, s2, v[18:19]
	v_mad_u64_u32 v[20:21], s[2:3], v1, s3, v[20:21]
.LBB29_114:
	s_and_b64 vcc, exec, s[0:1]
	s_cbranch_vccnz .LBB29_120
; %bb.115:
	s_cmp_lg_u32 s33, 0
	s_mov_b32 s26, 0
	s_cbranch_scc0 .LBB29_121
; %bb.116:
	s_min_u32 s27, s56, 15
	s_add_i32 s27, s27, 1
	s_cmp_eq_u32 s56, 2
	s_cbranch_scc1 .LBB29_122
; %bb.117:
	s_and_b32 s26, s27, 28
	s_add_u32 s6, s34, 0xc4
	s_addc_u32 s7, s35, 0
	v_mov_b32_e32 v23, 0
	s_mov_b32 s28, 0
	s_mov_b64 s[24:25], s[34:35]
	v_mov_b32_e32 v21, 0
	v_mov_b32_e32 v1, v25
.LBB29_118:                             ; =>This Inner Loop Header: Depth=1
	s_load_dwordx8 s[16:23], s[24:25], 0x4
	s_load_dwordx4 s[0:3], s[24:25], 0x24
	s_load_dwordx8 s[8:15], s[6:7], 0x0
	s_add_u32 s24, s24, 48
	s_addc_u32 s25, s25, 0
	s_waitcnt lgkmcnt(0)
	v_mul_hi_u32 v4, s17, v1
	s_add_i32 s28, s28, 4
	s_add_u32 s6, s6, 32
	s_addc_u32 s7, s7, 0
	v_add_u32_e32 v4, v1, v4
	v_lshrrev_b32_e32 v4, s18, v4
	v_mul_lo_u32 v7, v4, s16
	v_mul_hi_u32 v10, s20, v4
	s_cmp_lg_u32 s26, s28
	v_sub_u32_e32 v1, v1, v7
	v_add_u32_e32 v7, v4, v10
	v_mul_lo_u32 v10, v1, s8
	v_mul_lo_u32 v13, v1, s9
	v_lshrrev_b32_e32 v1, s21, v7
	v_mul_lo_u32 v7, v1, s19
	v_mul_hi_u32 v16, s23, v1
	v_sub_u32_e32 v4, v4, v7
	v_add_u32_e32 v7, v1, v16
	v_lshrrev_b32_e32 v7, s0, v7
	v_mul_hi_u32 v19, s2, v7
	v_mul_lo_u32 v22, v7, s22
	v_mul_lo_u32 v16, v4, s10
	;; [unrolled: 1-line block ×3, first 2 shown]
	v_sub_u32_e32 v22, v1, v22
	v_add_u32_e32 v1, v7, v19
	v_lshrrev_b32_e32 v1, s3, v1
	v_mul_lo_u32 v19, v1, s1
	v_mul_lo_u32 v24, v22, s12
	;; [unrolled: 1-line block ×3, first 2 shown]
	v_add3_u32 v10, v10, v21, v16
	v_sub_u32_e32 v7, v7, v19
	v_mul_lo_u32 v19, v7, s14
	v_mul_lo_u32 v7, v7, s15
	v_add3_u32 v4, v13, v23, v4
	v_add3_u32 v21, v24, v10, v19
	;; [unrolled: 1-line block ×3, first 2 shown]
	s_cbranch_scc1 .LBB29_118
; %bb.119:
	s_and_b32 s6, s27, 3
	s_cmp_eq_u32 s6, 0
	s_cbranch_scc0 .LBB29_123
	s_branch .LBB29_125
.LBB29_120:
                                        ; implicit-def: $vgpr21
                                        ; implicit-def: $vgpr23
	s_branch .LBB29_126
.LBB29_121:
	v_mov_b32_e32 v21, 0
	v_mov_b32_e32 v23, 0
	s_branch .LBB29_125
.LBB29_122:
	v_mov_b32_e32 v21, 0
	v_mov_b32_e32 v23, 0
	;; [unrolled: 1-line block ×3, first 2 shown]
	s_and_b32 s6, s27, 3
	s_cmp_eq_u32 s6, 0
	s_cbranch_scc1 .LBB29_125
.LBB29_123:
	s_lshl_b32 s0, s26, 3
	s_add_u32 s0, s34, s0
	s_addc_u32 s1, s35, 0
	s_add_u32 s0, s0, 0xc4
	s_addc_u32 s1, s1, 0
	s_mul_i32 s2, s26, 12
	s_add_u32 s2, s34, s2
	s_addc_u32 s3, s35, 0
.LBB29_124:                             ; =>This Inner Loop Header: Depth=1
	s_load_dwordx2 s[8:9], s[2:3], 0x4
	s_load_dword s7, s[2:3], 0xc
	s_load_dwordx2 s[10:11], s[0:1], 0x0
	s_add_u32 s2, s2, 12
	s_addc_u32 s3, s3, 0
	s_waitcnt lgkmcnt(0)
	v_mul_hi_u32 v4, s9, v1
	s_add_u32 s0, s0, 8
	s_addc_u32 s1, s1, 0
	s_add_i32 s6, s6, -1
	v_add_u32_e32 v4, v1, v4
	v_lshrrev_b32_e32 v4, s7, v4
	v_mul_lo_u32 v7, v4, s8
	s_cmp_lg_u32 s6, 0
	v_sub_u32_e32 v1, v1, v7
	v_mad_u64_u32 v[21:22], s[8:9], v1, s10, v[21:22]
	v_mad_u64_u32 v[23:24], s[8:9], v1, s11, v[23:24]
	v_mov_b32_e32 v1, v4
	s_cbranch_scc1 .LBB29_124
.LBB29_125:
	s_cbranch_execnz .LBB29_128
.LBB29_126:
	s_load_dwordx4 s[0:3], s[34:35], 0x4
	s_load_dwordx2 s[6:7], s[34:35], 0xc4
	s_cmp_lt_u32 s33, 2
	s_waitcnt lgkmcnt(0)
	v_mul_hi_u32 v1, s1, v25
	v_add_u32_e32 v1, v25, v1
	v_lshrrev_b32_e32 v1, s2, v1
	v_mul_lo_u32 v4, v1, s0
	v_sub_u32_e32 v4, v25, v4
	v_mul_lo_u32 v21, v4, s6
	v_mul_lo_u32 v23, v4, s7
	s_cbranch_scc1 .LBB29_128
; %bb.127:
	s_load_dwordx4 s[0:3], s[34:35], 0x10
	s_load_dwordx2 s[6:7], s[34:35], 0xcc
	s_waitcnt lgkmcnt(0)
	v_mul_hi_u32 v4, s1, v1
	v_add_u32_e32 v4, v1, v4
	v_lshrrev_b32_e32 v4, s2, v4
	v_mul_lo_u32 v4, v4, s0
	v_sub_u32_e32 v1, v1, v4
	v_mad_u64_u32 v[21:22], s[0:1], v1, s6, v[21:22]
	v_mad_u64_u32 v[23:24], s[0:1], v1, s7, v[23:24]
.LBB29_128:
	s_load_dwordx4 s[16:19], s[34:35], 0x148
	s_load_dword s0, s[4:5], 0x160
	s_waitcnt lgkmcnt(0)
	global_load_ubyte v1, v5, s[18:19]
	global_load_ubyte v4, v2, s[18:19]
	;; [unrolled: 1-line block ×8, first 2 shown]
	s_bfe_u32 s12, s0, 0x80008
	s_waitcnt vmcnt(7)
	v_lshlrev_b32_e64 v2, v1, s12
	v_cmp_gt_u32_e32 vcc, 8, v1
	s_waitcnt vmcnt(5)
	v_lshlrev_b32_e64 v1, v7, s12
	v_cmp_gt_u32_e64 s[0:1], 8, v7
	s_waitcnt vmcnt(4)
	v_lshlrev_b32_e64 v5, v10, s12
	v_cmp_gt_u32_e64 s[2:3], 8, v10
	;; [unrolled: 3-line block ×3, first 2 shown]
	s_waitcnt vmcnt(2)
	v_lshlrev_b32_e64 v8, v16, s12
	s_waitcnt vmcnt(1)
	v_lshlrev_b32_e64 v10, v19, s12
	;; [unrolled: 2-line block ×3, first 2 shown]
	v_lshlrev_b32_e64 v13, v4, s12
	v_cmp_gt_u32_e64 s[12:13], 8, v4
	v_cmp_gt_u32_e64 s[6:7], 8, v16
	;; [unrolled: 1-line block ×4, first 2 shown]
	v_cndmask_b32_e64 v4, 0, v13, s[12:13]
	v_cndmask_b32_e32 v2, 0, v2, vcc
	v_cndmask_b32_e64 v1, 0, v1, s[0:1]
	v_cndmask_b32_e64 v5, 0, v5, s[2:3]
	;; [unrolled: 1-line block ×6, first 2 shown]
	global_store_byte v0, v4, s[16:17]
	global_store_byte v3, v2, s[16:17]
	;; [unrolled: 1-line block ×8, first 2 shown]
	s_endpgm
.LBB29_129:
	v_mov_b32_e32 v0, 0
	v_mov_b32_e32 v2, 0
	s_branch .LBB29_135
.LBB29_130:
	v_mov_b32_e32 v0, 0
	v_mov_b32_e32 v2, 0
	s_branch .LBB29_151
.LBB29_131:
	s_mov_b32 s60, 0
	v_mov_b32_e32 v0, 0
	v_mov_b32_e32 v2, 0
	;; [unrolled: 1-line block ×3, first 2 shown]
.LBB29_132:
	s_and_b32 s12, s61, 3
	s_cmp_eq_u32 s12, 0
	s_cbranch_scc1 .LBB29_135
; %bb.133:
	s_lshl_b32 s8, s60, 3
	s_add_u32 s8, s34, s8
	s_addc_u32 s9, s35, 0
	s_add_u32 s8, s8, 0xc4
	s_addc_u32 s9, s9, 0
	s_mul_i32 s10, s60, 12
	s_add_u32 s10, s34, s10
	s_addc_u32 s11, s35, 0
.LBB29_134:                             ; =>This Inner Loop Header: Depth=1
	s_load_dwordx2 s[14:15], s[10:11], 0x4
	s_load_dword s13, s[10:11], 0xc
	s_load_dwordx2 s[16:17], s[8:9], 0x0
	s_add_u32 s10, s10, 12
	s_addc_u32 s11, s11, 0
	s_waitcnt lgkmcnt(0)
	v_mul_hi_u32 v3, s15, v1
	s_add_u32 s8, s8, 8
	s_addc_u32 s9, s9, 0
	s_add_i32 s12, s12, -1
	v_add_u32_e32 v3, v1, v3
	v_lshrrev_b32_e32 v4, s13, v3
	v_mul_lo_u32 v3, v4, s14
	s_cmp_lg_u32 s12, 0
	v_sub_u32_e32 v3, v1, v3
	v_mad_u64_u32 v[0:1], s[14:15], v3, s16, v[0:1]
	v_mad_u64_u32 v[2:3], s[14:15], v3, s17, v[2:3]
	v_mov_b32_e32 v1, v4
	s_cbranch_scc1 .LBB29_134
.LBB29_135:
	s_cbranch_execnz .LBB29_138
.LBB29_136:
	v_mul_hi_u32 v0, s25, v19
	s_andn2_b64 vcc, exec, s[44:45]
	v_add_u32_e32 v0, v19, v0
	v_lshrrev_b32_e32 v1, s26, v0
	v_mul_lo_u32 v0, v1, s24
	v_sub_u32_e32 v2, v19, v0
	v_mul_lo_u32 v0, v2, s28
	v_mul_lo_u32 v2, v2, s29
	s_cbranch_vccnz .LBB29_138
; %bb.137:
	v_mul_hi_u32 v3, s42, v1
	v_add_u32_e32 v3, v1, v3
	v_lshrrev_b32_e32 v3, s43, v3
	v_mul_lo_u32 v3, v3, s27
	v_sub_u32_e32 v3, v1, v3
	v_mad_u64_u32 v[0:1], s[8:9], v3, s30, v[0:1]
	v_mad_u64_u32 v[2:3], s[8:9], v3, s31, v[2:3]
.LBB29_138:
	global_load_ubyte v1, v2, s[2:3]
	v_add_u32_e32 v19, 0x80, v19
	s_waitcnt vmcnt(0)
	v_lshlrev_b32_e64 v2, v1, s57
	v_cmp_gt_u32_e32 vcc, 8, v1
	v_cndmask_b32_e32 v1, 0, v2, vcc
	global_store_byte v0, v1, s[0:1]
	s_or_b64 exec, exec, s[50:51]
	v_cmp_gt_i32_e32 vcc, s58, v19
	s_and_saveexec_b64 s[50:51], vcc
	s_cbranch_execnz .LBB29_15
.LBB29_139:
	s_or_b64 exec, exec, s[50:51]
	v_cmp_gt_i32_e32 vcc, s58, v19
	s_and_saveexec_b64 s[50:51], vcc
	s_cbranch_execz .LBB29_155
.LBB29_140:
	s_andn2_b64 vcc, exec, s[6:7]
	s_cbranch_vccnz .LBB29_145
; %bb.141:
	s_andn2_b64 vcc, exec, s[48:49]
	s_cbranch_vccnz .LBB29_146
; %bb.142:
	s_add_i32 s61, s59, 1
	s_cmp_eq_u32 s56, 2
	s_cbranch_scc1 .LBB29_163
; %bb.143:
	s_and_b32 s60, s61, 28
	v_mov_b32_e32 v2, 0
	s_mov_b32 s62, 0
	s_mov_b64 s[52:53], s[34:35]
	s_mov_b64 s[54:55], s[46:47]
	v_mov_b32_e32 v0, 0
	v_mov_b32_e32 v1, v19
.LBB29_144:                             ; =>This Inner Loop Header: Depth=1
	s_load_dwordx8 s[16:23], s[52:53], 0x4
	s_load_dwordx4 s[36:39], s[52:53], 0x24
	s_load_dwordx8 s[8:15], s[54:55], 0x0
	s_add_u32 s52, s52, 48
	s_addc_u32 s53, s53, 0
	s_waitcnt lgkmcnt(0)
	v_mul_hi_u32 v3, s17, v1
	s_add_i32 s62, s62, 4
	s_add_u32 s54, s54, 32
	s_addc_u32 s55, s55, 0
	v_add_u32_e32 v3, v1, v3
	v_lshrrev_b32_e32 v3, s18, v3
	v_mul_lo_u32 v4, v3, s16
	v_mul_hi_u32 v5, s20, v3
	s_cmp_eq_u32 s60, s62
	v_sub_u32_e32 v1, v1, v4
	v_add_u32_e32 v4, v3, v5
	v_mul_lo_u32 v5, v1, s8
	v_mul_lo_u32 v6, v1, s9
	v_lshrrev_b32_e32 v1, s21, v4
	v_mul_lo_u32 v4, v1, s19
	v_mul_hi_u32 v7, s23, v1
	v_sub_u32_e32 v3, v3, v4
	v_add_u32_e32 v4, v1, v7
	v_lshrrev_b32_e32 v4, s36, v4
	v_mul_hi_u32 v8, s38, v4
	v_mul_lo_u32 v9, v4, s22
	v_mul_lo_u32 v7, v3, s10
	;; [unrolled: 1-line block ×3, first 2 shown]
	v_sub_u32_e32 v9, v1, v9
	v_add_u32_e32 v1, v4, v8
	v_lshrrev_b32_e32 v1, s39, v1
	v_mul_lo_u32 v8, v1, s37
	v_mul_lo_u32 v10, v9, s12
	;; [unrolled: 1-line block ×3, first 2 shown]
	v_add3_u32 v0, v5, v0, v7
	v_sub_u32_e32 v4, v4, v8
	v_mul_lo_u32 v8, v4, s14
	v_mul_lo_u32 v4, v4, s15
	v_add3_u32 v2, v6, v2, v3
	v_add3_u32 v0, v10, v0, v8
	;; [unrolled: 1-line block ×3, first 2 shown]
	s_cbranch_scc0 .LBB29_144
	s_branch .LBB29_164
.LBB29_145:
                                        ; implicit-def: $vgpr0
                                        ; implicit-def: $vgpr2
	s_branch .LBB29_168
.LBB29_146:
	v_mov_b32_e32 v0, 0
	v_mov_b32_e32 v2, 0
	s_branch .LBB29_167
.LBB29_147:
	s_mov_b32 s60, 0
	v_mov_b32_e32 v0, 0
	v_mov_b32_e32 v2, 0
	;; [unrolled: 1-line block ×3, first 2 shown]
.LBB29_148:
	s_and_b32 s12, s61, 3
	s_cmp_eq_u32 s12, 0
	s_cbranch_scc1 .LBB29_151
; %bb.149:
	s_lshl_b32 s8, s60, 3
	s_add_u32 s8, s34, s8
	s_addc_u32 s9, s35, 0
	s_add_u32 s8, s8, 0xc4
	s_addc_u32 s9, s9, 0
	s_mul_i32 s10, s60, 12
	s_add_u32 s10, s34, s10
	s_addc_u32 s11, s35, 0
.LBB29_150:                             ; =>This Inner Loop Header: Depth=1
	s_load_dwordx2 s[14:15], s[10:11], 0x4
	s_load_dword s13, s[10:11], 0xc
	s_load_dwordx2 s[16:17], s[8:9], 0x0
	s_add_u32 s10, s10, 12
	s_addc_u32 s11, s11, 0
	s_waitcnt lgkmcnt(0)
	v_mul_hi_u32 v3, s15, v1
	s_add_u32 s8, s8, 8
	s_addc_u32 s9, s9, 0
	s_add_i32 s12, s12, -1
	v_add_u32_e32 v3, v1, v3
	v_lshrrev_b32_e32 v4, s13, v3
	v_mul_lo_u32 v3, v4, s14
	s_cmp_lg_u32 s12, 0
	v_sub_u32_e32 v3, v1, v3
	v_mad_u64_u32 v[0:1], s[14:15], v3, s16, v[0:1]
	v_mad_u64_u32 v[2:3], s[14:15], v3, s17, v[2:3]
	v_mov_b32_e32 v1, v4
	s_cbranch_scc1 .LBB29_150
.LBB29_151:
	s_cbranch_execnz .LBB29_154
.LBB29_152:
	v_mul_hi_u32 v0, s25, v19
	s_andn2_b64 vcc, exec, s[44:45]
	v_add_u32_e32 v0, v19, v0
	v_lshrrev_b32_e32 v1, s26, v0
	v_mul_lo_u32 v0, v1, s24
	v_sub_u32_e32 v2, v19, v0
	v_mul_lo_u32 v0, v2, s28
	v_mul_lo_u32 v2, v2, s29
	s_cbranch_vccnz .LBB29_154
; %bb.153:
	v_mul_hi_u32 v3, s42, v1
	v_add_u32_e32 v3, v1, v3
	v_lshrrev_b32_e32 v3, s43, v3
	v_mul_lo_u32 v3, v3, s27
	v_sub_u32_e32 v3, v1, v3
	v_mad_u64_u32 v[0:1], s[8:9], v3, s30, v[0:1]
	v_mad_u64_u32 v[2:3], s[8:9], v3, s31, v[2:3]
.LBB29_154:
	global_load_ubyte v1, v2, s[2:3]
	v_add_u32_e32 v19, 0x80, v19
	s_waitcnt vmcnt(0)
	v_lshlrev_b32_e64 v2, v1, s57
	v_cmp_gt_u32_e32 vcc, 8, v1
	v_cndmask_b32_e32 v1, 0, v2, vcc
	global_store_byte v0, v1, s[0:1]
	s_or_b64 exec, exec, s[50:51]
	v_cmp_gt_i32_e32 vcc, s58, v19
	s_and_saveexec_b64 s[50:51], vcc
	s_cbranch_execnz .LBB29_140
.LBB29_155:
	s_or_b64 exec, exec, s[50:51]
	v_cmp_gt_i32_e32 vcc, s58, v19
	s_and_saveexec_b64 s[50:51], vcc
	s_cbranch_execz .LBB29_171
.LBB29_156:
	s_andn2_b64 vcc, exec, s[6:7]
	s_cbranch_vccnz .LBB29_161
; %bb.157:
	s_andn2_b64 vcc, exec, s[48:49]
	s_cbranch_vccnz .LBB29_162
; %bb.158:
	s_add_i32 s61, s59, 1
	s_cmp_eq_u32 s56, 2
	s_cbranch_scc1 .LBB29_179
; %bb.159:
	s_and_b32 s60, s61, 28
	v_mov_b32_e32 v2, 0
	s_mov_b32 s62, 0
	s_mov_b64 s[52:53], s[34:35]
	s_mov_b64 s[54:55], s[46:47]
	v_mov_b32_e32 v0, 0
	v_mov_b32_e32 v1, v19
.LBB29_160:                             ; =>This Inner Loop Header: Depth=1
	s_load_dwordx8 s[16:23], s[52:53], 0x4
	s_load_dwordx4 s[36:39], s[52:53], 0x24
	s_load_dwordx8 s[8:15], s[54:55], 0x0
	s_add_u32 s52, s52, 48
	s_addc_u32 s53, s53, 0
	s_waitcnt lgkmcnt(0)
	v_mul_hi_u32 v3, s17, v1
	s_add_i32 s62, s62, 4
	s_add_u32 s54, s54, 32
	s_addc_u32 s55, s55, 0
	v_add_u32_e32 v3, v1, v3
	v_lshrrev_b32_e32 v3, s18, v3
	v_mul_lo_u32 v4, v3, s16
	v_mul_hi_u32 v5, s20, v3
	s_cmp_eq_u32 s60, s62
	v_sub_u32_e32 v1, v1, v4
	v_add_u32_e32 v4, v3, v5
	v_mul_lo_u32 v5, v1, s8
	v_mul_lo_u32 v6, v1, s9
	v_lshrrev_b32_e32 v1, s21, v4
	v_mul_lo_u32 v4, v1, s19
	v_mul_hi_u32 v7, s23, v1
	v_sub_u32_e32 v3, v3, v4
	v_add_u32_e32 v4, v1, v7
	v_lshrrev_b32_e32 v4, s36, v4
	v_mul_hi_u32 v8, s38, v4
	v_mul_lo_u32 v9, v4, s22
	v_mul_lo_u32 v7, v3, s10
	;; [unrolled: 1-line block ×3, first 2 shown]
	v_sub_u32_e32 v9, v1, v9
	v_add_u32_e32 v1, v4, v8
	v_lshrrev_b32_e32 v1, s39, v1
	v_mul_lo_u32 v8, v1, s37
	v_mul_lo_u32 v10, v9, s12
	;; [unrolled: 1-line block ×3, first 2 shown]
	v_add3_u32 v0, v5, v0, v7
	v_sub_u32_e32 v4, v4, v8
	v_mul_lo_u32 v8, v4, s14
	v_mul_lo_u32 v4, v4, s15
	v_add3_u32 v2, v6, v2, v3
	v_add3_u32 v0, v10, v0, v8
	v_add3_u32 v2, v9, v2, v4
	s_cbranch_scc0 .LBB29_160
	s_branch .LBB29_180
.LBB29_161:
                                        ; implicit-def: $vgpr0
                                        ; implicit-def: $vgpr2
	s_branch .LBB29_184
.LBB29_162:
	v_mov_b32_e32 v0, 0
	v_mov_b32_e32 v2, 0
	s_branch .LBB29_183
.LBB29_163:
	s_mov_b32 s60, 0
	v_mov_b32_e32 v0, 0
	v_mov_b32_e32 v2, 0
	;; [unrolled: 1-line block ×3, first 2 shown]
.LBB29_164:
	s_and_b32 s12, s61, 3
	s_cmp_eq_u32 s12, 0
	s_cbranch_scc1 .LBB29_167
; %bb.165:
	s_lshl_b32 s8, s60, 3
	s_add_u32 s8, s34, s8
	s_addc_u32 s9, s35, 0
	s_add_u32 s8, s8, 0xc4
	s_addc_u32 s9, s9, 0
	s_mul_i32 s10, s60, 12
	s_add_u32 s10, s34, s10
	s_addc_u32 s11, s35, 0
.LBB29_166:                             ; =>This Inner Loop Header: Depth=1
	s_load_dwordx2 s[14:15], s[10:11], 0x4
	s_load_dword s13, s[10:11], 0xc
	s_load_dwordx2 s[16:17], s[8:9], 0x0
	s_add_u32 s10, s10, 12
	s_addc_u32 s11, s11, 0
	s_waitcnt lgkmcnt(0)
	v_mul_hi_u32 v3, s15, v1
	s_add_u32 s8, s8, 8
	s_addc_u32 s9, s9, 0
	s_add_i32 s12, s12, -1
	v_add_u32_e32 v3, v1, v3
	v_lshrrev_b32_e32 v4, s13, v3
	v_mul_lo_u32 v3, v4, s14
	s_cmp_lg_u32 s12, 0
	v_sub_u32_e32 v3, v1, v3
	v_mad_u64_u32 v[0:1], s[14:15], v3, s16, v[0:1]
	v_mad_u64_u32 v[2:3], s[14:15], v3, s17, v[2:3]
	v_mov_b32_e32 v1, v4
	s_cbranch_scc1 .LBB29_166
.LBB29_167:
	s_cbranch_execnz .LBB29_170
.LBB29_168:
	v_mul_hi_u32 v0, s25, v19
	s_andn2_b64 vcc, exec, s[44:45]
	v_add_u32_e32 v0, v19, v0
	v_lshrrev_b32_e32 v1, s26, v0
	v_mul_lo_u32 v0, v1, s24
	v_sub_u32_e32 v2, v19, v0
	v_mul_lo_u32 v0, v2, s28
	v_mul_lo_u32 v2, v2, s29
	s_cbranch_vccnz .LBB29_170
; %bb.169:
	v_mul_hi_u32 v3, s42, v1
	v_add_u32_e32 v3, v1, v3
	v_lshrrev_b32_e32 v3, s43, v3
	v_mul_lo_u32 v3, v3, s27
	v_sub_u32_e32 v3, v1, v3
	v_mad_u64_u32 v[0:1], s[8:9], v3, s30, v[0:1]
	v_mad_u64_u32 v[2:3], s[8:9], v3, s31, v[2:3]
.LBB29_170:
	global_load_ubyte v1, v2, s[2:3]
	v_add_u32_e32 v19, 0x80, v19
	s_waitcnt vmcnt(0)
	v_lshlrev_b32_e64 v2, v1, s57
	v_cmp_gt_u32_e32 vcc, 8, v1
	v_cndmask_b32_e32 v1, 0, v2, vcc
	global_store_byte v0, v1, s[0:1]
	s_or_b64 exec, exec, s[50:51]
	v_cmp_gt_i32_e32 vcc, s58, v19
	s_and_saveexec_b64 s[50:51], vcc
	s_cbranch_execnz .LBB29_156
.LBB29_171:
	s_or_b64 exec, exec, s[50:51]
	v_cmp_gt_i32_e32 vcc, s58, v19
	s_and_saveexec_b64 s[50:51], vcc
	s_cbranch_execz .LBB29_187
.LBB29_172:
	s_andn2_b64 vcc, exec, s[6:7]
	s_cbranch_vccnz .LBB29_177
; %bb.173:
	s_andn2_b64 vcc, exec, s[48:49]
	s_cbranch_vccnz .LBB29_178
; %bb.174:
	s_add_i32 s61, s59, 1
	s_cmp_eq_u32 s56, 2
	s_cbranch_scc1 .LBB29_195
; %bb.175:
	s_and_b32 s60, s61, 28
	v_mov_b32_e32 v2, 0
	s_mov_b32 s62, 0
	s_mov_b64 s[52:53], s[34:35]
	s_mov_b64 s[54:55], s[46:47]
	v_mov_b32_e32 v0, 0
	v_mov_b32_e32 v1, v19
.LBB29_176:                             ; =>This Inner Loop Header: Depth=1
	s_load_dwordx8 s[16:23], s[52:53], 0x4
	s_load_dwordx4 s[36:39], s[52:53], 0x24
	s_load_dwordx8 s[8:15], s[54:55], 0x0
	s_add_u32 s52, s52, 48
	s_addc_u32 s53, s53, 0
	s_waitcnt lgkmcnt(0)
	v_mul_hi_u32 v3, s17, v1
	s_add_i32 s62, s62, 4
	s_add_u32 s54, s54, 32
	s_addc_u32 s55, s55, 0
	v_add_u32_e32 v3, v1, v3
	v_lshrrev_b32_e32 v3, s18, v3
	v_mul_lo_u32 v4, v3, s16
	v_mul_hi_u32 v5, s20, v3
	s_cmp_eq_u32 s60, s62
	v_sub_u32_e32 v1, v1, v4
	v_add_u32_e32 v4, v3, v5
	v_mul_lo_u32 v5, v1, s8
	v_mul_lo_u32 v6, v1, s9
	v_lshrrev_b32_e32 v1, s21, v4
	v_mul_lo_u32 v4, v1, s19
	v_mul_hi_u32 v7, s23, v1
	v_sub_u32_e32 v3, v3, v4
	v_add_u32_e32 v4, v1, v7
	v_lshrrev_b32_e32 v4, s36, v4
	v_mul_hi_u32 v8, s38, v4
	v_mul_lo_u32 v9, v4, s22
	v_mul_lo_u32 v7, v3, s10
	;; [unrolled: 1-line block ×3, first 2 shown]
	v_sub_u32_e32 v9, v1, v9
	v_add_u32_e32 v1, v4, v8
	v_lshrrev_b32_e32 v1, s39, v1
	v_mul_lo_u32 v8, v1, s37
	v_mul_lo_u32 v10, v9, s12
	;; [unrolled: 1-line block ×3, first 2 shown]
	v_add3_u32 v0, v5, v0, v7
	v_sub_u32_e32 v4, v4, v8
	v_mul_lo_u32 v8, v4, s14
	v_mul_lo_u32 v4, v4, s15
	v_add3_u32 v2, v6, v2, v3
	v_add3_u32 v0, v10, v0, v8
	;; [unrolled: 1-line block ×3, first 2 shown]
	s_cbranch_scc0 .LBB29_176
	s_branch .LBB29_196
.LBB29_177:
                                        ; implicit-def: $vgpr0
                                        ; implicit-def: $vgpr2
	s_branch .LBB29_200
.LBB29_178:
	v_mov_b32_e32 v0, 0
	v_mov_b32_e32 v2, 0
	s_branch .LBB29_199
.LBB29_179:
	s_mov_b32 s60, 0
	v_mov_b32_e32 v0, 0
	v_mov_b32_e32 v2, 0
	;; [unrolled: 1-line block ×3, first 2 shown]
.LBB29_180:
	s_and_b32 s12, s61, 3
	s_cmp_eq_u32 s12, 0
	s_cbranch_scc1 .LBB29_183
; %bb.181:
	s_lshl_b32 s8, s60, 3
	s_add_u32 s8, s34, s8
	s_addc_u32 s9, s35, 0
	s_add_u32 s8, s8, 0xc4
	s_addc_u32 s9, s9, 0
	s_mul_i32 s10, s60, 12
	s_add_u32 s10, s34, s10
	s_addc_u32 s11, s35, 0
.LBB29_182:                             ; =>This Inner Loop Header: Depth=1
	s_load_dwordx2 s[14:15], s[10:11], 0x4
	s_load_dword s13, s[10:11], 0xc
	s_load_dwordx2 s[16:17], s[8:9], 0x0
	s_add_u32 s10, s10, 12
	s_addc_u32 s11, s11, 0
	s_waitcnt lgkmcnt(0)
	v_mul_hi_u32 v3, s15, v1
	s_add_u32 s8, s8, 8
	s_addc_u32 s9, s9, 0
	s_add_i32 s12, s12, -1
	v_add_u32_e32 v3, v1, v3
	v_lshrrev_b32_e32 v4, s13, v3
	v_mul_lo_u32 v3, v4, s14
	s_cmp_lg_u32 s12, 0
	v_sub_u32_e32 v3, v1, v3
	v_mad_u64_u32 v[0:1], s[14:15], v3, s16, v[0:1]
	v_mad_u64_u32 v[2:3], s[14:15], v3, s17, v[2:3]
	v_mov_b32_e32 v1, v4
	s_cbranch_scc1 .LBB29_182
.LBB29_183:
	s_cbranch_execnz .LBB29_186
.LBB29_184:
	v_mul_hi_u32 v0, s25, v19
	s_andn2_b64 vcc, exec, s[44:45]
	v_add_u32_e32 v0, v19, v0
	v_lshrrev_b32_e32 v1, s26, v0
	v_mul_lo_u32 v0, v1, s24
	v_sub_u32_e32 v2, v19, v0
	v_mul_lo_u32 v0, v2, s28
	v_mul_lo_u32 v2, v2, s29
	s_cbranch_vccnz .LBB29_186
; %bb.185:
	v_mul_hi_u32 v3, s42, v1
	v_add_u32_e32 v3, v1, v3
	v_lshrrev_b32_e32 v3, s43, v3
	v_mul_lo_u32 v3, v3, s27
	v_sub_u32_e32 v3, v1, v3
	v_mad_u64_u32 v[0:1], s[8:9], v3, s30, v[0:1]
	v_mad_u64_u32 v[2:3], s[8:9], v3, s31, v[2:3]
.LBB29_186:
	global_load_ubyte v1, v2, s[2:3]
	v_add_u32_e32 v19, 0x80, v19
	s_waitcnt vmcnt(0)
	v_lshlrev_b32_e64 v2, v1, s57
	v_cmp_gt_u32_e32 vcc, 8, v1
	v_cndmask_b32_e32 v1, 0, v2, vcc
	global_store_byte v0, v1, s[0:1]
	s_or_b64 exec, exec, s[50:51]
	v_cmp_gt_i32_e32 vcc, s58, v19
	s_and_saveexec_b64 s[50:51], vcc
	s_cbranch_execnz .LBB29_172
.LBB29_187:
	s_or_b64 exec, exec, s[50:51]
	v_cmp_gt_i32_e32 vcc, s58, v19
	s_and_saveexec_b64 s[50:51], vcc
	s_cbranch_execz .LBB29_203
.LBB29_188:
	s_andn2_b64 vcc, exec, s[6:7]
	s_cbranch_vccnz .LBB29_193
; %bb.189:
	s_andn2_b64 vcc, exec, s[48:49]
	s_cbranch_vccnz .LBB29_194
; %bb.190:
	s_add_i32 s61, s59, 1
	s_cmp_eq_u32 s56, 2
	s_cbranch_scc1 .LBB29_211
; %bb.191:
	s_and_b32 s60, s61, 28
	v_mov_b32_e32 v2, 0
	s_mov_b32 s62, 0
	s_mov_b64 s[52:53], s[34:35]
	s_mov_b64 s[54:55], s[46:47]
	v_mov_b32_e32 v0, 0
	v_mov_b32_e32 v1, v19
.LBB29_192:                             ; =>This Inner Loop Header: Depth=1
	s_load_dwordx8 s[16:23], s[52:53], 0x4
	s_load_dwordx4 s[36:39], s[52:53], 0x24
	s_load_dwordx8 s[8:15], s[54:55], 0x0
	s_add_u32 s52, s52, 48
	s_addc_u32 s53, s53, 0
	s_waitcnt lgkmcnt(0)
	v_mul_hi_u32 v3, s17, v1
	s_add_i32 s62, s62, 4
	s_add_u32 s54, s54, 32
	s_addc_u32 s55, s55, 0
	v_add_u32_e32 v3, v1, v3
	v_lshrrev_b32_e32 v3, s18, v3
	v_mul_lo_u32 v4, v3, s16
	v_mul_hi_u32 v5, s20, v3
	s_cmp_eq_u32 s60, s62
	v_sub_u32_e32 v1, v1, v4
	v_add_u32_e32 v4, v3, v5
	v_mul_lo_u32 v5, v1, s8
	v_mul_lo_u32 v6, v1, s9
	v_lshrrev_b32_e32 v1, s21, v4
	v_mul_lo_u32 v4, v1, s19
	v_mul_hi_u32 v7, s23, v1
	v_sub_u32_e32 v3, v3, v4
	v_add_u32_e32 v4, v1, v7
	v_lshrrev_b32_e32 v4, s36, v4
	v_mul_hi_u32 v8, s38, v4
	v_mul_lo_u32 v9, v4, s22
	v_mul_lo_u32 v7, v3, s10
	;; [unrolled: 1-line block ×3, first 2 shown]
	v_sub_u32_e32 v9, v1, v9
	v_add_u32_e32 v1, v4, v8
	v_lshrrev_b32_e32 v1, s39, v1
	v_mul_lo_u32 v8, v1, s37
	v_mul_lo_u32 v10, v9, s12
	v_mul_lo_u32 v9, v9, s13
	v_add3_u32 v0, v5, v0, v7
	v_sub_u32_e32 v4, v4, v8
	v_mul_lo_u32 v8, v4, s14
	v_mul_lo_u32 v4, v4, s15
	v_add3_u32 v2, v6, v2, v3
	v_add3_u32 v0, v10, v0, v8
	;; [unrolled: 1-line block ×3, first 2 shown]
	s_cbranch_scc0 .LBB29_192
	s_branch .LBB29_212
.LBB29_193:
                                        ; implicit-def: $vgpr0
                                        ; implicit-def: $vgpr2
	s_branch .LBB29_216
.LBB29_194:
	v_mov_b32_e32 v0, 0
	v_mov_b32_e32 v2, 0
	s_branch .LBB29_215
.LBB29_195:
	s_mov_b32 s60, 0
	v_mov_b32_e32 v0, 0
	v_mov_b32_e32 v2, 0
	;; [unrolled: 1-line block ×3, first 2 shown]
.LBB29_196:
	s_and_b32 s12, s61, 3
	s_cmp_eq_u32 s12, 0
	s_cbranch_scc1 .LBB29_199
; %bb.197:
	s_lshl_b32 s8, s60, 3
	s_add_u32 s8, s34, s8
	s_addc_u32 s9, s35, 0
	s_add_u32 s8, s8, 0xc4
	s_addc_u32 s9, s9, 0
	s_mul_i32 s10, s60, 12
	s_add_u32 s10, s34, s10
	s_addc_u32 s11, s35, 0
.LBB29_198:                             ; =>This Inner Loop Header: Depth=1
	s_load_dwordx2 s[14:15], s[10:11], 0x4
	s_load_dword s13, s[10:11], 0xc
	s_load_dwordx2 s[16:17], s[8:9], 0x0
	s_add_u32 s10, s10, 12
	s_addc_u32 s11, s11, 0
	s_waitcnt lgkmcnt(0)
	v_mul_hi_u32 v3, s15, v1
	s_add_u32 s8, s8, 8
	s_addc_u32 s9, s9, 0
	s_add_i32 s12, s12, -1
	v_add_u32_e32 v3, v1, v3
	v_lshrrev_b32_e32 v4, s13, v3
	v_mul_lo_u32 v3, v4, s14
	s_cmp_lg_u32 s12, 0
	v_sub_u32_e32 v3, v1, v3
	v_mad_u64_u32 v[0:1], s[14:15], v3, s16, v[0:1]
	v_mad_u64_u32 v[2:3], s[14:15], v3, s17, v[2:3]
	v_mov_b32_e32 v1, v4
	s_cbranch_scc1 .LBB29_198
.LBB29_199:
	s_cbranch_execnz .LBB29_202
.LBB29_200:
	v_mul_hi_u32 v0, s25, v19
	s_andn2_b64 vcc, exec, s[44:45]
	v_add_u32_e32 v0, v19, v0
	v_lshrrev_b32_e32 v1, s26, v0
	v_mul_lo_u32 v0, v1, s24
	v_sub_u32_e32 v2, v19, v0
	v_mul_lo_u32 v0, v2, s28
	v_mul_lo_u32 v2, v2, s29
	s_cbranch_vccnz .LBB29_202
; %bb.201:
	v_mul_hi_u32 v3, s42, v1
	v_add_u32_e32 v3, v1, v3
	v_lshrrev_b32_e32 v3, s43, v3
	v_mul_lo_u32 v3, v3, s27
	v_sub_u32_e32 v3, v1, v3
	v_mad_u64_u32 v[0:1], s[8:9], v3, s30, v[0:1]
	v_mad_u64_u32 v[2:3], s[8:9], v3, s31, v[2:3]
.LBB29_202:
	global_load_ubyte v1, v2, s[2:3]
	v_add_u32_e32 v19, 0x80, v19
	s_waitcnt vmcnt(0)
	v_lshlrev_b32_e64 v2, v1, s57
	v_cmp_gt_u32_e32 vcc, 8, v1
	v_cndmask_b32_e32 v1, 0, v2, vcc
	global_store_byte v0, v1, s[0:1]
	s_or_b64 exec, exec, s[50:51]
	v_cmp_gt_i32_e32 vcc, s58, v19
	s_and_saveexec_b64 s[50:51], vcc
	s_cbranch_execnz .LBB29_188
.LBB29_203:
	s_or_b64 exec, exec, s[50:51]
	v_cmp_gt_i32_e32 vcc, s58, v19
	s_and_saveexec_b64 s[50:51], vcc
	s_cbranch_execz .LBB29_219
.LBB29_204:
	s_andn2_b64 vcc, exec, s[6:7]
	s_cbranch_vccnz .LBB29_209
; %bb.205:
	s_andn2_b64 vcc, exec, s[48:49]
	s_cbranch_vccnz .LBB29_210
; %bb.206:
	s_add_i32 s61, s59, 1
	s_cmp_eq_u32 s56, 2
	s_cbranch_scc1 .LBB29_222
; %bb.207:
	s_and_b32 s60, s61, 28
	v_mov_b32_e32 v2, 0
	s_mov_b32 s62, 0
	s_mov_b64 s[52:53], s[34:35]
	s_mov_b64 s[54:55], s[46:47]
	v_mov_b32_e32 v0, 0
	v_mov_b32_e32 v1, v19
.LBB29_208:                             ; =>This Inner Loop Header: Depth=1
	s_load_dwordx8 s[16:23], s[52:53], 0x4
	s_load_dwordx4 s[36:39], s[52:53], 0x24
	s_load_dwordx8 s[8:15], s[54:55], 0x0
	s_add_u32 s52, s52, 48
	s_addc_u32 s53, s53, 0
	s_waitcnt lgkmcnt(0)
	v_mul_hi_u32 v3, s17, v1
	s_add_i32 s62, s62, 4
	s_add_u32 s54, s54, 32
	s_addc_u32 s55, s55, 0
	v_add_u32_e32 v3, v1, v3
	v_lshrrev_b32_e32 v3, s18, v3
	v_mul_lo_u32 v4, v3, s16
	v_mul_hi_u32 v5, s20, v3
	s_cmp_eq_u32 s60, s62
	v_sub_u32_e32 v1, v1, v4
	v_add_u32_e32 v4, v3, v5
	v_mul_lo_u32 v5, v1, s8
	v_mul_lo_u32 v6, v1, s9
	v_lshrrev_b32_e32 v1, s21, v4
	v_mul_lo_u32 v4, v1, s19
	v_mul_hi_u32 v7, s23, v1
	v_sub_u32_e32 v3, v3, v4
	v_add_u32_e32 v4, v1, v7
	v_lshrrev_b32_e32 v4, s36, v4
	v_mul_hi_u32 v8, s38, v4
	v_mul_lo_u32 v9, v4, s22
	v_mul_lo_u32 v7, v3, s10
	v_mul_lo_u32 v3, v3, s11
	v_sub_u32_e32 v9, v1, v9
	v_add_u32_e32 v1, v4, v8
	v_lshrrev_b32_e32 v1, s39, v1
	v_mul_lo_u32 v8, v1, s37
	v_mul_lo_u32 v10, v9, s12
	;; [unrolled: 1-line block ×3, first 2 shown]
	v_add3_u32 v0, v5, v0, v7
	v_sub_u32_e32 v4, v4, v8
	v_mul_lo_u32 v8, v4, s14
	v_mul_lo_u32 v4, v4, s15
	v_add3_u32 v2, v6, v2, v3
	v_add3_u32 v0, v10, v0, v8
	;; [unrolled: 1-line block ×3, first 2 shown]
	s_cbranch_scc0 .LBB29_208
	s_branch .LBB29_223
.LBB29_209:
                                        ; implicit-def: $vgpr0
                                        ; implicit-def: $vgpr2
	s_branch .LBB29_227
.LBB29_210:
	v_mov_b32_e32 v0, 0
	v_mov_b32_e32 v2, 0
	s_branch .LBB29_226
.LBB29_211:
	s_mov_b32 s60, 0
	v_mov_b32_e32 v0, 0
	v_mov_b32_e32 v2, 0
	;; [unrolled: 1-line block ×3, first 2 shown]
.LBB29_212:
	s_and_b32 s12, s61, 3
	s_cmp_eq_u32 s12, 0
	s_cbranch_scc1 .LBB29_215
; %bb.213:
	s_lshl_b32 s8, s60, 3
	s_add_u32 s8, s34, s8
	s_addc_u32 s9, s35, 0
	s_add_u32 s8, s8, 0xc4
	s_addc_u32 s9, s9, 0
	s_mul_i32 s10, s60, 12
	s_add_u32 s10, s34, s10
	s_addc_u32 s11, s35, 0
.LBB29_214:                             ; =>This Inner Loop Header: Depth=1
	s_load_dwordx2 s[14:15], s[10:11], 0x4
	s_load_dword s13, s[10:11], 0xc
	s_load_dwordx2 s[16:17], s[8:9], 0x0
	s_add_u32 s10, s10, 12
	s_addc_u32 s11, s11, 0
	s_waitcnt lgkmcnt(0)
	v_mul_hi_u32 v3, s15, v1
	s_add_u32 s8, s8, 8
	s_addc_u32 s9, s9, 0
	s_add_i32 s12, s12, -1
	v_add_u32_e32 v3, v1, v3
	v_lshrrev_b32_e32 v4, s13, v3
	v_mul_lo_u32 v3, v4, s14
	s_cmp_lg_u32 s12, 0
	v_sub_u32_e32 v3, v1, v3
	v_mad_u64_u32 v[0:1], s[14:15], v3, s16, v[0:1]
	v_mad_u64_u32 v[2:3], s[14:15], v3, s17, v[2:3]
	v_mov_b32_e32 v1, v4
	s_cbranch_scc1 .LBB29_214
.LBB29_215:
	s_cbranch_execnz .LBB29_218
.LBB29_216:
	v_mul_hi_u32 v0, s25, v19
	s_andn2_b64 vcc, exec, s[44:45]
	v_add_u32_e32 v0, v19, v0
	v_lshrrev_b32_e32 v1, s26, v0
	v_mul_lo_u32 v0, v1, s24
	v_sub_u32_e32 v2, v19, v0
	v_mul_lo_u32 v0, v2, s28
	v_mul_lo_u32 v2, v2, s29
	s_cbranch_vccnz .LBB29_218
; %bb.217:
	v_mul_hi_u32 v3, s42, v1
	v_add_u32_e32 v3, v1, v3
	v_lshrrev_b32_e32 v3, s43, v3
	v_mul_lo_u32 v3, v3, s27
	v_sub_u32_e32 v3, v1, v3
	v_mad_u64_u32 v[0:1], s[8:9], v3, s30, v[0:1]
	v_mad_u64_u32 v[2:3], s[8:9], v3, s31, v[2:3]
.LBB29_218:
	global_load_ubyte v1, v2, s[2:3]
	v_add_u32_e32 v19, 0x80, v19
	s_waitcnt vmcnt(0)
	v_lshlrev_b32_e64 v2, v1, s57
	v_cmp_gt_u32_e32 vcc, 8, v1
	v_cndmask_b32_e32 v1, 0, v2, vcc
	global_store_byte v0, v1, s[0:1]
	s_or_b64 exec, exec, s[50:51]
	v_cmp_gt_i32_e32 vcc, s58, v19
	s_and_saveexec_b64 s[50:51], vcc
	s_cbranch_execnz .LBB29_204
.LBB29_219:
	s_or_b64 exec, exec, s[50:51]
	v_cmp_gt_i32_e32 vcc, s58, v19
	s_and_saveexec_b64 s[50:51], vcc
	s_cbranch_execnz .LBB29_230
.LBB29_220:
	s_or_b64 exec, exec, s[50:51]
                                        ; implicit-def: $vgpr25
                                        ; implicit-def: $vgpr19
	s_andn2_saveexec_b64 s[0:1], s[40:41]
	s_cbranch_execnz .LBB29_8
.LBB29_221:
	s_endpgm
.LBB29_222:
	s_mov_b32 s60, 0
	v_mov_b32_e32 v0, 0
	v_mov_b32_e32 v2, 0
	;; [unrolled: 1-line block ×3, first 2 shown]
.LBB29_223:
	s_and_b32 s12, s61, 3
	s_cmp_eq_u32 s12, 0
	s_cbranch_scc1 .LBB29_226
; %bb.224:
	s_lshl_b32 s8, s60, 3
	s_add_u32 s8, s34, s8
	s_addc_u32 s9, s35, 0
	s_add_u32 s8, s8, 0xc4
	s_addc_u32 s9, s9, 0
	s_mul_i32 s10, s60, 12
	s_add_u32 s10, s34, s10
	s_addc_u32 s11, s35, 0
.LBB29_225:                             ; =>This Inner Loop Header: Depth=1
	s_load_dwordx2 s[14:15], s[10:11], 0x4
	s_load_dword s13, s[10:11], 0xc
	s_load_dwordx2 s[16:17], s[8:9], 0x0
	s_add_u32 s10, s10, 12
	s_addc_u32 s11, s11, 0
	s_waitcnt lgkmcnt(0)
	v_mul_hi_u32 v3, s15, v1
	s_add_u32 s8, s8, 8
	s_addc_u32 s9, s9, 0
	s_add_i32 s12, s12, -1
	v_add_u32_e32 v3, v1, v3
	v_lshrrev_b32_e32 v4, s13, v3
	v_mul_lo_u32 v3, v4, s14
	s_cmp_lg_u32 s12, 0
	v_sub_u32_e32 v3, v1, v3
	v_mad_u64_u32 v[0:1], s[14:15], v3, s16, v[0:1]
	v_mad_u64_u32 v[2:3], s[14:15], v3, s17, v[2:3]
	v_mov_b32_e32 v1, v4
	s_cbranch_scc1 .LBB29_225
.LBB29_226:
	s_cbranch_execnz .LBB29_229
.LBB29_227:
	v_mul_hi_u32 v0, s25, v19
	s_andn2_b64 vcc, exec, s[44:45]
	v_add_u32_e32 v0, v19, v0
	v_lshrrev_b32_e32 v1, s26, v0
	v_mul_lo_u32 v0, v1, s24
	v_sub_u32_e32 v2, v19, v0
	v_mul_lo_u32 v0, v2, s28
	v_mul_lo_u32 v2, v2, s29
	s_cbranch_vccnz .LBB29_229
; %bb.228:
	v_mul_hi_u32 v3, s42, v1
	v_add_u32_e32 v3, v1, v3
	v_lshrrev_b32_e32 v3, s43, v3
	v_mul_lo_u32 v3, v3, s27
	v_sub_u32_e32 v3, v1, v3
	v_mad_u64_u32 v[0:1], s[8:9], v3, s30, v[0:1]
	v_mad_u64_u32 v[2:3], s[8:9], v3, s31, v[2:3]
.LBB29_229:
	global_load_ubyte v1, v2, s[2:3]
	v_add_u32_e32 v19, 0x80, v19
	s_waitcnt vmcnt(0)
	v_lshlrev_b32_e64 v2, v1, s57
	v_cmp_gt_u32_e32 vcc, 8, v1
	v_cndmask_b32_e32 v1, 0, v2, vcc
	global_store_byte v0, v1, s[0:1]
	s_or_b64 exec, exec, s[50:51]
	v_cmp_gt_i32_e32 vcc, s58, v19
	s_and_saveexec_b64 s[50:51], vcc
	s_cbranch_execz .LBB29_220
.LBB29_230:
	s_andn2_b64 vcc, exec, s[6:7]
	s_cbranch_vccnz .LBB29_235
; %bb.231:
	s_andn2_b64 vcc, exec, s[48:49]
	s_cbranch_vccnz .LBB29_236
; %bb.232:
	s_add_i32 s59, s59, 1
	s_cmp_eq_u32 s56, 2
	s_cbranch_scc1 .LBB29_237
; %bb.233:
	s_and_b32 s52, s59, 28
	v_mov_b32_e32 v2, 0
	s_mov_b32 s53, 0
	s_mov_b64 s[48:49], s[34:35]
	v_mov_b32_e32 v0, 0
	v_mov_b32_e32 v1, v19
.LBB29_234:                             ; =>This Inner Loop Header: Depth=1
	s_load_dwordx8 s[16:23], s[48:49], 0x4
	s_load_dwordx4 s[36:39], s[48:49], 0x24
	s_load_dwordx8 s[8:15], s[46:47], 0x0
	s_add_u32 s48, s48, 48
	s_addc_u32 s49, s49, 0
	s_waitcnt lgkmcnt(0)
	v_mul_hi_u32 v3, s17, v1
	s_add_i32 s53, s53, 4
	s_add_u32 s46, s46, 32
	s_addc_u32 s47, s47, 0
	v_add_u32_e32 v3, v1, v3
	v_lshrrev_b32_e32 v3, s18, v3
	v_mul_lo_u32 v4, v3, s16
	v_mul_hi_u32 v5, s20, v3
	s_cmp_eq_u32 s52, s53
	v_sub_u32_e32 v1, v1, v4
	v_add_u32_e32 v4, v3, v5
	v_mul_lo_u32 v5, v1, s8
	v_mul_lo_u32 v6, v1, s9
	v_lshrrev_b32_e32 v1, s21, v4
	v_mul_lo_u32 v4, v1, s19
	v_mul_hi_u32 v7, s23, v1
	v_sub_u32_e32 v3, v3, v4
	v_add_u32_e32 v4, v1, v7
	v_lshrrev_b32_e32 v4, s36, v4
	v_mul_hi_u32 v8, s38, v4
	v_mul_lo_u32 v9, v4, s22
	v_mul_lo_u32 v7, v3, s10
	;; [unrolled: 1-line block ×3, first 2 shown]
	v_sub_u32_e32 v9, v1, v9
	v_add_u32_e32 v1, v4, v8
	v_lshrrev_b32_e32 v1, s39, v1
	v_mul_lo_u32 v8, v1, s37
	v_mul_lo_u32 v10, v9, s12
	;; [unrolled: 1-line block ×3, first 2 shown]
	v_add3_u32 v0, v5, v0, v7
	v_sub_u32_e32 v4, v4, v8
	v_mul_lo_u32 v8, v4, s14
	v_mul_lo_u32 v4, v4, s15
	v_add3_u32 v2, v6, v2, v3
	v_add3_u32 v0, v10, v0, v8
	;; [unrolled: 1-line block ×3, first 2 shown]
	s_cbranch_scc0 .LBB29_234
	s_branch .LBB29_238
.LBB29_235:
                                        ; implicit-def: $vgpr0
                                        ; implicit-def: $vgpr2
	s_branch .LBB29_242
.LBB29_236:
	v_mov_b32_e32 v0, 0
	v_mov_b32_e32 v2, 0
	s_branch .LBB29_241
.LBB29_237:
	s_mov_b32 s52, 0
	v_mov_b32_e32 v0, 0
	v_mov_b32_e32 v2, 0
	;; [unrolled: 1-line block ×3, first 2 shown]
.LBB29_238:
	s_and_b32 s12, s59, 3
	s_cmp_eq_u32 s12, 0
	s_cbranch_scc1 .LBB29_241
; %bb.239:
	s_lshl_b32 s8, s52, 3
	s_add_u32 s8, s34, s8
	s_addc_u32 s9, s35, 0
	s_add_u32 s8, s8, 0xc4
	s_addc_u32 s9, s9, 0
	s_mul_i32 s10, s52, 12
	s_add_u32 s10, s34, s10
	s_addc_u32 s11, s35, 0
.LBB29_240:                             ; =>This Inner Loop Header: Depth=1
	s_load_dwordx2 s[14:15], s[10:11], 0x4
	s_load_dword s13, s[10:11], 0xc
	s_load_dwordx2 s[16:17], s[8:9], 0x0
	s_add_u32 s10, s10, 12
	s_addc_u32 s11, s11, 0
	s_waitcnt lgkmcnt(0)
	v_mul_hi_u32 v3, s15, v1
	s_add_u32 s8, s8, 8
	s_addc_u32 s9, s9, 0
	s_add_i32 s12, s12, -1
	v_add_u32_e32 v3, v1, v3
	v_lshrrev_b32_e32 v4, s13, v3
	v_mul_lo_u32 v3, v4, s14
	s_cmp_lg_u32 s12, 0
	v_sub_u32_e32 v3, v1, v3
	v_mad_u64_u32 v[0:1], s[14:15], v3, s16, v[0:1]
	v_mad_u64_u32 v[2:3], s[14:15], v3, s17, v[2:3]
	v_mov_b32_e32 v1, v4
	s_cbranch_scc1 .LBB29_240
.LBB29_241:
	s_cbranch_execnz .LBB29_244
.LBB29_242:
	v_mul_hi_u32 v0, s25, v19
	s_andn2_b64 vcc, exec, s[44:45]
	v_add_u32_e32 v0, v19, v0
	v_lshrrev_b32_e32 v1, s26, v0
	v_mul_lo_u32 v0, v1, s24
	v_sub_u32_e32 v2, v19, v0
	v_mul_lo_u32 v0, v2, s28
	v_mul_lo_u32 v2, v2, s29
	s_cbranch_vccnz .LBB29_244
; %bb.243:
	v_mul_hi_u32 v3, s42, v1
	v_add_u32_e32 v3, v1, v3
	v_lshrrev_b32_e32 v3, s43, v3
	v_mul_lo_u32 v3, v3, s27
	v_sub_u32_e32 v3, v1, v3
	v_mad_u64_u32 v[0:1], s[8:9], v3, s30, v[0:1]
	v_mad_u64_u32 v[2:3], s[8:9], v3, s31, v[2:3]
.LBB29_244:
	global_load_ubyte v1, v2, s[2:3]
	s_waitcnt vmcnt(0)
	v_lshlrev_b32_e64 v2, v1, s57
	v_cmp_gt_u32_e32 vcc, 8, v1
	v_cndmask_b32_e32 v1, 0, v2, vcc
	global_store_byte v0, v1, s[0:1]
	s_or_b64 exec, exec, s[50:51]
                                        ; implicit-def: $vgpr25
                                        ; implicit-def: $vgpr19
	s_andn2_saveexec_b64 s[0:1], s[40:41]
	s_cbranch_execz .LBB29_221
	s_branch .LBB29_8
	.section	.rodata,"a",@progbits
	.p2align	6, 0x0
	.amdhsa_kernel _ZN2at6native32elementwise_kernel_manual_unrollILi128ELi8EZNS0_22gpu_kernel_impl_nocastINS0_13AUnaryFunctorIaaaZZZNS0_18lshift_kernel_cudaERNS_18TensorIteratorBaseEENKUlvE_clEvENKUlvE0_clEvEUlaaE_EEEEvS5_RKT_EUlibE_EEviT1_
		.amdhsa_group_segment_fixed_size 0
		.amdhsa_private_segment_fixed_size 0
		.amdhsa_kernarg_size 360
		.amdhsa_user_sgpr_count 6
		.amdhsa_user_sgpr_private_segment_buffer 1
		.amdhsa_user_sgpr_dispatch_ptr 0
		.amdhsa_user_sgpr_queue_ptr 0
		.amdhsa_user_sgpr_kernarg_segment_ptr 1
		.amdhsa_user_sgpr_dispatch_id 0
		.amdhsa_user_sgpr_flat_scratch_init 0
		.amdhsa_user_sgpr_private_segment_size 0
		.amdhsa_uses_dynamic_stack 0
		.amdhsa_system_sgpr_private_segment_wavefront_offset 0
		.amdhsa_system_sgpr_workgroup_id_x 1
		.amdhsa_system_sgpr_workgroup_id_y 0
		.amdhsa_system_sgpr_workgroup_id_z 0
		.amdhsa_system_sgpr_workgroup_info 0
		.amdhsa_system_vgpr_workitem_id 0
		.amdhsa_next_free_vgpr 26
		.amdhsa_next_free_sgpr 63
		.amdhsa_reserve_vcc 1
		.amdhsa_reserve_flat_scratch 0
		.amdhsa_float_round_mode_32 0
		.amdhsa_float_round_mode_16_64 0
		.amdhsa_float_denorm_mode_32 3
		.amdhsa_float_denorm_mode_16_64 3
		.amdhsa_dx10_clamp 1
		.amdhsa_ieee_mode 1
		.amdhsa_fp16_overflow 0
		.amdhsa_exception_fp_ieee_invalid_op 0
		.amdhsa_exception_fp_denorm_src 0
		.amdhsa_exception_fp_ieee_div_zero 0
		.amdhsa_exception_fp_ieee_overflow 0
		.amdhsa_exception_fp_ieee_underflow 0
		.amdhsa_exception_fp_ieee_inexact 0
		.amdhsa_exception_int_div_zero 0
	.end_amdhsa_kernel
	.section	.text._ZN2at6native32elementwise_kernel_manual_unrollILi128ELi8EZNS0_22gpu_kernel_impl_nocastINS0_13AUnaryFunctorIaaaZZZNS0_18lshift_kernel_cudaERNS_18TensorIteratorBaseEENKUlvE_clEvENKUlvE0_clEvEUlaaE_EEEEvS5_RKT_EUlibE_EEviT1_,"axG",@progbits,_ZN2at6native32elementwise_kernel_manual_unrollILi128ELi8EZNS0_22gpu_kernel_impl_nocastINS0_13AUnaryFunctorIaaaZZZNS0_18lshift_kernel_cudaERNS_18TensorIteratorBaseEENKUlvE_clEvENKUlvE0_clEvEUlaaE_EEEEvS5_RKT_EUlibE_EEviT1_,comdat
.Lfunc_end29:
	.size	_ZN2at6native32elementwise_kernel_manual_unrollILi128ELi8EZNS0_22gpu_kernel_impl_nocastINS0_13AUnaryFunctorIaaaZZZNS0_18lshift_kernel_cudaERNS_18TensorIteratorBaseEENKUlvE_clEvENKUlvE0_clEvEUlaaE_EEEEvS5_RKT_EUlibE_EEviT1_, .Lfunc_end29-_ZN2at6native32elementwise_kernel_manual_unrollILi128ELi8EZNS0_22gpu_kernel_impl_nocastINS0_13AUnaryFunctorIaaaZZZNS0_18lshift_kernel_cudaERNS_18TensorIteratorBaseEENKUlvE_clEvENKUlvE0_clEvEUlaaE_EEEEvS5_RKT_EUlibE_EEviT1_
                                        ; -- End function
	.set _ZN2at6native32elementwise_kernel_manual_unrollILi128ELi8EZNS0_22gpu_kernel_impl_nocastINS0_13AUnaryFunctorIaaaZZZNS0_18lshift_kernel_cudaERNS_18TensorIteratorBaseEENKUlvE_clEvENKUlvE0_clEvEUlaaE_EEEEvS5_RKT_EUlibE_EEviT1_.num_vgpr, 26
	.set _ZN2at6native32elementwise_kernel_manual_unrollILi128ELi8EZNS0_22gpu_kernel_impl_nocastINS0_13AUnaryFunctorIaaaZZZNS0_18lshift_kernel_cudaERNS_18TensorIteratorBaseEENKUlvE_clEvENKUlvE0_clEvEUlaaE_EEEEvS5_RKT_EUlibE_EEviT1_.num_agpr, 0
	.set _ZN2at6native32elementwise_kernel_manual_unrollILi128ELi8EZNS0_22gpu_kernel_impl_nocastINS0_13AUnaryFunctorIaaaZZZNS0_18lshift_kernel_cudaERNS_18TensorIteratorBaseEENKUlvE_clEvENKUlvE0_clEvEUlaaE_EEEEvS5_RKT_EUlibE_EEviT1_.numbered_sgpr, 63
	.set _ZN2at6native32elementwise_kernel_manual_unrollILi128ELi8EZNS0_22gpu_kernel_impl_nocastINS0_13AUnaryFunctorIaaaZZZNS0_18lshift_kernel_cudaERNS_18TensorIteratorBaseEENKUlvE_clEvENKUlvE0_clEvEUlaaE_EEEEvS5_RKT_EUlibE_EEviT1_.num_named_barrier, 0
	.set _ZN2at6native32elementwise_kernel_manual_unrollILi128ELi8EZNS0_22gpu_kernel_impl_nocastINS0_13AUnaryFunctorIaaaZZZNS0_18lshift_kernel_cudaERNS_18TensorIteratorBaseEENKUlvE_clEvENKUlvE0_clEvEUlaaE_EEEEvS5_RKT_EUlibE_EEviT1_.private_seg_size, 0
	.set _ZN2at6native32elementwise_kernel_manual_unrollILi128ELi8EZNS0_22gpu_kernel_impl_nocastINS0_13AUnaryFunctorIaaaZZZNS0_18lshift_kernel_cudaERNS_18TensorIteratorBaseEENKUlvE_clEvENKUlvE0_clEvEUlaaE_EEEEvS5_RKT_EUlibE_EEviT1_.uses_vcc, 1
	.set _ZN2at6native32elementwise_kernel_manual_unrollILi128ELi8EZNS0_22gpu_kernel_impl_nocastINS0_13AUnaryFunctorIaaaZZZNS0_18lshift_kernel_cudaERNS_18TensorIteratorBaseEENKUlvE_clEvENKUlvE0_clEvEUlaaE_EEEEvS5_RKT_EUlibE_EEviT1_.uses_flat_scratch, 0
	.set _ZN2at6native32elementwise_kernel_manual_unrollILi128ELi8EZNS0_22gpu_kernel_impl_nocastINS0_13AUnaryFunctorIaaaZZZNS0_18lshift_kernel_cudaERNS_18TensorIteratorBaseEENKUlvE_clEvENKUlvE0_clEvEUlaaE_EEEEvS5_RKT_EUlibE_EEviT1_.has_dyn_sized_stack, 0
	.set _ZN2at6native32elementwise_kernel_manual_unrollILi128ELi8EZNS0_22gpu_kernel_impl_nocastINS0_13AUnaryFunctorIaaaZZZNS0_18lshift_kernel_cudaERNS_18TensorIteratorBaseEENKUlvE_clEvENKUlvE0_clEvEUlaaE_EEEEvS5_RKT_EUlibE_EEviT1_.has_recursion, 0
	.set _ZN2at6native32elementwise_kernel_manual_unrollILi128ELi8EZNS0_22gpu_kernel_impl_nocastINS0_13AUnaryFunctorIaaaZZZNS0_18lshift_kernel_cudaERNS_18TensorIteratorBaseEENKUlvE_clEvENKUlvE0_clEvEUlaaE_EEEEvS5_RKT_EUlibE_EEviT1_.has_indirect_call, 0
	.section	.AMDGPU.csdata,"",@progbits
; Kernel info:
; codeLenInByte = 11448
; TotalNumSgprs: 67
; NumVgprs: 26
; ScratchSize: 0
; MemoryBound: 0
; FloatMode: 240
; IeeeMode: 1
; LDSByteSize: 0 bytes/workgroup (compile time only)
; SGPRBlocks: 8
; VGPRBlocks: 6
; NumSGPRsForWavesPerEU: 67
; NumVGPRsForWavesPerEU: 26
; Occupancy: 9
; WaveLimiterHint : 1
; COMPUTE_PGM_RSRC2:SCRATCH_EN: 0
; COMPUTE_PGM_RSRC2:USER_SGPR: 6
; COMPUTE_PGM_RSRC2:TRAP_HANDLER: 0
; COMPUTE_PGM_RSRC2:TGID_X_EN: 1
; COMPUTE_PGM_RSRC2:TGID_Y_EN: 0
; COMPUTE_PGM_RSRC2:TGID_Z_EN: 0
; COMPUTE_PGM_RSRC2:TIDIG_COMP_CNT: 0
	.section	.text._ZN2at6native32elementwise_kernel_manual_unrollILi128ELi4EZNS0_15gpu_kernel_implINS0_13AUnaryFunctorIaaaZZZNS0_18lshift_kernel_cudaERNS_18TensorIteratorBaseEENKUlvE_clEvENKUlvE0_clEvEUlaaE_EEEEvS5_RKT_EUlibE_EEviT1_,"axG",@progbits,_ZN2at6native32elementwise_kernel_manual_unrollILi128ELi4EZNS0_15gpu_kernel_implINS0_13AUnaryFunctorIaaaZZZNS0_18lshift_kernel_cudaERNS_18TensorIteratorBaseEENKUlvE_clEvENKUlvE0_clEvEUlaaE_EEEEvS5_RKT_EUlibE_EEviT1_,comdat
	.globl	_ZN2at6native32elementwise_kernel_manual_unrollILi128ELi4EZNS0_15gpu_kernel_implINS0_13AUnaryFunctorIaaaZZZNS0_18lshift_kernel_cudaERNS_18TensorIteratorBaseEENKUlvE_clEvENKUlvE0_clEvEUlaaE_EEEEvS5_RKT_EUlibE_EEviT1_ ; -- Begin function _ZN2at6native32elementwise_kernel_manual_unrollILi128ELi4EZNS0_15gpu_kernel_implINS0_13AUnaryFunctorIaaaZZZNS0_18lshift_kernel_cudaERNS_18TensorIteratorBaseEENKUlvE_clEvENKUlvE0_clEvEUlaaE_EEEEvS5_RKT_EUlibE_EEviT1_
	.p2align	8
	.type	_ZN2at6native32elementwise_kernel_manual_unrollILi128ELi4EZNS0_15gpu_kernel_implINS0_13AUnaryFunctorIaaaZZZNS0_18lshift_kernel_cudaERNS_18TensorIteratorBaseEENKUlvE_clEvENKUlvE0_clEvEUlaaE_EEEEvS5_RKT_EUlibE_EEviT1_,@function
_ZN2at6native32elementwise_kernel_manual_unrollILi128ELi4EZNS0_15gpu_kernel_implINS0_13AUnaryFunctorIaaaZZZNS0_18lshift_kernel_cudaERNS_18TensorIteratorBaseEENKUlvE_clEvENKUlvE0_clEvEUlaaE_EEEEvS5_RKT_EUlibE_EEviT1_: ; @_ZN2at6native32elementwise_kernel_manual_unrollILi128ELi4EZNS0_15gpu_kernel_implINS0_13AUnaryFunctorIaaaZZZNS0_18lshift_kernel_cudaERNS_18TensorIteratorBaseEENKUlvE_clEvENKUlvE0_clEvEUlaaE_EEEEvS5_RKT_EUlibE_EEviT1_
; %bb.0:
	v_mov_b32_e32 v1, 0
	global_load_ushort v9, v1, s[4:5] offset:33
	global_load_sbyte v2, v1, s[4:5] offset:35
	s_load_dwordx2 s[2:3], s[4:5], 0x18
	s_load_dword s38, s[4:5], 0x0
	s_load_dwordx4 s[8:11], s[4:5], 0x8
	v_lshl_or_b32 v10, s6, 9, v0
	v_or_b32_e32 v0, 0x180, v10
	s_mov_b64 s[12:13], 0
	s_waitcnt lgkmcnt(0)
	v_cmp_le_i32_e32 vcc, s38, v0
	s_mov_b64 s[6:7], 0
	s_waitcnt vmcnt(1)
	v_readfirstlane_b32 s0, v9
	s_waitcnt vmcnt(0)
	v_readfirstlane_b32 s42, v2
	s_lshr_b32 s33, s0, 8
	s_and_saveexec_b64 s[0:1], vcc
	s_xor_b64 s[4:5], exec, s[0:1]
	s_cbranch_execz .LBB30_1011
; %bb.1:
	v_cmp_gt_i32_e32 vcc, s38, v10
	s_mov_b64 s[18:19], -1
	s_mov_b64 s[20:21], 0
	s_mov_b64 s[14:15], 0
	s_and_saveexec_b64 s[16:17], vcc
	s_cbranch_execz .LBB30_248
; %bb.2:
	v_mul_lo_u32 v0, v10, s3
	v_mov_b32_e32 v1, s11
	s_and_b32 s18, s42, 0xff
	s_cmp_lt_i32 s18, 11
	v_ashrrev_i32_e32 v2, 31, v0
	v_add_co_u32_e32 v0, vcc, s10, v0
	v_addc_co_u32_e32 v1, vcc, v1, v2, vcc
	s_cbranch_scc1 .LBB30_9
; %bb.3:
	s_and_b32 s19, 0xffff, s18
	s_cmp_gt_i32 s19, 25
	s_cbranch_scc0 .LBB30_18
; %bb.4:
	s_cmp_gt_i32 s19, 28
	s_cbranch_scc0 .LBB30_22
; %bb.5:
	s_cmp_gt_i32 s19, 43
	s_cbranch_scc0 .LBB30_24
; %bb.6:
	s_cmp_gt_i32 s19, 45
	s_cbranch_scc0 .LBB30_26
; %bb.7:
	s_cmp_eq_u32 s19, 46
	s_cbranch_scc0 .LBB30_28
; %bb.8:
	global_load_dword v2, v[0:1], off
	s_mov_b64 s[0:1], -1
	s_waitcnt vmcnt(0)
	v_lshlrev_b32_e32 v2, 16, v2
	v_cvt_i32_f32_e32 v2, v2
	s_branch .LBB30_30
.LBB30_9:
                                        ; implicit-def: $vgpr2
	s_mov_b64 s[0:1], 0
	s_cbranch_execnz .LBB30_199
.LBB30_10:
	s_andn2_b64 vcc, exec, s[0:1]
	s_cbranch_vccnz .LBB30_246
.LBB30_11:
	v_mul_lo_u32 v1, v10, s2
	s_waitcnt vmcnt(0)
	v_mov_b32_e32 v3, 8
	v_lshlrev_b32_sdwa v0, v2, v9 dst_sel:DWORD dst_unused:UNUSED_PAD src0_sel:DWORD src1_sel:BYTE_0
	v_cmp_lt_u16_sdwa vcc, v2, v3 src0_sel:BYTE_0 src1_sel:DWORD
	v_cndmask_b32_e32 v2, 0, v0, vcc
	v_ashrrev_i32_e32 v3, 31, v1
	v_mov_b32_e32 v4, s9
	s_and_b32 s24, s33, 0xff
	v_add_co_u32_e32 v0, vcc, s8, v1
	s_cmp_lt_i32 s24, 11
	v_addc_co_u32_e32 v1, vcc, v4, v3, vcc
	s_cbranch_scc1 .LBB30_19
; %bb.12:
	s_and_b32 s25, 0xffff, s24
	s_cmp_gt_i32 s25, 25
	s_cbranch_scc0 .LBB30_23
; %bb.13:
	s_cmp_gt_i32 s25, 28
	s_cbranch_scc0 .LBB30_25
; %bb.14:
	;; [unrolled: 3-line block ×4, first 2 shown]
	s_mov_b64 s[18:19], 0
	s_mov_b64 s[0:1], -1
	s_cmp_eq_u32 s25, 46
	s_mov_b64 s[6:7], 0
	s_cbranch_scc0 .LBB30_34
; %bb.17:
	v_bfe_i32 v3, v2, 0, 8
	v_cvt_f32_i32_sdwa v3, sext(v3) dst_sel:DWORD dst_unused:UNUSED_PAD src0_sel:WORD_0
	s_movk_i32 s0, 0x7fff
	s_mov_b64 s[6:7], -1
	v_bfe_u32 v4, v3, 16, 1
	v_add3_u32 v3, v3, v4, s0
	v_lshrrev_b32_e32 v3, 16, v3
	global_store_dword v[0:1], v3, off
	s_mov_b64 s[0:1], 0
	s_branch .LBB30_34
.LBB30_18:
	s_mov_b64 s[0:1], 0
                                        ; implicit-def: $vgpr2
	s_cbranch_execnz .LBB30_166
	s_branch .LBB30_198
.LBB30_19:
	s_mov_b64 s[0:1], 0
	s_mov_b64 s[6:7], 0
	s_cbranch_execnz .LBB30_103
.LBB30_20:
	s_andn2_b64 vcc, exec, s[6:7]
	s_cbranch_vccnz .LBB30_141
.LBB30_21:
	v_add_u32_e32 v10, 0x80, v10
	s_mov_b64 s[18:19], -1
	s_branch .LBB30_247
.LBB30_22:
	s_mov_b64 s[6:7], -1
	s_mov_b64 s[0:1], 0
                                        ; implicit-def: $vgpr2
	s_branch .LBB30_149
.LBB30_23:
	s_mov_b64 s[18:19], -1
	s_mov_b64 s[0:1], 0
	s_mov_b64 s[6:7], 0
	s_branch .LBB30_61
.LBB30_24:
	s_mov_b64 s[6:7], -1
	s_mov_b64 s[0:1], 0
                                        ; implicit-def: $vgpr2
	s_branch .LBB30_144
.LBB30_25:
	s_mov_b64 s[18:19], -1
	s_mov_b64 s[0:1], 0
	s_mov_b64 s[6:7], 0
	s_branch .LBB30_44
.LBB30_26:
	s_mov_b64 s[6:7], -1
	s_branch .LBB30_29
.LBB30_27:
	s_mov_b64 s[18:19], -1
	s_mov_b64 s[0:1], 0
	s_mov_b64 s[6:7], 0
	s_branch .LBB30_40
.LBB30_28:
	s_mov_b64 s[14:15], -1
.LBB30_29:
	s_mov_b64 s[0:1], 0
                                        ; implicit-def: $vgpr2
.LBB30_30:
	s_and_b64 vcc, exec, s[6:7]
	s_cbranch_vccz .LBB30_143
; %bb.31:
	s_cmp_eq_u32 s19, 44
	s_cbranch_scc0 .LBB30_142
; %bb.32:
	global_load_ubyte v2, v[0:1], off
	s_mov_b64 s[0:1], -1
	s_mov_b64 s[14:15], 0
	s_waitcnt vmcnt(0)
	v_lshlrev_b32_e32 v3, 23, v2
	v_cvt_i32_f32_e32 v3, v3
	v_cmp_ne_u32_e32 vcc, 0, v2
	v_cndmask_b32_e32 v2, 0, v3, vcc
	s_branch .LBB30_143
.LBB30_33:
	s_mov_b64 s[18:19], -1
	s_mov_b64 s[0:1], 0
	s_mov_b64 s[6:7], 0
.LBB30_34:
	s_and_b64 vcc, exec, s[18:19]
	s_cbranch_vccz .LBB30_39
; %bb.35:
	s_cmp_eq_u32 s25, 44
	s_mov_b64 s[0:1], -1
	s_cbranch_scc0 .LBB30_39
; %bb.36:
	v_bfe_i32 v3, v2, 0, 8
	v_cvt_f32_i32_sdwa v3, sext(v3) dst_sel:DWORD dst_unused:UNUSED_PAD src0_sel:WORD_0
	s_movk_i32 s0, 0xff
	v_mov_b32_e32 v5, 0xff
	v_bfe_u32 v4, v3, 23, 8
	v_cmp_ne_u32_e32 vcc, s0, v4
	s_and_saveexec_b64 s[6:7], vcc
; %bb.37:
	s_mov_b32 s0, 0x3fffff
	v_lshrrev_b32_e32 v5, 23, v3
	v_and_b32_e32 v6, 0x400000, v3
	v_and_or_b32 v3, v3, s0, v4
	v_cmp_ne_u32_e32 vcc, 0, v6
	v_cmp_ne_u32_e64 s[0:1], 0, v3
	s_and_b64 s[0:1], vcc, s[0:1]
	v_cndmask_b32_e64 v3, 0, 1, s[0:1]
	v_add_u32_e32 v5, v5, v3
; %bb.38:
	s_or_b64 exec, exec, s[6:7]
	s_mov_b64 s[6:7], -1
	s_mov_b64 s[0:1], 0
	global_store_byte v[0:1], v5, off
.LBB30_39:
	s_mov_b64 s[18:19], 0
.LBB30_40:
	s_and_b64 vcc, exec, s[18:19]
	s_cbranch_vccz .LBB30_43
; %bb.41:
	s_cmp_eq_u32 s25, 29
	s_mov_b64 s[0:1], -1
	s_cbranch_scc0 .LBB30_43
; %bb.42:
	v_bfe_i32 v3, v2, 0, 8
	v_ashrrev_i32_e32 v4, 31, v3
	global_store_dwordx2 v[0:1], v[3:4], off
	s_mov_b64 s[6:7], -1
	s_mov_b64 s[0:1], 0
.LBB30_43:
	s_mov_b64 s[18:19], 0
.LBB30_44:
	s_and_b64 vcc, exec, s[18:19]
	s_cbranch_vccz .LBB30_60
; %bb.45:
	s_cmp_lt_i32 s25, 27
	s_mov_b64 s[6:7], -1
	s_cbranch_scc1 .LBB30_51
; %bb.46:
	s_cmp_gt_i32 s25, 27
	s_cbranch_scc0 .LBB30_48
; %bb.47:
	v_bfe_i32 v3, v2, 0, 8
	s_mov_b64 s[6:7], 0
	global_store_dword v[0:1], v3, off
.LBB30_48:
	s_andn2_b64 vcc, exec, s[6:7]
	s_cbranch_vccnz .LBB30_50
; %bb.49:
	v_bfe_i32 v3, v2, 0, 8
	global_store_short v[0:1], v3, off
.LBB30_50:
	s_mov_b64 s[6:7], 0
.LBB30_51:
	s_andn2_b64 vcc, exec, s[6:7]
	s_cbranch_vccnz .LBB30_59
; %bb.52:
	v_bfe_i32 v3, v2, 0, 8
	v_cvt_f32_i32_sdwa v3, sext(v3) dst_sel:DWORD dst_unused:UNUSED_PAD src0_sel:WORD_0
	s_mov_b32 s6, 0x43800000
	v_mov_b32_e32 v5, 0x80
	v_and_b32_e32 v4, 0x7fffffff, v3
	v_cmp_gt_u32_e32 vcc, s6, v4
	s_and_saveexec_b64 s[6:7], vcc
	s_cbranch_execz .LBB30_58
; %bb.53:
	s_mov_b32 s18, 0x3bffffff
	v_cmp_lt_u32_e32 vcc, s18, v4
	s_mov_b64 s[18:19], 0
                                        ; implicit-def: $vgpr4
	s_and_saveexec_b64 s[22:23], vcc
	s_xor_b64 s[22:23], exec, s[22:23]
	s_cbranch_execz .LBB30_275
; %bb.54:
	v_bfe_u32 v4, v3, 20, 1
	s_mov_b32 s26, 0x487ffff
	v_add3_u32 v4, v3, v4, s26
	s_mov_b64 s[18:19], exec
	v_lshrrev_b32_e32 v4, 20, v4
	s_andn2_saveexec_b64 s[22:23], s[22:23]
	s_cbranch_execnz .LBB30_276
.LBB30_55:
	s_or_b64 exec, exec, s[22:23]
	v_mov_b32_e32 v5, 0
	s_and_saveexec_b64 s[22:23], s[18:19]
.LBB30_56:
	v_lshrrev_b32_e32 v3, 24, v3
	s_movk_i32 s18, 0x80
	v_and_or_b32 v5, v3, s18, v4
.LBB30_57:
	s_or_b64 exec, exec, s[22:23]
.LBB30_58:
	s_or_b64 exec, exec, s[6:7]
	global_store_byte v[0:1], v5, off
.LBB30_59:
	s_mov_b64 s[6:7], -1
.LBB30_60:
	s_mov_b64 s[18:19], 0
.LBB30_61:
	s_and_b64 vcc, exec, s[18:19]
	s_cbranch_vccz .LBB30_102
; %bb.62:
	s_cmp_gt_i32 s25, 22
	s_mov_b64 s[18:19], -1
	s_cbranch_scc0 .LBB30_94
; %bb.63:
	s_cmp_lt_i32 s25, 24
	s_mov_b64 s[6:7], -1
	s_cbranch_scc1 .LBB30_83
; %bb.64:
	s_cmp_gt_i32 s25, 24
	s_cbranch_scc0 .LBB30_72
; %bb.65:
	v_bfe_i32 v3, v2, 0, 8
	v_cvt_f32_i32_sdwa v3, sext(v3) dst_sel:DWORD dst_unused:UNUSED_PAD src0_sel:WORD_0
	s_mov_b32 s6, 0x47800000
	v_mov_b32_e32 v5, 0x80
	v_and_b32_e32 v4, 0x7fffffff, v3
	v_cmp_gt_u32_e32 vcc, s6, v4
	s_and_saveexec_b64 s[6:7], vcc
	s_cbranch_execz .LBB30_71
; %bb.66:
	s_mov_b32 s18, 0x37ffffff
	v_cmp_lt_u32_e32 vcc, s18, v4
	s_mov_b64 s[18:19], 0
                                        ; implicit-def: $vgpr4
	s_and_saveexec_b64 s[22:23], vcc
	s_xor_b64 s[22:23], exec, s[22:23]
	s_cbranch_execz .LBB30_279
; %bb.67:
	v_bfe_u32 v4, v3, 21, 1
	s_mov_b32 s26, 0x88fffff
	v_add3_u32 v4, v3, v4, s26
	s_mov_b64 s[18:19], exec
	v_lshrrev_b32_e32 v4, 21, v4
	s_andn2_saveexec_b64 s[22:23], s[22:23]
	s_cbranch_execnz .LBB30_280
.LBB30_68:
	s_or_b64 exec, exec, s[22:23]
	v_mov_b32_e32 v5, 0
	s_and_saveexec_b64 s[22:23], s[18:19]
.LBB30_69:
	v_lshrrev_b32_e32 v3, 24, v3
	s_movk_i32 s18, 0x80
	v_and_or_b32 v5, v3, s18, v4
.LBB30_70:
	s_or_b64 exec, exec, s[22:23]
.LBB30_71:
	s_or_b64 exec, exec, s[6:7]
	s_mov_b64 s[6:7], 0
	global_store_byte v[0:1], v5, off
.LBB30_72:
	s_and_b64 vcc, exec, s[6:7]
	s_cbranch_vccz .LBB30_82
; %bb.73:
	v_bfe_i32 v3, v2, 0, 8
	v_cvt_f32_i32_sdwa v3, sext(v3) dst_sel:DWORD dst_unused:UNUSED_PAD src0_sel:WORD_0
	s_mov_b32 s6, 0x43f00000
                                        ; implicit-def: $vgpr4
	v_and_b32_e32 v5, 0x7fffffff, v3
	v_cmp_gt_u32_e32 vcc, s6, v5
	s_and_saveexec_b64 s[6:7], vcc
	s_xor_b64 s[6:7], exec, s[6:7]
	s_cbranch_execz .LBB30_79
; %bb.74:
	s_mov_b32 s18, 0x3c7fffff
	v_cmp_lt_u32_e32 vcc, s18, v5
                                        ; implicit-def: $vgpr4
	s_and_saveexec_b64 s[18:19], vcc
	s_xor_b64 s[18:19], exec, s[18:19]
; %bb.75:
	v_bfe_u32 v4, v3, 20, 1
	s_mov_b32 s22, 0x407ffff
	v_add3_u32 v4, v3, v4, s22
	v_lshrrev_b32_e32 v5, 20, v4
	v_and_b32_e32 v4, 0xff00000, v4
	s_mov_b32 s22, 0x7f00000
	v_mov_b32_e32 v6, 0x7e
	v_cmp_ne_u32_e32 vcc, s22, v4
	v_cndmask_b32_e32 v4, v6, v5, vcc
; %bb.76:
	s_andn2_saveexec_b64 s[18:19], s[18:19]
; %bb.77:
	s_mov_b32 s22, 0x46800000
	v_add_f32_e64 v4, |v3|, s22
; %bb.78:
	s_or_b64 exec, exec, s[18:19]
                                        ; implicit-def: $vgpr5
.LBB30_79:
	s_andn2_saveexec_b64 s[6:7], s[6:7]
; %bb.80:
	s_mov_b32 s18, 0x7f800000
	v_mov_b32_e32 v4, 0x7e
	v_mov_b32_e32 v6, 0x7f
	v_cmp_lt_u32_e32 vcc, s18, v5
	v_cndmask_b32_e32 v4, v4, v6, vcc
; %bb.81:
	s_or_b64 exec, exec, s[6:7]
	v_lshrrev_b32_e32 v3, 24, v3
	s_movk_i32 s6, 0x80
	v_and_or_b32 v3, v3, s6, v4
	global_store_byte v[0:1], v3, off
.LBB30_82:
	s_mov_b64 s[6:7], 0
.LBB30_83:
	s_andn2_b64 vcc, exec, s[6:7]
	s_cbranch_vccnz .LBB30_93
; %bb.84:
	v_bfe_i32 v3, v2, 0, 8
	v_cvt_f32_i32_sdwa v3, sext(v3) dst_sel:DWORD dst_unused:UNUSED_PAD src0_sel:WORD_0
	s_mov_b32 s6, 0x47800000
                                        ; implicit-def: $vgpr4
	v_and_b32_e32 v5, 0x7fffffff, v3
	v_cmp_gt_u32_e32 vcc, s6, v5
	s_and_saveexec_b64 s[6:7], vcc
	s_xor_b64 s[6:7], exec, s[6:7]
	s_cbranch_execz .LBB30_90
; %bb.85:
	s_mov_b32 s18, 0x387fffff
	v_cmp_lt_u32_e32 vcc, s18, v5
                                        ; implicit-def: $vgpr4
	s_and_saveexec_b64 s[18:19], vcc
	s_xor_b64 s[18:19], exec, s[18:19]
; %bb.86:
	v_bfe_u32 v4, v3, 21, 1
	s_mov_b32 s22, 0x80fffff
	v_add3_u32 v4, v3, v4, s22
	v_lshrrev_b32_e32 v4, 21, v4
; %bb.87:
	s_andn2_saveexec_b64 s[18:19], s[18:19]
; %bb.88:
	s_mov_b32 s22, 0x43000000
	v_add_f32_e64 v4, |v3|, s22
; %bb.89:
	s_or_b64 exec, exec, s[18:19]
                                        ; implicit-def: $vgpr5
.LBB30_90:
	s_andn2_saveexec_b64 s[6:7], s[6:7]
; %bb.91:
	s_mov_b32 s18, 0x7f800000
	v_mov_b32_e32 v4, 0x7c
	v_mov_b32_e32 v6, 0x7f
	v_cmp_lt_u32_e32 vcc, s18, v5
	v_cndmask_b32_e32 v4, v4, v6, vcc
; %bb.92:
	s_or_b64 exec, exec, s[6:7]
	v_lshrrev_b32_e32 v3, 24, v3
	s_movk_i32 s6, 0x80
	v_and_or_b32 v3, v3, s6, v4
	global_store_byte v[0:1], v3, off
.LBB30_93:
	s_mov_b64 s[18:19], 0
	s_mov_b64 s[6:7], -1
.LBB30_94:
	s_andn2_b64 vcc, exec, s[18:19]
	s_cbranch_vccnz .LBB30_102
; %bb.95:
	s_cmp_gt_i32 s25, 14
	s_mov_b64 s[18:19], -1
	s_cbranch_scc0 .LBB30_99
; %bb.96:
	s_cmp_eq_u32 s25, 15
	s_mov_b64 s[0:1], -1
	s_cbranch_scc0 .LBB30_98
; %bb.97:
	v_bfe_i32 v3, v2, 0, 8
	v_cvt_f32_i32_sdwa v3, sext(v3) dst_sel:DWORD dst_unused:UNUSED_PAD src0_sel:WORD_0
	s_movk_i32 s0, 0x7fff
	s_mov_b64 s[6:7], -1
	v_bfe_u32 v4, v3, 16, 1
	v_add3_u32 v3, v3, v4, s0
	global_store_short_d16_hi v[0:1], v3, off
	s_mov_b64 s[0:1], 0
.LBB30_98:
	s_mov_b64 s[18:19], 0
.LBB30_99:
	s_and_b64 vcc, exec, s[18:19]
	s_cbranch_vccz .LBB30_102
; %bb.100:
	s_cmp_eq_u32 s25, 11
	s_mov_b64 s[0:1], -1
	s_cbranch_scc0 .LBB30_102
; %bb.101:
	v_mov_b32_e32 v3, 0
	v_cmp_ne_u16_sdwa s[0:1], v2, v3 src0_sel:BYTE_0 src1_sel:DWORD
	v_cndmask_b32_e64 v3, 0, 1, s[0:1]
	s_mov_b64 s[6:7], -1
	s_mov_b64 s[0:1], 0
	global_store_byte v[0:1], v3, off
.LBB30_102:
	s_branch .LBB30_20
.LBB30_103:
	s_and_b32 s18, 0xffff, s24
	s_cmp_lt_i32 s18, 5
	s_mov_b64 s[6:7], -1
	s_cbranch_scc1 .LBB30_124
; %bb.104:
	s_cmp_lt_i32 s18, 8
	s_cbranch_scc1 .LBB30_114
; %bb.105:
	s_cmp_lt_i32 s18, 9
	s_cbranch_scc1 .LBB30_111
; %bb.106:
	s_cmp_gt_i32 s18, 9
	s_cbranch_scc0 .LBB30_108
; %bb.107:
	v_bfe_i32 v3, v2, 0, 8
	v_bfe_i32 v3, v3, 0, 16
	v_cvt_f64_i32_e32 v[3:4], v3
	v_mov_b32_e32 v5, 0
	v_mov_b32_e32 v6, v5
	s_mov_b64 s[6:7], 0
	global_store_dwordx4 v[0:1], v[3:6], off
.LBB30_108:
	s_andn2_b64 vcc, exec, s[6:7]
	s_cbranch_vccnz .LBB30_110
; %bb.109:
	v_bfe_i32 v3, v2, 0, 8
	v_cvt_f32_i32_sdwa v3, sext(v3) dst_sel:DWORD dst_unused:UNUSED_PAD src0_sel:WORD_0
	v_mov_b32_e32 v4, 0
	global_store_dwordx2 v[0:1], v[3:4], off
.LBB30_110:
	s_mov_b64 s[6:7], 0
.LBB30_111:
	s_andn2_b64 vcc, exec, s[6:7]
	s_cbranch_vccnz .LBB30_113
; %bb.112:
	v_cvt_f16_i16_sdwa v3, sext(v2) dst_sel:DWORD dst_unused:UNUSED_PAD src0_sel:BYTE_0
	global_store_dword v[0:1], v3, off
.LBB30_113:
	s_mov_b64 s[6:7], 0
.LBB30_114:
	s_andn2_b64 vcc, exec, s[6:7]
	s_cbranch_vccnz .LBB30_123
; %bb.115:
	s_cmp_lt_i32 s18, 6
	s_mov_b64 s[6:7], -1
	s_cbranch_scc1 .LBB30_121
; %bb.116:
	s_cmp_gt_i32 s18, 6
	s_cbranch_scc0 .LBB30_118
; %bb.117:
	v_bfe_i32 v3, v2, 0, 8
	v_bfe_i32 v3, v3, 0, 16
	v_cvt_f64_i32_e32 v[3:4], v3
	s_mov_b64 s[6:7], 0
	global_store_dwordx2 v[0:1], v[3:4], off
.LBB30_118:
	s_andn2_b64 vcc, exec, s[6:7]
	s_cbranch_vccnz .LBB30_120
; %bb.119:
	v_bfe_i32 v3, v2, 0, 8
	v_cvt_f32_i32_sdwa v3, sext(v3) dst_sel:DWORD dst_unused:UNUSED_PAD src0_sel:WORD_0
	global_store_dword v[0:1], v3, off
.LBB30_120:
	s_mov_b64 s[6:7], 0
.LBB30_121:
	s_andn2_b64 vcc, exec, s[6:7]
	s_cbranch_vccnz .LBB30_123
; %bb.122:
	v_cvt_f16_i16_sdwa v3, sext(v2) dst_sel:DWORD dst_unused:UNUSED_PAD src0_sel:BYTE_0
	global_store_short v[0:1], v3, off
.LBB30_123:
	s_mov_b64 s[6:7], 0
.LBB30_124:
	s_andn2_b64 vcc, exec, s[6:7]
	s_cbranch_vccnz .LBB30_140
; %bb.125:
	s_cmp_lt_i32 s18, 2
	s_mov_b64 s[6:7], -1
	s_cbranch_scc1 .LBB30_135
; %bb.126:
	s_cmp_lt_i32 s18, 3
	s_cbranch_scc1 .LBB30_132
; %bb.127:
	s_cmp_gt_i32 s18, 3
	s_cbranch_scc0 .LBB30_129
; %bb.128:
	v_bfe_i32 v3, v2, 0, 8
	v_ashrrev_i32_e32 v4, 31, v3
	global_store_dwordx2 v[0:1], v[3:4], off
	s_mov_b64 s[6:7], 0
.LBB30_129:
	s_andn2_b64 vcc, exec, s[6:7]
	s_cbranch_vccnz .LBB30_131
; %bb.130:
	v_bfe_i32 v3, v2, 0, 8
	global_store_dword v[0:1], v3, off
.LBB30_131:
	s_mov_b64 s[6:7], 0
.LBB30_132:
	s_andn2_b64 vcc, exec, s[6:7]
	s_cbranch_vccnz .LBB30_134
; %bb.133:
	v_bfe_i32 v3, v2, 0, 8
	global_store_short v[0:1], v3, off
.LBB30_134:
	s_mov_b64 s[6:7], 0
.LBB30_135:
	s_andn2_b64 vcc, exec, s[6:7]
	s_cbranch_vccnz .LBB30_140
; %bb.136:
	s_cmp_gt_i32 s18, 0
	s_mov_b64 s[6:7], -1
	s_cbranch_scc0 .LBB30_138
; %bb.137:
	global_store_byte v[0:1], v2, off
	s_mov_b64 s[6:7], 0
.LBB30_138:
	s_andn2_b64 vcc, exec, s[6:7]
	s_cbranch_vccnz .LBB30_140
; %bb.139:
	global_store_byte v[0:1], v2, off
.LBB30_140:
	s_branch .LBB30_21
.LBB30_141:
	s_mov_b64 s[18:19], 0
                                        ; implicit-def: $vgpr10
	s_branch .LBB30_247
.LBB30_142:
	s_mov_b64 s[14:15], -1
                                        ; implicit-def: $vgpr2
.LBB30_143:
	s_mov_b64 s[6:7], 0
.LBB30_144:
	s_and_b64 vcc, exec, s[6:7]
	s_cbranch_vccz .LBB30_148
; %bb.145:
	s_cmp_eq_u32 s19, 29
	s_cbranch_scc0 .LBB30_147
; %bb.146:
	global_load_dwordx2 v[2:3], v[0:1], off
	s_mov_b64 s[0:1], -1
	s_mov_b64 s[14:15], 0
	s_branch .LBB30_148
.LBB30_147:
	s_mov_b64 s[14:15], -1
                                        ; implicit-def: $vgpr2
.LBB30_148:
	s_mov_b64 s[6:7], 0
.LBB30_149:
	s_and_b64 vcc, exec, s[6:7]
	s_cbranch_vccz .LBB30_165
; %bb.150:
	s_cmp_lt_i32 s19, 27
	s_cbranch_scc1 .LBB30_153
; %bb.151:
	s_cmp_gt_i32 s19, 27
	s_cbranch_scc0 .LBB30_154
; %bb.152:
	global_load_dword v2, v[0:1], off
	s_mov_b64 s[0:1], 0
	s_branch .LBB30_155
.LBB30_153:
	s_mov_b64 s[0:1], -1
                                        ; implicit-def: $vgpr2
	s_branch .LBB30_158
.LBB30_154:
	s_mov_b64 s[0:1], -1
                                        ; implicit-def: $vgpr2
.LBB30_155:
	s_andn2_b64 vcc, exec, s[0:1]
	s_cbranch_vccnz .LBB30_157
; %bb.156:
	global_load_ushort v2, v[0:1], off
.LBB30_157:
	s_mov_b64 s[0:1], 0
.LBB30_158:
	s_andn2_b64 vcc, exec, s[0:1]
	s_cbranch_vccnz .LBB30_164
; %bb.159:
	global_load_ubyte v3, v[0:1], off
	s_movk_i32 s0, 0x7f
	s_mov_b64 s[6:7], 0
	s_waitcnt vmcnt(0)
	v_cmp_lt_i16_e32 vcc, s0, v3
	s_and_saveexec_b64 s[0:1], vcc
	s_xor_b64 s[0:1], exec, s[0:1]
	s_cbranch_execz .LBB30_175
; %bb.160:
	s_movk_i32 s6, 0x80
	v_cmp_ne_u16_e32 vcc, s6, v3
	s_and_b64 s[6:7], vcc, exec
	s_andn2_saveexec_b64 s[0:1], s[0:1]
	s_cbranch_execnz .LBB30_176
.LBB30_161:
	s_or_b64 exec, exec, s[0:1]
	v_mov_b32_e32 v2, 0
	s_and_saveexec_b64 s[0:1], s[6:7]
	s_cbranch_execz .LBB30_163
.LBB30_162:
	v_lshlrev_b32_e32 v2, 24, v3
	v_and_b32_e32 v3, 0xffff, v3
	v_and_b32_e32 v4, 7, v3
	v_ffbh_u32_e32 v6, v4
	v_min_u32_e32 v6, 32, v6
	v_subrev_u32_e32 v7, 28, v6
	v_bfe_u32 v5, v3, 3, 4
	v_lshlrev_b32_e32 v3, v7, v3
	v_sub_u32_e32 v6, 29, v6
	v_and_b32_e32 v3, 7, v3
	v_cmp_eq_u32_e32 vcc, 0, v5
	v_cndmask_b32_e32 v5, v5, v6, vcc
	v_cndmask_b32_e32 v3, v4, v3, vcc
	v_mov_b32_e32 v4, 0x3b800000
	v_lshlrev_b32_e32 v3, 20, v3
	v_and_b32_e32 v2, 0x80000000, v2
	v_lshl_add_u32 v4, v5, 23, v4
	v_or3_b32 v2, v2, v4, v3
	v_cvt_i32_f32_e32 v2, v2
.LBB30_163:
	s_or_b64 exec, exec, s[0:1]
.LBB30_164:
	s_mov_b64 s[0:1], -1
.LBB30_165:
	s_branch .LBB30_198
.LBB30_166:
	s_cmp_gt_i32 s19, 22
	s_cbranch_scc0 .LBB30_174
; %bb.167:
	s_cmp_lt_i32 s19, 24
	s_cbranch_scc1 .LBB30_177
; %bb.168:
	s_cmp_gt_i32 s19, 24
	s_cbranch_scc0 .LBB30_178
; %bb.169:
	global_load_ubyte v3, v[0:1], off
	s_movk_i32 s0, 0x7f
	s_mov_b64 s[6:7], 0
	s_waitcnt vmcnt(0)
	v_cmp_lt_i16_e32 vcc, s0, v3
	s_and_saveexec_b64 s[0:1], vcc
	s_xor_b64 s[0:1], exec, s[0:1]
	s_cbranch_execz .LBB30_190
; %bb.170:
	s_movk_i32 s6, 0x80
	v_cmp_ne_u16_e32 vcc, s6, v3
	s_and_b64 s[6:7], vcc, exec
	s_andn2_saveexec_b64 s[0:1], s[0:1]
	s_cbranch_execnz .LBB30_191
.LBB30_171:
	s_or_b64 exec, exec, s[0:1]
	v_mov_b32_e32 v2, 0
	s_and_saveexec_b64 s[0:1], s[6:7]
	s_cbranch_execz .LBB30_173
.LBB30_172:
	v_lshlrev_b32_e32 v2, 24, v3
	v_and_b32_e32 v3, 0xffff, v3
	v_and_b32_e32 v4, 3, v3
	v_ffbh_u32_e32 v6, v4
	v_min_u32_e32 v6, 32, v6
	v_subrev_u32_e32 v7, 29, v6
	v_bfe_u32 v5, v3, 2, 5
	v_lshlrev_b32_e32 v3, v7, v3
	v_sub_u32_e32 v6, 30, v6
	v_and_b32_e32 v3, 3, v3
	v_cmp_eq_u32_e32 vcc, 0, v5
	v_cndmask_b32_e32 v5, v5, v6, vcc
	v_cndmask_b32_e32 v3, v4, v3, vcc
	v_mov_b32_e32 v4, 0x37800000
	v_lshlrev_b32_e32 v3, 21, v3
	v_and_b32_e32 v2, 0x80000000, v2
	v_lshl_add_u32 v4, v5, 23, v4
	v_or3_b32 v2, v2, v4, v3
	v_cvt_i32_f32_e32 v2, v2
.LBB30_173:
	s_or_b64 exec, exec, s[0:1]
	s_mov_b64 s[0:1], 0
	s_branch .LBB30_179
.LBB30_174:
	s_mov_b64 s[6:7], -1
                                        ; implicit-def: $vgpr2
	s_branch .LBB30_185
.LBB30_175:
	s_andn2_saveexec_b64 s[0:1], s[0:1]
	s_cbranch_execz .LBB30_161
.LBB30_176:
	v_cmp_ne_u16_e32 vcc, 0, v3
	s_andn2_b64 s[6:7], s[6:7], exec
	s_and_b64 s[22:23], vcc, exec
	s_or_b64 s[6:7], s[6:7], s[22:23]
	s_or_b64 exec, exec, s[0:1]
	v_mov_b32_e32 v2, 0
	s_and_saveexec_b64 s[0:1], s[6:7]
	s_cbranch_execnz .LBB30_162
	s_branch .LBB30_163
.LBB30_177:
	s_mov_b64 s[0:1], -1
                                        ; implicit-def: $vgpr2
	s_branch .LBB30_182
.LBB30_178:
	s_mov_b64 s[0:1], -1
                                        ; implicit-def: $vgpr2
.LBB30_179:
	s_and_b64 vcc, exec, s[0:1]
	s_cbranch_vccz .LBB30_181
; %bb.180:
	global_load_ubyte v2, v[0:1], off
	s_mov_b32 s0, 0x7f800000
	s_waitcnt vmcnt(0)
	v_lshlrev_b32_e32 v2, 24, v2
	v_and_b32_e32 v3, 0x7f000000, v2
	v_ffbh_u32_e32 v4, v3
	v_min_u32_e32 v4, 32, v4
	v_sub_u32_e64 v4, v4, 4 clamp
	v_lshlrev_b32_e32 v6, v4, v3
	v_lshlrev_b32_e32 v4, 23, v4
	v_lshrrev_b32_e32 v6, 4, v6
	v_add_u32_e32 v5, 0x1000000, v3
	v_sub_u32_e32 v4, v6, v4
	v_ashrrev_i32_e32 v5, 8, v5
	v_add_u32_e32 v4, 0x3c000000, v4
	v_and_or_b32 v4, v5, s0, v4
	v_cmp_ne_u32_e32 vcc, 0, v3
	v_cndmask_b32_e32 v3, 0, v4, vcc
	s_brev_b32 s0, 1
	v_and_or_b32 v2, v2, s0, v3
	v_cvt_i32_f32_e32 v2, v2
.LBB30_181:
	s_mov_b64 s[0:1], 0
.LBB30_182:
	s_andn2_b64 vcc, exec, s[0:1]
	s_cbranch_vccnz .LBB30_184
; %bb.183:
	global_load_ubyte v2, v[0:1], off
	s_movk_i32 s0, 0x7f00
	s_brev_b32 s1, 16
	s_waitcnt vmcnt(0)
	v_lshlrev_b16_e32 v3, 8, v2
	v_lshlrev_b32_e32 v2, 25, v2
	v_lshrrev_b32_e32 v4, 4, v2
	v_and_or_b32 v5, v3, s0, 0.5
	v_or_b32_e32 v4, 0x70000000, v4
	v_add_f32_e32 v5, -0.5, v5
	v_mul_f32_e32 v4, 0x7800000, v4
	v_cmp_gt_u32_e32 vcc, s1, v2
	v_bfe_i32 v3, v3, 0, 16
	v_cndmask_b32_e32 v2, v4, v5, vcc
	s_brev_b32 s0, 1
	v_and_or_b32 v2, v3, s0, v2
	v_cvt_i32_f32_e32 v2, v2
.LBB30_184:
	s_mov_b64 s[6:7], 0
	s_mov_b64 s[0:1], -1
.LBB30_185:
	s_andn2_b64 vcc, exec, s[6:7]
	s_cbranch_vccnz .LBB30_198
; %bb.186:
	s_cmp_gt_i32 s19, 14
	s_cbranch_scc0 .LBB30_189
; %bb.187:
	s_cmp_eq_u32 s19, 15
	s_cbranch_scc0 .LBB30_192
; %bb.188:
	global_load_ushort v2, v[0:1], off
	s_mov_b64 s[0:1], -1
	s_mov_b64 s[14:15], 0
	s_waitcnt vmcnt(0)
	v_lshlrev_b32_e32 v2, 16, v2
	v_cvt_i32_f32_e32 v2, v2
	s_branch .LBB30_193
.LBB30_189:
	s_mov_b64 s[6:7], -1
                                        ; implicit-def: $vgpr2
	s_branch .LBB30_194
.LBB30_190:
	s_andn2_saveexec_b64 s[0:1], s[0:1]
	s_cbranch_execz .LBB30_171
.LBB30_191:
	v_cmp_ne_u16_e32 vcc, 0, v3
	s_andn2_b64 s[6:7], s[6:7], exec
	s_and_b64 s[22:23], vcc, exec
	s_or_b64 s[6:7], s[6:7], s[22:23]
	s_or_b64 exec, exec, s[0:1]
	v_mov_b32_e32 v2, 0
	s_and_saveexec_b64 s[0:1], s[6:7]
	s_cbranch_execnz .LBB30_172
	s_branch .LBB30_173
.LBB30_192:
	s_mov_b64 s[14:15], -1
                                        ; implicit-def: $vgpr2
.LBB30_193:
	s_mov_b64 s[6:7], 0
.LBB30_194:
	s_and_b64 vcc, exec, s[6:7]
	s_cbranch_vccz .LBB30_198
; %bb.195:
	s_cmp_eq_u32 s19, 11
	s_cbranch_scc0 .LBB30_197
; %bb.196:
	global_load_ubyte v2, v[0:1], off
	s_mov_b64 s[0:1], -1
	s_mov_b64 s[14:15], 0
	s_waitcnt vmcnt(0)
	v_cmp_ne_u16_e32 vcc, 0, v2
	v_cndmask_b32_e64 v2, 0, 1, vcc
	s_branch .LBB30_198
.LBB30_197:
	s_mov_b64 s[14:15], -1
                                        ; implicit-def: $vgpr2
.LBB30_198:
	s_branch .LBB30_10
.LBB30_199:
	s_and_b32 s6, 0xffff, s18
	s_cmp_lt_i32 s6, 5
	s_cbranch_scc1 .LBB30_204
; %bb.200:
	s_cmp_lt_i32 s6, 8
	s_cbranch_scc1 .LBB30_205
; %bb.201:
	;; [unrolled: 3-line block ×3, first 2 shown]
	s_cmp_gt_i32 s6, 9
	s_cbranch_scc0 .LBB30_207
; %bb.203:
	global_load_dwordx2 v[2:3], v[0:1], off
	s_mov_b64 s[0:1], 0
	s_waitcnt vmcnt(0)
	v_cvt_i32_f64_e32 v2, v[2:3]
	s_branch .LBB30_208
.LBB30_204:
                                        ; implicit-def: $vgpr2
	s_branch .LBB30_226
.LBB30_205:
	s_mov_b64 s[0:1], -1
                                        ; implicit-def: $vgpr2
	s_branch .LBB30_214
.LBB30_206:
	s_mov_b64 s[0:1], -1
                                        ; implicit-def: $vgpr2
	s_branch .LBB30_211
.LBB30_207:
	s_mov_b64 s[0:1], -1
                                        ; implicit-def: $vgpr2
.LBB30_208:
	s_andn2_b64 vcc, exec, s[0:1]
	s_cbranch_vccnz .LBB30_210
; %bb.209:
	global_load_dword v2, v[0:1], off
	s_waitcnt vmcnt(0)
	v_cvt_i32_f32_e32 v2, v2
.LBB30_210:
	s_mov_b64 s[0:1], 0
.LBB30_211:
	s_andn2_b64 vcc, exec, s[0:1]
	s_cbranch_vccnz .LBB30_213
; %bb.212:
	global_load_dword v2, v[0:1], off
	s_waitcnt vmcnt(0)
	v_cvt_i16_f16_e32 v2, v2
.LBB30_213:
	s_mov_b64 s[0:1], 0
.LBB30_214:
	s_andn2_b64 vcc, exec, s[0:1]
	s_cbranch_vccnz .LBB30_225
; %bb.215:
	s_cmp_lt_i32 s6, 6
	s_cbranch_scc1 .LBB30_218
; %bb.216:
	s_cmp_gt_i32 s6, 6
	s_cbranch_scc0 .LBB30_219
; %bb.217:
	global_load_dwordx2 v[2:3], v[0:1], off
	s_mov_b64 s[0:1], 0
	s_waitcnt vmcnt(0)
	v_cvt_i32_f64_e32 v2, v[2:3]
	s_branch .LBB30_220
.LBB30_218:
	s_mov_b64 s[0:1], -1
                                        ; implicit-def: $vgpr2
	s_branch .LBB30_223
.LBB30_219:
	s_mov_b64 s[0:1], -1
                                        ; implicit-def: $vgpr2
.LBB30_220:
	s_andn2_b64 vcc, exec, s[0:1]
	s_cbranch_vccnz .LBB30_222
; %bb.221:
	global_load_dword v2, v[0:1], off
	s_waitcnt vmcnt(0)
	v_cvt_i32_f32_e32 v2, v2
.LBB30_222:
	s_mov_b64 s[0:1], 0
.LBB30_223:
	s_andn2_b64 vcc, exec, s[0:1]
	s_cbranch_vccnz .LBB30_225
; %bb.224:
	global_load_ushort v2, v[0:1], off
	s_waitcnt vmcnt(0)
	v_cvt_i16_f16_e32 v2, v2
.LBB30_225:
	s_cbranch_execnz .LBB30_245
.LBB30_226:
	s_cmp_lt_i32 s6, 2
	s_cbranch_scc1 .LBB30_230
; %bb.227:
	s_cmp_lt_i32 s6, 3
	s_cbranch_scc1 .LBB30_231
; %bb.228:
	s_cmp_gt_i32 s6, 3
	s_cbranch_scc0 .LBB30_232
; %bb.229:
	global_load_dwordx2 v[2:3], v[0:1], off
	s_mov_b64 s[0:1], 0
	s_branch .LBB30_233
.LBB30_230:
	s_mov_b64 s[0:1], -1
                                        ; implicit-def: $vgpr2
	s_branch .LBB30_239
.LBB30_231:
	s_mov_b64 s[0:1], -1
                                        ; implicit-def: $vgpr2
	s_branch .LBB30_236
.LBB30_232:
	s_mov_b64 s[0:1], -1
                                        ; implicit-def: $vgpr2
.LBB30_233:
	s_andn2_b64 vcc, exec, s[0:1]
	s_cbranch_vccnz .LBB30_235
; %bb.234:
	global_load_dword v2, v[0:1], off
.LBB30_235:
	s_mov_b64 s[0:1], 0
.LBB30_236:
	s_andn2_b64 vcc, exec, s[0:1]
	s_cbranch_vccnz .LBB30_238
; %bb.237:
	global_load_ushort v2, v[0:1], off
.LBB30_238:
	s_mov_b64 s[0:1], 0
.LBB30_239:
	s_andn2_b64 vcc, exec, s[0:1]
	s_cbranch_vccnz .LBB30_245
; %bb.240:
	s_cmp_gt_i32 s6, 0
	s_cbranch_scc0 .LBB30_242
; %bb.241:
	global_load_ubyte v2, v[0:1], off
	s_mov_b64 s[0:1], 0
	s_branch .LBB30_243
.LBB30_242:
	s_mov_b64 s[0:1], -1
                                        ; implicit-def: $vgpr2
.LBB30_243:
	s_andn2_b64 vcc, exec, s[0:1]
	s_cbranch_vccnz .LBB30_245
; %bb.244:
	global_load_ubyte v2, v[0:1], off
.LBB30_245:
	s_branch .LBB30_11
.LBB30_246:
	s_mov_b64 s[0:1], 0
                                        ; implicit-def: $vgpr10
	s_mov_b64 s[18:19], 0
.LBB30_247:
	s_and_b64 s[6:7], s[0:1], exec
	s_and_b64 s[14:15], s[14:15], exec
	s_orn2_b64 s[18:19], s[18:19], exec
.LBB30_248:
	s_or_b64 exec, exec, s[16:17]
	s_mov_b64 s[22:23], 0
	s_mov_b64 s[0:1], 0
                                        ; implicit-def: $sgpr43
                                        ; implicit-def: $vgpr0_vgpr1
                                        ; implicit-def: $vgpr2
	s_and_saveexec_b64 s[16:17], s[18:19]
	s_cbranch_execz .LBB30_257
; %bb.249:
	v_cmp_gt_i32_e32 vcc, s38, v10
	s_mov_b64 s[0:1], -1
	s_mov_b64 s[18:19], s[14:15]
	s_mov_b64 s[20:21], s[6:7]
	s_and_saveexec_b64 s[22:23], vcc
	s_cbranch_execz .LBB30_505
; %bb.250:
	v_mul_lo_u32 v0, v10, s3
	v_mov_b32_e32 v1, s11
	s_and_b32 s24, s42, 0xff
	s_cmp_lt_i32 s24, 11
	s_waitcnt vmcnt(0)
	v_ashrrev_i32_e32 v2, 31, v0
	v_add_co_u32_e32 v0, vcc, s10, v0
	v_addc_co_u32_e32 v1, vcc, v1, v2, vcc
	s_cbranch_scc1 .LBB30_260
; %bb.251:
	s_and_b32 s25, 0xffff, s24
	s_cmp_gt_i32 s25, 25
	s_cbranch_scc0 .LBB30_269
; %bb.252:
	s_cmp_gt_i32 s25, 28
	s_cbranch_scc0 .LBB30_271
; %bb.253:
	;; [unrolled: 3-line block ×4, first 2 shown]
	s_cmp_eq_u32 s25, 46
	s_mov_b64 s[20:21], 0
	s_cbranch_scc0 .LBB30_281
; %bb.256:
	global_load_dword v2, v[0:1], off
	s_mov_b64 s[18:19], 0
	s_waitcnt vmcnt(0)
	v_lshlrev_b32_e32 v2, 16, v2
	v_cvt_i32_f32_e32 v2, v2
	s_branch .LBB30_282
.LBB30_257:
	s_or_b64 exec, exec, s[16:17]
	s_mov_b64 s[16:17], 0
	s_and_saveexec_b64 s[18:19], s[14:15]
	s_cbranch_execnz .LBB30_843
.LBB30_258:
	s_or_b64 exec, exec, s[18:19]
	s_and_saveexec_b64 s[14:15], s[20:21]
	s_xor_b64 s[14:15], exec, s[14:15]
	s_cbranch_execz .LBB30_844
.LBB30_259:
	global_load_ubyte v2, v[0:1], off
	s_or_b64 s[0:1], s[0:1], exec
	s_waitcnt vmcnt(0)
	v_cmp_ne_u16_e32 vcc, 0, v2
	v_cndmask_b32_e64 v2, 0, 1, vcc
	s_or_b64 exec, exec, s[14:15]
	s_and_saveexec_b64 s[14:15], s[22:23]
	s_cbranch_execz .LBB30_890
	s_branch .LBB30_845
.LBB30_260:
	s_mov_b64 s[0:1], 0
                                        ; implicit-def: $vgpr2
	s_mov_b64 s[18:19], s[14:15]
	s_cbranch_execnz .LBB30_455
.LBB30_261:
	s_andn2_b64 vcc, exec, s[0:1]
	s_cbranch_vccnz .LBB30_503
.LBB30_262:
	v_mul_lo_u32 v1, v10, s2
	s_waitcnt vmcnt(0)
	v_mov_b32_e32 v3, 8
	v_lshlrev_b32_sdwa v0, v2, v9 dst_sel:DWORD dst_unused:UNUSED_PAD src0_sel:DWORD src1_sel:BYTE_0
	v_cmp_lt_u16_sdwa vcc, v2, v3 src0_sel:BYTE_0 src1_sel:DWORD
	v_cndmask_b32_e32 v2, 0, v0, vcc
	v_ashrrev_i32_e32 v3, 31, v1
	v_mov_b32_e32 v4, s9
	s_and_b32 s28, s33, 0xff
	v_add_co_u32_e32 v0, vcc, s8, v1
	s_cmp_lt_i32 s28, 11
	v_addc_co_u32_e32 v1, vcc, v4, v3, vcc
	s_cbranch_scc1 .LBB30_270
; %bb.263:
	s_and_b32 s29, 0xffff, s28
	s_cmp_gt_i32 s29, 25
	s_cbranch_scc0 .LBB30_272
; %bb.264:
	s_cmp_gt_i32 s29, 28
	s_cbranch_scc0 .LBB30_274
; %bb.265:
	;; [unrolled: 3-line block ×4, first 2 shown]
	s_mov_b64 s[24:25], 0
	s_mov_b64 s[0:1], -1
	s_cmp_eq_u32 s29, 46
	s_mov_b64 s[20:21], 0
	s_cbranch_scc0 .LBB30_286
; %bb.268:
	v_bfe_i32 v3, v2, 0, 8
	v_cvt_f32_i32_sdwa v3, sext(v3) dst_sel:DWORD dst_unused:UNUSED_PAD src0_sel:WORD_0
	s_movk_i32 s0, 0x7fff
	s_mov_b64 s[20:21], -1
	v_bfe_u32 v4, v3, 16, 1
	v_add3_u32 v3, v3, v4, s0
	v_lshrrev_b32_e32 v3, 16, v3
	global_store_dword v[0:1], v3, off
	s_mov_b64 s[0:1], 0
	s_branch .LBB30_286
.LBB30_269:
	s_mov_b64 s[20:21], -1
	s_mov_b64 s[0:1], 0
	s_mov_b64 s[18:19], s[14:15]
                                        ; implicit-def: $vgpr2
	s_branch .LBB30_421
.LBB30_270:
	s_mov_b64 s[24:25], -1
	s_mov_b64 s[20:21], 0
	s_mov_b64 s[0:1], s[6:7]
	s_branch .LBB30_355
.LBB30_271:
	s_mov_b64 s[20:21], -1
	s_mov_b64 s[0:1], 0
	s_mov_b64 s[18:19], s[14:15]
                                        ; implicit-def: $vgpr2
	s_branch .LBB30_404
.LBB30_272:
	s_mov_b64 s[24:25], -1
	s_mov_b64 s[20:21], 0
	s_mov_b64 s[0:1], s[6:7]
	s_branch .LBB30_313
.LBB30_273:
	s_mov_b64 s[20:21], -1
	s_mov_b64 s[0:1], 0
	s_mov_b64 s[18:19], s[14:15]
                                        ; implicit-def: $vgpr2
	s_branch .LBB30_399
.LBB30_274:
	s_mov_b64 s[24:25], -1
	s_mov_b64 s[20:21], 0
	s_mov_b64 s[0:1], s[6:7]
	s_branch .LBB30_296
.LBB30_275:
	s_andn2_saveexec_b64 s[22:23], s[22:23]
	s_cbranch_execz .LBB30_55
.LBB30_276:
	s_mov_b32 s26, 0x46000000
	v_add_f32_e64 v4, |v3|, s26
	v_and_b32_e32 v4, 0xff, v4
	v_cmp_ne_u32_e32 vcc, 0, v4
	s_andn2_b64 s[18:19], s[18:19], exec
	s_and_b64 s[26:27], vcc, exec
	s_or_b64 s[18:19], s[18:19], s[26:27]
	s_or_b64 exec, exec, s[22:23]
	v_mov_b32_e32 v5, 0
	s_and_saveexec_b64 s[22:23], s[18:19]
	s_cbranch_execnz .LBB30_56
	s_branch .LBB30_57
.LBB30_277:
	s_mov_b64 s[20:21], -1
	s_mov_b64 s[0:1], 0
	s_mov_b64 s[18:19], s[14:15]
                                        ; implicit-def: $vgpr2
	s_branch .LBB30_282
.LBB30_278:
	s_mov_b64 s[24:25], -1
	s_mov_b64 s[20:21], 0
	s_mov_b64 s[0:1], s[6:7]
	s_branch .LBB30_292
.LBB30_279:
	s_andn2_saveexec_b64 s[22:23], s[22:23]
	s_cbranch_execz .LBB30_68
.LBB30_280:
	s_mov_b32 s26, 0x42800000
	v_add_f32_e64 v4, |v3|, s26
	v_and_b32_e32 v4, 0xff, v4
	v_cmp_ne_u32_e32 vcc, 0, v4
	s_andn2_b64 s[18:19], s[18:19], exec
	s_and_b64 s[26:27], vcc, exec
	s_or_b64 s[18:19], s[18:19], s[26:27]
	s_or_b64 exec, exec, s[22:23]
	v_mov_b32_e32 v5, 0
	s_and_saveexec_b64 s[22:23], s[18:19]
	s_cbranch_execnz .LBB30_69
	s_branch .LBB30_70
.LBB30_281:
	s_mov_b64 s[18:19], -1
                                        ; implicit-def: $vgpr2
	s_mov_b64 s[0:1], 0
.LBB30_282:
	s_and_b64 vcc, exec, s[20:21]
	s_cbranch_vccz .LBB30_398
; %bb.283:
	s_cmp_eq_u32 s25, 44
	s_cbranch_scc0 .LBB30_397
; %bb.284:
	global_load_ubyte v2, v[0:1], off
	s_mov_b64 s[0:1], -1
	s_mov_b64 s[18:19], 0
	s_waitcnt vmcnt(0)
	v_lshlrev_b32_e32 v3, 23, v2
	v_cvt_i32_f32_e32 v3, v3
	v_cmp_ne_u32_e32 vcc, 0, v2
	v_cndmask_b32_e32 v2, 0, v3, vcc
	s_branch .LBB30_398
.LBB30_285:
	s_mov_b64 s[24:25], -1
	s_mov_b64 s[20:21], 0
	s_mov_b64 s[0:1], s[6:7]
.LBB30_286:
	s_and_b64 vcc, exec, s[24:25]
	s_cbranch_vccz .LBB30_291
; %bb.287:
	s_cmp_eq_u32 s29, 44
	s_mov_b64 s[0:1], -1
	s_cbranch_scc0 .LBB30_291
; %bb.288:
	v_bfe_i32 v3, v2, 0, 8
	v_cvt_f32_i32_sdwa v3, sext(v3) dst_sel:DWORD dst_unused:UNUSED_PAD src0_sel:WORD_0
	s_movk_i32 s0, 0xff
	v_mov_b32_e32 v5, 0xff
	v_bfe_u32 v4, v3, 23, 8
	v_cmp_ne_u32_e32 vcc, s0, v4
	s_and_saveexec_b64 s[20:21], vcc
; %bb.289:
	s_mov_b32 s0, 0x3fffff
	v_lshrrev_b32_e32 v5, 23, v3
	v_and_b32_e32 v6, 0x400000, v3
	v_and_or_b32 v3, v3, s0, v4
	v_cmp_ne_u32_e32 vcc, 0, v6
	v_cmp_ne_u32_e64 s[0:1], 0, v3
	s_and_b64 s[0:1], vcc, s[0:1]
	v_cndmask_b32_e64 v3, 0, 1, s[0:1]
	v_add_u32_e32 v5, v5, v3
; %bb.290:
	s_or_b64 exec, exec, s[20:21]
	s_mov_b64 s[20:21], -1
	s_mov_b64 s[0:1], 0
	global_store_byte v[0:1], v5, off
.LBB30_291:
	s_mov_b64 s[24:25], 0
.LBB30_292:
	s_and_b64 vcc, exec, s[24:25]
	s_cbranch_vccz .LBB30_295
; %bb.293:
	s_cmp_eq_u32 s29, 29
	s_mov_b64 s[0:1], -1
	s_cbranch_scc0 .LBB30_295
; %bb.294:
	v_bfe_i32 v3, v2, 0, 8
	v_ashrrev_i32_e32 v4, 31, v3
	global_store_dwordx2 v[0:1], v[3:4], off
	s_mov_b64 s[20:21], -1
	s_mov_b64 s[0:1], 0
.LBB30_295:
	s_mov_b64 s[24:25], 0
.LBB30_296:
	s_and_b64 vcc, exec, s[24:25]
	s_cbranch_vccz .LBB30_312
; %bb.297:
	s_cmp_lt_i32 s29, 27
	s_mov_b64 s[20:21], -1
	s_cbranch_scc1 .LBB30_303
; %bb.298:
	s_cmp_gt_i32 s29, 27
	s_cbranch_scc0 .LBB30_300
; %bb.299:
	v_bfe_i32 v3, v2, 0, 8
	s_mov_b64 s[20:21], 0
	global_store_dword v[0:1], v3, off
.LBB30_300:
	s_andn2_b64 vcc, exec, s[20:21]
	s_cbranch_vccnz .LBB30_302
; %bb.301:
	v_bfe_i32 v3, v2, 0, 8
	global_store_short v[0:1], v3, off
.LBB30_302:
	s_mov_b64 s[20:21], 0
.LBB30_303:
	s_andn2_b64 vcc, exec, s[20:21]
	s_cbranch_vccnz .LBB30_311
; %bb.304:
	v_bfe_i32 v3, v2, 0, 8
	v_cvt_f32_i32_sdwa v3, sext(v3) dst_sel:DWORD dst_unused:UNUSED_PAD src0_sel:WORD_0
	s_mov_b32 s20, 0x43800000
	v_mov_b32_e32 v5, 0x80
	v_and_b32_e32 v4, 0x7fffffff, v3
	v_cmp_gt_u32_e32 vcc, s20, v4
	s_and_saveexec_b64 s[20:21], vcc
	s_cbranch_execz .LBB30_310
; %bb.305:
	s_mov_b32 s24, 0x3bffffff
	v_cmp_lt_u32_e32 vcc, s24, v4
	s_mov_b64 s[24:25], 0
                                        ; implicit-def: $vgpr4
	s_and_saveexec_b64 s[26:27], vcc
	s_xor_b64 s[26:27], exec, s[26:27]
	s_cbranch_execz .LBB30_518
; %bb.306:
	v_bfe_u32 v4, v3, 20, 1
	s_mov_b32 s30, 0x487ffff
	v_add3_u32 v4, v3, v4, s30
	s_mov_b64 s[24:25], exec
	v_lshrrev_b32_e32 v4, 20, v4
	s_andn2_saveexec_b64 s[26:27], s[26:27]
	s_cbranch_execnz .LBB30_519
.LBB30_307:
	s_or_b64 exec, exec, s[26:27]
	v_mov_b32_e32 v5, 0
	s_and_saveexec_b64 s[26:27], s[24:25]
.LBB30_308:
	v_lshrrev_b32_e32 v3, 24, v3
	s_movk_i32 s24, 0x80
	v_and_or_b32 v5, v3, s24, v4
.LBB30_309:
	s_or_b64 exec, exec, s[26:27]
.LBB30_310:
	s_or_b64 exec, exec, s[20:21]
	global_store_byte v[0:1], v5, off
.LBB30_311:
	s_mov_b64 s[20:21], -1
.LBB30_312:
	s_mov_b64 s[24:25], 0
.LBB30_313:
	s_and_b64 vcc, exec, s[24:25]
	s_cbranch_vccz .LBB30_354
; %bb.314:
	s_cmp_gt_i32 s29, 22
	s_mov_b64 s[24:25], -1
	s_cbranch_scc0 .LBB30_346
; %bb.315:
	s_cmp_lt_i32 s29, 24
	s_mov_b64 s[20:21], -1
	s_cbranch_scc1 .LBB30_335
; %bb.316:
	s_cmp_gt_i32 s29, 24
	s_cbranch_scc0 .LBB30_324
; %bb.317:
	v_bfe_i32 v3, v2, 0, 8
	v_cvt_f32_i32_sdwa v3, sext(v3) dst_sel:DWORD dst_unused:UNUSED_PAD src0_sel:WORD_0
	s_mov_b32 s20, 0x47800000
	v_mov_b32_e32 v5, 0x80
	v_and_b32_e32 v4, 0x7fffffff, v3
	v_cmp_gt_u32_e32 vcc, s20, v4
	s_and_saveexec_b64 s[20:21], vcc
	s_cbranch_execz .LBB30_323
; %bb.318:
	s_mov_b32 s24, 0x37ffffff
	v_cmp_lt_u32_e32 vcc, s24, v4
	s_mov_b64 s[24:25], 0
                                        ; implicit-def: $vgpr4
	s_and_saveexec_b64 s[26:27], vcc
	s_xor_b64 s[26:27], exec, s[26:27]
	s_cbranch_execz .LBB30_521
; %bb.319:
	v_bfe_u32 v4, v3, 21, 1
	s_mov_b32 s30, 0x88fffff
	v_add3_u32 v4, v3, v4, s30
	s_mov_b64 s[24:25], exec
	v_lshrrev_b32_e32 v4, 21, v4
	s_andn2_saveexec_b64 s[26:27], s[26:27]
	s_cbranch_execnz .LBB30_522
.LBB30_320:
	s_or_b64 exec, exec, s[26:27]
	v_mov_b32_e32 v5, 0
	s_and_saveexec_b64 s[26:27], s[24:25]
.LBB30_321:
	v_lshrrev_b32_e32 v3, 24, v3
	s_movk_i32 s24, 0x80
	v_and_or_b32 v5, v3, s24, v4
.LBB30_322:
	s_or_b64 exec, exec, s[26:27]
.LBB30_323:
	s_or_b64 exec, exec, s[20:21]
	s_mov_b64 s[20:21], 0
	global_store_byte v[0:1], v5, off
.LBB30_324:
	s_and_b64 vcc, exec, s[20:21]
	s_cbranch_vccz .LBB30_334
; %bb.325:
	v_bfe_i32 v3, v2, 0, 8
	v_cvt_f32_i32_sdwa v3, sext(v3) dst_sel:DWORD dst_unused:UNUSED_PAD src0_sel:WORD_0
	s_mov_b32 s20, 0x43f00000
                                        ; implicit-def: $vgpr4
	v_and_b32_e32 v5, 0x7fffffff, v3
	v_cmp_gt_u32_e32 vcc, s20, v5
	s_and_saveexec_b64 s[20:21], vcc
	s_xor_b64 s[20:21], exec, s[20:21]
	s_cbranch_execz .LBB30_331
; %bb.326:
	s_mov_b32 s24, 0x3c7fffff
	v_cmp_lt_u32_e32 vcc, s24, v5
                                        ; implicit-def: $vgpr4
	s_and_saveexec_b64 s[24:25], vcc
	s_xor_b64 s[24:25], exec, s[24:25]
; %bb.327:
	v_bfe_u32 v4, v3, 20, 1
	s_mov_b32 s26, 0x407ffff
	v_add3_u32 v4, v3, v4, s26
	v_lshrrev_b32_e32 v5, 20, v4
	v_and_b32_e32 v4, 0xff00000, v4
	s_mov_b32 s26, 0x7f00000
	v_mov_b32_e32 v6, 0x7e
	v_cmp_ne_u32_e32 vcc, s26, v4
	v_cndmask_b32_e32 v4, v6, v5, vcc
; %bb.328:
	s_andn2_saveexec_b64 s[24:25], s[24:25]
; %bb.329:
	s_mov_b32 s26, 0x46800000
	v_add_f32_e64 v4, |v3|, s26
; %bb.330:
	s_or_b64 exec, exec, s[24:25]
                                        ; implicit-def: $vgpr5
.LBB30_331:
	s_andn2_saveexec_b64 s[20:21], s[20:21]
; %bb.332:
	s_mov_b32 s24, 0x7f800000
	v_mov_b32_e32 v4, 0x7e
	v_mov_b32_e32 v6, 0x7f
	v_cmp_lt_u32_e32 vcc, s24, v5
	v_cndmask_b32_e32 v4, v4, v6, vcc
; %bb.333:
	s_or_b64 exec, exec, s[20:21]
	v_lshrrev_b32_e32 v3, 24, v3
	s_movk_i32 s20, 0x80
	v_and_or_b32 v3, v3, s20, v4
	global_store_byte v[0:1], v3, off
.LBB30_334:
	s_mov_b64 s[20:21], 0
.LBB30_335:
	s_andn2_b64 vcc, exec, s[20:21]
	s_cbranch_vccnz .LBB30_345
; %bb.336:
	v_bfe_i32 v3, v2, 0, 8
	v_cvt_f32_i32_sdwa v3, sext(v3) dst_sel:DWORD dst_unused:UNUSED_PAD src0_sel:WORD_0
	s_mov_b32 s20, 0x47800000
                                        ; implicit-def: $vgpr4
	v_and_b32_e32 v5, 0x7fffffff, v3
	v_cmp_gt_u32_e32 vcc, s20, v5
	s_and_saveexec_b64 s[20:21], vcc
	s_xor_b64 s[20:21], exec, s[20:21]
	s_cbranch_execz .LBB30_342
; %bb.337:
	s_mov_b32 s24, 0x387fffff
	v_cmp_lt_u32_e32 vcc, s24, v5
                                        ; implicit-def: $vgpr4
	s_and_saveexec_b64 s[24:25], vcc
	s_xor_b64 s[24:25], exec, s[24:25]
; %bb.338:
	v_bfe_u32 v4, v3, 21, 1
	s_mov_b32 s26, 0x80fffff
	v_add3_u32 v4, v3, v4, s26
	v_lshrrev_b32_e32 v4, 21, v4
; %bb.339:
	s_andn2_saveexec_b64 s[24:25], s[24:25]
; %bb.340:
	s_mov_b32 s26, 0x43000000
	v_add_f32_e64 v4, |v3|, s26
; %bb.341:
	s_or_b64 exec, exec, s[24:25]
                                        ; implicit-def: $vgpr5
.LBB30_342:
	s_andn2_saveexec_b64 s[20:21], s[20:21]
; %bb.343:
	s_mov_b32 s24, 0x7f800000
	v_mov_b32_e32 v4, 0x7c
	v_mov_b32_e32 v6, 0x7f
	v_cmp_lt_u32_e32 vcc, s24, v5
	v_cndmask_b32_e32 v4, v4, v6, vcc
; %bb.344:
	s_or_b64 exec, exec, s[20:21]
	v_lshrrev_b32_e32 v3, 24, v3
	s_movk_i32 s20, 0x80
	v_and_or_b32 v3, v3, s20, v4
	global_store_byte v[0:1], v3, off
.LBB30_345:
	s_mov_b64 s[24:25], 0
	s_mov_b64 s[20:21], -1
.LBB30_346:
	s_andn2_b64 vcc, exec, s[24:25]
	s_cbranch_vccnz .LBB30_354
; %bb.347:
	s_cmp_gt_i32 s29, 14
	s_mov_b64 s[24:25], -1
	s_cbranch_scc0 .LBB30_351
; %bb.348:
	s_cmp_eq_u32 s29, 15
	s_mov_b64 s[0:1], -1
	s_cbranch_scc0 .LBB30_350
; %bb.349:
	v_bfe_i32 v3, v2, 0, 8
	v_cvt_f32_i32_sdwa v3, sext(v3) dst_sel:DWORD dst_unused:UNUSED_PAD src0_sel:WORD_0
	s_movk_i32 s0, 0x7fff
	s_mov_b64 s[20:21], -1
	v_bfe_u32 v4, v3, 16, 1
	v_add3_u32 v3, v3, v4, s0
	global_store_short_d16_hi v[0:1], v3, off
	s_mov_b64 s[0:1], 0
.LBB30_350:
	s_mov_b64 s[24:25], 0
.LBB30_351:
	s_and_b64 vcc, exec, s[24:25]
	s_cbranch_vccz .LBB30_354
; %bb.352:
	s_cmp_eq_u32 s29, 11
	s_mov_b64 s[0:1], -1
	s_cbranch_scc0 .LBB30_354
; %bb.353:
	v_mov_b32_e32 v3, 0
	v_cmp_ne_u16_sdwa s[0:1], v2, v3 src0_sel:BYTE_0 src1_sel:DWORD
	v_cndmask_b32_e64 v3, 0, 1, s[0:1]
	s_mov_b64 s[20:21], -1
	s_mov_b64 s[0:1], 0
	global_store_byte v[0:1], v3, off
.LBB30_354:
	s_mov_b64 s[24:25], 0
.LBB30_355:
	s_and_b64 vcc, exec, s[24:25]
	s_cbranch_vccz .LBB30_394
; %bb.356:
	s_and_b32 s24, 0xffff, s28
	s_cmp_lt_i32 s24, 5
	s_mov_b64 s[20:21], -1
	s_cbranch_scc1 .LBB30_377
; %bb.357:
	s_cmp_lt_i32 s24, 8
	s_cbranch_scc1 .LBB30_367
; %bb.358:
	s_cmp_lt_i32 s24, 9
	s_cbranch_scc1 .LBB30_364
; %bb.359:
	s_cmp_gt_i32 s24, 9
	s_cbranch_scc0 .LBB30_361
; %bb.360:
	v_bfe_i32 v3, v2, 0, 8
	v_bfe_i32 v3, v3, 0, 16
	v_cvt_f64_i32_e32 v[3:4], v3
	v_mov_b32_e32 v5, 0
	v_mov_b32_e32 v6, v5
	s_mov_b64 s[20:21], 0
	global_store_dwordx4 v[0:1], v[3:6], off
.LBB30_361:
	s_andn2_b64 vcc, exec, s[20:21]
	s_cbranch_vccnz .LBB30_363
; %bb.362:
	v_bfe_i32 v3, v2, 0, 8
	v_cvt_f32_i32_sdwa v3, sext(v3) dst_sel:DWORD dst_unused:UNUSED_PAD src0_sel:WORD_0
	v_mov_b32_e32 v4, 0
	global_store_dwordx2 v[0:1], v[3:4], off
.LBB30_363:
	s_mov_b64 s[20:21], 0
.LBB30_364:
	s_andn2_b64 vcc, exec, s[20:21]
	s_cbranch_vccnz .LBB30_366
; %bb.365:
	v_cvt_f16_i16_sdwa v3, sext(v2) dst_sel:DWORD dst_unused:UNUSED_PAD src0_sel:BYTE_0
	global_store_dword v[0:1], v3, off
.LBB30_366:
	s_mov_b64 s[20:21], 0
.LBB30_367:
	s_andn2_b64 vcc, exec, s[20:21]
	s_cbranch_vccnz .LBB30_376
; %bb.368:
	s_cmp_lt_i32 s24, 6
	s_mov_b64 s[20:21], -1
	s_cbranch_scc1 .LBB30_374
; %bb.369:
	s_cmp_gt_i32 s24, 6
	s_cbranch_scc0 .LBB30_371
; %bb.370:
	v_bfe_i32 v3, v2, 0, 8
	v_bfe_i32 v3, v3, 0, 16
	v_cvt_f64_i32_e32 v[3:4], v3
	s_mov_b64 s[20:21], 0
	global_store_dwordx2 v[0:1], v[3:4], off
.LBB30_371:
	s_andn2_b64 vcc, exec, s[20:21]
	s_cbranch_vccnz .LBB30_373
; %bb.372:
	v_bfe_i32 v3, v2, 0, 8
	v_cvt_f32_i32_sdwa v3, sext(v3) dst_sel:DWORD dst_unused:UNUSED_PAD src0_sel:WORD_0
	global_store_dword v[0:1], v3, off
.LBB30_373:
	s_mov_b64 s[20:21], 0
.LBB30_374:
	s_andn2_b64 vcc, exec, s[20:21]
	s_cbranch_vccnz .LBB30_376
; %bb.375:
	v_cvt_f16_i16_sdwa v3, sext(v2) dst_sel:DWORD dst_unused:UNUSED_PAD src0_sel:BYTE_0
	global_store_short v[0:1], v3, off
.LBB30_376:
	s_mov_b64 s[20:21], 0
.LBB30_377:
	s_andn2_b64 vcc, exec, s[20:21]
	s_cbranch_vccnz .LBB30_393
; %bb.378:
	s_cmp_lt_i32 s24, 2
	s_mov_b64 s[20:21], -1
	s_cbranch_scc1 .LBB30_388
; %bb.379:
	s_cmp_lt_i32 s24, 3
	s_cbranch_scc1 .LBB30_385
; %bb.380:
	s_cmp_gt_i32 s24, 3
	s_cbranch_scc0 .LBB30_382
; %bb.381:
	v_bfe_i32 v3, v2, 0, 8
	v_ashrrev_i32_e32 v4, 31, v3
	s_mov_b64 s[20:21], 0
	global_store_dwordx2 v[0:1], v[3:4], off
.LBB30_382:
	s_andn2_b64 vcc, exec, s[20:21]
	s_cbranch_vccnz .LBB30_384
; %bb.383:
	v_bfe_i32 v3, v2, 0, 8
	global_store_dword v[0:1], v3, off
.LBB30_384:
	s_mov_b64 s[20:21], 0
.LBB30_385:
	s_andn2_b64 vcc, exec, s[20:21]
	s_cbranch_vccnz .LBB30_387
; %bb.386:
	v_bfe_i32 v3, v2, 0, 8
	global_store_short v[0:1], v3, off
.LBB30_387:
	s_mov_b64 s[20:21], 0
.LBB30_388:
	s_andn2_b64 vcc, exec, s[20:21]
	s_cbranch_vccnz .LBB30_393
; %bb.389:
	s_cmp_gt_i32 s24, 0
	s_mov_b64 s[20:21], -1
	s_cbranch_scc0 .LBB30_391
; %bb.390:
	s_mov_b64 s[20:21], 0
	global_store_byte v[0:1], v2, off
.LBB30_391:
	s_andn2_b64 vcc, exec, s[20:21]
	s_cbranch_vccnz .LBB30_393
; %bb.392:
	global_store_byte v[0:1], v2, off
.LBB30_393:
	s_mov_b64 s[20:21], -1
.LBB30_394:
	s_andn2_b64 vcc, exec, s[20:21]
	s_cbranch_vccnz .LBB30_396
; %bb.395:
	v_add_u32_e32 v10, 0x80, v10
	s_mov_b64 s[24:25], -1
	s_branch .LBB30_504
.LBB30_396:
	s_mov_b64 s[24:25], 0
                                        ; implicit-def: $vgpr10
	s_branch .LBB30_504
.LBB30_397:
	s_mov_b64 s[18:19], -1
                                        ; implicit-def: $vgpr2
.LBB30_398:
	s_mov_b64 s[20:21], 0
.LBB30_399:
	s_and_b64 vcc, exec, s[20:21]
	s_cbranch_vccz .LBB30_403
; %bb.400:
	s_cmp_eq_u32 s25, 29
	s_cbranch_scc0 .LBB30_402
; %bb.401:
	global_load_dwordx2 v[2:3], v[0:1], off
	s_mov_b64 s[0:1], -1
	s_mov_b64 s[18:19], 0
	s_branch .LBB30_403
.LBB30_402:
	s_mov_b64 s[18:19], -1
                                        ; implicit-def: $vgpr2
.LBB30_403:
	s_mov_b64 s[20:21], 0
.LBB30_404:
	s_and_b64 vcc, exec, s[20:21]
	s_cbranch_vccz .LBB30_420
; %bb.405:
	s_cmp_lt_i32 s25, 27
	s_cbranch_scc1 .LBB30_408
; %bb.406:
	s_cmp_gt_i32 s25, 27
	s_cbranch_scc0 .LBB30_409
; %bb.407:
	global_load_dword v2, v[0:1], off
	s_mov_b64 s[0:1], 0
	s_branch .LBB30_410
.LBB30_408:
	s_mov_b64 s[0:1], -1
                                        ; implicit-def: $vgpr2
	s_branch .LBB30_413
.LBB30_409:
	s_mov_b64 s[0:1], -1
                                        ; implicit-def: $vgpr2
.LBB30_410:
	s_andn2_b64 vcc, exec, s[0:1]
	s_cbranch_vccnz .LBB30_412
; %bb.411:
	global_load_ushort v2, v[0:1], off
.LBB30_412:
	s_mov_b64 s[0:1], 0
.LBB30_413:
	s_andn2_b64 vcc, exec, s[0:1]
	s_cbranch_vccnz .LBB30_419
; %bb.414:
	global_load_ubyte v3, v[0:1], off
	s_movk_i32 s0, 0x7f
	s_mov_b64 s[20:21], 0
	s_waitcnt vmcnt(0)
	v_cmp_lt_i16_e32 vcc, s0, v3
	s_and_saveexec_b64 s[0:1], vcc
	s_xor_b64 s[0:1], exec, s[0:1]
	s_cbranch_execz .LBB30_431
; %bb.415:
	s_movk_i32 s20, 0x80
	v_cmp_ne_u16_e32 vcc, s20, v3
	s_and_b64 s[20:21], vcc, exec
	s_andn2_saveexec_b64 s[0:1], s[0:1]
	s_cbranch_execnz .LBB30_432
.LBB30_416:
	s_or_b64 exec, exec, s[0:1]
	v_mov_b32_e32 v2, 0
	s_and_saveexec_b64 s[0:1], s[20:21]
	s_cbranch_execz .LBB30_418
.LBB30_417:
	v_lshlrev_b32_e32 v2, 24, v3
	v_and_b32_e32 v3, 0xffff, v3
	v_and_b32_e32 v4, 7, v3
	v_ffbh_u32_e32 v6, v4
	v_min_u32_e32 v6, 32, v6
	v_subrev_u32_e32 v7, 28, v6
	v_bfe_u32 v5, v3, 3, 4
	v_lshlrev_b32_e32 v3, v7, v3
	v_sub_u32_e32 v6, 29, v6
	v_and_b32_e32 v3, 7, v3
	v_cmp_eq_u32_e32 vcc, 0, v5
	v_cndmask_b32_e32 v5, v5, v6, vcc
	v_cndmask_b32_e32 v3, v4, v3, vcc
	v_mov_b32_e32 v4, 0x3b800000
	v_lshlrev_b32_e32 v3, 20, v3
	v_and_b32_e32 v2, 0x80000000, v2
	v_lshl_add_u32 v4, v5, 23, v4
	v_or3_b32 v2, v2, v4, v3
	v_cvt_i32_f32_e32 v2, v2
.LBB30_418:
	s_or_b64 exec, exec, s[0:1]
.LBB30_419:
	s_mov_b64 s[0:1], -1
.LBB30_420:
	s_mov_b64 s[20:21], 0
.LBB30_421:
	s_and_b64 vcc, exec, s[20:21]
	s_cbranch_vccz .LBB30_454
; %bb.422:
	s_cmp_gt_i32 s25, 22
	s_cbranch_scc0 .LBB30_430
; %bb.423:
	s_cmp_lt_i32 s25, 24
	s_cbranch_scc1 .LBB30_433
; %bb.424:
	s_cmp_gt_i32 s25, 24
	s_cbranch_scc0 .LBB30_434
; %bb.425:
	global_load_ubyte v3, v[0:1], off
	s_movk_i32 s0, 0x7f
	s_mov_b64 s[20:21], 0
	s_waitcnt vmcnt(0)
	v_cmp_lt_i16_e32 vcc, s0, v3
	s_and_saveexec_b64 s[0:1], vcc
	s_xor_b64 s[0:1], exec, s[0:1]
	s_cbranch_execz .LBB30_446
; %bb.426:
	s_movk_i32 s20, 0x80
	v_cmp_ne_u16_e32 vcc, s20, v3
	s_and_b64 s[20:21], vcc, exec
	s_andn2_saveexec_b64 s[0:1], s[0:1]
	s_cbranch_execnz .LBB30_447
.LBB30_427:
	s_or_b64 exec, exec, s[0:1]
	v_mov_b32_e32 v2, 0
	s_and_saveexec_b64 s[0:1], s[20:21]
	s_cbranch_execz .LBB30_429
.LBB30_428:
	v_lshlrev_b32_e32 v2, 24, v3
	v_and_b32_e32 v3, 0xffff, v3
	v_and_b32_e32 v4, 3, v3
	v_ffbh_u32_e32 v6, v4
	v_min_u32_e32 v6, 32, v6
	v_subrev_u32_e32 v7, 29, v6
	v_bfe_u32 v5, v3, 2, 5
	v_lshlrev_b32_e32 v3, v7, v3
	v_sub_u32_e32 v6, 30, v6
	v_and_b32_e32 v3, 3, v3
	v_cmp_eq_u32_e32 vcc, 0, v5
	v_cndmask_b32_e32 v5, v5, v6, vcc
	v_cndmask_b32_e32 v3, v4, v3, vcc
	v_mov_b32_e32 v4, 0x37800000
	v_lshlrev_b32_e32 v3, 21, v3
	v_and_b32_e32 v2, 0x80000000, v2
	v_lshl_add_u32 v4, v5, 23, v4
	v_or3_b32 v2, v2, v4, v3
	v_cvt_i32_f32_e32 v2, v2
.LBB30_429:
	s_or_b64 exec, exec, s[0:1]
	s_mov_b64 s[0:1], 0
	s_branch .LBB30_435
.LBB30_430:
	s_mov_b64 s[20:21], -1
                                        ; implicit-def: $vgpr2
	s_branch .LBB30_441
.LBB30_431:
	s_andn2_saveexec_b64 s[0:1], s[0:1]
	s_cbranch_execz .LBB30_416
.LBB30_432:
	v_cmp_ne_u16_e32 vcc, 0, v3
	s_andn2_b64 s[20:21], s[20:21], exec
	s_and_b64 s[26:27], vcc, exec
	s_or_b64 s[20:21], s[20:21], s[26:27]
	s_or_b64 exec, exec, s[0:1]
	v_mov_b32_e32 v2, 0
	s_and_saveexec_b64 s[0:1], s[20:21]
	s_cbranch_execnz .LBB30_417
	s_branch .LBB30_418
.LBB30_433:
	s_mov_b64 s[0:1], -1
                                        ; implicit-def: $vgpr2
	s_branch .LBB30_438
.LBB30_434:
	s_mov_b64 s[0:1], -1
                                        ; implicit-def: $vgpr2
.LBB30_435:
	s_and_b64 vcc, exec, s[0:1]
	s_cbranch_vccz .LBB30_437
; %bb.436:
	global_load_ubyte v2, v[0:1], off
	s_mov_b32 s0, 0x7f800000
	s_waitcnt vmcnt(0)
	v_lshlrev_b32_e32 v2, 24, v2
	v_and_b32_e32 v3, 0x7f000000, v2
	v_ffbh_u32_e32 v4, v3
	v_min_u32_e32 v4, 32, v4
	v_sub_u32_e64 v4, v4, 4 clamp
	v_lshlrev_b32_e32 v6, v4, v3
	v_lshlrev_b32_e32 v4, 23, v4
	v_lshrrev_b32_e32 v6, 4, v6
	v_add_u32_e32 v5, 0x1000000, v3
	v_sub_u32_e32 v4, v6, v4
	v_ashrrev_i32_e32 v5, 8, v5
	v_add_u32_e32 v4, 0x3c000000, v4
	v_and_or_b32 v4, v5, s0, v4
	v_cmp_ne_u32_e32 vcc, 0, v3
	v_cndmask_b32_e32 v3, 0, v4, vcc
	s_brev_b32 s0, 1
	v_and_or_b32 v2, v2, s0, v3
	v_cvt_i32_f32_e32 v2, v2
.LBB30_437:
	s_mov_b64 s[0:1], 0
.LBB30_438:
	s_andn2_b64 vcc, exec, s[0:1]
	s_cbranch_vccnz .LBB30_440
; %bb.439:
	global_load_ubyte v2, v[0:1], off
	s_movk_i32 s0, 0x7f00
	s_brev_b32 s1, 16
	s_waitcnt vmcnt(0)
	v_lshlrev_b16_e32 v3, 8, v2
	v_lshlrev_b32_e32 v2, 25, v2
	v_lshrrev_b32_e32 v4, 4, v2
	v_and_or_b32 v5, v3, s0, 0.5
	v_or_b32_e32 v4, 0x70000000, v4
	v_add_f32_e32 v5, -0.5, v5
	v_mul_f32_e32 v4, 0x7800000, v4
	v_cmp_gt_u32_e32 vcc, s1, v2
	v_bfe_i32 v3, v3, 0, 16
	v_cndmask_b32_e32 v2, v4, v5, vcc
	s_brev_b32 s0, 1
	v_and_or_b32 v2, v3, s0, v2
	v_cvt_i32_f32_e32 v2, v2
.LBB30_440:
	s_mov_b64 s[20:21], 0
	s_mov_b64 s[0:1], -1
.LBB30_441:
	s_andn2_b64 vcc, exec, s[20:21]
	s_cbranch_vccnz .LBB30_454
; %bb.442:
	s_cmp_gt_i32 s25, 14
	s_cbranch_scc0 .LBB30_445
; %bb.443:
	s_cmp_eq_u32 s25, 15
	s_cbranch_scc0 .LBB30_448
; %bb.444:
	global_load_ushort v2, v[0:1], off
	s_mov_b64 s[0:1], -1
	s_mov_b64 s[18:19], 0
	s_waitcnt vmcnt(0)
	v_lshlrev_b32_e32 v2, 16, v2
	v_cvt_i32_f32_e32 v2, v2
	s_branch .LBB30_449
.LBB30_445:
	s_mov_b64 s[20:21], -1
                                        ; implicit-def: $vgpr2
	s_branch .LBB30_450
.LBB30_446:
	s_andn2_saveexec_b64 s[0:1], s[0:1]
	s_cbranch_execz .LBB30_427
.LBB30_447:
	v_cmp_ne_u16_e32 vcc, 0, v3
	s_andn2_b64 s[20:21], s[20:21], exec
	s_and_b64 s[26:27], vcc, exec
	s_or_b64 s[20:21], s[20:21], s[26:27]
	s_or_b64 exec, exec, s[0:1]
	v_mov_b32_e32 v2, 0
	s_and_saveexec_b64 s[0:1], s[20:21]
	s_cbranch_execnz .LBB30_428
	s_branch .LBB30_429
.LBB30_448:
	s_mov_b64 s[18:19], -1
                                        ; implicit-def: $vgpr2
.LBB30_449:
	s_mov_b64 s[20:21], 0
.LBB30_450:
	s_and_b64 vcc, exec, s[20:21]
	s_cbranch_vccz .LBB30_454
; %bb.451:
	s_cmp_eq_u32 s25, 11
	s_cbranch_scc0 .LBB30_453
; %bb.452:
	global_load_ubyte v2, v[0:1], off
	s_mov_b64 s[0:1], -1
	s_mov_b64 s[18:19], 0
	s_waitcnt vmcnt(0)
	v_cmp_ne_u16_e32 vcc, 0, v2
	v_cndmask_b32_e64 v2, 0, 1, vcc
	s_branch .LBB30_454
.LBB30_453:
	s_mov_b64 s[18:19], -1
                                        ; implicit-def: $vgpr2
.LBB30_454:
	s_branch .LBB30_261
.LBB30_455:
	s_and_b32 s20, 0xffff, s24
	s_cmp_lt_i32 s20, 5
	s_cbranch_scc1 .LBB30_460
; %bb.456:
	s_cmp_lt_i32 s20, 8
	s_cbranch_scc1 .LBB30_461
; %bb.457:
	;; [unrolled: 3-line block ×3, first 2 shown]
	s_cmp_gt_i32 s20, 9
	s_cbranch_scc0 .LBB30_463
; %bb.459:
	global_load_dwordx2 v[2:3], v[0:1], off
	s_mov_b64 s[0:1], 0
	s_waitcnt vmcnt(0)
	v_cvt_i32_f64_e32 v2, v[2:3]
	s_branch .LBB30_464
.LBB30_460:
	s_mov_b64 s[0:1], -1
                                        ; implicit-def: $vgpr2
	s_branch .LBB30_482
.LBB30_461:
	s_mov_b64 s[0:1], -1
                                        ; implicit-def: $vgpr2
	s_branch .LBB30_470
.LBB30_462:
	s_mov_b64 s[0:1], -1
                                        ; implicit-def: $vgpr2
	s_branch .LBB30_467
.LBB30_463:
	s_mov_b64 s[0:1], -1
                                        ; implicit-def: $vgpr2
.LBB30_464:
	s_andn2_b64 vcc, exec, s[0:1]
	s_cbranch_vccnz .LBB30_466
; %bb.465:
	global_load_dword v2, v[0:1], off
	s_waitcnt vmcnt(0)
	v_cvt_i32_f32_e32 v2, v2
.LBB30_466:
	s_mov_b64 s[0:1], 0
.LBB30_467:
	s_andn2_b64 vcc, exec, s[0:1]
	s_cbranch_vccnz .LBB30_469
; %bb.468:
	global_load_dword v2, v[0:1], off
	s_waitcnt vmcnt(0)
	v_cvt_i16_f16_e32 v2, v2
.LBB30_469:
	s_mov_b64 s[0:1], 0
.LBB30_470:
	s_andn2_b64 vcc, exec, s[0:1]
	s_cbranch_vccnz .LBB30_481
; %bb.471:
	s_cmp_lt_i32 s20, 6
	s_cbranch_scc1 .LBB30_474
; %bb.472:
	s_cmp_gt_i32 s20, 6
	s_cbranch_scc0 .LBB30_475
; %bb.473:
	global_load_dwordx2 v[2:3], v[0:1], off
	s_mov_b64 s[0:1], 0
	s_waitcnt vmcnt(0)
	v_cvt_i32_f64_e32 v2, v[2:3]
	s_branch .LBB30_476
.LBB30_474:
	s_mov_b64 s[0:1], -1
                                        ; implicit-def: $vgpr2
	s_branch .LBB30_479
.LBB30_475:
	s_mov_b64 s[0:1], -1
                                        ; implicit-def: $vgpr2
.LBB30_476:
	s_andn2_b64 vcc, exec, s[0:1]
	s_cbranch_vccnz .LBB30_478
; %bb.477:
	global_load_dword v2, v[0:1], off
	s_waitcnt vmcnt(0)
	v_cvt_i32_f32_e32 v2, v2
.LBB30_478:
	s_mov_b64 s[0:1], 0
.LBB30_479:
	s_andn2_b64 vcc, exec, s[0:1]
	s_cbranch_vccnz .LBB30_481
; %bb.480:
	global_load_ushort v2, v[0:1], off
	s_waitcnt vmcnt(0)
	v_cvt_i16_f16_e32 v2, v2
.LBB30_481:
	s_mov_b64 s[0:1], 0
.LBB30_482:
	s_andn2_b64 vcc, exec, s[0:1]
	s_cbranch_vccnz .LBB30_502
; %bb.483:
	s_cmp_lt_i32 s20, 2
	s_cbranch_scc1 .LBB30_487
; %bb.484:
	s_cmp_lt_i32 s20, 3
	s_cbranch_scc1 .LBB30_488
; %bb.485:
	s_cmp_gt_i32 s20, 3
	s_cbranch_scc0 .LBB30_489
; %bb.486:
	global_load_dwordx2 v[2:3], v[0:1], off
	s_mov_b64 s[0:1], 0
	s_branch .LBB30_490
.LBB30_487:
	s_mov_b64 s[0:1], -1
                                        ; implicit-def: $vgpr2
	s_branch .LBB30_496
.LBB30_488:
	s_mov_b64 s[0:1], -1
                                        ; implicit-def: $vgpr2
	s_branch .LBB30_493
.LBB30_489:
	s_mov_b64 s[0:1], -1
                                        ; implicit-def: $vgpr2
.LBB30_490:
	s_andn2_b64 vcc, exec, s[0:1]
	s_cbranch_vccnz .LBB30_492
; %bb.491:
	global_load_dword v2, v[0:1], off
.LBB30_492:
	s_mov_b64 s[0:1], 0
.LBB30_493:
	s_andn2_b64 vcc, exec, s[0:1]
	s_cbranch_vccnz .LBB30_495
; %bb.494:
	global_load_ushort v2, v[0:1], off
.LBB30_495:
	s_mov_b64 s[0:1], 0
.LBB30_496:
	s_andn2_b64 vcc, exec, s[0:1]
	s_cbranch_vccnz .LBB30_502
; %bb.497:
	s_cmp_gt_i32 s20, 0
	s_cbranch_scc0 .LBB30_499
; %bb.498:
	global_load_ubyte v2, v[0:1], off
	s_mov_b64 s[0:1], 0
	s_branch .LBB30_500
.LBB30_499:
	s_mov_b64 s[0:1], -1
                                        ; implicit-def: $vgpr2
.LBB30_500:
	s_andn2_b64 vcc, exec, s[0:1]
	s_cbranch_vccnz .LBB30_502
; %bb.501:
	global_load_ubyte v2, v[0:1], off
.LBB30_502:
	s_branch .LBB30_262
.LBB30_503:
	s_mov_b64 s[24:25], 0
                                        ; implicit-def: $vgpr10
	s_mov_b64 s[0:1], s[6:7]
.LBB30_504:
	s_andn2_b64 s[20:21], s[6:7], exec
	s_and_b64 s[0:1], s[0:1], exec
	s_or_b64 s[20:21], s[20:21], s[0:1]
	s_andn2_b64 s[0:1], s[14:15], exec
	s_and_b64 s[18:19], s[18:19], exec
	s_or_b64 s[18:19], s[0:1], s[18:19]
	s_orn2_b64 s[0:1], s[24:25], exec
.LBB30_505:
	s_or_b64 exec, exec, s[22:23]
	s_mov_b64 s[24:25], 0
	s_mov_b64 s[26:27], 0
	;; [unrolled: 1-line block ×3, first 2 shown]
                                        ; implicit-def: $sgpr43
                                        ; implicit-def: $vgpr0_vgpr1
                                        ; implicit-def: $vgpr2
	s_and_saveexec_b64 s[22:23], s[0:1]
	s_cbranch_execz .LBB30_842
; %bb.506:
	v_cmp_gt_i32_e32 vcc, s38, v10
	s_mov_b64 s[34:35], -1
	s_mov_b64 s[0:1], s[18:19]
	s_mov_b64 s[28:29], s[20:21]
	s_and_saveexec_b64 s[24:25], vcc
	s_cbranch_execz .LBB30_760
; %bb.507:
	v_mul_lo_u32 v0, v10, s3
	v_mov_b32_e32 v1, s11
	s_and_b32 s30, s42, 0xff
	s_cmp_lt_i32 s30, 11
	s_waitcnt vmcnt(0)
	v_ashrrev_i32_e32 v2, 31, v0
	v_add_co_u32_e32 v0, vcc, s10, v0
	v_addc_co_u32_e32 v1, vcc, v1, v2, vcc
	s_cbranch_scc1 .LBB30_514
; %bb.508:
	s_and_b32 s31, 0xffff, s30
	s_cmp_gt_i32 s31, 25
	s_cbranch_scc0 .LBB30_515
; %bb.509:
	s_cmp_gt_i32 s31, 28
	s_cbranch_scc0 .LBB30_516
; %bb.510:
	s_cmp_gt_i32 s31, 43
	s_cbranch_scc0 .LBB30_517
; %bb.511:
	s_cmp_gt_i32 s31, 45
	s_cbranch_scc0 .LBB30_520
; %bb.512:
	s_cmp_eq_u32 s31, 46
	s_mov_b64 s[28:29], 0
	s_cbranch_scc0 .LBB30_523
; %bb.513:
	global_load_dword v2, v[0:1], off
	s_mov_b64 s[0:1], -1
	s_waitcnt vmcnt(0)
	v_lshlrev_b32_e32 v2, 16, v2
	v_cvt_i32_f32_e32 v2, v2
	s_branch .LBB30_524
.LBB30_514:
	s_mov_b64 s[28:29], -1
	s_mov_b64 s[0:1], 0
                                        ; implicit-def: $vgpr2
	s_mov_b64 s[26:27], s[18:19]
	s_branch .LBB30_585
.LBB30_515:
	s_mov_b64 s[28:29], -1
	s_mov_b64 s[0:1], 0
	s_mov_b64 s[26:27], s[18:19]
                                        ; implicit-def: $vgpr2
	s_branch .LBB30_551
.LBB30_516:
	s_mov_b64 s[28:29], -1
	s_mov_b64 s[0:1], 0
	s_mov_b64 s[26:27], s[18:19]
                                        ; implicit-def: $vgpr2
	s_branch .LBB30_534
.LBB30_517:
	s_mov_b64 s[28:29], -1
	s_mov_b64 s[0:1], 0
	s_mov_b64 s[26:27], s[18:19]
                                        ; implicit-def: $vgpr2
	s_branch .LBB30_529
.LBB30_518:
	s_andn2_saveexec_b64 s[26:27], s[26:27]
	s_cbranch_execz .LBB30_307
.LBB30_519:
	s_mov_b32 s30, 0x46000000
	v_add_f32_e64 v4, |v3|, s30
	v_and_b32_e32 v4, 0xff, v4
	v_cmp_ne_u32_e32 vcc, 0, v4
	s_andn2_b64 s[24:25], s[24:25], exec
	s_and_b64 s[30:31], vcc, exec
	s_or_b64 s[24:25], s[24:25], s[30:31]
	s_or_b64 exec, exec, s[26:27]
	v_mov_b32_e32 v5, 0
	s_and_saveexec_b64 s[26:27], s[24:25]
	s_cbranch_execnz .LBB30_308
	s_branch .LBB30_309
.LBB30_520:
	s_mov_b64 s[28:29], -1
	s_mov_b64 s[0:1], 0
	s_mov_b64 s[26:27], s[18:19]
                                        ; implicit-def: $vgpr2
	s_branch .LBB30_524
.LBB30_521:
	s_andn2_saveexec_b64 s[26:27], s[26:27]
	s_cbranch_execz .LBB30_320
.LBB30_522:
	s_mov_b32 s30, 0x42800000
	v_add_f32_e64 v4, |v3|, s30
	v_and_b32_e32 v4, 0xff, v4
	v_cmp_ne_u32_e32 vcc, 0, v4
	s_andn2_b64 s[24:25], s[24:25], exec
	s_and_b64 s[30:31], vcc, exec
	s_or_b64 s[24:25], s[24:25], s[30:31]
	s_or_b64 exec, exec, s[26:27]
	v_mov_b32_e32 v5, 0
	s_and_saveexec_b64 s[26:27], s[24:25]
	s_cbranch_execnz .LBB30_321
	s_branch .LBB30_322
.LBB30_523:
	s_mov_b64 s[26:27], -1
                                        ; implicit-def: $vgpr2
	s_mov_b64 s[0:1], 0
.LBB30_524:
	s_and_b64 vcc, exec, s[28:29]
	s_cbranch_vccz .LBB30_528
; %bb.525:
	s_cmp_eq_u32 s31, 44
	s_cbranch_scc0 .LBB30_527
; %bb.526:
	global_load_ubyte v2, v[0:1], off
	s_mov_b64 s[0:1], -1
	s_mov_b64 s[26:27], 0
	s_waitcnt vmcnt(0)
	v_lshlrev_b32_e32 v3, 23, v2
	v_cvt_i32_f32_e32 v3, v3
	v_cmp_ne_u32_e32 vcc, 0, v2
	v_cndmask_b32_e32 v2, 0, v3, vcc
	s_branch .LBB30_528
.LBB30_527:
	s_mov_b64 s[26:27], -1
                                        ; implicit-def: $vgpr2
.LBB30_528:
	s_mov_b64 s[28:29], 0
.LBB30_529:
	s_and_b64 vcc, exec, s[28:29]
	s_cbranch_vccz .LBB30_533
; %bb.530:
	s_cmp_eq_u32 s31, 29
	s_cbranch_scc0 .LBB30_532
; %bb.531:
	global_load_dwordx2 v[2:3], v[0:1], off
	s_mov_b64 s[0:1], -1
	s_mov_b64 s[26:27], 0
	s_branch .LBB30_533
.LBB30_532:
	s_mov_b64 s[26:27], -1
                                        ; implicit-def: $vgpr2
.LBB30_533:
	s_mov_b64 s[28:29], 0
.LBB30_534:
	s_and_b64 vcc, exec, s[28:29]
	s_cbranch_vccz .LBB30_550
; %bb.535:
	s_cmp_lt_i32 s31, 27
	s_cbranch_scc1 .LBB30_538
; %bb.536:
	s_cmp_gt_i32 s31, 27
	s_cbranch_scc0 .LBB30_539
; %bb.537:
	global_load_dword v2, v[0:1], off
	s_mov_b64 s[0:1], 0
	s_branch .LBB30_540
.LBB30_538:
	s_mov_b64 s[0:1], -1
                                        ; implicit-def: $vgpr2
	s_branch .LBB30_543
.LBB30_539:
	s_mov_b64 s[0:1], -1
                                        ; implicit-def: $vgpr2
.LBB30_540:
	s_andn2_b64 vcc, exec, s[0:1]
	s_cbranch_vccnz .LBB30_542
; %bb.541:
	global_load_ushort v2, v[0:1], off
.LBB30_542:
	s_mov_b64 s[0:1], 0
.LBB30_543:
	s_andn2_b64 vcc, exec, s[0:1]
	s_cbranch_vccnz .LBB30_549
; %bb.544:
	global_load_ubyte v3, v[0:1], off
	s_movk_i32 s0, 0x7f
	s_mov_b64 s[28:29], 0
	s_waitcnt vmcnt(0)
	v_cmp_lt_i16_e32 vcc, s0, v3
	s_and_saveexec_b64 s[0:1], vcc
	s_xor_b64 s[0:1], exec, s[0:1]
	s_cbranch_execz .LBB30_561
; %bb.545:
	s_movk_i32 s28, 0x80
	v_cmp_ne_u16_e32 vcc, s28, v3
	s_and_b64 s[28:29], vcc, exec
	s_andn2_saveexec_b64 s[0:1], s[0:1]
	s_cbranch_execnz .LBB30_562
.LBB30_546:
	s_or_b64 exec, exec, s[0:1]
	v_mov_b32_e32 v2, 0
	s_and_saveexec_b64 s[0:1], s[28:29]
	s_cbranch_execz .LBB30_548
.LBB30_547:
	v_lshlrev_b32_e32 v2, 24, v3
	v_and_b32_e32 v3, 0xffff, v3
	v_and_b32_e32 v4, 7, v3
	v_ffbh_u32_e32 v6, v4
	v_min_u32_e32 v6, 32, v6
	v_subrev_u32_e32 v7, 28, v6
	v_bfe_u32 v5, v3, 3, 4
	v_lshlrev_b32_e32 v3, v7, v3
	v_sub_u32_e32 v6, 29, v6
	v_and_b32_e32 v3, 7, v3
	v_cmp_eq_u32_e32 vcc, 0, v5
	v_cndmask_b32_e32 v5, v5, v6, vcc
	v_cndmask_b32_e32 v3, v4, v3, vcc
	v_mov_b32_e32 v4, 0x3b800000
	v_lshlrev_b32_e32 v3, 20, v3
	v_and_b32_e32 v2, 0x80000000, v2
	v_lshl_add_u32 v4, v5, 23, v4
	v_or3_b32 v2, v2, v4, v3
	v_cvt_i32_f32_e32 v2, v2
.LBB30_548:
	s_or_b64 exec, exec, s[0:1]
.LBB30_549:
	s_mov_b64 s[0:1], -1
.LBB30_550:
	s_mov_b64 s[28:29], 0
.LBB30_551:
	s_and_b64 vcc, exec, s[28:29]
	s_cbranch_vccz .LBB30_584
; %bb.552:
	s_cmp_gt_i32 s31, 22
	s_cbranch_scc0 .LBB30_560
; %bb.553:
	s_cmp_lt_i32 s31, 24
	s_cbranch_scc1 .LBB30_563
; %bb.554:
	s_cmp_gt_i32 s31, 24
	s_cbranch_scc0 .LBB30_564
; %bb.555:
	global_load_ubyte v3, v[0:1], off
	s_movk_i32 s0, 0x7f
	s_mov_b64 s[28:29], 0
	s_waitcnt vmcnt(0)
	v_cmp_lt_i16_e32 vcc, s0, v3
	s_and_saveexec_b64 s[0:1], vcc
	s_xor_b64 s[0:1], exec, s[0:1]
	s_cbranch_execz .LBB30_576
; %bb.556:
	s_movk_i32 s28, 0x80
	v_cmp_ne_u16_e32 vcc, s28, v3
	s_and_b64 s[28:29], vcc, exec
	s_andn2_saveexec_b64 s[0:1], s[0:1]
	s_cbranch_execnz .LBB30_577
.LBB30_557:
	s_or_b64 exec, exec, s[0:1]
	v_mov_b32_e32 v2, 0
	s_and_saveexec_b64 s[0:1], s[28:29]
	s_cbranch_execz .LBB30_559
.LBB30_558:
	v_lshlrev_b32_e32 v2, 24, v3
	v_and_b32_e32 v3, 0xffff, v3
	v_and_b32_e32 v4, 3, v3
	v_ffbh_u32_e32 v6, v4
	v_min_u32_e32 v6, 32, v6
	v_subrev_u32_e32 v7, 29, v6
	v_bfe_u32 v5, v3, 2, 5
	v_lshlrev_b32_e32 v3, v7, v3
	v_sub_u32_e32 v6, 30, v6
	v_and_b32_e32 v3, 3, v3
	v_cmp_eq_u32_e32 vcc, 0, v5
	v_cndmask_b32_e32 v5, v5, v6, vcc
	v_cndmask_b32_e32 v3, v4, v3, vcc
	v_mov_b32_e32 v4, 0x37800000
	v_lshlrev_b32_e32 v3, 21, v3
	v_and_b32_e32 v2, 0x80000000, v2
	v_lshl_add_u32 v4, v5, 23, v4
	v_or3_b32 v2, v2, v4, v3
	v_cvt_i32_f32_e32 v2, v2
.LBB30_559:
	s_or_b64 exec, exec, s[0:1]
	s_mov_b64 s[0:1], 0
	s_branch .LBB30_565
.LBB30_560:
	s_mov_b64 s[28:29], -1
                                        ; implicit-def: $vgpr2
	s_branch .LBB30_571
.LBB30_561:
	s_andn2_saveexec_b64 s[0:1], s[0:1]
	s_cbranch_execz .LBB30_546
.LBB30_562:
	v_cmp_ne_u16_e32 vcc, 0, v3
	s_andn2_b64 s[28:29], s[28:29], exec
	s_and_b64 s[34:35], vcc, exec
	s_or_b64 s[28:29], s[28:29], s[34:35]
	s_or_b64 exec, exec, s[0:1]
	v_mov_b32_e32 v2, 0
	s_and_saveexec_b64 s[0:1], s[28:29]
	s_cbranch_execnz .LBB30_547
	s_branch .LBB30_548
.LBB30_563:
	s_mov_b64 s[0:1], -1
                                        ; implicit-def: $vgpr2
	s_branch .LBB30_568
.LBB30_564:
	s_mov_b64 s[0:1], -1
                                        ; implicit-def: $vgpr2
.LBB30_565:
	s_and_b64 vcc, exec, s[0:1]
	s_cbranch_vccz .LBB30_567
; %bb.566:
	global_load_ubyte v2, v[0:1], off
	s_mov_b32 s0, 0x7f800000
	s_waitcnt vmcnt(0)
	v_lshlrev_b32_e32 v2, 24, v2
	v_and_b32_e32 v3, 0x7f000000, v2
	v_ffbh_u32_e32 v4, v3
	v_min_u32_e32 v4, 32, v4
	v_sub_u32_e64 v4, v4, 4 clamp
	v_lshlrev_b32_e32 v6, v4, v3
	v_lshlrev_b32_e32 v4, 23, v4
	v_lshrrev_b32_e32 v6, 4, v6
	v_add_u32_e32 v5, 0x1000000, v3
	v_sub_u32_e32 v4, v6, v4
	v_ashrrev_i32_e32 v5, 8, v5
	v_add_u32_e32 v4, 0x3c000000, v4
	v_and_or_b32 v4, v5, s0, v4
	v_cmp_ne_u32_e32 vcc, 0, v3
	v_cndmask_b32_e32 v3, 0, v4, vcc
	s_brev_b32 s0, 1
	v_and_or_b32 v2, v2, s0, v3
	v_cvt_i32_f32_e32 v2, v2
.LBB30_567:
	s_mov_b64 s[0:1], 0
.LBB30_568:
	s_andn2_b64 vcc, exec, s[0:1]
	s_cbranch_vccnz .LBB30_570
; %bb.569:
	global_load_ubyte v2, v[0:1], off
	s_movk_i32 s0, 0x7f00
	s_brev_b32 s1, 16
	s_waitcnt vmcnt(0)
	v_lshlrev_b16_e32 v3, 8, v2
	v_lshlrev_b32_e32 v2, 25, v2
	v_lshrrev_b32_e32 v4, 4, v2
	v_and_or_b32 v5, v3, s0, 0.5
	v_or_b32_e32 v4, 0x70000000, v4
	v_add_f32_e32 v5, -0.5, v5
	v_mul_f32_e32 v4, 0x7800000, v4
	v_cmp_gt_u32_e32 vcc, s1, v2
	v_bfe_i32 v3, v3, 0, 16
	v_cndmask_b32_e32 v2, v4, v5, vcc
	s_brev_b32 s0, 1
	v_and_or_b32 v2, v3, s0, v2
	v_cvt_i32_f32_e32 v2, v2
.LBB30_570:
	s_mov_b64 s[28:29], 0
	s_mov_b64 s[0:1], -1
.LBB30_571:
	s_andn2_b64 vcc, exec, s[28:29]
	s_cbranch_vccnz .LBB30_584
; %bb.572:
	s_cmp_gt_i32 s31, 14
	s_cbranch_scc0 .LBB30_575
; %bb.573:
	s_cmp_eq_u32 s31, 15
	s_cbranch_scc0 .LBB30_578
; %bb.574:
	global_load_ushort v2, v[0:1], off
	s_mov_b64 s[0:1], -1
	s_mov_b64 s[26:27], 0
	s_waitcnt vmcnt(0)
	v_lshlrev_b32_e32 v2, 16, v2
	v_cvt_i32_f32_e32 v2, v2
	s_branch .LBB30_579
.LBB30_575:
	s_mov_b64 s[28:29], -1
                                        ; implicit-def: $vgpr2
	s_branch .LBB30_580
.LBB30_576:
	s_andn2_saveexec_b64 s[0:1], s[0:1]
	s_cbranch_execz .LBB30_557
.LBB30_577:
	v_cmp_ne_u16_e32 vcc, 0, v3
	s_andn2_b64 s[28:29], s[28:29], exec
	s_and_b64 s[34:35], vcc, exec
	s_or_b64 s[28:29], s[28:29], s[34:35]
	s_or_b64 exec, exec, s[0:1]
	v_mov_b32_e32 v2, 0
	s_and_saveexec_b64 s[0:1], s[28:29]
	s_cbranch_execnz .LBB30_558
	s_branch .LBB30_559
.LBB30_578:
	s_mov_b64 s[26:27], -1
                                        ; implicit-def: $vgpr2
.LBB30_579:
	s_mov_b64 s[28:29], 0
.LBB30_580:
	s_and_b64 vcc, exec, s[28:29]
	s_cbranch_vccz .LBB30_584
; %bb.581:
	s_cmp_eq_u32 s31, 11
	s_cbranch_scc0 .LBB30_583
; %bb.582:
	global_load_ubyte v2, v[0:1], off
	s_mov_b64 s[0:1], -1
	s_mov_b64 s[26:27], 0
	s_waitcnt vmcnt(0)
	v_cmp_ne_u16_e32 vcc, 0, v2
	v_cndmask_b32_e64 v2, 0, 1, vcc
	s_branch .LBB30_584
.LBB30_583:
	s_mov_b64 s[26:27], -1
                                        ; implicit-def: $vgpr2
.LBB30_584:
	s_mov_b64 s[28:29], 0
.LBB30_585:
	s_and_b64 vcc, exec, s[28:29]
	s_cbranch_vccz .LBB30_634
; %bb.586:
	s_and_b32 s28, 0xffff, s30
	s_cmp_lt_i32 s28, 5
	s_cbranch_scc1 .LBB30_591
; %bb.587:
	s_cmp_lt_i32 s28, 8
	s_cbranch_scc1 .LBB30_592
; %bb.588:
	;; [unrolled: 3-line block ×3, first 2 shown]
	s_cmp_gt_i32 s28, 9
	s_cbranch_scc0 .LBB30_594
; %bb.590:
	global_load_dwordx2 v[2:3], v[0:1], off
	s_mov_b64 s[0:1], 0
	s_waitcnt vmcnt(0)
	v_cvt_i32_f64_e32 v2, v[2:3]
	s_branch .LBB30_595
.LBB30_591:
	s_mov_b64 s[0:1], -1
                                        ; implicit-def: $vgpr2
	s_branch .LBB30_613
.LBB30_592:
	s_mov_b64 s[0:1], -1
                                        ; implicit-def: $vgpr2
	s_branch .LBB30_601
.LBB30_593:
	s_mov_b64 s[0:1], -1
                                        ; implicit-def: $vgpr2
	s_branch .LBB30_598
.LBB30_594:
	s_mov_b64 s[0:1], -1
                                        ; implicit-def: $vgpr2
.LBB30_595:
	s_andn2_b64 vcc, exec, s[0:1]
	s_cbranch_vccnz .LBB30_597
; %bb.596:
	global_load_dword v2, v[0:1], off
	s_waitcnt vmcnt(0)
	v_cvt_i32_f32_e32 v2, v2
.LBB30_597:
	s_mov_b64 s[0:1], 0
.LBB30_598:
	s_andn2_b64 vcc, exec, s[0:1]
	s_cbranch_vccnz .LBB30_600
; %bb.599:
	global_load_dword v2, v[0:1], off
	s_waitcnt vmcnt(0)
	v_cvt_i16_f16_e32 v2, v2
.LBB30_600:
	s_mov_b64 s[0:1], 0
.LBB30_601:
	s_andn2_b64 vcc, exec, s[0:1]
	s_cbranch_vccnz .LBB30_612
; %bb.602:
	s_cmp_lt_i32 s28, 6
	s_cbranch_scc1 .LBB30_605
; %bb.603:
	s_cmp_gt_i32 s28, 6
	s_cbranch_scc0 .LBB30_606
; %bb.604:
	global_load_dwordx2 v[2:3], v[0:1], off
	s_mov_b64 s[0:1], 0
	s_waitcnt vmcnt(0)
	v_cvt_i32_f64_e32 v2, v[2:3]
	s_branch .LBB30_607
.LBB30_605:
	s_mov_b64 s[0:1], -1
                                        ; implicit-def: $vgpr2
	s_branch .LBB30_610
.LBB30_606:
	s_mov_b64 s[0:1], -1
                                        ; implicit-def: $vgpr2
.LBB30_607:
	s_andn2_b64 vcc, exec, s[0:1]
	s_cbranch_vccnz .LBB30_609
; %bb.608:
	global_load_dword v2, v[0:1], off
	s_waitcnt vmcnt(0)
	v_cvt_i32_f32_e32 v2, v2
.LBB30_609:
	s_mov_b64 s[0:1], 0
.LBB30_610:
	s_andn2_b64 vcc, exec, s[0:1]
	s_cbranch_vccnz .LBB30_612
; %bb.611:
	global_load_ushort v2, v[0:1], off
	s_waitcnt vmcnt(0)
	v_cvt_i16_f16_e32 v2, v2
.LBB30_612:
	s_mov_b64 s[0:1], 0
.LBB30_613:
	s_andn2_b64 vcc, exec, s[0:1]
	s_cbranch_vccnz .LBB30_633
; %bb.614:
	s_cmp_lt_i32 s28, 2
	s_cbranch_scc1 .LBB30_618
; %bb.615:
	s_cmp_lt_i32 s28, 3
	s_cbranch_scc1 .LBB30_619
; %bb.616:
	s_cmp_gt_i32 s28, 3
	s_cbranch_scc0 .LBB30_620
; %bb.617:
	global_load_dwordx2 v[2:3], v[0:1], off
	s_mov_b64 s[0:1], 0
	s_branch .LBB30_621
.LBB30_618:
	s_mov_b64 s[0:1], -1
                                        ; implicit-def: $vgpr2
	s_branch .LBB30_627
.LBB30_619:
	s_mov_b64 s[0:1], -1
                                        ; implicit-def: $vgpr2
	s_branch .LBB30_624
.LBB30_620:
	s_mov_b64 s[0:1], -1
                                        ; implicit-def: $vgpr2
.LBB30_621:
	s_andn2_b64 vcc, exec, s[0:1]
	s_cbranch_vccnz .LBB30_623
; %bb.622:
	global_load_dword v2, v[0:1], off
.LBB30_623:
	s_mov_b64 s[0:1], 0
.LBB30_624:
	s_andn2_b64 vcc, exec, s[0:1]
	s_cbranch_vccnz .LBB30_626
; %bb.625:
	global_load_ushort v2, v[0:1], off
.LBB30_626:
	s_mov_b64 s[0:1], 0
.LBB30_627:
	s_andn2_b64 vcc, exec, s[0:1]
	s_cbranch_vccnz .LBB30_633
; %bb.628:
	s_cmp_gt_i32 s28, 0
	s_cbranch_scc0 .LBB30_630
; %bb.629:
	global_load_ubyte v2, v[0:1], off
	s_mov_b64 s[0:1], 0
	s_branch .LBB30_631
.LBB30_630:
	s_mov_b64 s[0:1], -1
                                        ; implicit-def: $vgpr2
.LBB30_631:
	s_andn2_b64 vcc, exec, s[0:1]
	s_cbranch_vccnz .LBB30_633
; %bb.632:
	global_load_ubyte v2, v[0:1], off
.LBB30_633:
	s_mov_b64 s[0:1], -1
.LBB30_634:
	s_andn2_b64 vcc, exec, s[0:1]
	s_cbranch_vccnz .LBB30_642
; %bb.635:
	v_mul_lo_u32 v1, v10, s2
	s_waitcnt vmcnt(0)
	v_mov_b32_e32 v3, 8
	v_lshlrev_b32_sdwa v0, v2, v9 dst_sel:DWORD dst_unused:UNUSED_PAD src0_sel:DWORD src1_sel:BYTE_0
	v_cmp_lt_u16_sdwa vcc, v2, v3 src0_sel:BYTE_0 src1_sel:DWORD
	v_cndmask_b32_e32 v2, 0, v0, vcc
	v_ashrrev_i32_e32 v3, 31, v1
	v_mov_b32_e32 v4, s9
	s_and_b32 s36, s33, 0xff
	v_add_co_u32_e32 v0, vcc, s8, v1
	s_cmp_lt_i32 s36, 11
	v_addc_co_u32_e32 v1, vcc, v4, v3, vcc
	s_cbranch_scc1 .LBB30_643
; %bb.636:
	s_and_b32 s37, 0xffff, s36
	s_cmp_gt_i32 s37, 25
	s_cbranch_scc0 .LBB30_644
; %bb.637:
	s_cmp_gt_i32 s37, 28
	s_cbranch_scc0 .LBB30_645
; %bb.638:
	;; [unrolled: 3-line block ×4, first 2 shown]
	s_mov_b64 s[30:31], 0
	s_mov_b64 s[0:1], -1
	s_cmp_eq_u32 s37, 46
	s_mov_b64 s[28:29], 0
	s_cbranch_scc0 .LBB30_648
; %bb.641:
	v_bfe_i32 v3, v2, 0, 8
	v_cvt_f32_i32_sdwa v3, sext(v3) dst_sel:DWORD dst_unused:UNUSED_PAD src0_sel:WORD_0
	s_movk_i32 s0, 0x7fff
	s_mov_b64 s[28:29], -1
	v_bfe_u32 v4, v3, 16, 1
	v_add3_u32 v3, v3, v4, s0
	v_lshrrev_b32_e32 v3, 16, v3
	global_store_dword v[0:1], v3, off
	s_mov_b64 s[0:1], 0
	s_branch .LBB30_648
.LBB30_642:
	s_mov_b64 s[30:31], 0
                                        ; implicit-def: $vgpr10
	s_mov_b64 s[0:1], s[20:21]
	s_branch .LBB30_759
.LBB30_643:
	s_mov_b64 s[30:31], -1
	s_mov_b64 s[28:29], 0
	s_mov_b64 s[0:1], s[20:21]
	s_branch .LBB30_717
.LBB30_644:
	s_mov_b64 s[30:31], -1
	s_mov_b64 s[28:29], 0
	s_mov_b64 s[0:1], s[20:21]
	s_branch .LBB30_675
.LBB30_645:
	s_mov_b64 s[30:31], -1
	s_mov_b64 s[28:29], 0
	s_mov_b64 s[0:1], s[20:21]
	s_branch .LBB30_658
.LBB30_646:
	s_mov_b64 s[30:31], -1
	s_mov_b64 s[28:29], 0
	s_mov_b64 s[0:1], s[20:21]
	s_branch .LBB30_654
.LBB30_647:
	s_mov_b64 s[30:31], -1
	s_mov_b64 s[28:29], 0
	s_mov_b64 s[0:1], s[20:21]
.LBB30_648:
	s_and_b64 vcc, exec, s[30:31]
	s_cbranch_vccz .LBB30_653
; %bb.649:
	s_cmp_eq_u32 s37, 44
	s_mov_b64 s[0:1], -1
	s_cbranch_scc0 .LBB30_653
; %bb.650:
	v_bfe_i32 v3, v2, 0, 8
	v_cvt_f32_i32_sdwa v3, sext(v3) dst_sel:DWORD dst_unused:UNUSED_PAD src0_sel:WORD_0
	s_movk_i32 s0, 0xff
	v_mov_b32_e32 v5, 0xff
	v_bfe_u32 v4, v3, 23, 8
	v_cmp_ne_u32_e32 vcc, s0, v4
	s_and_saveexec_b64 s[28:29], vcc
; %bb.651:
	s_mov_b32 s0, 0x3fffff
	v_lshrrev_b32_e32 v5, 23, v3
	v_and_b32_e32 v6, 0x400000, v3
	v_and_or_b32 v3, v3, s0, v4
	v_cmp_ne_u32_e32 vcc, 0, v6
	v_cmp_ne_u32_e64 s[0:1], 0, v3
	s_and_b64 s[0:1], vcc, s[0:1]
	v_cndmask_b32_e64 v3, 0, 1, s[0:1]
	v_add_u32_e32 v5, v5, v3
; %bb.652:
	s_or_b64 exec, exec, s[28:29]
	s_mov_b64 s[28:29], -1
	s_mov_b64 s[0:1], 0
	global_store_byte v[0:1], v5, off
.LBB30_653:
	s_mov_b64 s[30:31], 0
.LBB30_654:
	s_and_b64 vcc, exec, s[30:31]
	s_cbranch_vccz .LBB30_657
; %bb.655:
	s_cmp_eq_u32 s37, 29
	s_mov_b64 s[0:1], -1
	s_cbranch_scc0 .LBB30_657
; %bb.656:
	v_bfe_i32 v3, v2, 0, 8
	v_ashrrev_i32_e32 v4, 31, v3
	global_store_dwordx2 v[0:1], v[3:4], off
	s_mov_b64 s[28:29], -1
	s_mov_b64 s[0:1], 0
.LBB30_657:
	s_mov_b64 s[30:31], 0
.LBB30_658:
	s_and_b64 vcc, exec, s[30:31]
	s_cbranch_vccz .LBB30_674
; %bb.659:
	s_cmp_lt_i32 s37, 27
	s_mov_b64 s[28:29], -1
	s_cbranch_scc1 .LBB30_665
; %bb.660:
	s_cmp_gt_i32 s37, 27
	s_cbranch_scc0 .LBB30_662
; %bb.661:
	v_bfe_i32 v3, v2, 0, 8
	s_mov_b64 s[28:29], 0
	global_store_dword v[0:1], v3, off
.LBB30_662:
	s_andn2_b64 vcc, exec, s[28:29]
	s_cbranch_vccnz .LBB30_664
; %bb.663:
	v_bfe_i32 v3, v2, 0, 8
	global_store_short v[0:1], v3, off
.LBB30_664:
	s_mov_b64 s[28:29], 0
.LBB30_665:
	s_andn2_b64 vcc, exec, s[28:29]
	s_cbranch_vccnz .LBB30_673
; %bb.666:
	v_bfe_i32 v3, v2, 0, 8
	v_cvt_f32_i32_sdwa v3, sext(v3) dst_sel:DWORD dst_unused:UNUSED_PAD src0_sel:WORD_0
	s_mov_b32 s28, 0x43800000
	v_mov_b32_e32 v5, 0x80
	v_and_b32_e32 v4, 0x7fffffff, v3
	v_cmp_gt_u32_e32 vcc, s28, v4
	s_and_saveexec_b64 s[28:29], vcc
	s_cbranch_execz .LBB30_672
; %bb.667:
	s_mov_b32 s30, 0x3bffffff
	v_cmp_lt_u32_e32 vcc, s30, v4
	s_mov_b64 s[30:31], 0
                                        ; implicit-def: $vgpr4
	s_and_saveexec_b64 s[34:35], vcc
	s_xor_b64 s[34:35], exec, s[34:35]
	s_cbranch_execz .LBB30_773
; %bb.668:
	v_bfe_u32 v4, v3, 20, 1
	s_mov_b32 s39, 0x487ffff
	v_add3_u32 v4, v3, v4, s39
	s_mov_b64 s[30:31], exec
	v_lshrrev_b32_e32 v4, 20, v4
	s_andn2_saveexec_b64 s[34:35], s[34:35]
	s_cbranch_execnz .LBB30_774
.LBB30_669:
	s_or_b64 exec, exec, s[34:35]
	v_mov_b32_e32 v5, 0
	s_and_saveexec_b64 s[34:35], s[30:31]
.LBB30_670:
	v_lshrrev_b32_e32 v3, 24, v3
	s_movk_i32 s30, 0x80
	v_and_or_b32 v5, v3, s30, v4
.LBB30_671:
	s_or_b64 exec, exec, s[34:35]
.LBB30_672:
	s_or_b64 exec, exec, s[28:29]
	global_store_byte v[0:1], v5, off
.LBB30_673:
	s_mov_b64 s[28:29], -1
.LBB30_674:
	s_mov_b64 s[30:31], 0
.LBB30_675:
	s_and_b64 vcc, exec, s[30:31]
	s_cbranch_vccz .LBB30_716
; %bb.676:
	s_cmp_gt_i32 s37, 22
	s_mov_b64 s[30:31], -1
	s_cbranch_scc0 .LBB30_708
; %bb.677:
	s_cmp_lt_i32 s37, 24
	s_mov_b64 s[28:29], -1
	s_cbranch_scc1 .LBB30_697
; %bb.678:
	s_cmp_gt_i32 s37, 24
	s_cbranch_scc0 .LBB30_686
; %bb.679:
	v_bfe_i32 v3, v2, 0, 8
	v_cvt_f32_i32_sdwa v3, sext(v3) dst_sel:DWORD dst_unused:UNUSED_PAD src0_sel:WORD_0
	s_mov_b32 s28, 0x47800000
	v_mov_b32_e32 v5, 0x80
	v_and_b32_e32 v4, 0x7fffffff, v3
	v_cmp_gt_u32_e32 vcc, s28, v4
	s_and_saveexec_b64 s[28:29], vcc
	s_cbranch_execz .LBB30_685
; %bb.680:
	s_mov_b32 s30, 0x37ffffff
	v_cmp_lt_u32_e32 vcc, s30, v4
	s_mov_b64 s[30:31], 0
                                        ; implicit-def: $vgpr4
	s_and_saveexec_b64 s[34:35], vcc
	s_xor_b64 s[34:35], exec, s[34:35]
	s_cbranch_execz .LBB30_776
; %bb.681:
	v_bfe_u32 v4, v3, 21, 1
	s_mov_b32 s39, 0x88fffff
	v_add3_u32 v4, v3, v4, s39
	s_mov_b64 s[30:31], exec
	v_lshrrev_b32_e32 v4, 21, v4
	s_andn2_saveexec_b64 s[34:35], s[34:35]
	s_cbranch_execnz .LBB30_777
.LBB30_682:
	s_or_b64 exec, exec, s[34:35]
	v_mov_b32_e32 v5, 0
	s_and_saveexec_b64 s[34:35], s[30:31]
.LBB30_683:
	v_lshrrev_b32_e32 v3, 24, v3
	s_movk_i32 s30, 0x80
	v_and_or_b32 v5, v3, s30, v4
.LBB30_684:
	s_or_b64 exec, exec, s[34:35]
.LBB30_685:
	s_or_b64 exec, exec, s[28:29]
	s_mov_b64 s[28:29], 0
	global_store_byte v[0:1], v5, off
.LBB30_686:
	s_and_b64 vcc, exec, s[28:29]
	s_cbranch_vccz .LBB30_696
; %bb.687:
	v_bfe_i32 v3, v2, 0, 8
	v_cvt_f32_i32_sdwa v3, sext(v3) dst_sel:DWORD dst_unused:UNUSED_PAD src0_sel:WORD_0
	s_mov_b32 s28, 0x43f00000
                                        ; implicit-def: $vgpr4
	v_and_b32_e32 v5, 0x7fffffff, v3
	v_cmp_gt_u32_e32 vcc, s28, v5
	s_and_saveexec_b64 s[28:29], vcc
	s_xor_b64 s[28:29], exec, s[28:29]
	s_cbranch_execz .LBB30_693
; %bb.688:
	s_mov_b32 s30, 0x3c7fffff
	v_cmp_lt_u32_e32 vcc, s30, v5
                                        ; implicit-def: $vgpr4
	s_and_saveexec_b64 s[30:31], vcc
	s_xor_b64 s[30:31], exec, s[30:31]
; %bb.689:
	v_bfe_u32 v4, v3, 20, 1
	s_mov_b32 s34, 0x407ffff
	v_add3_u32 v4, v3, v4, s34
	v_lshrrev_b32_e32 v5, 20, v4
	v_and_b32_e32 v4, 0xff00000, v4
	s_mov_b32 s34, 0x7f00000
	v_mov_b32_e32 v6, 0x7e
	v_cmp_ne_u32_e32 vcc, s34, v4
	v_cndmask_b32_e32 v4, v6, v5, vcc
; %bb.690:
	s_andn2_saveexec_b64 s[30:31], s[30:31]
; %bb.691:
	s_mov_b32 s34, 0x46800000
	v_add_f32_e64 v4, |v3|, s34
; %bb.692:
	s_or_b64 exec, exec, s[30:31]
                                        ; implicit-def: $vgpr5
.LBB30_693:
	s_andn2_saveexec_b64 s[28:29], s[28:29]
; %bb.694:
	s_mov_b32 s30, 0x7f800000
	v_mov_b32_e32 v4, 0x7e
	v_mov_b32_e32 v6, 0x7f
	v_cmp_lt_u32_e32 vcc, s30, v5
	v_cndmask_b32_e32 v4, v4, v6, vcc
; %bb.695:
	s_or_b64 exec, exec, s[28:29]
	v_lshrrev_b32_e32 v3, 24, v3
	s_movk_i32 s28, 0x80
	v_and_or_b32 v3, v3, s28, v4
	global_store_byte v[0:1], v3, off
.LBB30_696:
	s_mov_b64 s[28:29], 0
.LBB30_697:
	s_andn2_b64 vcc, exec, s[28:29]
	s_cbranch_vccnz .LBB30_707
; %bb.698:
	v_bfe_i32 v3, v2, 0, 8
	v_cvt_f32_i32_sdwa v3, sext(v3) dst_sel:DWORD dst_unused:UNUSED_PAD src0_sel:WORD_0
	s_mov_b32 s28, 0x47800000
                                        ; implicit-def: $vgpr4
	v_and_b32_e32 v5, 0x7fffffff, v3
	v_cmp_gt_u32_e32 vcc, s28, v5
	s_and_saveexec_b64 s[28:29], vcc
	s_xor_b64 s[28:29], exec, s[28:29]
	s_cbranch_execz .LBB30_704
; %bb.699:
	s_mov_b32 s30, 0x387fffff
	v_cmp_lt_u32_e32 vcc, s30, v5
                                        ; implicit-def: $vgpr4
	s_and_saveexec_b64 s[30:31], vcc
	s_xor_b64 s[30:31], exec, s[30:31]
; %bb.700:
	v_bfe_u32 v4, v3, 21, 1
	s_mov_b32 s34, 0x80fffff
	v_add3_u32 v4, v3, v4, s34
	v_lshrrev_b32_e32 v4, 21, v4
; %bb.701:
	s_andn2_saveexec_b64 s[30:31], s[30:31]
; %bb.702:
	s_mov_b32 s34, 0x43000000
	v_add_f32_e64 v4, |v3|, s34
; %bb.703:
	s_or_b64 exec, exec, s[30:31]
                                        ; implicit-def: $vgpr5
.LBB30_704:
	s_andn2_saveexec_b64 s[28:29], s[28:29]
; %bb.705:
	s_mov_b32 s30, 0x7f800000
	v_mov_b32_e32 v4, 0x7c
	v_mov_b32_e32 v6, 0x7f
	v_cmp_lt_u32_e32 vcc, s30, v5
	v_cndmask_b32_e32 v4, v4, v6, vcc
; %bb.706:
	s_or_b64 exec, exec, s[28:29]
	v_lshrrev_b32_e32 v3, 24, v3
	s_movk_i32 s28, 0x80
	v_and_or_b32 v3, v3, s28, v4
	global_store_byte v[0:1], v3, off
.LBB30_707:
	s_mov_b64 s[30:31], 0
	s_mov_b64 s[28:29], -1
.LBB30_708:
	s_andn2_b64 vcc, exec, s[30:31]
	s_cbranch_vccnz .LBB30_716
; %bb.709:
	s_cmp_gt_i32 s37, 14
	s_mov_b64 s[30:31], -1
	s_cbranch_scc0 .LBB30_713
; %bb.710:
	s_cmp_eq_u32 s37, 15
	s_mov_b64 s[0:1], -1
	s_cbranch_scc0 .LBB30_712
; %bb.711:
	v_bfe_i32 v3, v2, 0, 8
	v_cvt_f32_i32_sdwa v3, sext(v3) dst_sel:DWORD dst_unused:UNUSED_PAD src0_sel:WORD_0
	s_movk_i32 s0, 0x7fff
	s_mov_b64 s[28:29], -1
	v_bfe_u32 v4, v3, 16, 1
	v_add3_u32 v3, v3, v4, s0
	global_store_short_d16_hi v[0:1], v3, off
	s_mov_b64 s[0:1], 0
.LBB30_712:
	s_mov_b64 s[30:31], 0
.LBB30_713:
	s_and_b64 vcc, exec, s[30:31]
	s_cbranch_vccz .LBB30_716
; %bb.714:
	s_cmp_eq_u32 s37, 11
	s_mov_b64 s[0:1], -1
	s_cbranch_scc0 .LBB30_716
; %bb.715:
	v_mov_b32_e32 v3, 0
	v_cmp_ne_u16_sdwa s[0:1], v2, v3 src0_sel:BYTE_0 src1_sel:DWORD
	v_cndmask_b32_e64 v3, 0, 1, s[0:1]
	s_mov_b64 s[28:29], -1
	s_mov_b64 s[0:1], 0
	global_store_byte v[0:1], v3, off
.LBB30_716:
	s_mov_b64 s[30:31], 0
.LBB30_717:
	s_and_b64 vcc, exec, s[30:31]
	s_cbranch_vccz .LBB30_756
; %bb.718:
	s_and_b32 s30, 0xffff, s36
	s_cmp_lt_i32 s30, 5
	s_mov_b64 s[28:29], -1
	s_cbranch_scc1 .LBB30_739
; %bb.719:
	s_cmp_lt_i32 s30, 8
	s_cbranch_scc1 .LBB30_729
; %bb.720:
	s_cmp_lt_i32 s30, 9
	s_cbranch_scc1 .LBB30_726
; %bb.721:
	s_cmp_gt_i32 s30, 9
	s_cbranch_scc0 .LBB30_723
; %bb.722:
	v_bfe_i32 v3, v2, 0, 8
	v_bfe_i32 v3, v3, 0, 16
	v_cvt_f64_i32_e32 v[3:4], v3
	v_mov_b32_e32 v5, 0
	v_mov_b32_e32 v6, v5
	s_mov_b64 s[28:29], 0
	global_store_dwordx4 v[0:1], v[3:6], off
.LBB30_723:
	s_andn2_b64 vcc, exec, s[28:29]
	s_cbranch_vccnz .LBB30_725
; %bb.724:
	v_bfe_i32 v3, v2, 0, 8
	v_cvt_f32_i32_sdwa v3, sext(v3) dst_sel:DWORD dst_unused:UNUSED_PAD src0_sel:WORD_0
	v_mov_b32_e32 v4, 0
	global_store_dwordx2 v[0:1], v[3:4], off
.LBB30_725:
	s_mov_b64 s[28:29], 0
.LBB30_726:
	s_andn2_b64 vcc, exec, s[28:29]
	s_cbranch_vccnz .LBB30_728
; %bb.727:
	v_cvt_f16_i16_sdwa v3, sext(v2) dst_sel:DWORD dst_unused:UNUSED_PAD src0_sel:BYTE_0
	global_store_dword v[0:1], v3, off
.LBB30_728:
	s_mov_b64 s[28:29], 0
.LBB30_729:
	s_andn2_b64 vcc, exec, s[28:29]
	s_cbranch_vccnz .LBB30_738
; %bb.730:
	s_cmp_lt_i32 s30, 6
	s_mov_b64 s[28:29], -1
	s_cbranch_scc1 .LBB30_736
; %bb.731:
	s_cmp_gt_i32 s30, 6
	s_cbranch_scc0 .LBB30_733
; %bb.732:
	v_bfe_i32 v3, v2, 0, 8
	v_bfe_i32 v3, v3, 0, 16
	v_cvt_f64_i32_e32 v[3:4], v3
	s_mov_b64 s[28:29], 0
	global_store_dwordx2 v[0:1], v[3:4], off
.LBB30_733:
	s_andn2_b64 vcc, exec, s[28:29]
	s_cbranch_vccnz .LBB30_735
; %bb.734:
	v_bfe_i32 v3, v2, 0, 8
	v_cvt_f32_i32_sdwa v3, sext(v3) dst_sel:DWORD dst_unused:UNUSED_PAD src0_sel:WORD_0
	global_store_dword v[0:1], v3, off
.LBB30_735:
	s_mov_b64 s[28:29], 0
.LBB30_736:
	s_andn2_b64 vcc, exec, s[28:29]
	s_cbranch_vccnz .LBB30_738
; %bb.737:
	v_cvt_f16_i16_sdwa v3, sext(v2) dst_sel:DWORD dst_unused:UNUSED_PAD src0_sel:BYTE_0
	global_store_short v[0:1], v3, off
.LBB30_738:
	s_mov_b64 s[28:29], 0
.LBB30_739:
	s_andn2_b64 vcc, exec, s[28:29]
	s_cbranch_vccnz .LBB30_755
; %bb.740:
	s_cmp_lt_i32 s30, 2
	s_mov_b64 s[28:29], -1
	s_cbranch_scc1 .LBB30_750
; %bb.741:
	s_cmp_lt_i32 s30, 3
	s_cbranch_scc1 .LBB30_747
; %bb.742:
	s_cmp_gt_i32 s30, 3
	s_cbranch_scc0 .LBB30_744
; %bb.743:
	v_bfe_i32 v3, v2, 0, 8
	v_ashrrev_i32_e32 v4, 31, v3
	s_mov_b64 s[28:29], 0
	global_store_dwordx2 v[0:1], v[3:4], off
.LBB30_744:
	s_andn2_b64 vcc, exec, s[28:29]
	s_cbranch_vccnz .LBB30_746
; %bb.745:
	v_bfe_i32 v3, v2, 0, 8
	global_store_dword v[0:1], v3, off
.LBB30_746:
	s_mov_b64 s[28:29], 0
.LBB30_747:
	s_andn2_b64 vcc, exec, s[28:29]
	s_cbranch_vccnz .LBB30_749
; %bb.748:
	v_bfe_i32 v3, v2, 0, 8
	global_store_short v[0:1], v3, off
.LBB30_749:
	s_mov_b64 s[28:29], 0
.LBB30_750:
	s_andn2_b64 vcc, exec, s[28:29]
	s_cbranch_vccnz .LBB30_755
; %bb.751:
	s_cmp_gt_i32 s30, 0
	s_mov_b64 s[28:29], -1
	s_cbranch_scc0 .LBB30_753
; %bb.752:
	s_mov_b64 s[28:29], 0
	global_store_byte v[0:1], v2, off
.LBB30_753:
	s_andn2_b64 vcc, exec, s[28:29]
	s_cbranch_vccnz .LBB30_755
; %bb.754:
	global_store_byte v[0:1], v2, off
.LBB30_755:
	s_mov_b64 s[28:29], -1
.LBB30_756:
	s_andn2_b64 vcc, exec, s[28:29]
	s_cbranch_vccnz .LBB30_758
; %bb.757:
	v_add_u32_e32 v10, 0x80, v10
	s_mov_b64 s[30:31], -1
	s_branch .LBB30_759
.LBB30_758:
	s_mov_b64 s[30:31], 0
                                        ; implicit-def: $vgpr10
.LBB30_759:
	s_andn2_b64 s[28:29], s[20:21], exec
	s_and_b64 s[0:1], s[0:1], exec
	s_or_b64 s[28:29], s[28:29], s[0:1]
	s_andn2_b64 s[0:1], s[18:19], exec
	s_and_b64 s[26:27], s[26:27], exec
	s_or_b64 s[0:1], s[0:1], s[26:27]
	s_orn2_b64 s[34:35], s[30:31], exec
.LBB30_760:
	s_or_b64 exec, exec, s[24:25]
	s_mov_b64 s[30:31], 0
	s_mov_b64 s[26:27], 0
	;; [unrolled: 1-line block ×3, first 2 shown]
                                        ; implicit-def: $sgpr43
                                        ; implicit-def: $vgpr0_vgpr1
                                        ; implicit-def: $vgpr2
	s_and_saveexec_b64 s[24:25], s[34:35]
	s_cbranch_execz .LBB30_841
; %bb.761:
	v_cmp_gt_i32_e32 vcc, s38, v10
	s_mov_b64 s[34:35], 0
	s_mov_b64 s[38:39], s[0:1]
	;; [unrolled: 1-line block ×3, first 2 shown]
                                        ; implicit-def: $sgpr43
                                        ; implicit-def: $vgpr0_vgpr1
                                        ; implicit-def: $vgpr2
	s_and_saveexec_b64 s[26:27], vcc
	s_cbranch_execz .LBB30_840
; %bb.762:
	v_mul_lo_u32 v0, v10, s3
	v_mov_b32_e32 v1, s11
	s_and_b32 s43, s42, 0xff
	s_cmp_lt_i32 s43, 11
	s_waitcnt vmcnt(0)
	v_ashrrev_i32_e32 v2, 31, v0
	v_add_co_u32_e32 v0, vcc, s10, v0
	v_addc_co_u32_e32 v1, vcc, v1, v2, vcc
	s_cbranch_scc1 .LBB30_769
; %bb.763:
	s_and_b32 s40, 0xffff, s43
	s_cmp_gt_i32 s40, 25
	s_cbranch_scc0 .LBB30_770
; %bb.764:
	s_cmp_gt_i32 s40, 28
	s_cbranch_scc0 .LBB30_771
; %bb.765:
	;; [unrolled: 3-line block ×4, first 2 shown]
	s_cmp_eq_u32 s40, 46
	s_mov_b64 s[38:39], 0
	s_cbranch_scc0 .LBB30_778
; %bb.768:
	global_load_dword v2, v[0:1], off
	s_mov_b64 s[36:37], -1
	s_waitcnt vmcnt(0)
	v_lshlrev_b32_e32 v2, 16, v2
	v_cvt_i32_f32_e32 v2, v2
	s_branch .LBB30_780
.LBB30_769:
	s_mov_b64 s[38:39], -1
                                        ; implicit-def: $vgpr2
	s_mov_b64 s[30:31], s[0:1]
	s_branch .LBB30_839
.LBB30_770:
	s_mov_b64 s[38:39], -1
	s_mov_b64 s[30:31], s[0:1]
                                        ; implicit-def: $vgpr2
	s_branch .LBB30_807
.LBB30_771:
	s_mov_b64 s[38:39], -1
	s_mov_b64 s[30:31], s[0:1]
                                        ; implicit-def: $vgpr2
	s_branch .LBB30_790
.LBB30_772:
	s_mov_b64 s[38:39], -1
	s_mov_b64 s[30:31], s[0:1]
                                        ; implicit-def: $vgpr2
	s_branch .LBB30_785
.LBB30_773:
	s_andn2_saveexec_b64 s[34:35], s[34:35]
	s_cbranch_execz .LBB30_669
.LBB30_774:
	s_mov_b32 s39, 0x46000000
	v_add_f32_e64 v4, |v3|, s39
	v_and_b32_e32 v4, 0xff, v4
	v_cmp_ne_u32_e32 vcc, 0, v4
	s_andn2_b64 s[30:31], s[30:31], exec
	s_and_b64 s[40:41], vcc, exec
	s_or_b64 s[30:31], s[30:31], s[40:41]
	s_or_b64 exec, exec, s[34:35]
	v_mov_b32_e32 v5, 0
	s_and_saveexec_b64 s[34:35], s[30:31]
	s_cbranch_execnz .LBB30_670
	s_branch .LBB30_671
.LBB30_775:
	s_mov_b64 s[38:39], -1
	s_mov_b64 s[30:31], s[0:1]
	s_branch .LBB30_779
.LBB30_776:
	s_andn2_saveexec_b64 s[34:35], s[34:35]
	s_cbranch_execz .LBB30_682
.LBB30_777:
	s_mov_b32 s39, 0x42800000
	v_add_f32_e64 v4, |v3|, s39
	v_and_b32_e32 v4, 0xff, v4
	v_cmp_ne_u32_e32 vcc, 0, v4
	s_andn2_b64 s[30:31], s[30:31], exec
	s_and_b64 s[40:41], vcc, exec
	s_or_b64 s[30:31], s[30:31], s[40:41]
	s_or_b64 exec, exec, s[34:35]
	v_mov_b32_e32 v5, 0
	s_and_saveexec_b64 s[34:35], s[30:31]
	s_cbranch_execnz .LBB30_683
	s_branch .LBB30_684
.LBB30_778:
	s_mov_b64 s[30:31], -1
.LBB30_779:
                                        ; implicit-def: $vgpr2
.LBB30_780:
	s_and_b64 vcc, exec, s[38:39]
	s_cbranch_vccz .LBB30_784
; %bb.781:
	s_cmp_eq_u32 s40, 44
	s_cbranch_scc0 .LBB30_783
; %bb.782:
	global_load_ubyte v2, v[0:1], off
	s_mov_b64 s[30:31], 0
	s_mov_b64 s[36:37], -1
	s_waitcnt vmcnt(0)
	v_lshlrev_b32_e32 v3, 23, v2
	v_cvt_i32_f32_e32 v3, v3
	v_cmp_ne_u32_e32 vcc, 0, v2
	v_cndmask_b32_e32 v2, 0, v3, vcc
	s_branch .LBB30_784
.LBB30_783:
	s_mov_b64 s[30:31], -1
                                        ; implicit-def: $vgpr2
.LBB30_784:
	s_mov_b64 s[38:39], 0
.LBB30_785:
	s_and_b64 vcc, exec, s[38:39]
	s_cbranch_vccz .LBB30_789
; %bb.786:
	s_cmp_eq_u32 s40, 29
	s_cbranch_scc0 .LBB30_788
; %bb.787:
	global_load_dwordx2 v[2:3], v[0:1], off
	s_mov_b64 s[30:31], 0
	s_mov_b64 s[36:37], -1
	s_branch .LBB30_789
.LBB30_788:
	s_mov_b64 s[30:31], -1
                                        ; implicit-def: $vgpr2
.LBB30_789:
	s_mov_b64 s[38:39], 0
.LBB30_790:
	s_and_b64 vcc, exec, s[38:39]
	s_cbranch_vccz .LBB30_806
; %bb.791:
	s_cmp_lt_i32 s40, 27
	s_cbranch_scc1 .LBB30_794
; %bb.792:
	s_cmp_gt_i32 s40, 27
	s_cbranch_scc0 .LBB30_795
; %bb.793:
	global_load_dword v2, v[0:1], off
	s_mov_b64 s[36:37], 0
	s_branch .LBB30_796
.LBB30_794:
	s_mov_b64 s[36:37], -1
                                        ; implicit-def: $vgpr2
	s_branch .LBB30_799
.LBB30_795:
	s_mov_b64 s[36:37], -1
                                        ; implicit-def: $vgpr2
.LBB30_796:
	s_andn2_b64 vcc, exec, s[36:37]
	s_cbranch_vccnz .LBB30_798
; %bb.797:
	global_load_ushort v2, v[0:1], off
.LBB30_798:
	s_mov_b64 s[36:37], 0
.LBB30_799:
	s_andn2_b64 vcc, exec, s[36:37]
	s_cbranch_vccnz .LBB30_805
; %bb.800:
	global_load_ubyte v3, v[0:1], off
	s_movk_i32 s36, 0x7f
	s_mov_b64 s[38:39], 0
	s_waitcnt vmcnt(0)
	v_cmp_lt_i16_e32 vcc, s36, v3
	s_and_saveexec_b64 s[36:37], vcc
	s_xor_b64 s[36:37], exec, s[36:37]
	s_cbranch_execz .LBB30_817
; %bb.801:
	s_movk_i32 s38, 0x80
	v_cmp_ne_u16_e32 vcc, s38, v3
	s_and_b64 s[38:39], vcc, exec
	s_andn2_saveexec_b64 s[36:37], s[36:37]
	s_cbranch_execnz .LBB30_818
.LBB30_802:
	s_or_b64 exec, exec, s[36:37]
	v_mov_b32_e32 v2, 0
	s_and_saveexec_b64 s[36:37], s[38:39]
	s_cbranch_execz .LBB30_804
.LBB30_803:
	v_lshlrev_b32_e32 v2, 24, v3
	v_and_b32_e32 v3, 0xffff, v3
	v_and_b32_e32 v4, 7, v3
	v_ffbh_u32_e32 v6, v4
	v_min_u32_e32 v6, 32, v6
	v_subrev_u32_e32 v7, 28, v6
	v_bfe_u32 v5, v3, 3, 4
	v_lshlrev_b32_e32 v3, v7, v3
	v_sub_u32_e32 v6, 29, v6
	v_and_b32_e32 v3, 7, v3
	v_cmp_eq_u32_e32 vcc, 0, v5
	v_cndmask_b32_e32 v5, v5, v6, vcc
	v_cndmask_b32_e32 v3, v4, v3, vcc
	v_mov_b32_e32 v4, 0x3b800000
	v_lshlrev_b32_e32 v3, 20, v3
	v_and_b32_e32 v2, 0x80000000, v2
	v_lshl_add_u32 v4, v5, 23, v4
	v_or3_b32 v2, v2, v4, v3
	v_cvt_i32_f32_e32 v2, v2
.LBB30_804:
	s_or_b64 exec, exec, s[36:37]
.LBB30_805:
	s_mov_b64 s[36:37], -1
.LBB30_806:
	s_mov_b64 s[38:39], 0
.LBB30_807:
	s_and_b64 vcc, exec, s[38:39]
	s_cbranch_vccz .LBB30_838
; %bb.808:
	s_cmp_gt_i32 s40, 22
	s_cbranch_scc0 .LBB30_816
; %bb.809:
	s_cmp_lt_i32 s40, 24
	s_cbranch_scc1 .LBB30_819
; %bb.810:
	s_cmp_gt_i32 s40, 24
	s_cbranch_scc0 .LBB30_820
; %bb.811:
	global_load_ubyte v3, v[0:1], off
	s_movk_i32 s34, 0x7f
	s_mov_b64 s[36:37], 0
	s_waitcnt vmcnt(0)
	v_cmp_lt_i16_e32 vcc, s34, v3
	s_and_saveexec_b64 s[34:35], vcc
	s_xor_b64 s[34:35], exec, s[34:35]
	s_cbranch_execz .LBB30_832
; %bb.812:
	s_movk_i32 s36, 0x80
	v_cmp_ne_u16_e32 vcc, s36, v3
	s_and_b64 s[36:37], vcc, exec
	s_andn2_saveexec_b64 s[34:35], s[34:35]
	s_cbranch_execnz .LBB30_833
.LBB30_813:
	s_or_b64 exec, exec, s[34:35]
	v_mov_b32_e32 v2, 0
	s_and_saveexec_b64 s[34:35], s[36:37]
	s_cbranch_execz .LBB30_815
.LBB30_814:
	v_lshlrev_b32_e32 v2, 24, v3
	v_and_b32_e32 v3, 0xffff, v3
	v_and_b32_e32 v4, 3, v3
	v_ffbh_u32_e32 v6, v4
	v_min_u32_e32 v6, 32, v6
	v_subrev_u32_e32 v7, 29, v6
	v_bfe_u32 v5, v3, 2, 5
	v_lshlrev_b32_e32 v3, v7, v3
	v_sub_u32_e32 v6, 30, v6
	v_and_b32_e32 v3, 3, v3
	v_cmp_eq_u32_e32 vcc, 0, v5
	v_cndmask_b32_e32 v5, v5, v6, vcc
	v_cndmask_b32_e32 v3, v4, v3, vcc
	v_mov_b32_e32 v4, 0x37800000
	v_lshlrev_b32_e32 v3, 21, v3
	v_and_b32_e32 v2, 0x80000000, v2
	v_lshl_add_u32 v4, v5, 23, v4
	v_or3_b32 v2, v2, v4, v3
	v_cvt_i32_f32_e32 v2, v2
.LBB30_815:
	s_or_b64 exec, exec, s[34:35]
	s_mov_b64 s[34:35], 0
	s_branch .LBB30_821
.LBB30_816:
	s_mov_b64 s[34:35], -1
                                        ; implicit-def: $vgpr2
	s_branch .LBB30_827
.LBB30_817:
	s_andn2_saveexec_b64 s[36:37], s[36:37]
	s_cbranch_execz .LBB30_802
.LBB30_818:
	v_cmp_ne_u16_e32 vcc, 0, v3
	s_andn2_b64 s[38:39], s[38:39], exec
	s_and_b64 s[44:45], vcc, exec
	s_or_b64 s[38:39], s[38:39], s[44:45]
	s_or_b64 exec, exec, s[36:37]
	v_mov_b32_e32 v2, 0
	s_and_saveexec_b64 s[36:37], s[38:39]
	s_cbranch_execnz .LBB30_803
	s_branch .LBB30_804
.LBB30_819:
	s_mov_b64 s[34:35], -1
                                        ; implicit-def: $vgpr2
	s_branch .LBB30_824
.LBB30_820:
	s_mov_b64 s[34:35], -1
                                        ; implicit-def: $vgpr2
.LBB30_821:
	s_and_b64 vcc, exec, s[34:35]
	s_cbranch_vccz .LBB30_823
; %bb.822:
	global_load_ubyte v2, v[0:1], off
	s_mov_b32 s34, 0x7f800000
	s_waitcnt vmcnt(0)
	v_lshlrev_b32_e32 v2, 24, v2
	v_and_b32_e32 v3, 0x7f000000, v2
	v_ffbh_u32_e32 v4, v3
	v_min_u32_e32 v4, 32, v4
	v_sub_u32_e64 v4, v4, 4 clamp
	v_lshlrev_b32_e32 v6, v4, v3
	v_lshlrev_b32_e32 v4, 23, v4
	v_lshrrev_b32_e32 v6, 4, v6
	v_add_u32_e32 v5, 0x1000000, v3
	v_sub_u32_e32 v4, v6, v4
	v_ashrrev_i32_e32 v5, 8, v5
	v_add_u32_e32 v4, 0x3c000000, v4
	v_and_or_b32 v4, v5, s34, v4
	v_cmp_ne_u32_e32 vcc, 0, v3
	v_cndmask_b32_e32 v3, 0, v4, vcc
	s_brev_b32 s34, 1
	v_and_or_b32 v2, v2, s34, v3
	v_cvt_i32_f32_e32 v2, v2
.LBB30_823:
	s_mov_b64 s[34:35], 0
.LBB30_824:
	s_andn2_b64 vcc, exec, s[34:35]
	s_cbranch_vccnz .LBB30_826
; %bb.825:
	global_load_ubyte v2, v[0:1], off
	s_movk_i32 s34, 0x7f00
	s_brev_b32 s35, 16
	s_waitcnt vmcnt(0)
	v_lshlrev_b16_e32 v3, 8, v2
	v_lshlrev_b32_e32 v2, 25, v2
	v_lshrrev_b32_e32 v4, 4, v2
	v_and_or_b32 v5, v3, s34, 0.5
	v_or_b32_e32 v4, 0x70000000, v4
	v_add_f32_e32 v5, -0.5, v5
	v_mul_f32_e32 v4, 0x7800000, v4
	v_cmp_gt_u32_e32 vcc, s35, v2
	v_bfe_i32 v3, v3, 0, 16
	v_cndmask_b32_e32 v2, v4, v5, vcc
	s_brev_b32 s34, 1
	v_and_or_b32 v2, v3, s34, v2
	v_cvt_i32_f32_e32 v2, v2
.LBB30_826:
	s_mov_b64 s[34:35], 0
	s_mov_b64 s[36:37], -1
.LBB30_827:
	s_andn2_b64 vcc, exec, s[34:35]
	s_mov_b64 s[34:35], 0
	s_cbranch_vccnz .LBB30_838
; %bb.828:
	s_cmp_gt_i32 s40, 14
	s_cbranch_scc0 .LBB30_831
; %bb.829:
	s_cmp_eq_u32 s40, 15
	s_cbranch_scc0 .LBB30_834
; %bb.830:
	global_load_ushort v2, v[0:1], off
	s_mov_b64 s[30:31], 0
	s_mov_b64 s[36:37], -1
	s_waitcnt vmcnt(0)
	v_lshlrev_b32_e32 v2, 16, v2
	v_cvt_i32_f32_e32 v2, v2
	s_branch .LBB30_835
.LBB30_831:
	s_mov_b64 s[38:39], -1
                                        ; implicit-def: $vgpr2
	s_branch .LBB30_836
.LBB30_832:
	s_andn2_saveexec_b64 s[34:35], s[34:35]
	s_cbranch_execz .LBB30_813
.LBB30_833:
	v_cmp_ne_u16_e32 vcc, 0, v3
	s_andn2_b64 s[36:37], s[36:37], exec
	s_and_b64 s[38:39], vcc, exec
	s_or_b64 s[36:37], s[36:37], s[38:39]
	s_or_b64 exec, exec, s[34:35]
	v_mov_b32_e32 v2, 0
	s_and_saveexec_b64 s[34:35], s[36:37]
	s_cbranch_execnz .LBB30_814
	s_branch .LBB30_815
.LBB30_834:
	s_mov_b64 s[30:31], -1
                                        ; implicit-def: $vgpr2
.LBB30_835:
	s_mov_b64 s[38:39], 0
.LBB30_836:
	s_and_b64 vcc, exec, s[38:39]
	s_cbranch_vccz .LBB30_838
; %bb.837:
	s_cmp_lg_u32 s40, 11
	s_cselect_b64 s[38:39], -1, 0
	s_andn2_b64 s[30:31], s[30:31], exec
	s_and_b64 s[38:39], s[38:39], exec
	s_mov_b64 s[34:35], -1
	s_or_b64 s[30:31], s[30:31], s[38:39]
.LBB30_838:
	s_mov_b64 s[38:39], 0
.LBB30_839:
	s_and_b64 s[40:41], s[38:39], exec
	s_andn2_b64 s[38:39], s[0:1], exec
	s_and_b64 s[30:31], s[30:31], exec
	s_and_b64 s[36:37], s[36:37], exec
	s_and_b64 s[34:35], s[34:35], exec
	s_or_b64 s[38:39], s[38:39], s[30:31]
.LBB30_840:
	s_or_b64 exec, exec, s[26:27]
	s_and_b64 s[30:31], s[34:35], exec
	s_andn2_b64 s[0:1], s[0:1], exec
	s_and_b64 s[34:35], s[38:39], exec
	s_and_b64 s[36:37], s[36:37], exec
	s_and_b64 s[26:27], s[40:41], exec
	s_or_b64 s[0:1], s[0:1], s[34:35]
.LBB30_841:
	s_or_b64 exec, exec, s[24:25]
	s_andn2_b64 s[20:21], s[20:21], exec
	s_and_b64 s[24:25], s[28:29], exec
	s_andn2_b64 s[18:19], s[18:19], exec
	s_and_b64 s[0:1], s[0:1], exec
	s_or_b64 s[20:21], s[20:21], s[24:25]
	s_and_b64 s[28:29], s[36:37], exec
	s_and_b64 s[26:27], s[26:27], exec
	;; [unrolled: 1-line block ×3, first 2 shown]
	s_or_b64 s[18:19], s[18:19], s[0:1]
.LBB30_842:
	s_or_b64 exec, exec, s[22:23]
	s_andn2_b64 s[0:1], s[6:7], exec
	s_and_b64 s[6:7], s[20:21], exec
	s_andn2_b64 s[14:15], s[14:15], exec
	s_and_b64 s[18:19], s[18:19], exec
	s_or_b64 s[6:7], s[0:1], s[6:7]
	s_and_b64 s[0:1], s[28:29], exec
	s_and_b64 s[22:23], s[26:27], exec
	;; [unrolled: 1-line block ×3, first 2 shown]
	s_or_b64 s[14:15], s[14:15], s[18:19]
	s_or_b64 exec, exec, s[16:17]
	s_mov_b64 s[16:17], 0
	s_and_saveexec_b64 s[18:19], s[14:15]
	s_cbranch_execz .LBB30_258
.LBB30_843:
	s_mov_b64 s[16:17], exec
	s_andn2_b64 s[20:21], s[20:21], exec
	s_trap 2
	s_or_b64 exec, exec, s[18:19]
	s_and_saveexec_b64 s[14:15], s[20:21]
	s_xor_b64 s[14:15], exec, s[14:15]
	s_cbranch_execnz .LBB30_259
.LBB30_844:
	s_or_b64 exec, exec, s[14:15]
	s_and_saveexec_b64 s[14:15], s[22:23]
	s_cbranch_execz .LBB30_890
.LBB30_845:
	s_sext_i32_i16 s18, s43
	s_cmp_lt_i32 s18, 5
	s_cbranch_scc1 .LBB30_850
; %bb.846:
	s_cmp_lt_i32 s18, 8
	s_cbranch_scc1 .LBB30_851
; %bb.847:
	;; [unrolled: 3-line block ×3, first 2 shown]
	s_cmp_gt_i32 s18, 9
	s_cbranch_scc0 .LBB30_853
; %bb.849:
	global_load_dwordx2 v[2:3], v[0:1], off
	s_mov_b64 s[18:19], 0
	s_waitcnt vmcnt(0)
	v_cvt_i32_f64_e32 v2, v[2:3]
	s_branch .LBB30_854
.LBB30_850:
                                        ; implicit-def: $vgpr2
	s_branch .LBB30_871
.LBB30_851:
                                        ; implicit-def: $vgpr2
	s_branch .LBB30_860
.LBB30_852:
	s_mov_b64 s[18:19], -1
                                        ; implicit-def: $vgpr2
	s_branch .LBB30_857
.LBB30_853:
	s_mov_b64 s[18:19], -1
                                        ; implicit-def: $vgpr2
.LBB30_854:
	s_andn2_b64 vcc, exec, s[18:19]
	s_cbranch_vccnz .LBB30_856
; %bb.855:
	global_load_dword v2, v[0:1], off
	s_waitcnt vmcnt(0)
	v_cvt_i32_f32_e32 v2, v2
.LBB30_856:
	s_mov_b64 s[18:19], 0
.LBB30_857:
	s_andn2_b64 vcc, exec, s[18:19]
	s_cbranch_vccnz .LBB30_859
; %bb.858:
	global_load_dword v2, v[0:1], off
	s_waitcnt vmcnt(0)
	v_cvt_i16_f16_e32 v2, v2
.LBB30_859:
	s_cbranch_execnz .LBB30_870
.LBB30_860:
	s_sext_i32_i16 s18, s43
	s_cmp_lt_i32 s18, 6
	s_cbranch_scc1 .LBB30_863
; %bb.861:
	s_cmp_gt_i32 s18, 6
	s_cbranch_scc0 .LBB30_864
; %bb.862:
	global_load_dwordx2 v[2:3], v[0:1], off
	s_mov_b64 s[18:19], 0
	s_waitcnt vmcnt(0)
	v_cvt_i32_f64_e32 v2, v[2:3]
	s_branch .LBB30_865
.LBB30_863:
	s_mov_b64 s[18:19], -1
                                        ; implicit-def: $vgpr2
	s_branch .LBB30_868
.LBB30_864:
	s_mov_b64 s[18:19], -1
                                        ; implicit-def: $vgpr2
.LBB30_865:
	s_andn2_b64 vcc, exec, s[18:19]
	s_cbranch_vccnz .LBB30_867
; %bb.866:
	global_load_dword v2, v[0:1], off
	s_waitcnt vmcnt(0)
	v_cvt_i32_f32_e32 v2, v2
.LBB30_867:
	s_mov_b64 s[18:19], 0
.LBB30_868:
	s_andn2_b64 vcc, exec, s[18:19]
	s_cbranch_vccnz .LBB30_870
; %bb.869:
	global_load_ushort v2, v[0:1], off
	s_waitcnt vmcnt(0)
	v_cvt_i16_f16_e32 v2, v2
.LBB30_870:
	s_cbranch_execnz .LBB30_889
.LBB30_871:
	s_sext_i32_i16 s18, s43
	s_cmp_lt_i32 s18, 2
	s_cbranch_scc1 .LBB30_875
; %bb.872:
	s_cmp_lt_i32 s18, 3
	s_cbranch_scc1 .LBB30_876
; %bb.873:
	s_cmp_gt_i32 s18, 3
	s_cbranch_scc0 .LBB30_877
; %bb.874:
	global_load_dwordx2 v[2:3], v[0:1], off
	s_mov_b64 s[18:19], 0
	s_branch .LBB30_878
.LBB30_875:
                                        ; implicit-def: $vgpr2
	s_branch .LBB30_884
.LBB30_876:
	s_mov_b64 s[18:19], -1
                                        ; implicit-def: $vgpr2
	s_branch .LBB30_881
.LBB30_877:
	s_mov_b64 s[18:19], -1
                                        ; implicit-def: $vgpr2
.LBB30_878:
	s_andn2_b64 vcc, exec, s[18:19]
	s_cbranch_vccnz .LBB30_880
; %bb.879:
	global_load_dword v2, v[0:1], off
.LBB30_880:
	s_mov_b64 s[18:19], 0
.LBB30_881:
	s_andn2_b64 vcc, exec, s[18:19]
	s_cbranch_vccnz .LBB30_883
; %bb.882:
	global_load_ushort v2, v[0:1], off
.LBB30_883:
	s_cbranch_execnz .LBB30_889
.LBB30_884:
	s_sext_i32_i16 s18, s43
	s_cmp_gt_i32 s18, 0
	s_cbranch_scc0 .LBB30_886
; %bb.885:
	global_load_ubyte v2, v[0:1], off
	s_mov_b64 s[18:19], 0
	s_branch .LBB30_887
.LBB30_886:
	s_mov_b64 s[18:19], -1
                                        ; implicit-def: $vgpr2
.LBB30_887:
	s_andn2_b64 vcc, exec, s[18:19]
	s_cbranch_vccnz .LBB30_889
; %bb.888:
	global_load_ubyte v2, v[0:1], off
.LBB30_889:
	s_or_b64 s[0:1], s[0:1], exec
.LBB30_890:
	s_or_b64 exec, exec, s[14:15]
	s_mov_b64 s[20:21], 0
	s_mov_b64 s[18:19], 0
                                        ; implicit-def: $sgpr26
                                        ; implicit-def: $vgpr0_vgpr1
                                        ; implicit-def: $vgpr3
	s_and_saveexec_b64 s[14:15], s[0:1]
	s_cbranch_execz .LBB30_898
; %bb.891:
	v_mul_lo_u32 v1, v10, s2
	s_waitcnt vmcnt(0)
	v_mov_b32_e32 v3, 8
	v_lshlrev_b32_sdwa v0, v2, v9 dst_sel:DWORD dst_unused:UNUSED_PAD src0_sel:DWORD src1_sel:BYTE_0
	v_cmp_lt_u16_sdwa vcc, v2, v3 src0_sel:BYTE_0 src1_sel:DWORD
	v_cndmask_b32_e32 v3, 0, v0, vcc
	v_ashrrev_i32_e32 v2, 31, v1
	v_mov_b32_e32 v4, s9
	s_and_b32 s26, s33, 0xff
	v_add_co_u32_e32 v0, vcc, s8, v1
	s_cmp_lt_i32 s26, 11
	v_addc_co_u32_e32 v1, vcc, v4, v2, vcc
	s_cbranch_scc1 .LBB30_901
; %bb.892:
	s_and_b32 s27, 0xffff, s26
	s_mov_b64 s[20:21], -1
	s_cmp_gt_i32 s27, 25
	s_mov_b64 s[0:1], s[6:7]
	s_cbranch_scc0 .LBB30_929
; %bb.893:
	s_mov_b64 s[18:19], -1
	s_cmp_gt_i32 s27, 28
	s_mov_b64 s[0:1], s[6:7]
	s_cbranch_scc0 .LBB30_913
; %bb.894:
	s_cmp_gt_i32 s27, 43
	s_mov_b64 s[0:1], s[6:7]
	s_cbranch_scc0 .LBB30_909
; %bb.895:
	;; [unrolled: 4-line block ×3, first 2 shown]
	s_cmp_eq_u32 s27, 46
	s_mov_b64 s[0:1], -1
	s_cbranch_scc0 .LBB30_902
; %bb.897:
	v_bfe_i32 v2, v3, 0, 8
	v_cvt_f32_i32_sdwa v2, sext(v2) dst_sel:DWORD dst_unused:UNUSED_PAD src0_sel:WORD_0
	s_movk_i32 s0, 0x7fff
	s_mov_b64 s[18:19], 0
	v_bfe_u32 v4, v2, 16, 1
	v_add3_u32 v2, v2, v4, s0
	v_lshrrev_b32_e32 v2, 16, v2
	global_store_dword v[0:1], v2, off
	s_mov_b64 s[0:1], 0
	s_branch .LBB30_903
.LBB30_898:
	s_or_b64 exec, exec, s[14:15]
	s_and_saveexec_b64 s[0:1], s[6:7]
	s_cbranch_execnz .LBB30_971
.LBB30_899:
	s_or_b64 exec, exec, s[0:1]
	s_and_saveexec_b64 s[0:1], s[20:21]
	s_xor_b64 s[0:1], exec, s[0:1]
	s_cbranch_execz .LBB30_972
.LBB30_900:
	s_waitcnt vmcnt(0)
	v_mov_b32_e32 v2, 0
	v_cmp_ne_u16_sdwa s[6:7], v3, v2 src0_sel:BYTE_0 src1_sel:DWORD
	v_cndmask_b32_e64 v2, 0, 1, s[6:7]
	global_store_byte v[0:1], v2, off
	s_or_b64 exec, exec, s[0:1]
	s_and_saveexec_b64 s[0:1], s[18:19]
	s_xor_b64 s[0:1], exec, s[0:1]
	s_cbranch_execz .LBB30_1010
	s_branch .LBB30_973
.LBB30_901:
	s_mov_b64 s[18:19], -1
	s_mov_b64 s[0:1], s[6:7]
	s_branch .LBB30_970
.LBB30_902:
	s_mov_b64 s[18:19], 0
.LBB30_903:
	s_and_b64 vcc, exec, s[18:19]
	s_cbranch_vccz .LBB30_908
; %bb.904:
	s_cmp_eq_u32 s27, 44
	s_mov_b64 s[0:1], -1
	s_cbranch_scc0 .LBB30_908
; %bb.905:
	v_bfe_i32 v2, v3, 0, 8
	v_cvt_f32_i32_sdwa v2, sext(v2) dst_sel:DWORD dst_unused:UNUSED_PAD src0_sel:WORD_0
	s_movk_i32 s0, 0xff
	v_mov_b32_e32 v5, 0xff
	v_bfe_u32 v4, v2, 23, 8
	v_cmp_ne_u32_e32 vcc, s0, v4
	s_and_saveexec_b64 s[18:19], vcc
; %bb.906:
	s_mov_b32 s0, 0x3fffff
	v_lshrrev_b32_e32 v5, 23, v2
	v_and_b32_e32 v6, 0x400000, v2
	v_and_or_b32 v2, v2, s0, v4
	v_cmp_ne_u32_e32 vcc, 0, v6
	v_cmp_ne_u32_e64 s[0:1], 0, v2
	s_and_b64 s[0:1], vcc, s[0:1]
	v_cndmask_b32_e64 v2, 0, 1, s[0:1]
	v_add_u32_e32 v5, v5, v2
; %bb.907:
	s_or_b64 exec, exec, s[18:19]
	s_mov_b64 s[0:1], 0
	global_store_byte v[0:1], v5, off
.LBB30_908:
	s_mov_b64 s[18:19], 0
.LBB30_909:
	s_and_b64 vcc, exec, s[18:19]
	s_cbranch_vccz .LBB30_912
; %bb.910:
	s_cmp_eq_u32 s27, 29
	s_mov_b64 s[0:1], -1
	s_cbranch_scc0 .LBB30_912
; %bb.911:
	v_bfe_i32 v4, v3, 0, 8
	v_ashrrev_i32_e32 v5, 31, v4
	global_store_dwordx2 v[0:1], v[4:5], off
	s_mov_b64 s[0:1], 0
.LBB30_912:
	s_mov_b64 s[18:19], 0
.LBB30_913:
	s_and_b64 vcc, exec, s[18:19]
	s_cbranch_vccz .LBB30_928
; %bb.914:
	s_cmp_lt_i32 s27, 27
	s_mov_b64 s[18:19], -1
	s_cbranch_scc1 .LBB30_920
; %bb.915:
	s_cmp_gt_i32 s27, 27
	s_cbranch_scc0 .LBB30_917
; %bb.916:
	v_bfe_i32 v2, v3, 0, 8
	s_mov_b64 s[18:19], 0
	global_store_dword v[0:1], v2, off
.LBB30_917:
	s_andn2_b64 vcc, exec, s[18:19]
	s_cbranch_vccnz .LBB30_919
; %bb.918:
	v_bfe_i32 v2, v3, 0, 8
	global_store_short v[0:1], v2, off
.LBB30_919:
	s_mov_b64 s[18:19], 0
.LBB30_920:
	s_andn2_b64 vcc, exec, s[18:19]
	s_cbranch_vccnz .LBB30_928
; %bb.921:
	v_bfe_i32 v2, v3, 0, 8
	v_cvt_f32_i32_sdwa v2, sext(v2) dst_sel:DWORD dst_unused:UNUSED_PAD src0_sel:WORD_0
	s_mov_b32 s18, 0x43800000
	v_mov_b32_e32 v5, 0x80
	v_and_b32_e32 v4, 0x7fffffff, v2
	v_cmp_gt_u32_e32 vcc, s18, v4
	s_and_saveexec_b64 s[18:19], vcc
	s_cbranch_execz .LBB30_927
; %bb.922:
	s_mov_b32 s20, 0x3bffffff
	v_cmp_lt_u32_e32 vcc, s20, v4
	s_mov_b64 s[20:21], 0
                                        ; implicit-def: $vgpr4
	s_and_saveexec_b64 s[22:23], vcc
	s_xor_b64 s[22:23], exec, s[22:23]
	s_cbranch_execz .LBB30_1025
; %bb.923:
	v_bfe_u32 v4, v2, 20, 1
	s_mov_b32 s24, 0x487ffff
	v_add3_u32 v4, v2, v4, s24
	s_mov_b64 s[20:21], exec
	v_lshrrev_b32_e32 v4, 20, v4
	s_andn2_saveexec_b64 s[22:23], s[22:23]
	s_cbranch_execnz .LBB30_1026
.LBB30_924:
	s_or_b64 exec, exec, s[22:23]
	v_mov_b32_e32 v5, 0
	s_and_saveexec_b64 s[22:23], s[20:21]
.LBB30_925:
	v_lshrrev_b32_e32 v2, 24, v2
	s_movk_i32 s20, 0x80
	v_and_or_b32 v5, v2, s20, v4
.LBB30_926:
	s_or_b64 exec, exec, s[22:23]
.LBB30_927:
	s_or_b64 exec, exec, s[18:19]
	global_store_byte v[0:1], v5, off
.LBB30_928:
	s_mov_b64 s[20:21], 0
.LBB30_929:
	s_mov_b64 s[18:19], 0
	s_and_b64 vcc, exec, s[20:21]
	s_cbranch_vccz .LBB30_969
; %bb.930:
	s_cmp_gt_i32 s27, 22
	s_mov_b64 s[20:21], -1
	s_cbranch_scc0 .LBB30_962
; %bb.931:
	s_cmp_lt_i32 s27, 24
	s_cbranch_scc1 .LBB30_951
; %bb.932:
	s_cmp_gt_i32 s27, 24
	s_cbranch_scc0 .LBB30_940
; %bb.933:
	v_bfe_i32 v2, v3, 0, 8
	v_cvt_f32_i32_sdwa v2, sext(v2) dst_sel:DWORD dst_unused:UNUSED_PAD src0_sel:WORD_0
	s_mov_b32 s20, 0x47800000
	v_mov_b32_e32 v5, 0x80
	v_and_b32_e32 v4, 0x7fffffff, v2
	v_cmp_gt_u32_e32 vcc, s20, v4
	s_and_saveexec_b64 s[20:21], vcc
	s_cbranch_execz .LBB30_939
; %bb.934:
	s_mov_b32 s22, 0x37ffffff
	v_cmp_lt_u32_e32 vcc, s22, v4
	s_mov_b64 s[22:23], 0
                                        ; implicit-def: $vgpr4
	s_and_saveexec_b64 s[24:25], vcc
	s_xor_b64 s[24:25], exec, s[24:25]
	s_cbranch_execz .LBB30_1145
; %bb.935:
	v_bfe_u32 v4, v2, 21, 1
	s_mov_b32 s28, 0x88fffff
	v_add3_u32 v4, v2, v4, s28
	s_mov_b64 s[22:23], exec
	v_lshrrev_b32_e32 v4, 21, v4
	s_andn2_saveexec_b64 s[24:25], s[24:25]
	s_cbranch_execnz .LBB30_1146
.LBB30_936:
	s_or_b64 exec, exec, s[24:25]
	v_mov_b32_e32 v5, 0
	s_and_saveexec_b64 s[24:25], s[22:23]
.LBB30_937:
	v_lshrrev_b32_e32 v2, 24, v2
	s_movk_i32 s22, 0x80
	v_and_or_b32 v5, v2, s22, v4
.LBB30_938:
	s_or_b64 exec, exec, s[24:25]
.LBB30_939:
	s_or_b64 exec, exec, s[20:21]
	s_mov_b64 s[20:21], 0
	global_store_byte v[0:1], v5, off
.LBB30_940:
	s_and_b64 vcc, exec, s[20:21]
	s_cbranch_vccz .LBB30_950
; %bb.941:
	v_bfe_i32 v2, v3, 0, 8
	v_cvt_f32_i32_sdwa v2, sext(v2) dst_sel:DWORD dst_unused:UNUSED_PAD src0_sel:WORD_0
	s_mov_b32 s20, 0x43f00000
                                        ; implicit-def: $vgpr4
	v_and_b32_e32 v5, 0x7fffffff, v2
	v_cmp_gt_u32_e32 vcc, s20, v5
	s_and_saveexec_b64 s[20:21], vcc
	s_xor_b64 s[20:21], exec, s[20:21]
	s_cbranch_execz .LBB30_947
; %bb.942:
	s_mov_b32 s22, 0x3c7fffff
	v_cmp_lt_u32_e32 vcc, s22, v5
                                        ; implicit-def: $vgpr4
	s_and_saveexec_b64 s[22:23], vcc
	s_xor_b64 s[22:23], exec, s[22:23]
; %bb.943:
	v_bfe_u32 v4, v2, 20, 1
	s_mov_b32 s24, 0x407ffff
	v_add3_u32 v4, v2, v4, s24
	v_lshrrev_b32_e32 v5, 20, v4
	v_and_b32_e32 v4, 0xff00000, v4
	s_mov_b32 s24, 0x7f00000
	v_mov_b32_e32 v6, 0x7e
	v_cmp_ne_u32_e32 vcc, s24, v4
	v_cndmask_b32_e32 v4, v6, v5, vcc
; %bb.944:
	s_andn2_saveexec_b64 s[22:23], s[22:23]
; %bb.945:
	s_mov_b32 s24, 0x46800000
	v_add_f32_e64 v4, |v2|, s24
; %bb.946:
	s_or_b64 exec, exec, s[22:23]
                                        ; implicit-def: $vgpr5
.LBB30_947:
	s_andn2_saveexec_b64 s[20:21], s[20:21]
; %bb.948:
	s_mov_b32 s22, 0x7f800000
	v_mov_b32_e32 v4, 0x7e
	v_mov_b32_e32 v6, 0x7f
	v_cmp_lt_u32_e32 vcc, s22, v5
	v_cndmask_b32_e32 v4, v4, v6, vcc
; %bb.949:
	s_or_b64 exec, exec, s[20:21]
	v_lshrrev_b32_e32 v2, 24, v2
	s_movk_i32 s20, 0x80
	v_and_or_b32 v2, v2, s20, v4
	global_store_byte v[0:1], v2, off
.LBB30_950:
	s_mov_b64 s[20:21], 0
.LBB30_951:
	s_andn2_b64 vcc, exec, s[20:21]
	s_cbranch_vccnz .LBB30_961
; %bb.952:
	v_bfe_i32 v2, v3, 0, 8
	v_cvt_f32_i32_sdwa v2, sext(v2) dst_sel:DWORD dst_unused:UNUSED_PAD src0_sel:WORD_0
	s_mov_b32 s20, 0x47800000
                                        ; implicit-def: $vgpr4
	v_and_b32_e32 v5, 0x7fffffff, v2
	v_cmp_gt_u32_e32 vcc, s20, v5
	s_and_saveexec_b64 s[20:21], vcc
	s_xor_b64 s[20:21], exec, s[20:21]
	s_cbranch_execz .LBB30_958
; %bb.953:
	s_mov_b32 s22, 0x387fffff
	v_cmp_lt_u32_e32 vcc, s22, v5
                                        ; implicit-def: $vgpr4
	s_and_saveexec_b64 s[22:23], vcc
	s_xor_b64 s[22:23], exec, s[22:23]
; %bb.954:
	v_bfe_u32 v4, v2, 21, 1
	s_mov_b32 s24, 0x80fffff
	v_add3_u32 v4, v2, v4, s24
	v_lshrrev_b32_e32 v4, 21, v4
; %bb.955:
	s_andn2_saveexec_b64 s[22:23], s[22:23]
; %bb.956:
	s_mov_b32 s24, 0x43000000
	v_add_f32_e64 v4, |v2|, s24
; %bb.957:
	s_or_b64 exec, exec, s[22:23]
                                        ; implicit-def: $vgpr5
.LBB30_958:
	s_andn2_saveexec_b64 s[20:21], s[20:21]
; %bb.959:
	s_mov_b32 s22, 0x7f800000
	v_mov_b32_e32 v4, 0x7c
	v_mov_b32_e32 v6, 0x7f
	v_cmp_lt_u32_e32 vcc, s22, v5
	v_cndmask_b32_e32 v4, v4, v6, vcc
; %bb.960:
	s_or_b64 exec, exec, s[20:21]
	v_lshrrev_b32_e32 v2, 24, v2
	s_movk_i32 s20, 0x80
	v_and_or_b32 v2, v2, s20, v4
	global_store_byte v[0:1], v2, off
.LBB30_961:
	s_mov_b64 s[20:21], 0
.LBB30_962:
	s_andn2_b64 vcc, exec, s[20:21]
	s_mov_b64 s[20:21], 0
	s_cbranch_vccnz .LBB30_970
; %bb.963:
	s_cmp_gt_i32 s27, 14
	s_mov_b64 s[22:23], -1
	s_cbranch_scc0 .LBB30_967
; %bb.964:
	s_cmp_eq_u32 s27, 15
	s_mov_b64 s[0:1], -1
	s_cbranch_scc0 .LBB30_966
; %bb.965:
	v_bfe_i32 v2, v3, 0, 8
	v_cvt_f32_i32_sdwa v2, sext(v2) dst_sel:DWORD dst_unused:UNUSED_PAD src0_sel:WORD_0
	s_movk_i32 s0, 0x7fff
	v_bfe_u32 v4, v2, 16, 1
	v_add3_u32 v2, v2, v4, s0
	global_store_short_d16_hi v[0:1], v2, off
	s_mov_b64 s[0:1], 0
.LBB30_966:
	s_mov_b64 s[22:23], 0
.LBB30_967:
	s_and_b64 vcc, exec, s[22:23]
	s_cbranch_vccz .LBB30_970
; %bb.968:
	s_cmp_lg_u32 s27, 11
	s_cselect_b64 s[22:23], -1, 0
	s_andn2_b64 s[0:1], s[0:1], exec
	s_and_b64 s[22:23], s[22:23], exec
	s_mov_b64 s[20:21], -1
	s_or_b64 s[0:1], s[0:1], s[22:23]
	s_branch .LBB30_970
.LBB30_969:
	s_mov_b64 s[20:21], 0
.LBB30_970:
	s_andn2_b64 s[6:7], s[6:7], exec
	s_and_b64 s[0:1], s[0:1], exec
	s_and_b64 s[18:19], s[18:19], exec
	;; [unrolled: 1-line block ×3, first 2 shown]
	s_or_b64 s[6:7], s[6:7], s[0:1]
	s_or_b64 exec, exec, s[14:15]
	s_and_saveexec_b64 s[0:1], s[6:7]
	s_cbranch_execz .LBB30_899
.LBB30_971:
	s_or_b64 s[16:17], s[16:17], exec
	s_andn2_b64 s[20:21], s[20:21], exec
	s_trap 2
	s_or_b64 exec, exec, s[0:1]
	s_and_saveexec_b64 s[0:1], s[20:21]
	s_xor_b64 s[0:1], exec, s[0:1]
	s_cbranch_execnz .LBB30_900
.LBB30_972:
	s_or_b64 exec, exec, s[0:1]
	s_and_saveexec_b64 s[0:1], s[18:19]
	s_xor_b64 s[0:1], exec, s[0:1]
	s_cbranch_execz .LBB30_1010
.LBB30_973:
	s_sext_i32_i16 s14, s26
	s_cmp_lt_i32 s14, 5
	s_mov_b64 s[6:7], -1
	s_cbranch_scc1 .LBB30_994
; %bb.974:
	s_cmp_lt_i32 s14, 8
	s_cbranch_scc1 .LBB30_984
; %bb.975:
	s_cmp_lt_i32 s14, 9
	s_cbranch_scc1 .LBB30_981
; %bb.976:
	s_cmp_gt_i32 s14, 9
	s_cbranch_scc0 .LBB30_978
; %bb.977:
	s_waitcnt vmcnt(0)
	v_bfe_i32 v2, v3, 0, 8
	v_bfe_i32 v2, v2, 0, 16
	v_cvt_f64_i32_e32 v[4:5], v2
	v_mov_b32_e32 v6, 0
	v_mov_b32_e32 v7, v6
	s_mov_b64 s[6:7], 0
	global_store_dwordx4 v[0:1], v[4:7], off
.LBB30_978:
	s_andn2_b64 vcc, exec, s[6:7]
	s_cbranch_vccnz .LBB30_980
; %bb.979:
	s_waitcnt vmcnt(0)
	v_bfe_i32 v2, v3, 0, 8
	v_cvt_f32_i32_sdwa v4, sext(v2) dst_sel:DWORD dst_unused:UNUSED_PAD src0_sel:WORD_0
	v_mov_b32_e32 v5, 0
	global_store_dwordx2 v[0:1], v[4:5], off
.LBB30_980:
	s_mov_b64 s[6:7], 0
.LBB30_981:
	s_andn2_b64 vcc, exec, s[6:7]
	s_cbranch_vccnz .LBB30_983
; %bb.982:
	s_waitcnt vmcnt(0)
	v_cvt_f16_i16_sdwa v2, sext(v3) dst_sel:DWORD dst_unused:UNUSED_PAD src0_sel:BYTE_0
	global_store_dword v[0:1], v2, off
.LBB30_983:
	s_mov_b64 s[6:7], 0
.LBB30_984:
	s_andn2_b64 vcc, exec, s[6:7]
	s_cbranch_vccnz .LBB30_993
; %bb.985:
	s_sext_i32_i16 s14, s26
	s_cmp_lt_i32 s14, 6
	s_mov_b64 s[6:7], -1
	s_cbranch_scc1 .LBB30_991
; %bb.986:
	s_cmp_gt_i32 s14, 6
	s_cbranch_scc0 .LBB30_988
; %bb.987:
	s_waitcnt vmcnt(0)
	v_bfe_i32 v2, v3, 0, 8
	v_bfe_i32 v2, v2, 0, 16
	v_cvt_f64_i32_e32 v[4:5], v2
	s_mov_b64 s[6:7], 0
	global_store_dwordx2 v[0:1], v[4:5], off
.LBB30_988:
	s_andn2_b64 vcc, exec, s[6:7]
	s_cbranch_vccnz .LBB30_990
; %bb.989:
	s_waitcnt vmcnt(0)
	v_bfe_i32 v2, v3, 0, 8
	v_cvt_f32_i32_sdwa v2, sext(v2) dst_sel:DWORD dst_unused:UNUSED_PAD src0_sel:WORD_0
	global_store_dword v[0:1], v2, off
.LBB30_990:
	s_mov_b64 s[6:7], 0
.LBB30_991:
	s_andn2_b64 vcc, exec, s[6:7]
	s_cbranch_vccnz .LBB30_993
; %bb.992:
	s_waitcnt vmcnt(0)
	v_cvt_f16_i16_sdwa v2, sext(v3) dst_sel:DWORD dst_unused:UNUSED_PAD src0_sel:BYTE_0
	global_store_short v[0:1], v2, off
.LBB30_993:
	s_mov_b64 s[6:7], 0
.LBB30_994:
	s_andn2_b64 vcc, exec, s[6:7]
	s_cbranch_vccnz .LBB30_1010
; %bb.995:
	s_sext_i32_i16 s14, s26
	s_cmp_lt_i32 s14, 2
	s_mov_b64 s[6:7], -1
	s_cbranch_scc1 .LBB30_1005
; %bb.996:
	s_cmp_lt_i32 s14, 3
	s_cbranch_scc1 .LBB30_1002
; %bb.997:
	s_cmp_gt_i32 s14, 3
	s_cbranch_scc0 .LBB30_999
; %bb.998:
	s_waitcnt vmcnt(0)
	v_bfe_i32 v4, v3, 0, 8
	v_ashrrev_i32_e32 v5, 31, v4
	s_mov_b64 s[6:7], 0
	global_store_dwordx2 v[0:1], v[4:5], off
.LBB30_999:
	s_andn2_b64 vcc, exec, s[6:7]
	s_cbranch_vccnz .LBB30_1001
; %bb.1000:
	s_waitcnt vmcnt(0)
	v_bfe_i32 v2, v3, 0, 8
	global_store_dword v[0:1], v2, off
.LBB30_1001:
	s_mov_b64 s[6:7], 0
.LBB30_1002:
	s_andn2_b64 vcc, exec, s[6:7]
	s_cbranch_vccnz .LBB30_1004
; %bb.1003:
	s_waitcnt vmcnt(0)
	v_bfe_i32 v2, v3, 0, 8
	global_store_short v[0:1], v2, off
.LBB30_1004:
	s_mov_b64 s[6:7], 0
.LBB30_1005:
	s_andn2_b64 vcc, exec, s[6:7]
	s_cbranch_vccnz .LBB30_1010
; %bb.1006:
	s_sext_i32_i16 s6, s26
	s_cmp_gt_i32 s6, 0
	s_mov_b64 s[6:7], -1
	s_cbranch_scc0 .LBB30_1008
; %bb.1007:
	s_mov_b64 s[6:7], 0
	s_waitcnt vmcnt(0)
	global_store_byte v[0:1], v3, off
.LBB30_1008:
	s_andn2_b64 vcc, exec, s[6:7]
	s_cbranch_vccnz .LBB30_1010
; %bb.1009:
	s_waitcnt vmcnt(0)
	global_store_byte v[0:1], v3, off
.LBB30_1010:
	s_or_b64 exec, exec, s[0:1]
	s_and_b64 s[6:7], s[16:17], exec
                                        ; implicit-def: $vgpr10
                                        ; implicit-def: $vgpr9
.LBB30_1011:
	s_or_saveexec_b64 s[4:5], s[4:5]
	s_mov_b64 s[0:1], 0
                                        ; implicit-def: $sgpr20
                                        ; implicit-def: $vgpr0_vgpr1
                                        ; implicit-def: $vgpr2
	s_xor_b64 exec, exec, s[4:5]
	s_cbranch_execz .LBB30_1942
; %bb.1012:
	s_waitcnt vmcnt(0)
	v_mul_lo_u32 v2, s3, v10
	v_mov_b32_e32 v1, s11
	s_and_b32 s20, s42, 0xff
	s_cmp_lt_i32 s20, 11
	v_ashrrev_i32_e32 v3, 31, v2
	v_add_co_u32_e32 v0, vcc, s10, v2
	v_addc_co_u32_e32 v1, vcc, v1, v3, vcc
	s_cbranch_scc1 .LBB30_1019
; %bb.1013:
	s_and_b32 s18, 0xffff, s20
	s_cmp_gt_i32 s18, 25
	s_cbranch_scc0 .LBB30_1021
; %bb.1014:
	s_cmp_gt_i32 s18, 28
	s_cbranch_scc0 .LBB30_1022
; %bb.1015:
	s_cmp_gt_i32 s18, 43
	s_cbranch_scc0 .LBB30_1023
; %bb.1016:
	s_cmp_gt_i32 s18, 45
	s_cbranch_scc0 .LBB30_1024
; %bb.1017:
	s_cmp_eq_u32 s18, 46
	s_mov_b64 s[14:15], 0
	s_cbranch_scc0 .LBB30_1027
; %bb.1018:
	global_load_dword v3, v[0:1], off
	s_mov_b64 s[16:17], -1
	s_waitcnt vmcnt(0)
	v_lshlrev_b32_e32 v3, 16, v3
	v_cvt_i32_f32_e32 v6, v3
	s_branch .LBB30_1028
.LBB30_1019:
	s_mov_b64 s[16:17], 0
                                        ; implicit-def: $vgpr6
	s_mov_b64 s[14:15], s[6:7]
	s_cbranch_execnz .LBB30_1086
.LBB30_1020:
	s_andn2_b64 vcc, exec, s[16:17]
	s_cbranch_vccz .LBB30_1131
	s_branch .LBB30_1940
.LBB30_1021:
	s_mov_b64 s[16:17], 0
                                        ; implicit-def: $vgpr6
	s_cbranch_execnz .LBB30_1053
	s_branch .LBB30_1082
.LBB30_1022:
	s_mov_b64 s[16:17], 0
                                        ; implicit-def: $vgpr6
	s_cbranch_execz .LBB30_1052
	s_branch .LBB30_1037
.LBB30_1023:
	s_mov_b64 s[16:17], 0
                                        ; implicit-def: $vgpr6
	s_cbranch_execnz .LBB30_1033
	s_branch .LBB30_1036
.LBB30_1024:
	s_mov_b64 s[14:15], -1
	s_mov_b64 s[16:17], 0
                                        ; implicit-def: $vgpr6
	s_branch .LBB30_1028
.LBB30_1025:
	s_andn2_saveexec_b64 s[22:23], s[22:23]
	s_cbranch_execz .LBB30_924
.LBB30_1026:
	s_mov_b32 s24, 0x46000000
	v_add_f32_e64 v4, |v2|, s24
	v_and_b32_e32 v4, 0xff, v4
	v_cmp_ne_u32_e32 vcc, 0, v4
	s_andn2_b64 s[20:21], s[20:21], exec
	s_and_b64 s[24:25], vcc, exec
	s_or_b64 s[20:21], s[20:21], s[24:25]
	s_or_b64 exec, exec, s[22:23]
	v_mov_b32_e32 v5, 0
	s_and_saveexec_b64 s[22:23], s[20:21]
	s_cbranch_execnz .LBB30_925
	s_branch .LBB30_926
.LBB30_1027:
	s_mov_b64 s[0:1], -1
                                        ; implicit-def: $vgpr6
	s_mov_b64 s[16:17], 0
.LBB30_1028:
	s_and_b64 vcc, exec, s[14:15]
	s_cbranch_vccz .LBB30_1031
; %bb.1029:
	s_cmp_eq_u32 s18, 44
	s_cbranch_scc0 .LBB30_1032
; %bb.1030:
	global_load_ubyte v3, v[0:1], off
	s_mov_b64 s[0:1], 0
	s_mov_b64 s[16:17], -1
	s_waitcnt vmcnt(0)
	v_lshlrev_b32_e32 v4, 23, v3
	v_cvt_i32_f32_e32 v4, v4
	v_cmp_ne_u32_e32 vcc, 0, v3
	v_cndmask_b32_e32 v6, 0, v4, vcc
.LBB30_1031:
	s_branch .LBB30_1036
.LBB30_1032:
	s_mov_b64 s[0:1], -1
                                        ; implicit-def: $vgpr6
	s_branch .LBB30_1036
.LBB30_1033:
	s_cmp_eq_u32 s18, 29
	s_cbranch_scc0 .LBB30_1035
; %bb.1034:
	global_load_dwordx2 v[6:7], v[0:1], off
	s_mov_b64 s[0:1], 0
	s_mov_b64 s[16:17], -1
	s_branch .LBB30_1036
.LBB30_1035:
	s_mov_b64 s[0:1], -1
                                        ; implicit-def: $vgpr6
.LBB30_1036:
	s_branch .LBB30_1052
.LBB30_1037:
	s_cmp_lt_i32 s18, 27
	s_cbranch_scc1 .LBB30_1040
; %bb.1038:
	s_cmp_gt_i32 s18, 27
	s_cbranch_scc0 .LBB30_1041
; %bb.1039:
	global_load_dword v6, v[0:1], off
	s_mov_b64 s[14:15], 0
	s_branch .LBB30_1042
.LBB30_1040:
	s_mov_b64 s[14:15], -1
                                        ; implicit-def: $vgpr6
	s_branch .LBB30_1045
.LBB30_1041:
	s_mov_b64 s[14:15], -1
                                        ; implicit-def: $vgpr6
.LBB30_1042:
	s_andn2_b64 vcc, exec, s[14:15]
	s_cbranch_vccnz .LBB30_1044
; %bb.1043:
	global_load_ushort v6, v[0:1], off
.LBB30_1044:
	s_mov_b64 s[14:15], 0
.LBB30_1045:
	s_andn2_b64 vcc, exec, s[14:15]
	s_cbranch_vccnz .LBB30_1051
; %bb.1046:
	global_load_ubyte v3, v[0:1], off
	s_movk_i32 s14, 0x7f
	s_mov_b64 s[16:17], 0
	s_waitcnt vmcnt(0)
	v_cmp_lt_i16_e32 vcc, s14, v3
	s_and_saveexec_b64 s[14:15], vcc
	s_xor_b64 s[14:15], exec, s[14:15]
	s_cbranch_execz .LBB30_1062
; %bb.1047:
	s_movk_i32 s16, 0x80
	v_cmp_ne_u16_e32 vcc, s16, v3
	s_and_b64 s[16:17], vcc, exec
	s_andn2_saveexec_b64 s[14:15], s[14:15]
	s_cbranch_execnz .LBB30_1063
.LBB30_1048:
	s_or_b64 exec, exec, s[14:15]
	v_mov_b32_e32 v6, 0
	s_and_saveexec_b64 s[14:15], s[16:17]
	s_cbranch_execz .LBB30_1050
.LBB30_1049:
	v_lshlrev_b32_e32 v4, 24, v3
	v_and_b32_e32 v3, 0xffff, v3
	v_and_b32_e32 v5, 7, v3
	v_ffbh_u32_e32 v7, v5
	v_min_u32_e32 v7, 32, v7
	v_subrev_u32_e32 v8, 28, v7
	v_bfe_u32 v6, v3, 3, 4
	v_lshlrev_b32_e32 v3, v8, v3
	v_sub_u32_e32 v7, 29, v7
	v_and_b32_e32 v3, 7, v3
	v_cmp_eq_u32_e32 vcc, 0, v6
	v_cndmask_b32_e32 v6, v6, v7, vcc
	v_cndmask_b32_e32 v3, v5, v3, vcc
	v_mov_b32_e32 v5, 0x3b800000
	v_lshlrev_b32_e32 v3, 20, v3
	v_and_b32_e32 v4, 0x80000000, v4
	v_lshl_add_u32 v5, v6, 23, v5
	v_or3_b32 v3, v4, v5, v3
	v_cvt_i32_f32_e32 v6, v3
.LBB30_1050:
	s_or_b64 exec, exec, s[14:15]
.LBB30_1051:
	s_mov_b64 s[16:17], -1
.LBB30_1052:
	s_branch .LBB30_1082
.LBB30_1053:
	s_cmp_gt_i32 s18, 22
	s_cbranch_scc0 .LBB30_1061
; %bb.1054:
	s_cmp_lt_i32 s18, 24
	s_cbranch_scc1 .LBB30_1064
; %bb.1055:
	s_cmp_gt_i32 s18, 24
	s_cbranch_scc0 .LBB30_1065
; %bb.1056:
	global_load_ubyte v3, v[0:1], off
	s_movk_i32 s12, 0x7f
	s_mov_b64 s[14:15], 0
	s_waitcnt vmcnt(0)
	v_cmp_lt_i16_e32 vcc, s12, v3
	s_and_saveexec_b64 s[12:13], vcc
	s_xor_b64 s[12:13], exec, s[12:13]
	s_cbranch_execz .LBB30_1076
; %bb.1057:
	s_movk_i32 s14, 0x80
	v_cmp_ne_u16_e32 vcc, s14, v3
	s_and_b64 s[14:15], vcc, exec
	s_andn2_saveexec_b64 s[12:13], s[12:13]
	s_cbranch_execnz .LBB30_1077
.LBB30_1058:
	s_or_b64 exec, exec, s[12:13]
	v_mov_b32_e32 v6, 0
	s_and_saveexec_b64 s[12:13], s[14:15]
	s_cbranch_execz .LBB30_1060
.LBB30_1059:
	v_lshlrev_b32_e32 v4, 24, v3
	v_and_b32_e32 v3, 0xffff, v3
	v_and_b32_e32 v5, 3, v3
	v_ffbh_u32_e32 v7, v5
	v_min_u32_e32 v7, 32, v7
	v_subrev_u32_e32 v8, 29, v7
	v_bfe_u32 v6, v3, 2, 5
	v_lshlrev_b32_e32 v3, v8, v3
	v_sub_u32_e32 v7, 30, v7
	v_and_b32_e32 v3, 3, v3
	v_cmp_eq_u32_e32 vcc, 0, v6
	v_cndmask_b32_e32 v6, v6, v7, vcc
	v_cndmask_b32_e32 v3, v5, v3, vcc
	v_mov_b32_e32 v5, 0x37800000
	v_lshlrev_b32_e32 v3, 21, v3
	v_and_b32_e32 v4, 0x80000000, v4
	v_lshl_add_u32 v5, v6, 23, v5
	v_or3_b32 v3, v4, v5, v3
	v_cvt_i32_f32_e32 v6, v3
.LBB30_1060:
	s_or_b64 exec, exec, s[12:13]
	s_mov_b64 s[12:13], 0
	s_branch .LBB30_1066
.LBB30_1061:
                                        ; implicit-def: $vgpr6
	s_mov_b64 s[12:13], 0
	s_branch .LBB30_1072
.LBB30_1062:
	s_andn2_saveexec_b64 s[14:15], s[14:15]
	s_cbranch_execz .LBB30_1048
.LBB30_1063:
	v_cmp_ne_u16_e32 vcc, 0, v3
	s_andn2_b64 s[16:17], s[16:17], exec
	s_and_b64 s[22:23], vcc, exec
	s_or_b64 s[16:17], s[16:17], s[22:23]
	s_or_b64 exec, exec, s[14:15]
	v_mov_b32_e32 v6, 0
	s_and_saveexec_b64 s[14:15], s[16:17]
	s_cbranch_execnz .LBB30_1049
	s_branch .LBB30_1050
.LBB30_1064:
	s_mov_b64 s[12:13], -1
                                        ; implicit-def: $vgpr6
	s_branch .LBB30_1069
.LBB30_1065:
	s_mov_b64 s[12:13], -1
                                        ; implicit-def: $vgpr6
.LBB30_1066:
	s_and_b64 vcc, exec, s[12:13]
	s_cbranch_vccz .LBB30_1068
; %bb.1067:
	global_load_ubyte v3, v[0:1], off
	s_mov_b32 s12, 0x7f800000
	s_waitcnt vmcnt(0)
	v_lshlrev_b32_e32 v3, 24, v3
	v_and_b32_e32 v4, 0x7f000000, v3
	v_ffbh_u32_e32 v5, v4
	v_min_u32_e32 v5, 32, v5
	v_sub_u32_e64 v5, v5, 4 clamp
	v_lshlrev_b32_e32 v7, v5, v4
	v_lshlrev_b32_e32 v5, 23, v5
	v_lshrrev_b32_e32 v7, 4, v7
	v_add_u32_e32 v6, 0x1000000, v4
	v_sub_u32_e32 v5, v7, v5
	v_ashrrev_i32_e32 v6, 8, v6
	v_add_u32_e32 v5, 0x3c000000, v5
	v_and_or_b32 v5, v6, s12, v5
	v_cmp_ne_u32_e32 vcc, 0, v4
	v_cndmask_b32_e32 v4, 0, v5, vcc
	s_brev_b32 s12, 1
	v_and_or_b32 v3, v3, s12, v4
	v_cvt_i32_f32_e32 v6, v3
.LBB30_1068:
	s_mov_b64 s[12:13], 0
.LBB30_1069:
	s_andn2_b64 vcc, exec, s[12:13]
	s_cbranch_vccnz .LBB30_1071
; %bb.1070:
	global_load_ubyte v3, v[0:1], off
	s_movk_i32 s12, 0x7f00
	s_brev_b32 s13, 16
	s_waitcnt vmcnt(0)
	v_lshlrev_b16_e32 v4, 8, v3
	v_lshlrev_b32_e32 v3, 25, v3
	v_lshrrev_b32_e32 v5, 4, v3
	v_and_or_b32 v6, v4, s12, 0.5
	v_or_b32_e32 v5, 0x70000000, v5
	v_add_f32_e32 v6, -0.5, v6
	v_mul_f32_e32 v5, 0x7800000, v5
	v_cmp_gt_u32_e32 vcc, s13, v3
	v_bfe_i32 v4, v4, 0, 16
	v_cndmask_b32_e32 v3, v5, v6, vcc
	s_brev_b32 s12, 1
	v_and_or_b32 v3, v4, s12, v3
	v_cvt_i32_f32_e32 v6, v3
.LBB30_1071:
	s_mov_b64 s[16:17], -1
	s_mov_b64 s[12:13], 0
	s_cbranch_execnz .LBB30_1082
.LBB30_1072:
	s_cmp_gt_i32 s18, 14
	s_cbranch_scc0 .LBB30_1075
; %bb.1073:
	s_cmp_eq_u32 s18, 15
	s_cbranch_scc0 .LBB30_1078
; %bb.1074:
	global_load_ushort v3, v[0:1], off
	s_mov_b64 s[0:1], 0
	s_mov_b64 s[16:17], -1
	s_waitcnt vmcnt(0)
	v_lshlrev_b32_e32 v3, 16, v3
	v_cvt_i32_f32_e32 v6, v3
	s_branch .LBB30_1079
.LBB30_1075:
	s_mov_b64 s[14:15], -1
                                        ; implicit-def: $vgpr6
	s_branch .LBB30_1080
.LBB30_1076:
	s_andn2_saveexec_b64 s[12:13], s[12:13]
	s_cbranch_execz .LBB30_1058
.LBB30_1077:
	v_cmp_ne_u16_e32 vcc, 0, v3
	s_andn2_b64 s[14:15], s[14:15], exec
	s_and_b64 s[16:17], vcc, exec
	s_or_b64 s[14:15], s[14:15], s[16:17]
	s_or_b64 exec, exec, s[12:13]
	v_mov_b32_e32 v6, 0
	s_and_saveexec_b64 s[12:13], s[14:15]
	s_cbranch_execnz .LBB30_1059
	s_branch .LBB30_1060
.LBB30_1078:
	s_mov_b64 s[0:1], -1
                                        ; implicit-def: $vgpr6
.LBB30_1079:
	s_mov_b64 s[14:15], 0
.LBB30_1080:
	s_and_b64 vcc, exec, s[14:15]
	s_cbranch_vccz .LBB30_1082
; %bb.1081:
	s_cmp_lg_u32 s18, 11
	s_mov_b64 s[12:13], -1
	s_cselect_b64 s[0:1], -1, 0
.LBB30_1082:
	s_and_b64 vcc, exec, s[0:1]
	s_mov_b64 s[14:15], s[6:7]
	s_cbranch_vccnz .LBB30_1143
; %bb.1083:
	s_andn2_b64 vcc, exec, s[12:13]
	s_cbranch_vccnz .LBB30_1085
.LBB30_1084:
	global_load_ubyte v3, v[0:1], off
	s_mov_b64 s[16:17], -1
	s_waitcnt vmcnt(0)
	v_cmp_ne_u16_e32 vcc, 0, v3
	v_cndmask_b32_e64 v6, 0, 1, vcc
.LBB30_1085:
	s_branch .LBB30_1020
.LBB30_1086:
	s_and_b32 s12, 0xffff, s20
	s_cmp_lt_i32 s12, 5
	s_cbranch_scc1 .LBB30_1091
; %bb.1087:
	s_cmp_lt_i32 s12, 8
	s_cbranch_scc1 .LBB30_1092
; %bb.1088:
	;; [unrolled: 3-line block ×3, first 2 shown]
	s_cmp_gt_i32 s12, 9
	s_cbranch_scc0 .LBB30_1094
; %bb.1090:
	global_load_dwordx2 v[3:4], v[0:1], off
	s_mov_b64 s[0:1], 0
	s_waitcnt vmcnt(0)
	v_cvt_i32_f64_e32 v6, v[3:4]
	s_branch .LBB30_1095
.LBB30_1091:
                                        ; implicit-def: $vgpr6
	s_branch .LBB30_1112
.LBB30_1092:
                                        ; implicit-def: $vgpr6
	s_branch .LBB30_1101
.LBB30_1093:
	s_mov_b64 s[0:1], -1
                                        ; implicit-def: $vgpr6
	s_branch .LBB30_1098
.LBB30_1094:
	s_mov_b64 s[0:1], -1
                                        ; implicit-def: $vgpr6
.LBB30_1095:
	s_andn2_b64 vcc, exec, s[0:1]
	s_cbranch_vccnz .LBB30_1097
; %bb.1096:
	global_load_dword v3, v[0:1], off
	s_waitcnt vmcnt(0)
	v_cvt_i32_f32_e32 v6, v3
.LBB30_1097:
	s_mov_b64 s[0:1], 0
.LBB30_1098:
	s_andn2_b64 vcc, exec, s[0:1]
	s_cbranch_vccnz .LBB30_1100
; %bb.1099:
	global_load_dword v3, v[0:1], off
	s_waitcnt vmcnt(0)
	v_cvt_i16_f16_e32 v6, v3
.LBB30_1100:
	s_cbranch_execnz .LBB30_1111
.LBB30_1101:
	s_cmp_lt_i32 s12, 6
	s_cbranch_scc1 .LBB30_1104
; %bb.1102:
	s_cmp_gt_i32 s12, 6
	s_cbranch_scc0 .LBB30_1105
; %bb.1103:
	global_load_dwordx2 v[3:4], v[0:1], off
	s_mov_b64 s[0:1], 0
	s_waitcnt vmcnt(0)
	v_cvt_i32_f64_e32 v6, v[3:4]
	s_branch .LBB30_1106
.LBB30_1104:
	s_mov_b64 s[0:1], -1
                                        ; implicit-def: $vgpr6
	s_branch .LBB30_1109
.LBB30_1105:
	s_mov_b64 s[0:1], -1
                                        ; implicit-def: $vgpr6
.LBB30_1106:
	s_andn2_b64 vcc, exec, s[0:1]
	s_cbranch_vccnz .LBB30_1108
; %bb.1107:
	global_load_dword v3, v[0:1], off
	s_waitcnt vmcnt(0)
	v_cvt_i32_f32_e32 v6, v3
.LBB30_1108:
	s_mov_b64 s[0:1], 0
.LBB30_1109:
	s_andn2_b64 vcc, exec, s[0:1]
	s_cbranch_vccnz .LBB30_1111
; %bb.1110:
	global_load_ushort v3, v[0:1], off
	s_waitcnt vmcnt(0)
	v_cvt_i16_f16_e32 v6, v3
.LBB30_1111:
	s_cbranch_execnz .LBB30_1130
.LBB30_1112:
	s_cmp_lt_i32 s12, 2
	s_cbranch_scc1 .LBB30_1116
; %bb.1113:
	s_cmp_lt_i32 s12, 3
	s_cbranch_scc1 .LBB30_1117
; %bb.1114:
	s_cmp_gt_i32 s12, 3
	s_cbranch_scc0 .LBB30_1118
; %bb.1115:
	global_load_dwordx2 v[6:7], v[0:1], off
	s_mov_b64 s[0:1], 0
	s_branch .LBB30_1119
.LBB30_1116:
                                        ; implicit-def: $vgpr6
	s_branch .LBB30_1125
.LBB30_1117:
	s_mov_b64 s[0:1], -1
                                        ; implicit-def: $vgpr6
	s_branch .LBB30_1122
.LBB30_1118:
	s_mov_b64 s[0:1], -1
                                        ; implicit-def: $vgpr6
.LBB30_1119:
	s_andn2_b64 vcc, exec, s[0:1]
	s_cbranch_vccnz .LBB30_1121
; %bb.1120:
	global_load_dword v6, v[0:1], off
.LBB30_1121:
	s_mov_b64 s[0:1], 0
.LBB30_1122:
	s_andn2_b64 vcc, exec, s[0:1]
	s_cbranch_vccnz .LBB30_1124
; %bb.1123:
	global_load_ushort v6, v[0:1], off
.LBB30_1124:
	s_cbranch_execnz .LBB30_1130
.LBB30_1125:
	s_cmp_gt_i32 s12, 0
	s_cbranch_scc0 .LBB30_1127
; %bb.1126:
	global_load_ubyte v6, v[0:1], off
	s_mov_b64 s[0:1], 0
	s_branch .LBB30_1128
.LBB30_1127:
	s_mov_b64 s[0:1], -1
                                        ; implicit-def: $vgpr6
.LBB30_1128:
	s_andn2_b64 vcc, exec, s[0:1]
	s_cbranch_vccnz .LBB30_1130
; %bb.1129:
	global_load_ubyte v6, v[0:1], off
.LBB30_1130:
.LBB30_1131:
	s_lshl_b32 s3, s3, 7
	v_add_u32_e32 v2, s3, v2
	v_ashrrev_i32_e32 v1, 31, v2
	v_mov_b32_e32 v3, s11
	v_add_co_u32_e32 v0, vcc, s10, v2
	s_cmp_lt_i32 s20, 11
	v_addc_co_u32_e32 v1, vcc, v3, v1, vcc
	s_cbranch_scc1 .LBB30_1138
; %bb.1132:
	s_and_b32 s21, 0xffff, s20
	s_cmp_gt_i32 s21, 25
	s_mov_b64 s[12:13], 0
	s_cbranch_scc0 .LBB30_1140
; %bb.1133:
	s_cmp_gt_i32 s21, 28
	s_cbranch_scc0 .LBB30_1141
; %bb.1134:
	s_cmp_gt_i32 s21, 43
	;; [unrolled: 3-line block ×3, first 2 shown]
	s_cbranch_scc0 .LBB30_1144
; %bb.1136:
	s_cmp_eq_u32 s21, 46
	s_mov_b64 s[18:19], 0
	s_cbranch_scc0 .LBB30_1147
; %bb.1137:
	global_load_dword v3, v[0:1], off
	s_mov_b64 s[0:1], 0
	s_mov_b64 s[16:17], -1
	s_waitcnt vmcnt(0)
	v_lshlrev_b32_e32 v3, 16, v3
	v_cvt_i32_f32_e32 v4, v3
	s_branch .LBB30_1148
.LBB30_1138:
	s_mov_b64 s[16:17], 0
                                        ; implicit-def: $vgpr4
	s_cbranch_execnz .LBB30_1209
.LBB30_1139:
	s_andn2_b64 vcc, exec, s[16:17]
	s_cbranch_vccnz .LBB30_1940
	s_branch .LBB30_1256
.LBB30_1140:
	s_mov_b64 s[16:17], 0
	s_mov_b64 s[0:1], 0
                                        ; implicit-def: $vgpr4
	s_cbranch_execnz .LBB30_1175
	s_branch .LBB30_1205
.LBB30_1141:
	s_mov_b64 s[18:19], -1
	s_mov_b64 s[16:17], 0
	s_mov_b64 s[0:1], 0
                                        ; implicit-def: $vgpr4
	s_branch .LBB30_1158
.LBB30_1142:
	s_mov_b64 s[18:19], -1
	s_mov_b64 s[16:17], 0
	s_mov_b64 s[0:1], 0
                                        ; implicit-def: $vgpr4
	s_branch .LBB30_1153
.LBB30_1143:
	s_or_b64 s[14:15], s[6:7], exec
	s_trap 2
	s_cbranch_execz .LBB30_1084
	s_branch .LBB30_1085
.LBB30_1144:
	s_mov_b64 s[18:19], -1
	s_mov_b64 s[16:17], 0
	s_mov_b64 s[0:1], 0
                                        ; implicit-def: $vgpr4
	s_branch .LBB30_1148
.LBB30_1145:
	s_andn2_saveexec_b64 s[24:25], s[24:25]
	s_cbranch_execz .LBB30_936
.LBB30_1146:
	s_mov_b32 s28, 0x42800000
	v_add_f32_e64 v4, |v2|, s28
	v_and_b32_e32 v4, 0xff, v4
	v_cmp_ne_u32_e32 vcc, 0, v4
	s_andn2_b64 s[22:23], s[22:23], exec
	s_and_b64 s[28:29], vcc, exec
	s_or_b64 s[22:23], s[22:23], s[28:29]
	s_or_b64 exec, exec, s[24:25]
	v_mov_b32_e32 v5, 0
	s_and_saveexec_b64 s[24:25], s[22:23]
	s_cbranch_execnz .LBB30_937
	s_branch .LBB30_938
.LBB30_1147:
	s_mov_b64 s[0:1], -1
                                        ; implicit-def: $vgpr4
	s_mov_b64 s[16:17], 0
.LBB30_1148:
	s_and_b64 vcc, exec, s[18:19]
	s_cbranch_vccz .LBB30_1152
; %bb.1149:
	s_cmp_eq_u32 s21, 44
	s_cbranch_scc0 .LBB30_1151
; %bb.1150:
	global_load_ubyte v3, v[0:1], off
	s_mov_b64 s[0:1], 0
	s_mov_b64 s[16:17], -1
	s_waitcnt vmcnt(0)
	v_lshlrev_b32_e32 v4, 23, v3
	v_cvt_i32_f32_e32 v4, v4
	v_cmp_ne_u32_e32 vcc, 0, v3
	v_cndmask_b32_e32 v4, 0, v4, vcc
	s_branch .LBB30_1152
.LBB30_1151:
	s_mov_b64 s[0:1], -1
                                        ; implicit-def: $vgpr4
.LBB30_1152:
	s_mov_b64 s[18:19], 0
.LBB30_1153:
	s_and_b64 vcc, exec, s[18:19]
	s_cbranch_vccz .LBB30_1157
; %bb.1154:
	s_cmp_eq_u32 s21, 29
	s_cbranch_scc0 .LBB30_1156
; %bb.1155:
	global_load_dwordx2 v[4:5], v[0:1], off
	s_mov_b64 s[0:1], 0
	s_mov_b64 s[16:17], -1
	s_branch .LBB30_1157
.LBB30_1156:
	s_mov_b64 s[0:1], -1
                                        ; implicit-def: $vgpr4
.LBB30_1157:
	s_mov_b64 s[18:19], 0
.LBB30_1158:
	s_and_b64 vcc, exec, s[18:19]
	s_cbranch_vccz .LBB30_1174
; %bb.1159:
	s_cmp_lt_i32 s21, 27
	s_cbranch_scc1 .LBB30_1162
; %bb.1160:
	s_cmp_gt_i32 s21, 27
	s_cbranch_scc0 .LBB30_1163
; %bb.1161:
	global_load_dword v4, v[0:1], off
	s_mov_b64 s[16:17], 0
	s_branch .LBB30_1164
.LBB30_1162:
	s_mov_b64 s[16:17], -1
                                        ; implicit-def: $vgpr4
	s_branch .LBB30_1167
.LBB30_1163:
	s_mov_b64 s[16:17], -1
                                        ; implicit-def: $vgpr4
.LBB30_1164:
	s_andn2_b64 vcc, exec, s[16:17]
	s_cbranch_vccnz .LBB30_1166
; %bb.1165:
	global_load_ushort v4, v[0:1], off
.LBB30_1166:
	s_mov_b64 s[16:17], 0
.LBB30_1167:
	s_andn2_b64 vcc, exec, s[16:17]
	s_cbranch_vccnz .LBB30_1173
; %bb.1168:
	global_load_ubyte v3, v[0:1], off
	s_movk_i32 s16, 0x7f
	s_mov_b64 s[18:19], 0
	s_waitcnt vmcnt(0)
	v_cmp_lt_i16_e32 vcc, s16, v3
	s_and_saveexec_b64 s[16:17], vcc
	s_xor_b64 s[16:17], exec, s[16:17]
	s_cbranch_execz .LBB30_1184
; %bb.1169:
	s_movk_i32 s18, 0x80
	v_cmp_ne_u16_e32 vcc, s18, v3
	s_and_b64 s[18:19], vcc, exec
	s_andn2_saveexec_b64 s[16:17], s[16:17]
	s_cbranch_execnz .LBB30_1185
.LBB30_1170:
	s_or_b64 exec, exec, s[16:17]
	v_mov_b32_e32 v4, 0
	s_and_saveexec_b64 s[16:17], s[18:19]
	s_cbranch_execz .LBB30_1172
.LBB30_1171:
	v_lshlrev_b32_e32 v4, 24, v3
	v_and_b32_e32 v3, 0xffff, v3
	v_and_b32_e32 v5, 7, v3
	v_ffbh_u32_e32 v8, v5
	v_min_u32_e32 v8, 32, v8
	v_subrev_u32_e32 v11, 28, v8
	v_bfe_u32 v7, v3, 3, 4
	v_lshlrev_b32_e32 v3, v11, v3
	v_sub_u32_e32 v8, 29, v8
	v_and_b32_e32 v3, 7, v3
	v_cmp_eq_u32_e32 vcc, 0, v7
	v_cndmask_b32_e32 v7, v7, v8, vcc
	v_cndmask_b32_e32 v3, v5, v3, vcc
	v_mov_b32_e32 v5, 0x3b800000
	v_lshlrev_b32_e32 v3, 20, v3
	v_and_b32_e32 v4, 0x80000000, v4
	v_lshl_add_u32 v5, v7, 23, v5
	v_or3_b32 v3, v4, v5, v3
	v_cvt_i32_f32_e32 v4, v3
.LBB30_1172:
	s_or_b64 exec, exec, s[16:17]
.LBB30_1173:
	s_mov_b64 s[16:17], -1
.LBB30_1174:
	s_branch .LBB30_1205
.LBB30_1175:
	s_cmp_gt_i32 s21, 22
	s_cbranch_scc0 .LBB30_1183
; %bb.1176:
	s_cmp_lt_i32 s21, 24
	s_cbranch_scc1 .LBB30_1186
; %bb.1177:
	s_cmp_gt_i32 s21, 24
	s_cbranch_scc0 .LBB30_1187
; %bb.1178:
	global_load_ubyte v3, v[0:1], off
	s_movk_i32 s12, 0x7f
	s_mov_b64 s[16:17], 0
	s_waitcnt vmcnt(0)
	v_cmp_lt_i16_e32 vcc, s12, v3
	s_and_saveexec_b64 s[12:13], vcc
	s_xor_b64 s[12:13], exec, s[12:13]
	s_cbranch_execz .LBB30_1199
; %bb.1179:
	s_movk_i32 s16, 0x80
	v_cmp_ne_u16_e32 vcc, s16, v3
	s_and_b64 s[16:17], vcc, exec
	s_andn2_saveexec_b64 s[12:13], s[12:13]
	s_cbranch_execnz .LBB30_1200
.LBB30_1180:
	s_or_b64 exec, exec, s[12:13]
	v_mov_b32_e32 v4, 0
	s_and_saveexec_b64 s[12:13], s[16:17]
	s_cbranch_execz .LBB30_1182
.LBB30_1181:
	v_lshlrev_b32_e32 v4, 24, v3
	v_and_b32_e32 v3, 0xffff, v3
	v_and_b32_e32 v5, 3, v3
	v_ffbh_u32_e32 v8, v5
	v_min_u32_e32 v8, 32, v8
	v_subrev_u32_e32 v11, 29, v8
	v_bfe_u32 v7, v3, 2, 5
	v_lshlrev_b32_e32 v3, v11, v3
	v_sub_u32_e32 v8, 30, v8
	v_and_b32_e32 v3, 3, v3
	v_cmp_eq_u32_e32 vcc, 0, v7
	v_cndmask_b32_e32 v7, v7, v8, vcc
	v_cndmask_b32_e32 v3, v5, v3, vcc
	v_mov_b32_e32 v5, 0x37800000
	v_lshlrev_b32_e32 v3, 21, v3
	v_and_b32_e32 v4, 0x80000000, v4
	v_lshl_add_u32 v5, v7, 23, v5
	v_or3_b32 v3, v4, v5, v3
	v_cvt_i32_f32_e32 v4, v3
.LBB30_1182:
	s_or_b64 exec, exec, s[12:13]
	s_mov_b64 s[12:13], 0
	s_branch .LBB30_1188
.LBB30_1183:
	s_mov_b64 s[12:13], -1
                                        ; implicit-def: $vgpr4
	s_branch .LBB30_1194
.LBB30_1184:
	s_andn2_saveexec_b64 s[16:17], s[16:17]
	s_cbranch_execz .LBB30_1170
.LBB30_1185:
	v_cmp_ne_u16_e32 vcc, 0, v3
	s_andn2_b64 s[18:19], s[18:19], exec
	s_and_b64 s[22:23], vcc, exec
	s_or_b64 s[18:19], s[18:19], s[22:23]
	s_or_b64 exec, exec, s[16:17]
	v_mov_b32_e32 v4, 0
	s_and_saveexec_b64 s[16:17], s[18:19]
	s_cbranch_execnz .LBB30_1171
	s_branch .LBB30_1172
.LBB30_1186:
	s_mov_b64 s[12:13], -1
                                        ; implicit-def: $vgpr4
	s_branch .LBB30_1191
.LBB30_1187:
	s_mov_b64 s[12:13], -1
                                        ; implicit-def: $vgpr4
.LBB30_1188:
	s_and_b64 vcc, exec, s[12:13]
	s_cbranch_vccz .LBB30_1190
; %bb.1189:
	global_load_ubyte v3, v[0:1], off
	s_mov_b32 s12, 0x7f800000
	s_waitcnt vmcnt(0)
	v_lshlrev_b32_e32 v3, 24, v3
	v_and_b32_e32 v4, 0x7f000000, v3
	v_ffbh_u32_e32 v5, v4
	v_min_u32_e32 v5, 32, v5
	v_sub_u32_e64 v5, v5, 4 clamp
	v_lshlrev_b32_e32 v8, v5, v4
	v_lshlrev_b32_e32 v5, 23, v5
	v_lshrrev_b32_e32 v8, 4, v8
	v_add_u32_e32 v7, 0x1000000, v4
	v_sub_u32_e32 v5, v8, v5
	v_ashrrev_i32_e32 v7, 8, v7
	v_add_u32_e32 v5, 0x3c000000, v5
	v_and_or_b32 v5, v7, s12, v5
	v_cmp_ne_u32_e32 vcc, 0, v4
	v_cndmask_b32_e32 v4, 0, v5, vcc
	s_brev_b32 s12, 1
	v_and_or_b32 v3, v3, s12, v4
	v_cvt_i32_f32_e32 v4, v3
.LBB30_1190:
	s_mov_b64 s[12:13], 0
.LBB30_1191:
	s_andn2_b64 vcc, exec, s[12:13]
	s_cbranch_vccnz .LBB30_1193
; %bb.1192:
	global_load_ubyte v3, v[0:1], off
	s_movk_i32 s12, 0x7f00
	s_brev_b32 s13, 16
	s_waitcnt vmcnt(0)
	v_lshlrev_b16_e32 v4, 8, v3
	v_lshlrev_b32_e32 v3, 25, v3
	v_lshrrev_b32_e32 v5, 4, v3
	v_and_or_b32 v7, v4, s12, 0.5
	v_or_b32_e32 v5, 0x70000000, v5
	v_add_f32_e32 v7, -0.5, v7
	v_mul_f32_e32 v5, 0x7800000, v5
	v_cmp_gt_u32_e32 vcc, s13, v3
	v_bfe_i32 v4, v4, 0, 16
	v_cndmask_b32_e32 v3, v5, v7, vcc
	s_brev_b32 s12, 1
	v_and_or_b32 v3, v4, s12, v3
	v_cvt_i32_f32_e32 v4, v3
.LBB30_1193:
	s_mov_b64 s[12:13], 0
	s_mov_b64 s[16:17], -1
.LBB30_1194:
	s_andn2_b64 vcc, exec, s[12:13]
	s_mov_b64 s[12:13], 0
	s_cbranch_vccnz .LBB30_1205
; %bb.1195:
	s_cmp_gt_i32 s21, 14
	s_cbranch_scc0 .LBB30_1198
; %bb.1196:
	s_cmp_eq_u32 s21, 15
	s_cbranch_scc0 .LBB30_1201
; %bb.1197:
	global_load_ushort v3, v[0:1], off
	s_mov_b64 s[0:1], 0
	s_mov_b64 s[16:17], -1
	s_waitcnt vmcnt(0)
	v_lshlrev_b32_e32 v3, 16, v3
	v_cvt_i32_f32_e32 v4, v3
	s_branch .LBB30_1202
.LBB30_1198:
	s_mov_b64 s[18:19], -1
                                        ; implicit-def: $vgpr4
	s_branch .LBB30_1203
.LBB30_1199:
	s_andn2_saveexec_b64 s[12:13], s[12:13]
	s_cbranch_execz .LBB30_1180
.LBB30_1200:
	v_cmp_ne_u16_e32 vcc, 0, v3
	s_andn2_b64 s[16:17], s[16:17], exec
	s_and_b64 s[18:19], vcc, exec
	s_or_b64 s[16:17], s[16:17], s[18:19]
	s_or_b64 exec, exec, s[12:13]
	v_mov_b32_e32 v4, 0
	s_and_saveexec_b64 s[12:13], s[16:17]
	s_cbranch_execnz .LBB30_1181
	s_branch .LBB30_1182
.LBB30_1201:
	s_mov_b64 s[0:1], -1
                                        ; implicit-def: $vgpr4
.LBB30_1202:
	s_mov_b64 s[18:19], 0
.LBB30_1203:
	s_and_b64 vcc, exec, s[18:19]
	s_cbranch_vccz .LBB30_1205
; %bb.1204:
	s_cmp_lg_u32 s21, 11
	s_mov_b64 s[12:13], -1
	s_cselect_b64 s[0:1], -1, 0
.LBB30_1205:
	s_and_b64 vcc, exec, s[0:1]
	s_cbranch_vccnz .LBB30_1268
; %bb.1206:
	s_andn2_b64 vcc, exec, s[12:13]
	s_cbranch_vccnz .LBB30_1208
.LBB30_1207:
	global_load_ubyte v3, v[0:1], off
	s_mov_b64 s[16:17], -1
	s_waitcnt vmcnt(0)
	v_cmp_ne_u16_e32 vcc, 0, v3
	v_cndmask_b32_e64 v4, 0, 1, vcc
.LBB30_1208:
	s_branch .LBB30_1139
.LBB30_1209:
	s_and_b32 s12, 0xffff, s20
	s_cmp_lt_i32 s12, 5
	s_cbranch_scc1 .LBB30_1214
; %bb.1210:
	s_cmp_lt_i32 s12, 8
	s_cbranch_scc1 .LBB30_1215
; %bb.1211:
	;; [unrolled: 3-line block ×3, first 2 shown]
	s_cmp_gt_i32 s12, 9
	s_cbranch_scc0 .LBB30_1217
; %bb.1213:
	global_load_dwordx2 v[3:4], v[0:1], off
	s_mov_b64 s[0:1], 0
	s_waitcnt vmcnt(0)
	v_cvt_i32_f64_e32 v4, v[3:4]
	s_branch .LBB30_1218
.LBB30_1214:
                                        ; implicit-def: $vgpr4
	s_branch .LBB30_1236
.LBB30_1215:
	s_mov_b64 s[0:1], -1
                                        ; implicit-def: $vgpr4
	s_branch .LBB30_1224
.LBB30_1216:
	s_mov_b64 s[0:1], -1
                                        ; implicit-def: $vgpr4
	s_branch .LBB30_1221
.LBB30_1217:
	s_mov_b64 s[0:1], -1
                                        ; implicit-def: $vgpr4
.LBB30_1218:
	s_andn2_b64 vcc, exec, s[0:1]
	s_cbranch_vccnz .LBB30_1220
; %bb.1219:
	global_load_dword v3, v[0:1], off
	s_waitcnt vmcnt(0)
	v_cvt_i32_f32_e32 v4, v3
.LBB30_1220:
	s_mov_b64 s[0:1], 0
.LBB30_1221:
	s_andn2_b64 vcc, exec, s[0:1]
	s_cbranch_vccnz .LBB30_1223
; %bb.1222:
	global_load_dword v3, v[0:1], off
	s_waitcnt vmcnt(0)
	v_cvt_i16_f16_e32 v4, v3
.LBB30_1223:
	s_mov_b64 s[0:1], 0
.LBB30_1224:
	s_andn2_b64 vcc, exec, s[0:1]
	s_cbranch_vccnz .LBB30_1235
; %bb.1225:
	s_cmp_lt_i32 s12, 6
	s_cbranch_scc1 .LBB30_1228
; %bb.1226:
	s_cmp_gt_i32 s12, 6
	s_cbranch_scc0 .LBB30_1229
; %bb.1227:
	global_load_dwordx2 v[3:4], v[0:1], off
	s_mov_b64 s[0:1], 0
	s_waitcnt vmcnt(0)
	v_cvt_i32_f64_e32 v4, v[3:4]
	s_branch .LBB30_1230
.LBB30_1228:
	s_mov_b64 s[0:1], -1
                                        ; implicit-def: $vgpr4
	s_branch .LBB30_1233
.LBB30_1229:
	s_mov_b64 s[0:1], -1
                                        ; implicit-def: $vgpr4
.LBB30_1230:
	s_andn2_b64 vcc, exec, s[0:1]
	s_cbranch_vccnz .LBB30_1232
; %bb.1231:
	global_load_dword v3, v[0:1], off
	s_waitcnt vmcnt(0)
	v_cvt_i32_f32_e32 v4, v3
.LBB30_1232:
	s_mov_b64 s[0:1], 0
.LBB30_1233:
	s_andn2_b64 vcc, exec, s[0:1]
	s_cbranch_vccnz .LBB30_1235
; %bb.1234:
	global_load_ushort v3, v[0:1], off
	s_waitcnt vmcnt(0)
	v_cvt_i16_f16_e32 v4, v3
.LBB30_1235:
	s_cbranch_execnz .LBB30_1255
.LBB30_1236:
	s_cmp_lt_i32 s12, 2
	s_cbranch_scc1 .LBB30_1240
; %bb.1237:
	s_cmp_lt_i32 s12, 3
	s_cbranch_scc1 .LBB30_1241
; %bb.1238:
	s_cmp_gt_i32 s12, 3
	s_cbranch_scc0 .LBB30_1242
; %bb.1239:
	global_load_dwordx2 v[4:5], v[0:1], off
	s_mov_b64 s[0:1], 0
	s_branch .LBB30_1243
.LBB30_1240:
	s_mov_b64 s[0:1], -1
                                        ; implicit-def: $vgpr4
	s_branch .LBB30_1249
.LBB30_1241:
	s_mov_b64 s[0:1], -1
                                        ; implicit-def: $vgpr4
	s_branch .LBB30_1246
.LBB30_1242:
	s_mov_b64 s[0:1], -1
                                        ; implicit-def: $vgpr4
.LBB30_1243:
	s_andn2_b64 vcc, exec, s[0:1]
	s_cbranch_vccnz .LBB30_1245
; %bb.1244:
	global_load_dword v4, v[0:1], off
.LBB30_1245:
	s_mov_b64 s[0:1], 0
.LBB30_1246:
	s_andn2_b64 vcc, exec, s[0:1]
	s_cbranch_vccnz .LBB30_1248
; %bb.1247:
	global_load_ushort v4, v[0:1], off
.LBB30_1248:
	s_mov_b64 s[0:1], 0
.LBB30_1249:
	s_andn2_b64 vcc, exec, s[0:1]
	s_cbranch_vccnz .LBB30_1255
; %bb.1250:
	s_cmp_gt_i32 s12, 0
	s_cbranch_scc0 .LBB30_1252
; %bb.1251:
	global_load_ubyte v4, v[0:1], off
	s_mov_b64 s[0:1], 0
	s_branch .LBB30_1253
.LBB30_1252:
	s_mov_b64 s[0:1], -1
                                        ; implicit-def: $vgpr4
.LBB30_1253:
	s_andn2_b64 vcc, exec, s[0:1]
	s_cbranch_vccnz .LBB30_1255
; %bb.1254:
	global_load_ubyte v4, v[0:1], off
.LBB30_1255:
.LBB30_1256:
	s_waitcnt vmcnt(0)
	v_add_u32_e32 v5, s3, v2
	v_ashrrev_i32_e32 v1, 31, v5
	v_mov_b32_e32 v2, s11
	v_add_co_u32_e32 v0, vcc, s10, v5
	s_cmp_lt_i32 s20, 11
	v_addc_co_u32_e32 v1, vcc, v2, v1, vcc
	s_cbranch_scc1 .LBB30_1263
; %bb.1257:
	s_and_b32 s21, 0xffff, s20
	s_cmp_gt_i32 s21, 25
	s_mov_b64 s[12:13], 0
	s_cbranch_scc0 .LBB30_1265
; %bb.1258:
	s_cmp_gt_i32 s21, 28
	s_cbranch_scc0 .LBB30_1266
; %bb.1259:
	s_cmp_gt_i32 s21, 43
	;; [unrolled: 3-line block ×3, first 2 shown]
	s_cbranch_scc0 .LBB30_1269
; %bb.1261:
	s_cmp_eq_u32 s21, 46
	s_mov_b64 s[18:19], 0
	s_cbranch_scc0 .LBB30_1270
; %bb.1262:
	global_load_dword v2, v[0:1], off
	s_mov_b64 s[0:1], 0
	s_mov_b64 s[16:17], -1
	s_waitcnt vmcnt(0)
	v_lshlrev_b32_e32 v2, 16, v2
	v_cvt_i32_f32_e32 v2, v2
	s_branch .LBB30_1271
.LBB30_1263:
	s_mov_b64 s[16:17], 0
                                        ; implicit-def: $vgpr2
	s_cbranch_execnz .LBB30_1333
.LBB30_1264:
	s_andn2_b64 vcc, exec, s[16:17]
	s_cbranch_vccnz .LBB30_1940
	s_branch .LBB30_1381
.LBB30_1265:
	s_mov_b64 s[18:19], -1
	s_mov_b64 s[16:17], 0
	s_mov_b64 s[0:1], 0
                                        ; implicit-def: $vgpr2
	s_branch .LBB30_1298
.LBB30_1266:
	s_mov_b64 s[18:19], -1
	s_mov_b64 s[16:17], 0
	s_mov_b64 s[0:1], 0
                                        ; implicit-def: $vgpr2
	s_branch .LBB30_1281
.LBB30_1267:
	s_mov_b64 s[18:19], -1
	s_mov_b64 s[16:17], 0
	s_mov_b64 s[0:1], 0
                                        ; implicit-def: $vgpr2
	s_branch .LBB30_1276
.LBB30_1268:
	s_trap 2
	s_or_b64 s[14:15], s[14:15], exec
	s_cbranch_execz .LBB30_1207
	s_branch .LBB30_1208
.LBB30_1269:
	s_mov_b64 s[18:19], -1
	s_mov_b64 s[16:17], 0
	s_mov_b64 s[0:1], 0
                                        ; implicit-def: $vgpr2
	s_branch .LBB30_1271
.LBB30_1270:
	s_mov_b64 s[0:1], -1
                                        ; implicit-def: $vgpr2
	s_mov_b64 s[16:17], 0
.LBB30_1271:
	s_and_b64 vcc, exec, s[18:19]
	s_cbranch_vccz .LBB30_1275
; %bb.1272:
	s_cmp_eq_u32 s21, 44
	s_cbranch_scc0 .LBB30_1274
; %bb.1273:
	global_load_ubyte v2, v[0:1], off
	s_mov_b64 s[0:1], 0
	s_mov_b64 s[16:17], -1
	s_waitcnt vmcnt(0)
	v_lshlrev_b32_e32 v3, 23, v2
	v_cvt_i32_f32_e32 v3, v3
	v_cmp_ne_u32_e32 vcc, 0, v2
	v_cndmask_b32_e32 v2, 0, v3, vcc
	s_branch .LBB30_1275
.LBB30_1274:
	s_mov_b64 s[0:1], -1
                                        ; implicit-def: $vgpr2
.LBB30_1275:
	s_mov_b64 s[18:19], 0
.LBB30_1276:
	s_and_b64 vcc, exec, s[18:19]
	s_cbranch_vccz .LBB30_1280
; %bb.1277:
	s_cmp_eq_u32 s21, 29
	s_cbranch_scc0 .LBB30_1279
; %bb.1278:
	global_load_dwordx2 v[2:3], v[0:1], off
	s_mov_b64 s[0:1], 0
	s_mov_b64 s[16:17], -1
	s_branch .LBB30_1280
.LBB30_1279:
	s_mov_b64 s[0:1], -1
                                        ; implicit-def: $vgpr2
.LBB30_1280:
	s_mov_b64 s[18:19], 0
.LBB30_1281:
	s_and_b64 vcc, exec, s[18:19]
	s_cbranch_vccz .LBB30_1297
; %bb.1282:
	s_cmp_lt_i32 s21, 27
	s_cbranch_scc1 .LBB30_1285
; %bb.1283:
	s_cmp_gt_i32 s21, 27
	s_cbranch_scc0 .LBB30_1286
; %bb.1284:
	global_load_dword v2, v[0:1], off
	s_mov_b64 s[16:17], 0
	s_branch .LBB30_1287
.LBB30_1285:
	s_mov_b64 s[16:17], -1
                                        ; implicit-def: $vgpr2
	s_branch .LBB30_1290
.LBB30_1286:
	s_mov_b64 s[16:17], -1
                                        ; implicit-def: $vgpr2
.LBB30_1287:
	s_andn2_b64 vcc, exec, s[16:17]
	s_cbranch_vccnz .LBB30_1289
; %bb.1288:
	global_load_ushort v2, v[0:1], off
.LBB30_1289:
	s_mov_b64 s[16:17], 0
.LBB30_1290:
	s_andn2_b64 vcc, exec, s[16:17]
	s_cbranch_vccnz .LBB30_1296
; %bb.1291:
	global_load_ubyte v3, v[0:1], off
	s_movk_i32 s16, 0x7f
	s_mov_b64 s[18:19], 0
	s_waitcnt vmcnt(0)
	v_cmp_lt_i16_e32 vcc, s16, v3
	s_and_saveexec_b64 s[16:17], vcc
	s_xor_b64 s[16:17], exec, s[16:17]
	s_cbranch_execz .LBB30_1308
; %bb.1292:
	s_movk_i32 s18, 0x80
	v_cmp_ne_u16_e32 vcc, s18, v3
	s_and_b64 s[18:19], vcc, exec
	s_andn2_saveexec_b64 s[16:17], s[16:17]
	s_cbranch_execnz .LBB30_1309
.LBB30_1293:
	s_or_b64 exec, exec, s[16:17]
	v_mov_b32_e32 v2, 0
	s_and_saveexec_b64 s[16:17], s[18:19]
	s_cbranch_execz .LBB30_1295
.LBB30_1294:
	v_lshlrev_b32_e32 v2, 24, v3
	v_and_b32_e32 v3, 0xffff, v3
	v_and_b32_e32 v7, 7, v3
	v_ffbh_u32_e32 v11, v7
	v_min_u32_e32 v11, 32, v11
	v_subrev_u32_e32 v12, 28, v11
	v_bfe_u32 v8, v3, 3, 4
	v_lshlrev_b32_e32 v3, v12, v3
	v_sub_u32_e32 v11, 29, v11
	v_and_b32_e32 v3, 7, v3
	v_cmp_eq_u32_e32 vcc, 0, v8
	v_cndmask_b32_e32 v8, v8, v11, vcc
	v_cndmask_b32_e32 v3, v7, v3, vcc
	v_mov_b32_e32 v7, 0x3b800000
	v_lshlrev_b32_e32 v3, 20, v3
	v_and_b32_e32 v2, 0x80000000, v2
	v_lshl_add_u32 v7, v8, 23, v7
	v_or3_b32 v2, v2, v7, v3
	v_cvt_i32_f32_e32 v2, v2
.LBB30_1295:
	s_or_b64 exec, exec, s[16:17]
.LBB30_1296:
	s_mov_b64 s[16:17], -1
.LBB30_1297:
	s_mov_b64 s[18:19], 0
.LBB30_1298:
	s_and_b64 vcc, exec, s[18:19]
	s_cbranch_vccz .LBB30_1329
; %bb.1299:
	s_cmp_gt_i32 s21, 22
	s_cbranch_scc0 .LBB30_1307
; %bb.1300:
	s_cmp_lt_i32 s21, 24
	s_cbranch_scc1 .LBB30_1310
; %bb.1301:
	s_cmp_gt_i32 s21, 24
	s_cbranch_scc0 .LBB30_1311
; %bb.1302:
	global_load_ubyte v3, v[0:1], off
	s_movk_i32 s12, 0x7f
	s_mov_b64 s[16:17], 0
	s_waitcnt vmcnt(0)
	v_cmp_lt_i16_e32 vcc, s12, v3
	s_and_saveexec_b64 s[12:13], vcc
	s_xor_b64 s[12:13], exec, s[12:13]
	s_cbranch_execz .LBB30_1323
; %bb.1303:
	s_movk_i32 s16, 0x80
	v_cmp_ne_u16_e32 vcc, s16, v3
	s_and_b64 s[16:17], vcc, exec
	s_andn2_saveexec_b64 s[12:13], s[12:13]
	s_cbranch_execnz .LBB30_1324
.LBB30_1304:
	s_or_b64 exec, exec, s[12:13]
	v_mov_b32_e32 v2, 0
	s_and_saveexec_b64 s[12:13], s[16:17]
	s_cbranch_execz .LBB30_1306
.LBB30_1305:
	v_lshlrev_b32_e32 v2, 24, v3
	v_and_b32_e32 v3, 0xffff, v3
	v_and_b32_e32 v7, 3, v3
	v_ffbh_u32_e32 v11, v7
	v_min_u32_e32 v11, 32, v11
	v_subrev_u32_e32 v12, 29, v11
	v_bfe_u32 v8, v3, 2, 5
	v_lshlrev_b32_e32 v3, v12, v3
	v_sub_u32_e32 v11, 30, v11
	v_and_b32_e32 v3, 3, v3
	v_cmp_eq_u32_e32 vcc, 0, v8
	v_cndmask_b32_e32 v8, v8, v11, vcc
	v_cndmask_b32_e32 v3, v7, v3, vcc
	v_mov_b32_e32 v7, 0x37800000
	v_lshlrev_b32_e32 v3, 21, v3
	v_and_b32_e32 v2, 0x80000000, v2
	v_lshl_add_u32 v7, v8, 23, v7
	v_or3_b32 v2, v2, v7, v3
	v_cvt_i32_f32_e32 v2, v2
.LBB30_1306:
	s_or_b64 exec, exec, s[12:13]
	s_mov_b64 s[12:13], 0
	s_branch .LBB30_1312
.LBB30_1307:
	s_mov_b64 s[12:13], -1
                                        ; implicit-def: $vgpr2
	s_branch .LBB30_1318
.LBB30_1308:
	s_andn2_saveexec_b64 s[16:17], s[16:17]
	s_cbranch_execz .LBB30_1293
.LBB30_1309:
	v_cmp_ne_u16_e32 vcc, 0, v3
	s_andn2_b64 s[18:19], s[18:19], exec
	s_and_b64 s[22:23], vcc, exec
	s_or_b64 s[18:19], s[18:19], s[22:23]
	s_or_b64 exec, exec, s[16:17]
	v_mov_b32_e32 v2, 0
	s_and_saveexec_b64 s[16:17], s[18:19]
	s_cbranch_execnz .LBB30_1294
	s_branch .LBB30_1295
.LBB30_1310:
	s_mov_b64 s[12:13], -1
                                        ; implicit-def: $vgpr2
	s_branch .LBB30_1315
.LBB30_1311:
	s_mov_b64 s[12:13], -1
                                        ; implicit-def: $vgpr2
.LBB30_1312:
	s_and_b64 vcc, exec, s[12:13]
	s_cbranch_vccz .LBB30_1314
; %bb.1313:
	global_load_ubyte v2, v[0:1], off
	s_mov_b32 s12, 0x7f800000
	s_waitcnt vmcnt(0)
	v_lshlrev_b32_e32 v2, 24, v2
	v_and_b32_e32 v3, 0x7f000000, v2
	v_ffbh_u32_e32 v7, v3
	v_min_u32_e32 v7, 32, v7
	v_sub_u32_e64 v7, v7, 4 clamp
	v_lshlrev_b32_e32 v11, v7, v3
	v_lshlrev_b32_e32 v7, 23, v7
	v_lshrrev_b32_e32 v11, 4, v11
	v_add_u32_e32 v8, 0x1000000, v3
	v_sub_u32_e32 v7, v11, v7
	v_ashrrev_i32_e32 v8, 8, v8
	v_add_u32_e32 v7, 0x3c000000, v7
	v_and_or_b32 v7, v8, s12, v7
	v_cmp_ne_u32_e32 vcc, 0, v3
	v_cndmask_b32_e32 v3, 0, v7, vcc
	s_brev_b32 s12, 1
	v_and_or_b32 v2, v2, s12, v3
	v_cvt_i32_f32_e32 v2, v2
.LBB30_1314:
	s_mov_b64 s[12:13], 0
.LBB30_1315:
	s_andn2_b64 vcc, exec, s[12:13]
	s_cbranch_vccnz .LBB30_1317
; %bb.1316:
	global_load_ubyte v2, v[0:1], off
	s_movk_i32 s12, 0x7f00
	s_brev_b32 s13, 16
	s_waitcnt vmcnt(0)
	v_lshlrev_b16_e32 v3, 8, v2
	v_lshlrev_b32_e32 v2, 25, v2
	v_lshrrev_b32_e32 v7, 4, v2
	v_and_or_b32 v8, v3, s12, 0.5
	v_or_b32_e32 v7, 0x70000000, v7
	v_add_f32_e32 v8, -0.5, v8
	v_mul_f32_e32 v7, 0x7800000, v7
	v_cmp_gt_u32_e32 vcc, s13, v2
	v_bfe_i32 v3, v3, 0, 16
	v_cndmask_b32_e32 v2, v7, v8, vcc
	s_brev_b32 s12, 1
	v_and_or_b32 v2, v3, s12, v2
	v_cvt_i32_f32_e32 v2, v2
.LBB30_1317:
	s_mov_b64 s[12:13], 0
	s_mov_b64 s[16:17], -1
.LBB30_1318:
	s_andn2_b64 vcc, exec, s[12:13]
	s_mov_b64 s[12:13], 0
	s_cbranch_vccnz .LBB30_1329
; %bb.1319:
	s_cmp_gt_i32 s21, 14
	s_cbranch_scc0 .LBB30_1322
; %bb.1320:
	s_cmp_eq_u32 s21, 15
	s_cbranch_scc0 .LBB30_1325
; %bb.1321:
	global_load_ushort v2, v[0:1], off
	s_mov_b64 s[0:1], 0
	s_mov_b64 s[16:17], -1
	s_waitcnt vmcnt(0)
	v_lshlrev_b32_e32 v2, 16, v2
	v_cvt_i32_f32_e32 v2, v2
	s_branch .LBB30_1326
.LBB30_1322:
	s_mov_b64 s[18:19], -1
                                        ; implicit-def: $vgpr2
	s_branch .LBB30_1327
.LBB30_1323:
	s_andn2_saveexec_b64 s[12:13], s[12:13]
	s_cbranch_execz .LBB30_1304
.LBB30_1324:
	v_cmp_ne_u16_e32 vcc, 0, v3
	s_andn2_b64 s[16:17], s[16:17], exec
	s_and_b64 s[18:19], vcc, exec
	s_or_b64 s[16:17], s[16:17], s[18:19]
	s_or_b64 exec, exec, s[12:13]
	v_mov_b32_e32 v2, 0
	s_and_saveexec_b64 s[12:13], s[16:17]
	s_cbranch_execnz .LBB30_1305
	s_branch .LBB30_1306
.LBB30_1325:
	s_mov_b64 s[0:1], -1
                                        ; implicit-def: $vgpr2
.LBB30_1326:
	s_mov_b64 s[18:19], 0
.LBB30_1327:
	s_and_b64 vcc, exec, s[18:19]
	s_cbranch_vccz .LBB30_1329
; %bb.1328:
	s_cmp_lg_u32 s21, 11
	s_mov_b64 s[12:13], -1
	s_cselect_b64 s[0:1], -1, 0
.LBB30_1329:
	s_and_b64 vcc, exec, s[0:1]
	s_cbranch_vccnz .LBB30_1392
; %bb.1330:
	s_andn2_b64 vcc, exec, s[12:13]
	s_cbranch_vccnz .LBB30_1332
.LBB30_1331:
	global_load_ubyte v2, v[0:1], off
	s_mov_b64 s[16:17], -1
	s_waitcnt vmcnt(0)
	v_cmp_ne_u16_e32 vcc, 0, v2
	v_cndmask_b32_e64 v2, 0, 1, vcc
.LBB30_1332:
	s_branch .LBB30_1264
.LBB30_1333:
	s_and_b32 s12, 0xffff, s20
	s_cmp_lt_i32 s12, 5
	s_cbranch_scc1 .LBB30_1338
; %bb.1334:
	s_cmp_lt_i32 s12, 8
	s_cbranch_scc1 .LBB30_1339
; %bb.1335:
	;; [unrolled: 3-line block ×3, first 2 shown]
	s_cmp_gt_i32 s12, 9
	s_cbranch_scc0 .LBB30_1341
; %bb.1337:
	global_load_dwordx2 v[2:3], v[0:1], off
	s_mov_b64 s[0:1], 0
	s_waitcnt vmcnt(0)
	v_cvt_i32_f64_e32 v2, v[2:3]
	s_branch .LBB30_1342
.LBB30_1338:
	s_mov_b64 s[0:1], -1
                                        ; implicit-def: $vgpr2
	s_branch .LBB30_1360
.LBB30_1339:
	s_mov_b64 s[0:1], -1
                                        ; implicit-def: $vgpr2
	s_branch .LBB30_1348
.LBB30_1340:
	s_mov_b64 s[0:1], -1
                                        ; implicit-def: $vgpr2
	s_branch .LBB30_1345
.LBB30_1341:
	s_mov_b64 s[0:1], -1
                                        ; implicit-def: $vgpr2
.LBB30_1342:
	s_andn2_b64 vcc, exec, s[0:1]
	s_cbranch_vccnz .LBB30_1344
; %bb.1343:
	global_load_dword v2, v[0:1], off
	s_waitcnt vmcnt(0)
	v_cvt_i32_f32_e32 v2, v2
.LBB30_1344:
	s_mov_b64 s[0:1], 0
.LBB30_1345:
	s_andn2_b64 vcc, exec, s[0:1]
	s_cbranch_vccnz .LBB30_1347
; %bb.1346:
	global_load_dword v2, v[0:1], off
	s_waitcnt vmcnt(0)
	v_cvt_i16_f16_e32 v2, v2
.LBB30_1347:
	s_mov_b64 s[0:1], 0
.LBB30_1348:
	s_andn2_b64 vcc, exec, s[0:1]
	s_cbranch_vccnz .LBB30_1359
; %bb.1349:
	s_cmp_lt_i32 s12, 6
	s_cbranch_scc1 .LBB30_1352
; %bb.1350:
	s_cmp_gt_i32 s12, 6
	s_cbranch_scc0 .LBB30_1353
; %bb.1351:
	global_load_dwordx2 v[2:3], v[0:1], off
	s_mov_b64 s[0:1], 0
	s_waitcnt vmcnt(0)
	v_cvt_i32_f64_e32 v2, v[2:3]
	s_branch .LBB30_1354
.LBB30_1352:
	s_mov_b64 s[0:1], -1
                                        ; implicit-def: $vgpr2
	s_branch .LBB30_1357
.LBB30_1353:
	s_mov_b64 s[0:1], -1
                                        ; implicit-def: $vgpr2
.LBB30_1354:
	s_andn2_b64 vcc, exec, s[0:1]
	s_cbranch_vccnz .LBB30_1356
; %bb.1355:
	global_load_dword v2, v[0:1], off
	s_waitcnt vmcnt(0)
	v_cvt_i32_f32_e32 v2, v2
.LBB30_1356:
	s_mov_b64 s[0:1], 0
.LBB30_1357:
	s_andn2_b64 vcc, exec, s[0:1]
	s_cbranch_vccnz .LBB30_1359
; %bb.1358:
	global_load_ushort v2, v[0:1], off
	s_waitcnt vmcnt(0)
	v_cvt_i16_f16_e32 v2, v2
.LBB30_1359:
	s_mov_b64 s[0:1], 0
.LBB30_1360:
	s_andn2_b64 vcc, exec, s[0:1]
	s_cbranch_vccnz .LBB30_1380
; %bb.1361:
	s_cmp_lt_i32 s12, 2
	s_cbranch_scc1 .LBB30_1365
; %bb.1362:
	s_cmp_lt_i32 s12, 3
	s_cbranch_scc1 .LBB30_1366
; %bb.1363:
	s_cmp_gt_i32 s12, 3
	s_cbranch_scc0 .LBB30_1367
; %bb.1364:
	global_load_dwordx2 v[2:3], v[0:1], off
	s_mov_b64 s[0:1], 0
	s_branch .LBB30_1368
.LBB30_1365:
	s_mov_b64 s[0:1], -1
                                        ; implicit-def: $vgpr2
	s_branch .LBB30_1374
.LBB30_1366:
	s_mov_b64 s[0:1], -1
                                        ; implicit-def: $vgpr2
	s_branch .LBB30_1371
.LBB30_1367:
	s_mov_b64 s[0:1], -1
                                        ; implicit-def: $vgpr2
.LBB30_1368:
	s_andn2_b64 vcc, exec, s[0:1]
	s_cbranch_vccnz .LBB30_1370
; %bb.1369:
	global_load_dword v2, v[0:1], off
.LBB30_1370:
	s_mov_b64 s[0:1], 0
.LBB30_1371:
	s_andn2_b64 vcc, exec, s[0:1]
	s_cbranch_vccnz .LBB30_1373
; %bb.1372:
	global_load_ushort v2, v[0:1], off
.LBB30_1373:
	s_mov_b64 s[0:1], 0
.LBB30_1374:
	s_andn2_b64 vcc, exec, s[0:1]
	s_cbranch_vccnz .LBB30_1380
; %bb.1375:
	s_cmp_gt_i32 s12, 0
	s_cbranch_scc0 .LBB30_1377
; %bb.1376:
	global_load_ubyte v2, v[0:1], off
	s_mov_b64 s[0:1], 0
	s_branch .LBB30_1378
.LBB30_1377:
	s_mov_b64 s[0:1], -1
                                        ; implicit-def: $vgpr2
.LBB30_1378:
	s_andn2_b64 vcc, exec, s[0:1]
	s_cbranch_vccnz .LBB30_1380
; %bb.1379:
	global_load_ubyte v2, v[0:1], off
.LBB30_1380:
.LBB30_1381:
	v_add_u32_e32 v0, s3, v5
	v_ashrrev_i32_e32 v1, 31, v0
	s_waitcnt vmcnt(0)
	v_mov_b32_e32 v3, s11
	v_add_co_u32_e32 v7, vcc, s10, v0
	s_cmp_lt_i32 s20, 11
	v_addc_co_u32_e32 v8, vcc, v3, v1, vcc
	s_cbranch_scc1 .LBB30_1388
; %bb.1382:
	s_and_b32 s3, 0xffff, s20
	s_cmp_gt_i32 s3, 25
	s_mov_b64 s[10:11], 0
	s_cbranch_scc0 .LBB30_1389
; %bb.1383:
	s_cmp_gt_i32 s3, 28
	s_cbranch_scc0 .LBB30_1390
; %bb.1384:
	s_cmp_gt_i32 s3, 43
	;; [unrolled: 3-line block ×3, first 2 shown]
	s_cbranch_scc0 .LBB30_1393
; %bb.1386:
	s_cmp_eq_u32 s3, 46
	s_mov_b64 s[16:17], 0
	s_cbranch_scc0 .LBB30_1394
; %bb.1387:
	global_load_dword v0, v[7:8], off
	s_mov_b64 s[0:1], 0
	s_mov_b64 s[12:13], -1
	s_waitcnt vmcnt(0)
	v_lshlrev_b32_e32 v0, 16, v0
	v_cvt_i32_f32_e32 v0, v0
	s_branch .LBB30_1395
.LBB30_1388:
	s_mov_b64 s[0:1], -1
	s_mov_b64 s[12:13], 0
                                        ; implicit-def: $vgpr0
	s_branch .LBB30_1457
.LBB30_1389:
	s_mov_b64 s[16:17], -1
	s_mov_b64 s[12:13], 0
	s_mov_b64 s[0:1], 0
                                        ; implicit-def: $vgpr0
	s_branch .LBB30_1422
.LBB30_1390:
	s_mov_b64 s[16:17], -1
	s_mov_b64 s[12:13], 0
	s_mov_b64 s[0:1], 0
                                        ; implicit-def: $vgpr0
	s_branch .LBB30_1405
.LBB30_1391:
	s_mov_b64 s[16:17], -1
	s_mov_b64 s[12:13], 0
	s_mov_b64 s[0:1], 0
                                        ; implicit-def: $vgpr0
	s_branch .LBB30_1400
.LBB30_1392:
	s_trap 2
	s_or_b64 s[14:15], s[14:15], exec
	s_cbranch_execz .LBB30_1331
	s_branch .LBB30_1332
.LBB30_1393:
	s_mov_b64 s[16:17], -1
	s_mov_b64 s[12:13], 0
	s_mov_b64 s[0:1], 0
                                        ; implicit-def: $vgpr0
	s_branch .LBB30_1395
.LBB30_1394:
	s_mov_b64 s[0:1], -1
                                        ; implicit-def: $vgpr0
	s_mov_b64 s[12:13], 0
.LBB30_1395:
	s_and_b64 vcc, exec, s[16:17]
	s_cbranch_vccz .LBB30_1399
; %bb.1396:
	s_cmp_eq_u32 s3, 44
	s_cbranch_scc0 .LBB30_1398
; %bb.1397:
	global_load_ubyte v0, v[7:8], off
	s_mov_b64 s[0:1], 0
	s_mov_b64 s[12:13], -1
	s_waitcnt vmcnt(0)
	v_lshlrev_b32_e32 v1, 23, v0
	v_cvt_i32_f32_e32 v1, v1
	v_cmp_ne_u32_e32 vcc, 0, v0
	v_cndmask_b32_e32 v0, 0, v1, vcc
	s_branch .LBB30_1399
.LBB30_1398:
	s_mov_b64 s[0:1], -1
                                        ; implicit-def: $vgpr0
.LBB30_1399:
	s_mov_b64 s[16:17], 0
.LBB30_1400:
	s_and_b64 vcc, exec, s[16:17]
	s_cbranch_vccz .LBB30_1404
; %bb.1401:
	s_cmp_eq_u32 s3, 29
	s_cbranch_scc0 .LBB30_1403
; %bb.1402:
	global_load_dwordx2 v[0:1], v[7:8], off
	s_mov_b64 s[0:1], 0
	s_mov_b64 s[12:13], -1
	s_branch .LBB30_1404
.LBB30_1403:
	s_mov_b64 s[0:1], -1
                                        ; implicit-def: $vgpr0
.LBB30_1404:
	s_mov_b64 s[16:17], 0
.LBB30_1405:
	s_and_b64 vcc, exec, s[16:17]
	s_cbranch_vccz .LBB30_1421
; %bb.1406:
	s_cmp_lt_i32 s3, 27
	s_cbranch_scc1 .LBB30_1409
; %bb.1407:
	s_cmp_gt_i32 s3, 27
	s_cbranch_scc0 .LBB30_1410
; %bb.1408:
	global_load_dword v0, v[7:8], off
	s_mov_b64 s[12:13], 0
	s_branch .LBB30_1411
.LBB30_1409:
	s_mov_b64 s[12:13], -1
                                        ; implicit-def: $vgpr0
	s_branch .LBB30_1414
.LBB30_1410:
	s_mov_b64 s[12:13], -1
                                        ; implicit-def: $vgpr0
.LBB30_1411:
	s_andn2_b64 vcc, exec, s[12:13]
	s_cbranch_vccnz .LBB30_1413
; %bb.1412:
	global_load_ushort v0, v[7:8], off
.LBB30_1413:
	s_mov_b64 s[12:13], 0
.LBB30_1414:
	s_andn2_b64 vcc, exec, s[12:13]
	s_cbranch_vccnz .LBB30_1420
; %bb.1415:
	global_load_ubyte v1, v[7:8], off
	s_movk_i32 s12, 0x7f
	s_mov_b64 s[16:17], 0
	s_waitcnt vmcnt(0)
	v_cmp_lt_i16_e32 vcc, s12, v1
	s_and_saveexec_b64 s[12:13], vcc
	s_xor_b64 s[12:13], exec, s[12:13]
	s_cbranch_execz .LBB30_1432
; %bb.1416:
	s_movk_i32 s16, 0x80
	v_cmp_ne_u16_e32 vcc, s16, v1
	s_and_b64 s[16:17], vcc, exec
	s_andn2_saveexec_b64 s[12:13], s[12:13]
	s_cbranch_execnz .LBB30_1433
.LBB30_1417:
	s_or_b64 exec, exec, s[12:13]
	v_mov_b32_e32 v0, 0
	s_and_saveexec_b64 s[12:13], s[16:17]
	s_cbranch_execz .LBB30_1419
.LBB30_1418:
	v_lshlrev_b32_e32 v0, 24, v1
	v_and_b32_e32 v1, 0xffff, v1
	v_and_b32_e32 v3, 7, v1
	v_ffbh_u32_e32 v11, v3
	v_min_u32_e32 v11, 32, v11
	v_subrev_u32_e32 v12, 28, v11
	v_bfe_u32 v5, v1, 3, 4
	v_lshlrev_b32_e32 v1, v12, v1
	v_sub_u32_e32 v11, 29, v11
	v_and_b32_e32 v1, 7, v1
	v_cmp_eq_u32_e32 vcc, 0, v5
	v_cndmask_b32_e32 v5, v5, v11, vcc
	v_cndmask_b32_e32 v1, v3, v1, vcc
	v_mov_b32_e32 v3, 0x3b800000
	v_lshlrev_b32_e32 v1, 20, v1
	v_and_b32_e32 v0, 0x80000000, v0
	v_lshl_add_u32 v3, v5, 23, v3
	v_or3_b32 v0, v0, v3, v1
	v_cvt_i32_f32_e32 v0, v0
.LBB30_1419:
	s_or_b64 exec, exec, s[12:13]
.LBB30_1420:
	s_mov_b64 s[12:13], -1
.LBB30_1421:
	s_mov_b64 s[16:17], 0
.LBB30_1422:
	s_and_b64 vcc, exec, s[16:17]
	s_cbranch_vccz .LBB30_1453
; %bb.1423:
	s_cmp_gt_i32 s3, 22
	s_cbranch_scc0 .LBB30_1431
; %bb.1424:
	s_cmp_lt_i32 s3, 24
	s_cbranch_scc1 .LBB30_1434
; %bb.1425:
	s_cmp_gt_i32 s3, 24
	s_cbranch_scc0 .LBB30_1435
; %bb.1426:
	global_load_ubyte v1, v[7:8], off
	s_movk_i32 s10, 0x7f
	s_mov_b64 s[12:13], 0
	s_waitcnt vmcnt(0)
	v_cmp_lt_i16_e32 vcc, s10, v1
	s_and_saveexec_b64 s[10:11], vcc
	s_xor_b64 s[10:11], exec, s[10:11]
	s_cbranch_execz .LBB30_1447
; %bb.1427:
	s_movk_i32 s12, 0x80
	v_cmp_ne_u16_e32 vcc, s12, v1
	s_and_b64 s[12:13], vcc, exec
	s_andn2_saveexec_b64 s[10:11], s[10:11]
	s_cbranch_execnz .LBB30_1448
.LBB30_1428:
	s_or_b64 exec, exec, s[10:11]
	v_mov_b32_e32 v0, 0
	s_and_saveexec_b64 s[10:11], s[12:13]
	s_cbranch_execz .LBB30_1430
.LBB30_1429:
	v_lshlrev_b32_e32 v0, 24, v1
	v_and_b32_e32 v1, 0xffff, v1
	v_and_b32_e32 v3, 3, v1
	v_ffbh_u32_e32 v11, v3
	v_min_u32_e32 v11, 32, v11
	v_subrev_u32_e32 v12, 29, v11
	v_bfe_u32 v5, v1, 2, 5
	v_lshlrev_b32_e32 v1, v12, v1
	v_sub_u32_e32 v11, 30, v11
	v_and_b32_e32 v1, 3, v1
	v_cmp_eq_u32_e32 vcc, 0, v5
	v_cndmask_b32_e32 v5, v5, v11, vcc
	v_cndmask_b32_e32 v1, v3, v1, vcc
	v_mov_b32_e32 v3, 0x37800000
	v_lshlrev_b32_e32 v1, 21, v1
	v_and_b32_e32 v0, 0x80000000, v0
	v_lshl_add_u32 v3, v5, 23, v3
	v_or3_b32 v0, v0, v3, v1
	v_cvt_i32_f32_e32 v0, v0
.LBB30_1430:
	s_or_b64 exec, exec, s[10:11]
	s_mov_b64 s[10:11], 0
	s_branch .LBB30_1436
.LBB30_1431:
	s_mov_b64 s[10:11], -1
                                        ; implicit-def: $vgpr0
	s_branch .LBB30_1442
.LBB30_1432:
	s_andn2_saveexec_b64 s[12:13], s[12:13]
	s_cbranch_execz .LBB30_1417
.LBB30_1433:
	v_cmp_ne_u16_e32 vcc, 0, v1
	s_andn2_b64 s[16:17], s[16:17], exec
	s_and_b64 s[18:19], vcc, exec
	s_or_b64 s[16:17], s[16:17], s[18:19]
	s_or_b64 exec, exec, s[12:13]
	v_mov_b32_e32 v0, 0
	s_and_saveexec_b64 s[12:13], s[16:17]
	s_cbranch_execnz .LBB30_1418
	s_branch .LBB30_1419
.LBB30_1434:
	s_mov_b64 s[10:11], -1
                                        ; implicit-def: $vgpr0
	s_branch .LBB30_1439
.LBB30_1435:
	s_mov_b64 s[10:11], -1
                                        ; implicit-def: $vgpr0
.LBB30_1436:
	s_and_b64 vcc, exec, s[10:11]
	s_cbranch_vccz .LBB30_1438
; %bb.1437:
	global_load_ubyte v0, v[7:8], off
	s_mov_b32 s10, 0x7f800000
	s_waitcnt vmcnt(0)
	v_lshlrev_b32_e32 v0, 24, v0
	v_and_b32_e32 v1, 0x7f000000, v0
	v_ffbh_u32_e32 v3, v1
	v_min_u32_e32 v3, 32, v3
	v_sub_u32_e64 v3, v3, 4 clamp
	v_lshlrev_b32_e32 v11, v3, v1
	v_lshlrev_b32_e32 v3, 23, v3
	v_lshrrev_b32_e32 v11, 4, v11
	v_add_u32_e32 v5, 0x1000000, v1
	v_sub_u32_e32 v3, v11, v3
	v_ashrrev_i32_e32 v5, 8, v5
	v_add_u32_e32 v3, 0x3c000000, v3
	v_and_or_b32 v3, v5, s10, v3
	v_cmp_ne_u32_e32 vcc, 0, v1
	v_cndmask_b32_e32 v1, 0, v3, vcc
	s_brev_b32 s10, 1
	v_and_or_b32 v0, v0, s10, v1
	v_cvt_i32_f32_e32 v0, v0
.LBB30_1438:
	s_mov_b64 s[10:11], 0
.LBB30_1439:
	s_andn2_b64 vcc, exec, s[10:11]
	s_cbranch_vccnz .LBB30_1441
; %bb.1440:
	global_load_ubyte v0, v[7:8], off
	s_movk_i32 s10, 0x7f00
	s_brev_b32 s11, 16
	s_waitcnt vmcnt(0)
	v_lshlrev_b16_e32 v1, 8, v0
	v_lshlrev_b32_e32 v0, 25, v0
	v_lshrrev_b32_e32 v3, 4, v0
	v_and_or_b32 v5, v1, s10, 0.5
	v_or_b32_e32 v3, 0x70000000, v3
	v_add_f32_e32 v5, -0.5, v5
	v_mul_f32_e32 v3, 0x7800000, v3
	v_cmp_gt_u32_e32 vcc, s11, v0
	v_bfe_i32 v1, v1, 0, 16
	v_cndmask_b32_e32 v0, v3, v5, vcc
	s_brev_b32 s10, 1
	v_and_or_b32 v0, v1, s10, v0
	v_cvt_i32_f32_e32 v0, v0
.LBB30_1441:
	s_mov_b64 s[10:11], 0
	s_mov_b64 s[12:13], -1
.LBB30_1442:
	s_andn2_b64 vcc, exec, s[10:11]
	s_mov_b64 s[10:11], 0
	s_cbranch_vccnz .LBB30_1453
; %bb.1443:
	s_cmp_gt_i32 s3, 14
	s_cbranch_scc0 .LBB30_1446
; %bb.1444:
	s_cmp_eq_u32 s3, 15
	s_cbranch_scc0 .LBB30_1449
; %bb.1445:
	global_load_ushort v0, v[7:8], off
	s_mov_b64 s[0:1], 0
	s_mov_b64 s[12:13], -1
	s_waitcnt vmcnt(0)
	v_lshlrev_b32_e32 v0, 16, v0
	v_cvt_i32_f32_e32 v0, v0
	s_branch .LBB30_1450
.LBB30_1446:
	s_mov_b64 s[16:17], -1
                                        ; implicit-def: $vgpr0
	s_branch .LBB30_1451
.LBB30_1447:
	s_andn2_saveexec_b64 s[10:11], s[10:11]
	s_cbranch_execz .LBB30_1428
.LBB30_1448:
	v_cmp_ne_u16_e32 vcc, 0, v1
	s_andn2_b64 s[12:13], s[12:13], exec
	s_and_b64 s[16:17], vcc, exec
	s_or_b64 s[12:13], s[12:13], s[16:17]
	s_or_b64 exec, exec, s[10:11]
	v_mov_b32_e32 v0, 0
	s_and_saveexec_b64 s[10:11], s[12:13]
	s_cbranch_execnz .LBB30_1429
	s_branch .LBB30_1430
.LBB30_1449:
	s_mov_b64 s[0:1], -1
                                        ; implicit-def: $vgpr0
.LBB30_1450:
	s_mov_b64 s[16:17], 0
.LBB30_1451:
	s_and_b64 vcc, exec, s[16:17]
	s_cbranch_vccz .LBB30_1453
; %bb.1452:
	s_cmp_lg_u32 s3, 11
	s_mov_b64 s[10:11], -1
	s_cselect_b64 s[0:1], -1, 0
.LBB30_1453:
	s_and_b64 vcc, exec, s[0:1]
	s_cbranch_vccnz .LBB30_1986
; %bb.1454:
	s_andn2_b64 vcc, exec, s[10:11]
	s_cbranch_vccnz .LBB30_1456
.LBB30_1455:
	global_load_ubyte v0, v[7:8], off
	s_mov_b64 s[12:13], -1
	s_waitcnt vmcnt(0)
	v_cmp_ne_u16_e32 vcc, 0, v0
	v_cndmask_b32_e64 v0, 0, 1, vcc
.LBB30_1456:
	s_mov_b64 s[0:1], 0
.LBB30_1457:
	s_and_b64 vcc, exec, s[0:1]
	s_cbranch_vccz .LBB30_1506
; %bb.1458:
	s_and_b32 s3, 0xffff, s20
	s_cmp_lt_i32 s3, 5
	s_cbranch_scc1 .LBB30_1463
; %bb.1459:
	s_cmp_lt_i32 s3, 8
	s_cbranch_scc1 .LBB30_1464
; %bb.1460:
	;; [unrolled: 3-line block ×3, first 2 shown]
	s_cmp_gt_i32 s3, 9
	s_cbranch_scc0 .LBB30_1466
; %bb.1462:
	global_load_dwordx2 v[0:1], v[7:8], off
	s_mov_b64 s[0:1], 0
	s_waitcnt vmcnt(0)
	v_cvt_i32_f64_e32 v0, v[0:1]
	s_branch .LBB30_1467
.LBB30_1463:
	s_mov_b64 s[0:1], -1
                                        ; implicit-def: $vgpr0
	s_branch .LBB30_1485
.LBB30_1464:
	s_mov_b64 s[0:1], -1
                                        ; implicit-def: $vgpr0
	s_branch .LBB30_1473
.LBB30_1465:
	s_mov_b64 s[0:1], -1
                                        ; implicit-def: $vgpr0
	s_branch .LBB30_1470
.LBB30_1466:
	s_mov_b64 s[0:1], -1
                                        ; implicit-def: $vgpr0
.LBB30_1467:
	s_andn2_b64 vcc, exec, s[0:1]
	s_cbranch_vccnz .LBB30_1469
; %bb.1468:
	global_load_dword v0, v[7:8], off
	s_waitcnt vmcnt(0)
	v_cvt_i32_f32_e32 v0, v0
.LBB30_1469:
	s_mov_b64 s[0:1], 0
.LBB30_1470:
	s_andn2_b64 vcc, exec, s[0:1]
	s_cbranch_vccnz .LBB30_1472
; %bb.1471:
	global_load_dword v0, v[7:8], off
	s_waitcnt vmcnt(0)
	v_cvt_i16_f16_e32 v0, v0
.LBB30_1472:
	s_mov_b64 s[0:1], 0
.LBB30_1473:
	s_andn2_b64 vcc, exec, s[0:1]
	s_cbranch_vccnz .LBB30_1484
; %bb.1474:
	s_cmp_lt_i32 s3, 6
	s_cbranch_scc1 .LBB30_1477
; %bb.1475:
	s_cmp_gt_i32 s3, 6
	s_cbranch_scc0 .LBB30_1478
; %bb.1476:
	global_load_dwordx2 v[0:1], v[7:8], off
	s_mov_b64 s[0:1], 0
	s_waitcnt vmcnt(0)
	v_cvt_i32_f64_e32 v0, v[0:1]
	s_branch .LBB30_1479
.LBB30_1477:
	s_mov_b64 s[0:1], -1
                                        ; implicit-def: $vgpr0
	s_branch .LBB30_1482
.LBB30_1478:
	s_mov_b64 s[0:1], -1
                                        ; implicit-def: $vgpr0
.LBB30_1479:
	s_andn2_b64 vcc, exec, s[0:1]
	s_cbranch_vccnz .LBB30_1481
; %bb.1480:
	global_load_dword v0, v[7:8], off
	s_waitcnt vmcnt(0)
	v_cvt_i32_f32_e32 v0, v0
.LBB30_1481:
	s_mov_b64 s[0:1], 0
.LBB30_1482:
	s_andn2_b64 vcc, exec, s[0:1]
	s_cbranch_vccnz .LBB30_1484
; %bb.1483:
	global_load_ushort v0, v[7:8], off
	s_waitcnt vmcnt(0)
	v_cvt_i16_f16_e32 v0, v0
.LBB30_1484:
	s_mov_b64 s[0:1], 0
.LBB30_1485:
	s_andn2_b64 vcc, exec, s[0:1]
	s_cbranch_vccnz .LBB30_1505
; %bb.1486:
	s_cmp_lt_i32 s3, 2
	s_cbranch_scc1 .LBB30_1490
; %bb.1487:
	s_cmp_lt_i32 s3, 3
	s_cbranch_scc1 .LBB30_1491
; %bb.1488:
	s_cmp_gt_i32 s3, 3
	s_cbranch_scc0 .LBB30_1492
; %bb.1489:
	global_load_dwordx2 v[0:1], v[7:8], off
	s_mov_b64 s[0:1], 0
	s_branch .LBB30_1493
.LBB30_1490:
	s_mov_b64 s[0:1], -1
                                        ; implicit-def: $vgpr0
	s_branch .LBB30_1499
.LBB30_1491:
	s_mov_b64 s[0:1], -1
                                        ; implicit-def: $vgpr0
	s_branch .LBB30_1496
.LBB30_1492:
	s_mov_b64 s[0:1], -1
                                        ; implicit-def: $vgpr0
.LBB30_1493:
	s_andn2_b64 vcc, exec, s[0:1]
	s_cbranch_vccnz .LBB30_1495
; %bb.1494:
	global_load_dword v0, v[7:8], off
.LBB30_1495:
	s_mov_b64 s[0:1], 0
.LBB30_1496:
	s_andn2_b64 vcc, exec, s[0:1]
	s_cbranch_vccnz .LBB30_1498
; %bb.1497:
	global_load_ushort v0, v[7:8], off
.LBB30_1498:
	s_mov_b64 s[0:1], 0
.LBB30_1499:
	s_andn2_b64 vcc, exec, s[0:1]
	s_cbranch_vccnz .LBB30_1505
; %bb.1500:
	s_cmp_gt_i32 s3, 0
	s_cbranch_scc0 .LBB30_1502
; %bb.1501:
	global_load_ubyte v0, v[7:8], off
	s_mov_b64 s[0:1], 0
	s_branch .LBB30_1503
.LBB30_1502:
	s_mov_b64 s[0:1], -1
                                        ; implicit-def: $vgpr0
.LBB30_1503:
	s_andn2_b64 vcc, exec, s[0:1]
	s_cbranch_vccnz .LBB30_1505
; %bb.1504:
	global_load_ubyte v0, v[7:8], off
.LBB30_1505:
	s_mov_b64 s[12:13], -1
.LBB30_1506:
	s_andn2_b64 vcc, exec, s[12:13]
	s_cbranch_vccnz .LBB30_1940
; %bb.1507:
	s_waitcnt vmcnt(0)
	v_mul_lo_u32 v1, s2, v10
	v_mov_b32_e32 v5, 8
	v_lshlrev_b32_sdwa v3, v6, v9 dst_sel:DWORD dst_unused:UNUSED_PAD src0_sel:DWORD src1_sel:BYTE_0
	v_cmp_lt_u16_sdwa vcc, v6, v5 src0_sel:BYTE_0 src1_sel:DWORD
	v_cndmask_b32_e32 v3, 0, v3, vcc
	v_ashrrev_i32_e32 v6, 31, v1
	v_mov_b32_e32 v7, s9
	s_and_b32 s20, s33, 0xff
	v_add_co_u32_e32 v5, vcc, s8, v1
	s_cmp_lt_i32 s20, 11
	v_addc_co_u32_e32 v6, vcc, v7, v6, vcc
	s_cbranch_scc1 .LBB30_1585
; %bb.1508:
	s_and_b32 s3, 0xffff, s20
	s_mov_b64 s[16:17], -1
	s_mov_b64 s[10:11], 0
	s_cmp_gt_i32 s3, 25
	s_mov_b64 s[12:13], 0
	s_mov_b64 s[0:1], 0
	s_cbranch_scc0 .LBB30_1541
; %bb.1509:
	s_cmp_gt_i32 s3, 28
	s_cbranch_scc0 .LBB30_1524
; %bb.1510:
	s_cmp_gt_i32 s3, 43
	;; [unrolled: 3-line block ×3, first 2 shown]
	s_cbranch_scc0 .LBB30_1514
; %bb.1512:
	s_mov_b64 s[0:1], -1
	s_mov_b64 s[16:17], 0
	s_cmp_eq_u32 s3, 46
	s_cbranch_scc0 .LBB30_1514
; %bb.1513:
	v_bfe_i32 v7, v3, 0, 8
	v_cvt_f32_i32_sdwa v7, sext(v7) dst_sel:DWORD dst_unused:UNUSED_PAD src0_sel:WORD_0
	s_movk_i32 s12, 0x7fff
	s_mov_b64 s[0:1], 0
	v_bfe_u32 v8, v7, 16, 1
	v_add3_u32 v7, v7, v8, s12
	v_lshrrev_b32_e32 v7, 16, v7
	global_store_dword v[5:6], v7, off
	s_mov_b64 s[12:13], -1
.LBB30_1514:
	s_and_b64 vcc, exec, s[16:17]
	s_cbranch_vccz .LBB30_1519
; %bb.1515:
	s_cmp_eq_u32 s3, 44
	s_mov_b64 s[0:1], -1
	s_cbranch_scc0 .LBB30_1519
; %bb.1516:
	v_bfe_i32 v7, v3, 0, 8
	v_cvt_f32_i32_sdwa v7, sext(v7) dst_sel:DWORD dst_unused:UNUSED_PAD src0_sel:WORD_0
	s_movk_i32 s0, 0xff
	v_mov_b32_e32 v10, 0xff
	v_bfe_u32 v8, v7, 23, 8
	v_cmp_ne_u32_e32 vcc, s0, v8
	s_and_saveexec_b64 s[12:13], vcc
; %bb.1517:
	s_mov_b32 s0, 0x3fffff
	v_lshrrev_b32_e32 v10, 23, v7
	v_and_b32_e32 v11, 0x400000, v7
	v_and_or_b32 v7, v7, s0, v8
	v_cmp_ne_u32_e32 vcc, 0, v11
	v_cmp_ne_u32_e64 s[0:1], 0, v7
	s_and_b64 s[0:1], vcc, s[0:1]
	v_cndmask_b32_e64 v7, 0, 1, s[0:1]
	v_add_u32_e32 v10, v10, v7
; %bb.1518:
	s_or_b64 exec, exec, s[12:13]
	s_mov_b64 s[0:1], 0
	s_mov_b64 s[12:13], -1
	global_store_byte v[5:6], v10, off
.LBB30_1519:
	s_mov_b64 s[16:17], 0
.LBB30_1520:
	s_and_b64 vcc, exec, s[16:17]
	s_cbranch_vccz .LBB30_1523
; %bb.1521:
	s_cmp_eq_u32 s3, 29
	s_mov_b64 s[0:1], -1
	s_cbranch_scc0 .LBB30_1523
; %bb.1522:
	v_bfe_i32 v7, v3, 0, 8
	v_ashrrev_i32_e32 v8, 31, v7
	global_store_dwordx2 v[5:6], v[7:8], off
	s_mov_b64 s[0:1], 0
	s_mov_b64 s[12:13], -1
.LBB30_1523:
	s_mov_b64 s[16:17], 0
.LBB30_1524:
	s_and_b64 vcc, exec, s[16:17]
	s_cbranch_vccz .LBB30_1540
; %bb.1525:
	s_cmp_lt_i32 s3, 27
	s_mov_b64 s[12:13], -1
	s_cbranch_scc1 .LBB30_1531
; %bb.1526:
	s_cmp_gt_i32 s3, 27
	s_cbranch_scc0 .LBB30_1528
; %bb.1527:
	v_bfe_i32 v7, v3, 0, 8
	s_mov_b64 s[12:13], 0
	global_store_dword v[5:6], v7, off
.LBB30_1528:
	s_andn2_b64 vcc, exec, s[12:13]
	s_cbranch_vccnz .LBB30_1530
; %bb.1529:
	v_bfe_i32 v7, v3, 0, 8
	global_store_short v[5:6], v7, off
.LBB30_1530:
	s_mov_b64 s[12:13], 0
.LBB30_1531:
	s_andn2_b64 vcc, exec, s[12:13]
	s_cbranch_vccnz .LBB30_1539
; %bb.1532:
	v_bfe_i32 v7, v3, 0, 8
	v_cvt_f32_i32_sdwa v7, sext(v7) dst_sel:DWORD dst_unused:UNUSED_PAD src0_sel:WORD_0
	s_mov_b32 s12, 0x43800000
	v_mov_b32_e32 v10, 0x80
	v_and_b32_e32 v8, 0x7fffffff, v7
	v_cmp_gt_u32_e32 vcc, s12, v8
	s_and_saveexec_b64 s[12:13], vcc
	s_cbranch_execz .LBB30_1538
; %bb.1533:
	s_mov_b32 s16, 0x3bffffff
	v_cmp_lt_u32_e32 vcc, s16, v8
	s_mov_b64 s[16:17], 0
                                        ; implicit-def: $vgpr8
	s_and_saveexec_b64 s[18:19], vcc
	s_xor_b64 s[18:19], exec, s[18:19]
	s_cbranch_execz .LBB30_1987
; %bb.1534:
	v_bfe_u32 v8, v7, 20, 1
	s_mov_b32 s21, 0x487ffff
	v_add3_u32 v8, v7, v8, s21
	s_mov_b64 s[16:17], exec
	v_lshrrev_b32_e32 v8, 20, v8
	s_andn2_saveexec_b64 s[18:19], s[18:19]
	s_cbranch_execnz .LBB30_1988
.LBB30_1535:
	s_or_b64 exec, exec, s[18:19]
	v_mov_b32_e32 v10, 0
	s_and_saveexec_b64 s[18:19], s[16:17]
.LBB30_1536:
	v_lshrrev_b32_e32 v7, 24, v7
	s_movk_i32 s16, 0x80
	v_and_or_b32 v10, v7, s16, v8
.LBB30_1537:
	s_or_b64 exec, exec, s[18:19]
.LBB30_1538:
	s_or_b64 exec, exec, s[12:13]
	global_store_byte v[5:6], v10, off
.LBB30_1539:
	s_mov_b64 s[12:13], -1
.LBB30_1540:
	s_mov_b64 s[16:17], 0
.LBB30_1541:
	s_and_b64 vcc, exec, s[16:17]
	s_cbranch_vccz .LBB30_1581
; %bb.1542:
	s_cmp_gt_i32 s3, 22
	s_mov_b64 s[10:11], -1
	s_cbranch_scc0 .LBB30_1574
; %bb.1543:
	s_cmp_lt_i32 s3, 24
	s_cbranch_scc1 .LBB30_1563
; %bb.1544:
	s_cmp_gt_i32 s3, 24
	s_cbranch_scc0 .LBB30_1552
; %bb.1545:
	v_bfe_i32 v7, v3, 0, 8
	v_cvt_f32_i32_sdwa v7, sext(v7) dst_sel:DWORD dst_unused:UNUSED_PAD src0_sel:WORD_0
	s_mov_b32 s10, 0x47800000
	v_mov_b32_e32 v10, 0x80
	v_and_b32_e32 v8, 0x7fffffff, v7
	v_cmp_gt_u32_e32 vcc, s10, v8
	s_and_saveexec_b64 s[10:11], vcc
	s_cbranch_execz .LBB30_1551
; %bb.1546:
	s_mov_b32 s12, 0x37ffffff
	v_cmp_lt_u32_e32 vcc, s12, v8
	s_mov_b64 s[12:13], 0
                                        ; implicit-def: $vgpr8
	s_and_saveexec_b64 s[16:17], vcc
	s_xor_b64 s[16:17], exec, s[16:17]
	s_cbranch_execz .LBB30_1990
; %bb.1547:
	v_bfe_u32 v8, v7, 21, 1
	s_mov_b32 s18, 0x88fffff
	v_add3_u32 v8, v7, v8, s18
	s_mov_b64 s[12:13], exec
	v_lshrrev_b32_e32 v8, 21, v8
	s_andn2_saveexec_b64 s[16:17], s[16:17]
	s_cbranch_execnz .LBB30_1991
.LBB30_1548:
	s_or_b64 exec, exec, s[16:17]
	v_mov_b32_e32 v10, 0
	s_and_saveexec_b64 s[16:17], s[12:13]
.LBB30_1549:
	v_lshrrev_b32_e32 v7, 24, v7
	s_movk_i32 s12, 0x80
	v_and_or_b32 v10, v7, s12, v8
.LBB30_1550:
	s_or_b64 exec, exec, s[16:17]
.LBB30_1551:
	s_or_b64 exec, exec, s[10:11]
	s_mov_b64 s[10:11], 0
	global_store_byte v[5:6], v10, off
.LBB30_1552:
	s_and_b64 vcc, exec, s[10:11]
	s_cbranch_vccz .LBB30_1562
; %bb.1553:
	v_bfe_i32 v7, v3, 0, 8
	v_cvt_f32_i32_sdwa v7, sext(v7) dst_sel:DWORD dst_unused:UNUSED_PAD src0_sel:WORD_0
	s_mov_b32 s10, 0x43f00000
                                        ; implicit-def: $vgpr8
	v_and_b32_e32 v10, 0x7fffffff, v7
	v_cmp_gt_u32_e32 vcc, s10, v10
	s_and_saveexec_b64 s[10:11], vcc
	s_xor_b64 s[10:11], exec, s[10:11]
	s_cbranch_execz .LBB30_1559
; %bb.1554:
	s_mov_b32 s12, 0x3c7fffff
	v_cmp_lt_u32_e32 vcc, s12, v10
                                        ; implicit-def: $vgpr8
	s_and_saveexec_b64 s[12:13], vcc
	s_xor_b64 s[12:13], exec, s[12:13]
; %bb.1555:
	v_bfe_u32 v8, v7, 20, 1
	s_mov_b32 s16, 0x407ffff
	v_add3_u32 v8, v7, v8, s16
	v_lshrrev_b32_e32 v10, 20, v8
	v_and_b32_e32 v8, 0xff00000, v8
	s_mov_b32 s16, 0x7f00000
	v_mov_b32_e32 v11, 0x7e
	v_cmp_ne_u32_e32 vcc, s16, v8
	v_cndmask_b32_e32 v8, v11, v10, vcc
; %bb.1556:
	s_andn2_saveexec_b64 s[12:13], s[12:13]
; %bb.1557:
	s_mov_b32 s16, 0x46800000
	v_add_f32_e64 v8, |v7|, s16
; %bb.1558:
	s_or_b64 exec, exec, s[12:13]
                                        ; implicit-def: $vgpr10
.LBB30_1559:
	s_andn2_saveexec_b64 s[10:11], s[10:11]
; %bb.1560:
	s_mov_b32 s12, 0x7f800000
	v_mov_b32_e32 v8, 0x7e
	v_mov_b32_e32 v11, 0x7f
	v_cmp_lt_u32_e32 vcc, s12, v10
	v_cndmask_b32_e32 v8, v8, v11, vcc
; %bb.1561:
	s_or_b64 exec, exec, s[10:11]
	v_lshrrev_b32_e32 v7, 24, v7
	s_movk_i32 s10, 0x80
	v_and_or_b32 v7, v7, s10, v8
	global_store_byte v[5:6], v7, off
.LBB30_1562:
	s_mov_b64 s[10:11], 0
.LBB30_1563:
	s_andn2_b64 vcc, exec, s[10:11]
	s_cbranch_vccnz .LBB30_1573
; %bb.1564:
	v_bfe_i32 v7, v3, 0, 8
	v_cvt_f32_i32_sdwa v7, sext(v7) dst_sel:DWORD dst_unused:UNUSED_PAD src0_sel:WORD_0
	s_mov_b32 s10, 0x47800000
                                        ; implicit-def: $vgpr8
	v_and_b32_e32 v10, 0x7fffffff, v7
	v_cmp_gt_u32_e32 vcc, s10, v10
	s_and_saveexec_b64 s[10:11], vcc
	s_xor_b64 s[10:11], exec, s[10:11]
	s_cbranch_execz .LBB30_1570
; %bb.1565:
	s_mov_b32 s12, 0x387fffff
	v_cmp_lt_u32_e32 vcc, s12, v10
                                        ; implicit-def: $vgpr8
	s_and_saveexec_b64 s[12:13], vcc
	s_xor_b64 s[12:13], exec, s[12:13]
; %bb.1566:
	v_bfe_u32 v8, v7, 21, 1
	s_mov_b32 s16, 0x80fffff
	v_add3_u32 v8, v7, v8, s16
	v_lshrrev_b32_e32 v8, 21, v8
; %bb.1567:
	s_andn2_saveexec_b64 s[12:13], s[12:13]
; %bb.1568:
	s_mov_b32 s16, 0x43000000
	v_add_f32_e64 v8, |v7|, s16
; %bb.1569:
	s_or_b64 exec, exec, s[12:13]
                                        ; implicit-def: $vgpr10
.LBB30_1570:
	s_andn2_saveexec_b64 s[10:11], s[10:11]
; %bb.1571:
	s_mov_b32 s12, 0x7f800000
	v_mov_b32_e32 v8, 0x7c
	v_mov_b32_e32 v11, 0x7f
	v_cmp_lt_u32_e32 vcc, s12, v10
	v_cndmask_b32_e32 v8, v8, v11, vcc
; %bb.1572:
	s_or_b64 exec, exec, s[10:11]
	v_lshrrev_b32_e32 v7, 24, v7
	s_movk_i32 s10, 0x80
	v_and_or_b32 v7, v7, s10, v8
	global_store_byte v[5:6], v7, off
.LBB30_1573:
	s_mov_b64 s[10:11], 0
	s_mov_b64 s[12:13], -1
.LBB30_1574:
	s_andn2_b64 vcc, exec, s[10:11]
	s_mov_b64 s[10:11], 0
	s_cbranch_vccnz .LBB30_1581
; %bb.1575:
	s_cmp_gt_i32 s3, 14
	s_mov_b64 s[16:17], -1
	s_cbranch_scc0 .LBB30_1579
; %bb.1576:
	s_cmp_eq_u32 s3, 15
	s_mov_b64 s[0:1], -1
	s_cbranch_scc0 .LBB30_1578
; %bb.1577:
	v_bfe_i32 v7, v3, 0, 8
	v_cvt_f32_i32_sdwa v7, sext(v7) dst_sel:DWORD dst_unused:UNUSED_PAD src0_sel:WORD_0
	s_movk_i32 s10, 0x7fff
	s_mov_b64 s[0:1], 0
	s_mov_b64 s[12:13], -1
	v_bfe_u32 v8, v7, 16, 1
	v_add3_u32 v7, v7, v8, s10
	global_store_short_d16_hi v[5:6], v7, off
.LBB30_1578:
	s_mov_b64 s[16:17], 0
.LBB30_1579:
	s_mov_b64 s[10:11], 0
	s_and_b64 vcc, exec, s[16:17]
	s_cbranch_vccz .LBB30_1581
; %bb.1580:
	s_cmp_lg_u32 s3, 11
	s_mov_b64 s[10:11], -1
	s_cselect_b64 s[0:1], -1, 0
.LBB30_1581:
	s_and_b64 vcc, exec, s[0:1]
	s_cbranch_vccnz .LBB30_1989
; %bb.1582:
	s_andn2_b64 vcc, exec, s[10:11]
	s_cbranch_vccnz .LBB30_1584
.LBB30_1583:
	v_mov_b32_e32 v7, 0
	v_cmp_ne_u16_sdwa s[0:1], v3, v7 src0_sel:BYTE_0 src1_sel:DWORD
	v_cndmask_b32_e64 v7, 0, 1, s[0:1]
	s_mov_b64 s[12:13], -1
	global_store_byte v[5:6], v7, off
.LBB30_1584:
	s_mov_b64 s[0:1], 0
	s_branch .LBB30_1586
.LBB30_1585:
	s_mov_b64 s[0:1], -1
	s_mov_b64 s[12:13], 0
.LBB30_1586:
	s_and_b64 vcc, exec, s[0:1]
	s_cbranch_vccz .LBB30_1625
; %bb.1587:
	s_and_b32 s3, 0xffff, s20
	s_cmp_lt_i32 s3, 5
	s_mov_b64 s[0:1], -1
	s_cbranch_scc1 .LBB30_1608
; %bb.1588:
	s_cmp_lt_i32 s3, 8
	s_cbranch_scc1 .LBB30_1598
; %bb.1589:
	s_cmp_lt_i32 s3, 9
	s_cbranch_scc1 .LBB30_1595
; %bb.1590:
	s_cmp_gt_i32 s3, 9
	s_cbranch_scc0 .LBB30_1592
; %bb.1591:
	v_bfe_i32 v7, v3, 0, 8
	v_bfe_i32 v7, v7, 0, 16
	v_cvt_f64_i32_e32 v[10:11], v7
	v_mov_b32_e32 v12, 0
	v_mov_b32_e32 v13, v12
	s_mov_b64 s[0:1], 0
	global_store_dwordx4 v[5:6], v[10:13], off
.LBB30_1592:
	s_andn2_b64 vcc, exec, s[0:1]
	s_cbranch_vccnz .LBB30_1594
; %bb.1593:
	v_bfe_i32 v7, v3, 0, 8
	v_cvt_f32_i32_sdwa v7, sext(v7) dst_sel:DWORD dst_unused:UNUSED_PAD src0_sel:WORD_0
	v_mov_b32_e32 v8, 0
	global_store_dwordx2 v[5:6], v[7:8], off
.LBB30_1594:
	s_mov_b64 s[0:1], 0
.LBB30_1595:
	s_andn2_b64 vcc, exec, s[0:1]
	s_cbranch_vccnz .LBB30_1597
; %bb.1596:
	v_cvt_f16_i16_sdwa v7, sext(v3) dst_sel:DWORD dst_unused:UNUSED_PAD src0_sel:BYTE_0
	global_store_dword v[5:6], v7, off
.LBB30_1597:
	s_mov_b64 s[0:1], 0
.LBB30_1598:
	s_andn2_b64 vcc, exec, s[0:1]
	s_cbranch_vccnz .LBB30_1607
; %bb.1599:
	s_cmp_lt_i32 s3, 6
	s_mov_b64 s[0:1], -1
	s_cbranch_scc1 .LBB30_1605
; %bb.1600:
	s_cmp_gt_i32 s3, 6
	s_cbranch_scc0 .LBB30_1602
; %bb.1601:
	v_bfe_i32 v7, v3, 0, 8
	v_bfe_i32 v7, v7, 0, 16
	v_cvt_f64_i32_e32 v[7:8], v7
	s_mov_b64 s[0:1], 0
	global_store_dwordx2 v[5:6], v[7:8], off
.LBB30_1602:
	s_andn2_b64 vcc, exec, s[0:1]
	s_cbranch_vccnz .LBB30_1604
; %bb.1603:
	v_bfe_i32 v7, v3, 0, 8
	v_cvt_f32_i32_sdwa v7, sext(v7) dst_sel:DWORD dst_unused:UNUSED_PAD src0_sel:WORD_0
	global_store_dword v[5:6], v7, off
.LBB30_1604:
	s_mov_b64 s[0:1], 0
.LBB30_1605:
	s_andn2_b64 vcc, exec, s[0:1]
	s_cbranch_vccnz .LBB30_1607
; %bb.1606:
	v_cvt_f16_i16_sdwa v7, sext(v3) dst_sel:DWORD dst_unused:UNUSED_PAD src0_sel:BYTE_0
	global_store_short v[5:6], v7, off
.LBB30_1607:
	s_mov_b64 s[0:1], 0
.LBB30_1608:
	s_andn2_b64 vcc, exec, s[0:1]
	s_cbranch_vccnz .LBB30_1624
; %bb.1609:
	s_cmp_lt_i32 s3, 2
	s_mov_b64 s[0:1], -1
	s_cbranch_scc1 .LBB30_1619
; %bb.1610:
	s_cmp_lt_i32 s3, 3
	s_cbranch_scc1 .LBB30_1616
; %bb.1611:
	s_cmp_gt_i32 s3, 3
	s_cbranch_scc0 .LBB30_1613
; %bb.1612:
	v_bfe_i32 v7, v3, 0, 8
	v_ashrrev_i32_e32 v8, 31, v7
	global_store_dwordx2 v[5:6], v[7:8], off
	s_mov_b64 s[0:1], 0
.LBB30_1613:
	s_andn2_b64 vcc, exec, s[0:1]
	s_cbranch_vccnz .LBB30_1615
; %bb.1614:
	v_bfe_i32 v7, v3, 0, 8
	global_store_dword v[5:6], v7, off
.LBB30_1615:
	s_mov_b64 s[0:1], 0
.LBB30_1616:
	s_andn2_b64 vcc, exec, s[0:1]
	s_cbranch_vccnz .LBB30_1618
; %bb.1617:
	v_bfe_i32 v7, v3, 0, 8
	global_store_short v[5:6], v7, off
.LBB30_1618:
	s_mov_b64 s[0:1], 0
.LBB30_1619:
	s_andn2_b64 vcc, exec, s[0:1]
	s_cbranch_vccnz .LBB30_1624
; %bb.1620:
	s_cmp_gt_i32 s3, 0
	s_mov_b64 s[0:1], -1
	s_cbranch_scc0 .LBB30_1622
; %bb.1621:
	global_store_byte v[5:6], v3, off
	s_mov_b64 s[0:1], 0
.LBB30_1622:
	s_andn2_b64 vcc, exec, s[0:1]
	s_cbranch_vccnz .LBB30_1624
; %bb.1623:
	global_store_byte v[5:6], v3, off
.LBB30_1624:
	s_mov_b64 s[12:13], -1
.LBB30_1625:
	s_andn2_b64 vcc, exec, s[12:13]
	s_cbranch_vccnz .LBB30_1940
; %bb.1626:
	v_mov_b32_e32 v5, 8
	s_lshl_b32 s18, s2, 7
	v_lshlrev_b32_sdwa v3, v4, v9 dst_sel:DWORD dst_unused:UNUSED_PAD src0_sel:DWORD src1_sel:BYTE_0
	v_cmp_lt_u16_sdwa vcc, v4, v5 src0_sel:BYTE_0 src1_sel:DWORD
	v_add_u32_e32 v1, s18, v1
	v_cndmask_b32_e32 v5, 0, v3, vcc
	v_ashrrev_i32_e32 v4, 31, v1
	v_mov_b32_e32 v6, s9
	v_add_co_u32_e32 v3, vcc, s8, v1
	s_cmp_lt_i32 s20, 11
	v_addc_co_u32_e32 v4, vcc, v6, v4, vcc
	s_cbranch_scc1 .LBB30_1704
; %bb.1627:
	s_and_b32 s19, 0xffff, s20
	s_mov_b64 s[12:13], -1
	s_mov_b64 s[2:3], 0
	s_cmp_gt_i32 s19, 25
	s_mov_b64 s[10:11], 0
	s_mov_b64 s[0:1], 0
	s_cbranch_scc0 .LBB30_1660
; %bb.1628:
	s_cmp_gt_i32 s19, 28
	s_cbranch_scc0 .LBB30_1643
; %bb.1629:
	s_cmp_gt_i32 s19, 43
	;; [unrolled: 3-line block ×3, first 2 shown]
	s_cbranch_scc0 .LBB30_1633
; %bb.1631:
	s_mov_b64 s[0:1], -1
	s_mov_b64 s[12:13], 0
	s_cmp_eq_u32 s19, 46
	s_cbranch_scc0 .LBB30_1633
; %bb.1632:
	v_bfe_i32 v6, v5, 0, 8
	v_cvt_f32_i32_sdwa v6, sext(v6) dst_sel:DWORD dst_unused:UNUSED_PAD src0_sel:WORD_0
	s_movk_i32 s10, 0x7fff
	s_mov_b64 s[0:1], 0
	v_bfe_u32 v7, v6, 16, 1
	v_add3_u32 v6, v6, v7, s10
	v_lshrrev_b32_e32 v6, 16, v6
	global_store_dword v[3:4], v6, off
	s_mov_b64 s[10:11], -1
.LBB30_1633:
	s_and_b64 vcc, exec, s[12:13]
	s_cbranch_vccz .LBB30_1638
; %bb.1634:
	s_cmp_eq_u32 s19, 44
	s_mov_b64 s[0:1], -1
	s_cbranch_scc0 .LBB30_1638
; %bb.1635:
	v_bfe_i32 v6, v5, 0, 8
	v_cvt_f32_i32_sdwa v6, sext(v6) dst_sel:DWORD dst_unused:UNUSED_PAD src0_sel:WORD_0
	s_movk_i32 s0, 0xff
	v_mov_b32_e32 v8, 0xff
	v_bfe_u32 v7, v6, 23, 8
	v_cmp_ne_u32_e32 vcc, s0, v7
	s_and_saveexec_b64 s[10:11], vcc
; %bb.1636:
	s_mov_b32 s0, 0x3fffff
	v_lshrrev_b32_e32 v8, 23, v6
	v_and_b32_e32 v10, 0x400000, v6
	v_and_or_b32 v6, v6, s0, v7
	v_cmp_ne_u32_e32 vcc, 0, v10
	v_cmp_ne_u32_e64 s[0:1], 0, v6
	s_and_b64 s[0:1], vcc, s[0:1]
	v_cndmask_b32_e64 v6, 0, 1, s[0:1]
	v_add_u32_e32 v8, v8, v6
; %bb.1637:
	s_or_b64 exec, exec, s[10:11]
	s_mov_b64 s[0:1], 0
	s_mov_b64 s[10:11], -1
	global_store_byte v[3:4], v8, off
.LBB30_1638:
	s_mov_b64 s[12:13], 0
.LBB30_1639:
	s_and_b64 vcc, exec, s[12:13]
	s_cbranch_vccz .LBB30_1642
; %bb.1640:
	s_cmp_eq_u32 s19, 29
	s_mov_b64 s[0:1], -1
	s_cbranch_scc0 .LBB30_1642
; %bb.1641:
	v_bfe_i32 v6, v5, 0, 8
	v_ashrrev_i32_e32 v7, 31, v6
	global_store_dwordx2 v[3:4], v[6:7], off
	s_mov_b64 s[0:1], 0
	s_mov_b64 s[10:11], -1
.LBB30_1642:
	s_mov_b64 s[12:13], 0
.LBB30_1643:
	s_and_b64 vcc, exec, s[12:13]
	s_cbranch_vccz .LBB30_1659
; %bb.1644:
	s_cmp_lt_i32 s19, 27
	s_mov_b64 s[10:11], -1
	s_cbranch_scc1 .LBB30_1650
; %bb.1645:
	s_cmp_gt_i32 s19, 27
	s_cbranch_scc0 .LBB30_1647
; %bb.1646:
	v_bfe_i32 v6, v5, 0, 8
	s_mov_b64 s[10:11], 0
	global_store_dword v[3:4], v6, off
.LBB30_1647:
	s_andn2_b64 vcc, exec, s[10:11]
	s_cbranch_vccnz .LBB30_1649
; %bb.1648:
	v_bfe_i32 v6, v5, 0, 8
	global_store_short v[3:4], v6, off
.LBB30_1649:
	s_mov_b64 s[10:11], 0
.LBB30_1650:
	s_andn2_b64 vcc, exec, s[10:11]
	s_cbranch_vccnz .LBB30_1658
; %bb.1651:
	v_bfe_i32 v6, v5, 0, 8
	v_cvt_f32_i32_sdwa v6, sext(v6) dst_sel:DWORD dst_unused:UNUSED_PAD src0_sel:WORD_0
	s_mov_b32 s10, 0x43800000
	v_mov_b32_e32 v8, 0x80
	v_and_b32_e32 v7, 0x7fffffff, v6
	v_cmp_gt_u32_e32 vcc, s10, v7
	s_and_saveexec_b64 s[10:11], vcc
	s_cbranch_execz .LBB30_1657
; %bb.1652:
	s_mov_b32 s12, 0x3bffffff
	v_cmp_lt_u32_e32 vcc, s12, v7
	s_mov_b64 s[12:13], 0
                                        ; implicit-def: $vgpr7
	s_and_saveexec_b64 s[16:17], vcc
	s_xor_b64 s[16:17], exec, s[16:17]
	s_cbranch_execz .LBB30_1992
; %bb.1653:
	v_bfe_u32 v7, v6, 20, 1
	s_mov_b32 s21, 0x487ffff
	v_add3_u32 v7, v6, v7, s21
	s_mov_b64 s[12:13], exec
	v_lshrrev_b32_e32 v7, 20, v7
	s_andn2_saveexec_b64 s[16:17], s[16:17]
	s_cbranch_execnz .LBB30_1993
.LBB30_1654:
	s_or_b64 exec, exec, s[16:17]
	v_mov_b32_e32 v8, 0
	s_and_saveexec_b64 s[16:17], s[12:13]
.LBB30_1655:
	v_lshrrev_b32_e32 v6, 24, v6
	s_movk_i32 s12, 0x80
	v_and_or_b32 v8, v6, s12, v7
.LBB30_1656:
	s_or_b64 exec, exec, s[16:17]
.LBB30_1657:
	s_or_b64 exec, exec, s[10:11]
	global_store_byte v[3:4], v8, off
.LBB30_1658:
	s_mov_b64 s[10:11], -1
.LBB30_1659:
	s_mov_b64 s[12:13], 0
.LBB30_1660:
	s_and_b64 vcc, exec, s[12:13]
	s_cbranch_vccz .LBB30_1700
; %bb.1661:
	s_cmp_gt_i32 s19, 22
	s_mov_b64 s[2:3], -1
	s_cbranch_scc0 .LBB30_1693
; %bb.1662:
	s_cmp_lt_i32 s19, 24
	s_cbranch_scc1 .LBB30_1682
; %bb.1663:
	s_cmp_gt_i32 s19, 24
	s_cbranch_scc0 .LBB30_1671
; %bb.1664:
	v_bfe_i32 v6, v5, 0, 8
	v_cvt_f32_i32_sdwa v6, sext(v6) dst_sel:DWORD dst_unused:UNUSED_PAD src0_sel:WORD_0
	s_mov_b32 s2, 0x47800000
	v_mov_b32_e32 v8, 0x80
	v_and_b32_e32 v7, 0x7fffffff, v6
	v_cmp_gt_u32_e32 vcc, s2, v7
	s_and_saveexec_b64 s[2:3], vcc
	s_cbranch_execz .LBB30_1670
; %bb.1665:
	s_mov_b32 s10, 0x37ffffff
	v_cmp_lt_u32_e32 vcc, s10, v7
	s_mov_b64 s[10:11], 0
                                        ; implicit-def: $vgpr7
	s_and_saveexec_b64 s[12:13], vcc
	s_xor_b64 s[12:13], exec, s[12:13]
	s_cbranch_execz .LBB30_1995
; %bb.1666:
	v_bfe_u32 v7, v6, 21, 1
	s_mov_b32 s16, 0x88fffff
	v_add3_u32 v7, v6, v7, s16
	s_mov_b64 s[10:11], exec
	v_lshrrev_b32_e32 v7, 21, v7
	s_andn2_saveexec_b64 s[12:13], s[12:13]
	s_cbranch_execnz .LBB30_1996
.LBB30_1667:
	s_or_b64 exec, exec, s[12:13]
	v_mov_b32_e32 v8, 0
	s_and_saveexec_b64 s[12:13], s[10:11]
.LBB30_1668:
	v_lshrrev_b32_e32 v6, 24, v6
	s_movk_i32 s10, 0x80
	v_and_or_b32 v8, v6, s10, v7
.LBB30_1669:
	s_or_b64 exec, exec, s[12:13]
.LBB30_1670:
	s_or_b64 exec, exec, s[2:3]
	s_mov_b64 s[2:3], 0
	global_store_byte v[3:4], v8, off
.LBB30_1671:
	s_and_b64 vcc, exec, s[2:3]
	s_cbranch_vccz .LBB30_1681
; %bb.1672:
	v_bfe_i32 v6, v5, 0, 8
	v_cvt_f32_i32_sdwa v6, sext(v6) dst_sel:DWORD dst_unused:UNUSED_PAD src0_sel:WORD_0
	s_mov_b32 s2, 0x43f00000
                                        ; implicit-def: $vgpr7
	v_and_b32_e32 v8, 0x7fffffff, v6
	v_cmp_gt_u32_e32 vcc, s2, v8
	s_and_saveexec_b64 s[2:3], vcc
	s_xor_b64 s[2:3], exec, s[2:3]
	s_cbranch_execz .LBB30_1678
; %bb.1673:
	s_mov_b32 s10, 0x3c7fffff
	v_cmp_lt_u32_e32 vcc, s10, v8
                                        ; implicit-def: $vgpr7
	s_and_saveexec_b64 s[10:11], vcc
	s_xor_b64 s[10:11], exec, s[10:11]
; %bb.1674:
	v_bfe_u32 v7, v6, 20, 1
	s_mov_b32 s12, 0x407ffff
	v_add3_u32 v7, v6, v7, s12
	v_lshrrev_b32_e32 v8, 20, v7
	v_and_b32_e32 v7, 0xff00000, v7
	s_mov_b32 s12, 0x7f00000
	v_mov_b32_e32 v10, 0x7e
	v_cmp_ne_u32_e32 vcc, s12, v7
	v_cndmask_b32_e32 v7, v10, v8, vcc
; %bb.1675:
	s_andn2_saveexec_b64 s[10:11], s[10:11]
; %bb.1676:
	s_mov_b32 s12, 0x46800000
	v_add_f32_e64 v7, |v6|, s12
; %bb.1677:
	s_or_b64 exec, exec, s[10:11]
                                        ; implicit-def: $vgpr8
.LBB30_1678:
	s_andn2_saveexec_b64 s[2:3], s[2:3]
; %bb.1679:
	s_mov_b32 s10, 0x7f800000
	v_mov_b32_e32 v7, 0x7e
	v_mov_b32_e32 v10, 0x7f
	v_cmp_lt_u32_e32 vcc, s10, v8
	v_cndmask_b32_e32 v7, v7, v10, vcc
; %bb.1680:
	s_or_b64 exec, exec, s[2:3]
	v_lshrrev_b32_e32 v6, 24, v6
	s_movk_i32 s2, 0x80
	v_and_or_b32 v6, v6, s2, v7
	global_store_byte v[3:4], v6, off
.LBB30_1681:
	s_mov_b64 s[2:3], 0
.LBB30_1682:
	s_andn2_b64 vcc, exec, s[2:3]
	s_cbranch_vccnz .LBB30_1692
; %bb.1683:
	v_bfe_i32 v6, v5, 0, 8
	v_cvt_f32_i32_sdwa v6, sext(v6) dst_sel:DWORD dst_unused:UNUSED_PAD src0_sel:WORD_0
	s_mov_b32 s2, 0x47800000
                                        ; implicit-def: $vgpr7
	v_and_b32_e32 v8, 0x7fffffff, v6
	v_cmp_gt_u32_e32 vcc, s2, v8
	s_and_saveexec_b64 s[2:3], vcc
	s_xor_b64 s[2:3], exec, s[2:3]
	s_cbranch_execz .LBB30_1689
; %bb.1684:
	s_mov_b32 s10, 0x387fffff
	v_cmp_lt_u32_e32 vcc, s10, v8
                                        ; implicit-def: $vgpr7
	s_and_saveexec_b64 s[10:11], vcc
	s_xor_b64 s[10:11], exec, s[10:11]
; %bb.1685:
	v_bfe_u32 v7, v6, 21, 1
	s_mov_b32 s12, 0x80fffff
	v_add3_u32 v7, v6, v7, s12
	v_lshrrev_b32_e32 v7, 21, v7
; %bb.1686:
	s_andn2_saveexec_b64 s[10:11], s[10:11]
; %bb.1687:
	s_mov_b32 s12, 0x43000000
	v_add_f32_e64 v7, |v6|, s12
; %bb.1688:
	s_or_b64 exec, exec, s[10:11]
                                        ; implicit-def: $vgpr8
.LBB30_1689:
	s_andn2_saveexec_b64 s[2:3], s[2:3]
; %bb.1690:
	s_mov_b32 s10, 0x7f800000
	v_mov_b32_e32 v7, 0x7c
	v_mov_b32_e32 v10, 0x7f
	v_cmp_lt_u32_e32 vcc, s10, v8
	v_cndmask_b32_e32 v7, v7, v10, vcc
; %bb.1691:
	s_or_b64 exec, exec, s[2:3]
	v_lshrrev_b32_e32 v6, 24, v6
	s_movk_i32 s2, 0x80
	v_and_or_b32 v6, v6, s2, v7
	global_store_byte v[3:4], v6, off
.LBB30_1692:
	s_mov_b64 s[2:3], 0
	s_mov_b64 s[10:11], -1
.LBB30_1693:
	s_andn2_b64 vcc, exec, s[2:3]
	s_mov_b64 s[2:3], 0
	s_cbranch_vccnz .LBB30_1700
; %bb.1694:
	s_cmp_gt_i32 s19, 14
	s_mov_b64 s[12:13], -1
	s_cbranch_scc0 .LBB30_1698
; %bb.1695:
	s_cmp_eq_u32 s19, 15
	s_mov_b64 s[0:1], -1
	s_cbranch_scc0 .LBB30_1697
; %bb.1696:
	v_bfe_i32 v6, v5, 0, 8
	v_cvt_f32_i32_sdwa v6, sext(v6) dst_sel:DWORD dst_unused:UNUSED_PAD src0_sel:WORD_0
	s_movk_i32 s2, 0x7fff
	s_mov_b64 s[0:1], 0
	s_mov_b64 s[10:11], -1
	v_bfe_u32 v7, v6, 16, 1
	v_add3_u32 v6, v6, v7, s2
	global_store_short_d16_hi v[3:4], v6, off
.LBB30_1697:
	s_mov_b64 s[12:13], 0
.LBB30_1698:
	s_mov_b64 s[2:3], 0
	s_and_b64 vcc, exec, s[12:13]
	s_cbranch_vccz .LBB30_1700
; %bb.1699:
	s_cmp_lg_u32 s19, 11
	s_mov_b64 s[2:3], -1
	s_cselect_b64 s[0:1], -1, 0
.LBB30_1700:
	s_and_b64 vcc, exec, s[0:1]
	s_cbranch_vccnz .LBB30_1994
; %bb.1701:
	s_andn2_b64 vcc, exec, s[2:3]
	s_cbranch_vccnz .LBB30_1703
.LBB30_1702:
	v_mov_b32_e32 v6, 0
	v_cmp_ne_u16_sdwa s[0:1], v5, v6 src0_sel:BYTE_0 src1_sel:DWORD
	v_cndmask_b32_e64 v6, 0, 1, s[0:1]
	s_mov_b64 s[10:11], -1
	global_store_byte v[3:4], v6, off
.LBB30_1703:
	s_mov_b64 s[0:1], 0
	s_branch .LBB30_1705
.LBB30_1704:
	s_mov_b64 s[0:1], -1
	s_mov_b64 s[10:11], 0
.LBB30_1705:
	s_and_b64 vcc, exec, s[0:1]
	s_cbranch_vccz .LBB30_1744
; %bb.1706:
	s_and_b32 s2, 0xffff, s20
	s_cmp_lt_i32 s2, 5
	s_mov_b64 s[0:1], -1
	s_cbranch_scc1 .LBB30_1727
; %bb.1707:
	s_cmp_lt_i32 s2, 8
	s_cbranch_scc1 .LBB30_1717
; %bb.1708:
	s_cmp_lt_i32 s2, 9
	s_cbranch_scc1 .LBB30_1714
; %bb.1709:
	s_cmp_gt_i32 s2, 9
	s_cbranch_scc0 .LBB30_1711
; %bb.1710:
	v_bfe_i32 v6, v5, 0, 8
	v_bfe_i32 v6, v6, 0, 16
	v_cvt_f64_i32_e32 v[10:11], v6
	v_mov_b32_e32 v12, 0
	v_mov_b32_e32 v13, v12
	s_mov_b64 s[0:1], 0
	global_store_dwordx4 v[3:4], v[10:13], off
.LBB30_1711:
	s_andn2_b64 vcc, exec, s[0:1]
	s_cbranch_vccnz .LBB30_1713
; %bb.1712:
	v_bfe_i32 v6, v5, 0, 8
	v_cvt_f32_i32_sdwa v6, sext(v6) dst_sel:DWORD dst_unused:UNUSED_PAD src0_sel:WORD_0
	v_mov_b32_e32 v7, 0
	global_store_dwordx2 v[3:4], v[6:7], off
.LBB30_1713:
	s_mov_b64 s[0:1], 0
.LBB30_1714:
	s_andn2_b64 vcc, exec, s[0:1]
	s_cbranch_vccnz .LBB30_1716
; %bb.1715:
	v_cvt_f16_i16_sdwa v6, sext(v5) dst_sel:DWORD dst_unused:UNUSED_PAD src0_sel:BYTE_0
	global_store_dword v[3:4], v6, off
.LBB30_1716:
	s_mov_b64 s[0:1], 0
.LBB30_1717:
	s_andn2_b64 vcc, exec, s[0:1]
	s_cbranch_vccnz .LBB30_1726
; %bb.1718:
	s_cmp_lt_i32 s2, 6
	s_mov_b64 s[0:1], -1
	s_cbranch_scc1 .LBB30_1724
; %bb.1719:
	s_cmp_gt_i32 s2, 6
	s_cbranch_scc0 .LBB30_1721
; %bb.1720:
	v_bfe_i32 v6, v5, 0, 8
	v_bfe_i32 v6, v6, 0, 16
	v_cvt_f64_i32_e32 v[6:7], v6
	s_mov_b64 s[0:1], 0
	global_store_dwordx2 v[3:4], v[6:7], off
.LBB30_1721:
	s_andn2_b64 vcc, exec, s[0:1]
	s_cbranch_vccnz .LBB30_1723
; %bb.1722:
	v_bfe_i32 v6, v5, 0, 8
	v_cvt_f32_i32_sdwa v6, sext(v6) dst_sel:DWORD dst_unused:UNUSED_PAD src0_sel:WORD_0
	global_store_dword v[3:4], v6, off
.LBB30_1723:
	s_mov_b64 s[0:1], 0
.LBB30_1724:
	s_andn2_b64 vcc, exec, s[0:1]
	s_cbranch_vccnz .LBB30_1726
; %bb.1725:
	v_cvt_f16_i16_sdwa v6, sext(v5) dst_sel:DWORD dst_unused:UNUSED_PAD src0_sel:BYTE_0
	global_store_short v[3:4], v6, off
.LBB30_1726:
	s_mov_b64 s[0:1], 0
.LBB30_1727:
	s_andn2_b64 vcc, exec, s[0:1]
	s_cbranch_vccnz .LBB30_1743
; %bb.1728:
	s_cmp_lt_i32 s2, 2
	s_mov_b64 s[0:1], -1
	s_cbranch_scc1 .LBB30_1738
; %bb.1729:
	s_cmp_lt_i32 s2, 3
	s_cbranch_scc1 .LBB30_1735
; %bb.1730:
	s_cmp_gt_i32 s2, 3
	s_cbranch_scc0 .LBB30_1732
; %bb.1731:
	v_bfe_i32 v6, v5, 0, 8
	v_ashrrev_i32_e32 v7, 31, v6
	global_store_dwordx2 v[3:4], v[6:7], off
	s_mov_b64 s[0:1], 0
.LBB30_1732:
	s_andn2_b64 vcc, exec, s[0:1]
	s_cbranch_vccnz .LBB30_1734
; %bb.1733:
	v_bfe_i32 v6, v5, 0, 8
	global_store_dword v[3:4], v6, off
.LBB30_1734:
	s_mov_b64 s[0:1], 0
.LBB30_1735:
	s_andn2_b64 vcc, exec, s[0:1]
	s_cbranch_vccnz .LBB30_1737
; %bb.1736:
	v_bfe_i32 v6, v5, 0, 8
	global_store_short v[3:4], v6, off
.LBB30_1737:
	s_mov_b64 s[0:1], 0
.LBB30_1738:
	s_andn2_b64 vcc, exec, s[0:1]
	s_cbranch_vccnz .LBB30_1743
; %bb.1739:
	s_cmp_gt_i32 s2, 0
	s_mov_b64 s[0:1], -1
	s_cbranch_scc0 .LBB30_1741
; %bb.1740:
	global_store_byte v[3:4], v5, off
	s_mov_b64 s[0:1], 0
.LBB30_1741:
	s_andn2_b64 vcc, exec, s[0:1]
	s_cbranch_vccnz .LBB30_1743
; %bb.1742:
	global_store_byte v[3:4], v5, off
.LBB30_1743:
	s_mov_b64 s[10:11], -1
.LBB30_1744:
	s_andn2_b64 vcc, exec, s[10:11]
	s_cbranch_vccnz .LBB30_1940
; %bb.1745:
	v_mov_b32_e32 v4, 8
	v_lshlrev_b32_sdwa v3, v2, v9 dst_sel:DWORD dst_unused:UNUSED_PAD src0_sel:DWORD src1_sel:BYTE_0
	v_cmp_lt_u16_sdwa vcc, v2, v4 src0_sel:BYTE_0 src1_sel:DWORD
	v_cndmask_b32_e32 v4, 0, v3, vcc
	v_add_u32_e32 v3, s18, v1
	v_ashrrev_i32_e32 v2, 31, v3
	v_mov_b32_e32 v5, s9
	v_add_co_u32_e32 v1, vcc, s8, v3
	s_cmp_lt_i32 s20, 11
	v_addc_co_u32_e32 v2, vcc, v5, v2, vcc
	s_cbranch_scc1 .LBB30_1823
; %bb.1746:
	s_and_b32 s19, 0xffff, s20
	s_mov_b64 s[12:13], -1
	s_mov_b64 s[2:3], 0
	s_cmp_gt_i32 s19, 25
	s_mov_b64 s[10:11], 0
	s_mov_b64 s[0:1], 0
	s_cbranch_scc0 .LBB30_1779
; %bb.1747:
	s_cmp_gt_i32 s19, 28
	s_cbranch_scc0 .LBB30_1762
; %bb.1748:
	s_cmp_gt_i32 s19, 43
	s_cbranch_scc0 .LBB30_1758
; %bb.1749:
	s_cmp_gt_i32 s19, 45
	s_cbranch_scc0 .LBB30_1752
; %bb.1750:
	s_mov_b64 s[0:1], -1
	s_mov_b64 s[12:13], 0
	s_cmp_eq_u32 s19, 46
	s_cbranch_scc0 .LBB30_1752
; %bb.1751:
	v_bfe_i32 v5, v4, 0, 8
	v_cvt_f32_i32_sdwa v5, sext(v5) dst_sel:DWORD dst_unused:UNUSED_PAD src0_sel:WORD_0
	s_movk_i32 s10, 0x7fff
	s_mov_b64 s[0:1], 0
	v_bfe_u32 v6, v5, 16, 1
	v_add3_u32 v5, v5, v6, s10
	v_lshrrev_b32_e32 v5, 16, v5
	global_store_dword v[1:2], v5, off
	s_mov_b64 s[10:11], -1
.LBB30_1752:
	s_and_b64 vcc, exec, s[12:13]
	s_cbranch_vccz .LBB30_1757
; %bb.1753:
	s_cmp_eq_u32 s19, 44
	s_mov_b64 s[0:1], -1
	s_cbranch_scc0 .LBB30_1757
; %bb.1754:
	v_bfe_i32 v5, v4, 0, 8
	v_cvt_f32_i32_sdwa v5, sext(v5) dst_sel:DWORD dst_unused:UNUSED_PAD src0_sel:WORD_0
	s_movk_i32 s0, 0xff
	v_mov_b32_e32 v7, 0xff
	v_bfe_u32 v6, v5, 23, 8
	v_cmp_ne_u32_e32 vcc, s0, v6
	s_and_saveexec_b64 s[10:11], vcc
; %bb.1755:
	s_mov_b32 s0, 0x3fffff
	v_lshrrev_b32_e32 v7, 23, v5
	v_and_b32_e32 v8, 0x400000, v5
	v_and_or_b32 v5, v5, s0, v6
	v_cmp_ne_u32_e32 vcc, 0, v8
	v_cmp_ne_u32_e64 s[0:1], 0, v5
	s_and_b64 s[0:1], vcc, s[0:1]
	v_cndmask_b32_e64 v5, 0, 1, s[0:1]
	v_add_u32_e32 v7, v7, v5
; %bb.1756:
	s_or_b64 exec, exec, s[10:11]
	s_mov_b64 s[0:1], 0
	s_mov_b64 s[10:11], -1
	global_store_byte v[1:2], v7, off
.LBB30_1757:
	s_mov_b64 s[12:13], 0
.LBB30_1758:
	s_and_b64 vcc, exec, s[12:13]
	s_cbranch_vccz .LBB30_1761
; %bb.1759:
	s_cmp_eq_u32 s19, 29
	s_mov_b64 s[0:1], -1
	s_cbranch_scc0 .LBB30_1761
; %bb.1760:
	v_bfe_i32 v5, v4, 0, 8
	v_ashrrev_i32_e32 v6, 31, v5
	global_store_dwordx2 v[1:2], v[5:6], off
	s_mov_b64 s[0:1], 0
	s_mov_b64 s[10:11], -1
.LBB30_1761:
	s_mov_b64 s[12:13], 0
.LBB30_1762:
	s_and_b64 vcc, exec, s[12:13]
	s_cbranch_vccz .LBB30_1778
; %bb.1763:
	s_cmp_lt_i32 s19, 27
	s_mov_b64 s[10:11], -1
	s_cbranch_scc1 .LBB30_1769
; %bb.1764:
	s_cmp_gt_i32 s19, 27
	s_cbranch_scc0 .LBB30_1766
; %bb.1765:
	v_bfe_i32 v5, v4, 0, 8
	s_mov_b64 s[10:11], 0
	global_store_dword v[1:2], v5, off
.LBB30_1766:
	s_andn2_b64 vcc, exec, s[10:11]
	s_cbranch_vccnz .LBB30_1768
; %bb.1767:
	v_bfe_i32 v5, v4, 0, 8
	global_store_short v[1:2], v5, off
.LBB30_1768:
	s_mov_b64 s[10:11], 0
.LBB30_1769:
	s_andn2_b64 vcc, exec, s[10:11]
	s_cbranch_vccnz .LBB30_1777
; %bb.1770:
	v_bfe_i32 v5, v4, 0, 8
	v_cvt_f32_i32_sdwa v5, sext(v5) dst_sel:DWORD dst_unused:UNUSED_PAD src0_sel:WORD_0
	s_mov_b32 s10, 0x43800000
	v_mov_b32_e32 v7, 0x80
	v_and_b32_e32 v6, 0x7fffffff, v5
	v_cmp_gt_u32_e32 vcc, s10, v6
	s_and_saveexec_b64 s[10:11], vcc
	s_cbranch_execz .LBB30_1776
; %bb.1771:
	s_mov_b32 s12, 0x3bffffff
	v_cmp_lt_u32_e32 vcc, s12, v6
	s_mov_b64 s[12:13], 0
                                        ; implicit-def: $vgpr6
	s_and_saveexec_b64 s[16:17], vcc
	s_xor_b64 s[16:17], exec, s[16:17]
	s_cbranch_execz .LBB30_1997
; %bb.1772:
	v_bfe_u32 v6, v5, 20, 1
	s_mov_b32 s21, 0x487ffff
	v_add3_u32 v6, v5, v6, s21
	s_mov_b64 s[12:13], exec
	v_lshrrev_b32_e32 v6, 20, v6
	s_andn2_saveexec_b64 s[16:17], s[16:17]
	s_cbranch_execnz .LBB30_1998
.LBB30_1773:
	s_or_b64 exec, exec, s[16:17]
	v_mov_b32_e32 v7, 0
	s_and_saveexec_b64 s[16:17], s[12:13]
.LBB30_1774:
	v_lshrrev_b32_e32 v5, 24, v5
	s_movk_i32 s12, 0x80
	v_and_or_b32 v7, v5, s12, v6
.LBB30_1775:
	s_or_b64 exec, exec, s[16:17]
.LBB30_1776:
	s_or_b64 exec, exec, s[10:11]
	global_store_byte v[1:2], v7, off
.LBB30_1777:
	s_mov_b64 s[10:11], -1
.LBB30_1778:
	s_mov_b64 s[12:13], 0
.LBB30_1779:
	s_and_b64 vcc, exec, s[12:13]
	s_cbranch_vccz .LBB30_1819
; %bb.1780:
	s_cmp_gt_i32 s19, 22
	s_mov_b64 s[2:3], -1
	s_cbranch_scc0 .LBB30_1812
; %bb.1781:
	s_cmp_lt_i32 s19, 24
	s_cbranch_scc1 .LBB30_1801
; %bb.1782:
	s_cmp_gt_i32 s19, 24
	s_cbranch_scc0 .LBB30_1790
; %bb.1783:
	v_bfe_i32 v5, v4, 0, 8
	v_cvt_f32_i32_sdwa v5, sext(v5) dst_sel:DWORD dst_unused:UNUSED_PAD src0_sel:WORD_0
	s_mov_b32 s2, 0x47800000
	v_mov_b32_e32 v7, 0x80
	v_and_b32_e32 v6, 0x7fffffff, v5
	v_cmp_gt_u32_e32 vcc, s2, v6
	s_and_saveexec_b64 s[2:3], vcc
	s_cbranch_execz .LBB30_1789
; %bb.1784:
	s_mov_b32 s10, 0x37ffffff
	v_cmp_lt_u32_e32 vcc, s10, v6
	s_mov_b64 s[10:11], 0
                                        ; implicit-def: $vgpr6
	s_and_saveexec_b64 s[12:13], vcc
	s_xor_b64 s[12:13], exec, s[12:13]
	s_cbranch_execz .LBB30_2000
; %bb.1785:
	v_bfe_u32 v6, v5, 21, 1
	s_mov_b32 s16, 0x88fffff
	v_add3_u32 v6, v5, v6, s16
	s_mov_b64 s[10:11], exec
	v_lshrrev_b32_e32 v6, 21, v6
	s_andn2_saveexec_b64 s[12:13], s[12:13]
	s_cbranch_execnz .LBB30_2001
.LBB30_1786:
	s_or_b64 exec, exec, s[12:13]
	v_mov_b32_e32 v7, 0
	s_and_saveexec_b64 s[12:13], s[10:11]
.LBB30_1787:
	v_lshrrev_b32_e32 v5, 24, v5
	s_movk_i32 s10, 0x80
	v_and_or_b32 v7, v5, s10, v6
.LBB30_1788:
	s_or_b64 exec, exec, s[12:13]
.LBB30_1789:
	s_or_b64 exec, exec, s[2:3]
	s_mov_b64 s[2:3], 0
	global_store_byte v[1:2], v7, off
.LBB30_1790:
	s_and_b64 vcc, exec, s[2:3]
	s_cbranch_vccz .LBB30_1800
; %bb.1791:
	v_bfe_i32 v5, v4, 0, 8
	v_cvt_f32_i32_sdwa v5, sext(v5) dst_sel:DWORD dst_unused:UNUSED_PAD src0_sel:WORD_0
	s_mov_b32 s2, 0x43f00000
                                        ; implicit-def: $vgpr6
	v_and_b32_e32 v7, 0x7fffffff, v5
	v_cmp_gt_u32_e32 vcc, s2, v7
	s_and_saveexec_b64 s[2:3], vcc
	s_xor_b64 s[2:3], exec, s[2:3]
	s_cbranch_execz .LBB30_1797
; %bb.1792:
	s_mov_b32 s10, 0x3c7fffff
	v_cmp_lt_u32_e32 vcc, s10, v7
                                        ; implicit-def: $vgpr6
	s_and_saveexec_b64 s[10:11], vcc
	s_xor_b64 s[10:11], exec, s[10:11]
; %bb.1793:
	v_bfe_u32 v6, v5, 20, 1
	s_mov_b32 s12, 0x407ffff
	v_add3_u32 v6, v5, v6, s12
	v_lshrrev_b32_e32 v7, 20, v6
	v_and_b32_e32 v6, 0xff00000, v6
	s_mov_b32 s12, 0x7f00000
	v_mov_b32_e32 v8, 0x7e
	v_cmp_ne_u32_e32 vcc, s12, v6
	v_cndmask_b32_e32 v6, v8, v7, vcc
; %bb.1794:
	s_andn2_saveexec_b64 s[10:11], s[10:11]
; %bb.1795:
	s_mov_b32 s12, 0x46800000
	v_add_f32_e64 v6, |v5|, s12
; %bb.1796:
	s_or_b64 exec, exec, s[10:11]
                                        ; implicit-def: $vgpr7
.LBB30_1797:
	s_andn2_saveexec_b64 s[2:3], s[2:3]
; %bb.1798:
	s_mov_b32 s10, 0x7f800000
	v_mov_b32_e32 v6, 0x7e
	v_mov_b32_e32 v8, 0x7f
	v_cmp_lt_u32_e32 vcc, s10, v7
	v_cndmask_b32_e32 v6, v6, v8, vcc
; %bb.1799:
	s_or_b64 exec, exec, s[2:3]
	v_lshrrev_b32_e32 v5, 24, v5
	s_movk_i32 s2, 0x80
	v_and_or_b32 v5, v5, s2, v6
	global_store_byte v[1:2], v5, off
.LBB30_1800:
	s_mov_b64 s[2:3], 0
.LBB30_1801:
	s_andn2_b64 vcc, exec, s[2:3]
	s_cbranch_vccnz .LBB30_1811
; %bb.1802:
	v_bfe_i32 v5, v4, 0, 8
	v_cvt_f32_i32_sdwa v5, sext(v5) dst_sel:DWORD dst_unused:UNUSED_PAD src0_sel:WORD_0
	s_mov_b32 s2, 0x47800000
                                        ; implicit-def: $vgpr6
	v_and_b32_e32 v7, 0x7fffffff, v5
	v_cmp_gt_u32_e32 vcc, s2, v7
	s_and_saveexec_b64 s[2:3], vcc
	s_xor_b64 s[2:3], exec, s[2:3]
	s_cbranch_execz .LBB30_1808
; %bb.1803:
	s_mov_b32 s10, 0x387fffff
	v_cmp_lt_u32_e32 vcc, s10, v7
                                        ; implicit-def: $vgpr6
	s_and_saveexec_b64 s[10:11], vcc
	s_xor_b64 s[10:11], exec, s[10:11]
; %bb.1804:
	v_bfe_u32 v6, v5, 21, 1
	s_mov_b32 s12, 0x80fffff
	v_add3_u32 v6, v5, v6, s12
	v_lshrrev_b32_e32 v6, 21, v6
; %bb.1805:
	s_andn2_saveexec_b64 s[10:11], s[10:11]
; %bb.1806:
	s_mov_b32 s12, 0x43000000
	v_add_f32_e64 v6, |v5|, s12
; %bb.1807:
	s_or_b64 exec, exec, s[10:11]
                                        ; implicit-def: $vgpr7
.LBB30_1808:
	s_andn2_saveexec_b64 s[2:3], s[2:3]
; %bb.1809:
	s_mov_b32 s10, 0x7f800000
	v_mov_b32_e32 v6, 0x7c
	v_mov_b32_e32 v8, 0x7f
	v_cmp_lt_u32_e32 vcc, s10, v7
	v_cndmask_b32_e32 v6, v6, v8, vcc
; %bb.1810:
	s_or_b64 exec, exec, s[2:3]
	v_lshrrev_b32_e32 v5, 24, v5
	s_movk_i32 s2, 0x80
	v_and_or_b32 v5, v5, s2, v6
	global_store_byte v[1:2], v5, off
.LBB30_1811:
	s_mov_b64 s[2:3], 0
	s_mov_b64 s[10:11], -1
.LBB30_1812:
	s_andn2_b64 vcc, exec, s[2:3]
	s_mov_b64 s[2:3], 0
	s_cbranch_vccnz .LBB30_1819
; %bb.1813:
	s_cmp_gt_i32 s19, 14
	s_mov_b64 s[12:13], -1
	s_cbranch_scc0 .LBB30_1817
; %bb.1814:
	s_cmp_eq_u32 s19, 15
	s_mov_b64 s[0:1], -1
	s_cbranch_scc0 .LBB30_1816
; %bb.1815:
	v_bfe_i32 v5, v4, 0, 8
	v_cvt_f32_i32_sdwa v5, sext(v5) dst_sel:DWORD dst_unused:UNUSED_PAD src0_sel:WORD_0
	s_movk_i32 s2, 0x7fff
	s_mov_b64 s[0:1], 0
	s_mov_b64 s[10:11], -1
	v_bfe_u32 v6, v5, 16, 1
	v_add3_u32 v5, v5, v6, s2
	global_store_short_d16_hi v[1:2], v5, off
.LBB30_1816:
	s_mov_b64 s[12:13], 0
.LBB30_1817:
	s_mov_b64 s[2:3], 0
	s_and_b64 vcc, exec, s[12:13]
	s_cbranch_vccz .LBB30_1819
; %bb.1818:
	s_cmp_lg_u32 s19, 11
	s_mov_b64 s[2:3], -1
	s_cselect_b64 s[0:1], -1, 0
.LBB30_1819:
	s_and_b64 vcc, exec, s[0:1]
	s_cbranch_vccnz .LBB30_1999
; %bb.1820:
	s_andn2_b64 vcc, exec, s[2:3]
	s_cbranch_vccnz .LBB30_1822
.LBB30_1821:
	v_mov_b32_e32 v5, 0
	v_cmp_ne_u16_sdwa s[0:1], v4, v5 src0_sel:BYTE_0 src1_sel:DWORD
	v_cndmask_b32_e64 v5, 0, 1, s[0:1]
	s_mov_b64 s[10:11], -1
	global_store_byte v[1:2], v5, off
.LBB30_1822:
	s_mov_b64 s[0:1], 0
	s_branch .LBB30_1824
.LBB30_1823:
	s_mov_b64 s[0:1], -1
	s_mov_b64 s[10:11], 0
.LBB30_1824:
	s_and_b64 vcc, exec, s[0:1]
	s_cbranch_vccz .LBB30_1863
; %bb.1825:
	s_and_b32 s2, 0xffff, s20
	s_cmp_lt_i32 s2, 5
	s_mov_b64 s[0:1], -1
	s_cbranch_scc1 .LBB30_1846
; %bb.1826:
	s_cmp_lt_i32 s2, 8
	s_cbranch_scc1 .LBB30_1836
; %bb.1827:
	s_cmp_lt_i32 s2, 9
	s_cbranch_scc1 .LBB30_1833
; %bb.1828:
	s_cmp_gt_i32 s2, 9
	s_cbranch_scc0 .LBB30_1830
; %bb.1829:
	v_bfe_i32 v5, v4, 0, 8
	v_bfe_i32 v5, v5, 0, 16
	v_cvt_f64_i32_e32 v[5:6], v5
	v_mov_b32_e32 v7, 0
	v_mov_b32_e32 v8, v7
	s_mov_b64 s[0:1], 0
	global_store_dwordx4 v[1:2], v[5:8], off
.LBB30_1830:
	s_andn2_b64 vcc, exec, s[0:1]
	s_cbranch_vccnz .LBB30_1832
; %bb.1831:
	v_bfe_i32 v5, v4, 0, 8
	v_cvt_f32_i32_sdwa v5, sext(v5) dst_sel:DWORD dst_unused:UNUSED_PAD src0_sel:WORD_0
	v_mov_b32_e32 v6, 0
	global_store_dwordx2 v[1:2], v[5:6], off
.LBB30_1832:
	s_mov_b64 s[0:1], 0
.LBB30_1833:
	s_andn2_b64 vcc, exec, s[0:1]
	s_cbranch_vccnz .LBB30_1835
; %bb.1834:
	v_cvt_f16_i16_sdwa v5, sext(v4) dst_sel:DWORD dst_unused:UNUSED_PAD src0_sel:BYTE_0
	global_store_dword v[1:2], v5, off
.LBB30_1835:
	s_mov_b64 s[0:1], 0
.LBB30_1836:
	s_andn2_b64 vcc, exec, s[0:1]
	s_cbranch_vccnz .LBB30_1845
; %bb.1837:
	s_cmp_lt_i32 s2, 6
	s_mov_b64 s[0:1], -1
	s_cbranch_scc1 .LBB30_1843
; %bb.1838:
	s_cmp_gt_i32 s2, 6
	s_cbranch_scc0 .LBB30_1840
; %bb.1839:
	v_bfe_i32 v5, v4, 0, 8
	v_bfe_i32 v5, v5, 0, 16
	v_cvt_f64_i32_e32 v[5:6], v5
	s_mov_b64 s[0:1], 0
	global_store_dwordx2 v[1:2], v[5:6], off
.LBB30_1840:
	s_andn2_b64 vcc, exec, s[0:1]
	s_cbranch_vccnz .LBB30_1842
; %bb.1841:
	v_bfe_i32 v5, v4, 0, 8
	v_cvt_f32_i32_sdwa v5, sext(v5) dst_sel:DWORD dst_unused:UNUSED_PAD src0_sel:WORD_0
	global_store_dword v[1:2], v5, off
.LBB30_1842:
	s_mov_b64 s[0:1], 0
.LBB30_1843:
	s_andn2_b64 vcc, exec, s[0:1]
	s_cbranch_vccnz .LBB30_1845
; %bb.1844:
	v_cvt_f16_i16_sdwa v5, sext(v4) dst_sel:DWORD dst_unused:UNUSED_PAD src0_sel:BYTE_0
	global_store_short v[1:2], v5, off
.LBB30_1845:
	s_mov_b64 s[0:1], 0
.LBB30_1846:
	s_andn2_b64 vcc, exec, s[0:1]
	s_cbranch_vccnz .LBB30_1862
; %bb.1847:
	s_cmp_lt_i32 s2, 2
	s_mov_b64 s[0:1], -1
	s_cbranch_scc1 .LBB30_1857
; %bb.1848:
	s_cmp_lt_i32 s2, 3
	s_cbranch_scc1 .LBB30_1854
; %bb.1849:
	s_cmp_gt_i32 s2, 3
	s_cbranch_scc0 .LBB30_1851
; %bb.1850:
	v_bfe_i32 v5, v4, 0, 8
	v_ashrrev_i32_e32 v6, 31, v5
	global_store_dwordx2 v[1:2], v[5:6], off
	s_mov_b64 s[0:1], 0
.LBB30_1851:
	s_andn2_b64 vcc, exec, s[0:1]
	s_cbranch_vccnz .LBB30_1853
; %bb.1852:
	v_bfe_i32 v5, v4, 0, 8
	global_store_dword v[1:2], v5, off
.LBB30_1853:
	s_mov_b64 s[0:1], 0
.LBB30_1854:
	s_andn2_b64 vcc, exec, s[0:1]
	s_cbranch_vccnz .LBB30_1856
; %bb.1855:
	v_bfe_i32 v5, v4, 0, 8
	global_store_short v[1:2], v5, off
.LBB30_1856:
	s_mov_b64 s[0:1], 0
.LBB30_1857:
	s_andn2_b64 vcc, exec, s[0:1]
	s_cbranch_vccnz .LBB30_1862
; %bb.1858:
	s_cmp_gt_i32 s2, 0
	s_mov_b64 s[0:1], -1
	s_cbranch_scc0 .LBB30_1860
; %bb.1859:
	global_store_byte v[1:2], v4, off
	s_mov_b64 s[0:1], 0
.LBB30_1860:
	s_andn2_b64 vcc, exec, s[0:1]
	s_cbranch_vccnz .LBB30_1862
; %bb.1861:
	global_store_byte v[1:2], v4, off
.LBB30_1862:
	s_mov_b64 s[10:11], -1
.LBB30_1863:
	s_andn2_b64 vcc, exec, s[10:11]
	s_cbranch_vccnz .LBB30_1940
; %bb.1864:
	v_mov_b32_e32 v2, 8
	v_lshlrev_b32_sdwa v1, v0, v9 dst_sel:DWORD dst_unused:UNUSED_PAD src0_sel:DWORD src1_sel:BYTE_0
	v_cmp_lt_u16_sdwa vcc, v0, v2 src0_sel:BYTE_0 src1_sel:DWORD
	v_add_u32_e32 v0, s18, v3
	v_cndmask_b32_e32 v2, 0, v1, vcc
	v_ashrrev_i32_e32 v1, 31, v0
	v_mov_b32_e32 v3, s9
	v_add_co_u32_e32 v0, vcc, s8, v0
	s_cmp_lt_i32 s20, 11
	v_addc_co_u32_e32 v1, vcc, v3, v1, vcc
	s_cbranch_scc1 .LBB30_1985
; %bb.1865:
	s_and_b32 s16, 0xffff, s20
	s_mov_b64 s[8:9], -1
	s_mov_b64 s[2:3], 0
	s_cmp_gt_i32 s16, 25
	s_mov_b64 s[0:1], 0
	s_cbranch_scc0 .LBB30_1898
; %bb.1866:
	s_cmp_gt_i32 s16, 28
	s_cbranch_scc0 .LBB30_1882
; %bb.1867:
	s_cmp_gt_i32 s16, 43
	;; [unrolled: 3-line block ×3, first 2 shown]
	s_cbranch_scc0 .LBB30_1872
; %bb.1869:
	s_cmp_eq_u32 s16, 46
	s_mov_b64 s[0:1], -1
	s_cbranch_scc0 .LBB30_1871
; %bb.1870:
	v_bfe_i32 v3, v2, 0, 8
	v_cvt_f32_i32_sdwa v3, sext(v3) dst_sel:DWORD dst_unused:UNUSED_PAD src0_sel:WORD_0
	s_movk_i32 s0, 0x7fff
	v_bfe_u32 v4, v3, 16, 1
	v_add3_u32 v3, v3, v4, s0
	v_lshrrev_b32_e32 v3, 16, v3
	global_store_dword v[0:1], v3, off
	s_mov_b64 s[0:1], 0
.LBB30_1871:
	s_mov_b64 s[8:9], 0
.LBB30_1872:
	s_and_b64 vcc, exec, s[8:9]
	s_cbranch_vccz .LBB30_1877
; %bb.1873:
	s_cmp_eq_u32 s16, 44
	s_mov_b64 s[0:1], -1
	s_cbranch_scc0 .LBB30_1877
; %bb.1874:
	v_bfe_i32 v3, v2, 0, 8
	v_cvt_f32_i32_sdwa v3, sext(v3) dst_sel:DWORD dst_unused:UNUSED_PAD src0_sel:WORD_0
	s_movk_i32 s0, 0xff
	v_mov_b32_e32 v5, 0xff
	v_bfe_u32 v4, v3, 23, 8
	v_cmp_ne_u32_e32 vcc, s0, v4
	s_and_saveexec_b64 s[8:9], vcc
; %bb.1875:
	s_mov_b32 s0, 0x3fffff
	v_lshrrev_b32_e32 v5, 23, v3
	v_and_b32_e32 v6, 0x400000, v3
	v_and_or_b32 v3, v3, s0, v4
	v_cmp_ne_u32_e32 vcc, 0, v6
	v_cmp_ne_u32_e64 s[0:1], 0, v3
	s_and_b64 s[0:1], vcc, s[0:1]
	v_cndmask_b32_e64 v3, 0, 1, s[0:1]
	v_add_u32_e32 v5, v5, v3
; %bb.1876:
	s_or_b64 exec, exec, s[8:9]
	s_mov_b64 s[0:1], 0
	global_store_byte v[0:1], v5, off
.LBB30_1877:
	s_mov_b64 s[8:9], 0
.LBB30_1878:
	s_and_b64 vcc, exec, s[8:9]
	s_cbranch_vccz .LBB30_1881
; %bb.1879:
	s_cmp_eq_u32 s16, 29
	s_mov_b64 s[0:1], -1
	s_cbranch_scc0 .LBB30_1881
; %bb.1880:
	v_bfe_i32 v3, v2, 0, 8
	v_ashrrev_i32_e32 v4, 31, v3
	global_store_dwordx2 v[0:1], v[3:4], off
	s_mov_b64 s[0:1], 0
.LBB30_1881:
	s_mov_b64 s[8:9], 0
.LBB30_1882:
	s_and_b64 vcc, exec, s[8:9]
	s_cbranch_vccz .LBB30_1897
; %bb.1883:
	s_cmp_lt_i32 s16, 27
	s_mov_b64 s[8:9], -1
	s_cbranch_scc1 .LBB30_1889
; %bb.1884:
	s_cmp_gt_i32 s16, 27
	s_cbranch_scc0 .LBB30_1886
; %bb.1885:
	v_bfe_i32 v3, v2, 0, 8
	global_store_dword v[0:1], v3, off
	s_mov_b64 s[8:9], 0
.LBB30_1886:
	s_andn2_b64 vcc, exec, s[8:9]
	s_cbranch_vccnz .LBB30_1888
; %bb.1887:
	v_bfe_i32 v3, v2, 0, 8
	global_store_short v[0:1], v3, off
.LBB30_1888:
	s_mov_b64 s[8:9], 0
.LBB30_1889:
	s_andn2_b64 vcc, exec, s[8:9]
	s_cbranch_vccnz .LBB30_1897
; %bb.1890:
	v_bfe_i32 v3, v2, 0, 8
	v_cvt_f32_i32_sdwa v3, sext(v3) dst_sel:DWORD dst_unused:UNUSED_PAD src0_sel:WORD_0
	s_mov_b32 s8, 0x43800000
	v_mov_b32_e32 v5, 0x80
	v_and_b32_e32 v4, 0x7fffffff, v3
	v_cmp_gt_u32_e32 vcc, s8, v4
	s_and_saveexec_b64 s[8:9], vcc
	s_cbranch_execz .LBB30_1896
; %bb.1891:
	s_mov_b32 s10, 0x3bffffff
	v_cmp_lt_u32_e32 vcc, s10, v4
	s_mov_b64 s[10:11], 0
                                        ; implicit-def: $vgpr4
	s_and_saveexec_b64 s[12:13], vcc
	s_xor_b64 s[12:13], exec, s[12:13]
	s_cbranch_execz .LBB30_2002
; %bb.1892:
	v_bfe_u32 v4, v3, 20, 1
	s_mov_b32 s17, 0x487ffff
	v_add3_u32 v4, v3, v4, s17
	s_mov_b64 s[10:11], exec
	v_lshrrev_b32_e32 v4, 20, v4
	s_andn2_saveexec_b64 s[12:13], s[12:13]
	s_cbranch_execnz .LBB30_2003
.LBB30_1893:
	s_or_b64 exec, exec, s[12:13]
	v_mov_b32_e32 v5, 0
	s_and_saveexec_b64 s[12:13], s[10:11]
.LBB30_1894:
	v_lshrrev_b32_e32 v3, 24, v3
	s_movk_i32 s10, 0x80
	v_and_or_b32 v5, v3, s10, v4
.LBB30_1895:
	s_or_b64 exec, exec, s[12:13]
.LBB30_1896:
	s_or_b64 exec, exec, s[8:9]
	global_store_byte v[0:1], v5, off
.LBB30_1897:
	s_mov_b64 s[8:9], 0
.LBB30_1898:
	s_and_b64 vcc, exec, s[8:9]
	s_cbranch_vccz .LBB30_1938
; %bb.1899:
	s_cmp_gt_i32 s16, 22
	s_mov_b64 s[2:3], -1
	s_cbranch_scc0 .LBB30_1931
; %bb.1900:
	s_cmp_lt_i32 s16, 24
	s_cbranch_scc1 .LBB30_1920
; %bb.1901:
	s_cmp_gt_i32 s16, 24
	s_cbranch_scc0 .LBB30_1909
; %bb.1902:
	v_bfe_i32 v3, v2, 0, 8
	v_cvt_f32_i32_sdwa v3, sext(v3) dst_sel:DWORD dst_unused:UNUSED_PAD src0_sel:WORD_0
	s_mov_b32 s2, 0x47800000
	v_mov_b32_e32 v5, 0x80
	v_and_b32_e32 v4, 0x7fffffff, v3
	v_cmp_gt_u32_e32 vcc, s2, v4
	s_and_saveexec_b64 s[2:3], vcc
	s_cbranch_execz .LBB30_1908
; %bb.1903:
	s_mov_b32 s8, 0x37ffffff
	v_cmp_lt_u32_e32 vcc, s8, v4
	s_mov_b64 s[8:9], 0
                                        ; implicit-def: $vgpr4
	s_and_saveexec_b64 s[10:11], vcc
	s_xor_b64 s[10:11], exec, s[10:11]
	s_cbranch_execz .LBB30_2005
; %bb.1904:
	v_bfe_u32 v4, v3, 21, 1
	s_mov_b32 s12, 0x88fffff
	v_add3_u32 v4, v3, v4, s12
	s_mov_b64 s[8:9], exec
	v_lshrrev_b32_e32 v4, 21, v4
	s_andn2_saveexec_b64 s[10:11], s[10:11]
	s_cbranch_execnz .LBB30_2006
.LBB30_1905:
	s_or_b64 exec, exec, s[10:11]
	v_mov_b32_e32 v5, 0
	s_and_saveexec_b64 s[10:11], s[8:9]
.LBB30_1906:
	v_lshrrev_b32_e32 v3, 24, v3
	s_movk_i32 s8, 0x80
	v_and_or_b32 v5, v3, s8, v4
.LBB30_1907:
	s_or_b64 exec, exec, s[10:11]
.LBB30_1908:
	s_or_b64 exec, exec, s[2:3]
	s_mov_b64 s[2:3], 0
	global_store_byte v[0:1], v5, off
.LBB30_1909:
	s_and_b64 vcc, exec, s[2:3]
	s_cbranch_vccz .LBB30_1919
; %bb.1910:
	v_bfe_i32 v3, v2, 0, 8
	v_cvt_f32_i32_sdwa v3, sext(v3) dst_sel:DWORD dst_unused:UNUSED_PAD src0_sel:WORD_0
	s_mov_b32 s2, 0x43f00000
                                        ; implicit-def: $vgpr4
	v_and_b32_e32 v5, 0x7fffffff, v3
	v_cmp_gt_u32_e32 vcc, s2, v5
	s_and_saveexec_b64 s[2:3], vcc
	s_xor_b64 s[2:3], exec, s[2:3]
	s_cbranch_execz .LBB30_1916
; %bb.1911:
	s_mov_b32 s8, 0x3c7fffff
	v_cmp_lt_u32_e32 vcc, s8, v5
                                        ; implicit-def: $vgpr4
	s_and_saveexec_b64 s[8:9], vcc
	s_xor_b64 s[8:9], exec, s[8:9]
; %bb.1912:
	v_bfe_u32 v4, v3, 20, 1
	s_mov_b32 s10, 0x407ffff
	v_add3_u32 v4, v3, v4, s10
	v_lshrrev_b32_e32 v5, 20, v4
	v_and_b32_e32 v4, 0xff00000, v4
	s_mov_b32 s10, 0x7f00000
	v_mov_b32_e32 v6, 0x7e
	v_cmp_ne_u32_e32 vcc, s10, v4
	v_cndmask_b32_e32 v4, v6, v5, vcc
; %bb.1913:
	s_andn2_saveexec_b64 s[8:9], s[8:9]
; %bb.1914:
	s_mov_b32 s10, 0x46800000
	v_add_f32_e64 v4, |v3|, s10
; %bb.1915:
	s_or_b64 exec, exec, s[8:9]
                                        ; implicit-def: $vgpr5
.LBB30_1916:
	s_andn2_saveexec_b64 s[2:3], s[2:3]
; %bb.1917:
	s_mov_b32 s8, 0x7f800000
	v_mov_b32_e32 v4, 0x7e
	v_mov_b32_e32 v6, 0x7f
	v_cmp_lt_u32_e32 vcc, s8, v5
	v_cndmask_b32_e32 v4, v4, v6, vcc
; %bb.1918:
	s_or_b64 exec, exec, s[2:3]
	v_lshrrev_b32_e32 v3, 24, v3
	s_movk_i32 s2, 0x80
	v_and_or_b32 v3, v3, s2, v4
	global_store_byte v[0:1], v3, off
.LBB30_1919:
	s_mov_b64 s[2:3], 0
.LBB30_1920:
	s_andn2_b64 vcc, exec, s[2:3]
	s_cbranch_vccnz .LBB30_1930
; %bb.1921:
	v_bfe_i32 v3, v2, 0, 8
	v_cvt_f32_i32_sdwa v3, sext(v3) dst_sel:DWORD dst_unused:UNUSED_PAD src0_sel:WORD_0
	s_mov_b32 s2, 0x47800000
                                        ; implicit-def: $vgpr4
	v_and_b32_e32 v5, 0x7fffffff, v3
	v_cmp_gt_u32_e32 vcc, s2, v5
	s_and_saveexec_b64 s[2:3], vcc
	s_xor_b64 s[2:3], exec, s[2:3]
	s_cbranch_execz .LBB30_1927
; %bb.1922:
	s_mov_b32 s8, 0x387fffff
	v_cmp_lt_u32_e32 vcc, s8, v5
                                        ; implicit-def: $vgpr4
	s_and_saveexec_b64 s[8:9], vcc
	s_xor_b64 s[8:9], exec, s[8:9]
; %bb.1923:
	v_bfe_u32 v4, v3, 21, 1
	s_mov_b32 s10, 0x80fffff
	v_add3_u32 v4, v3, v4, s10
	v_lshrrev_b32_e32 v4, 21, v4
; %bb.1924:
	s_andn2_saveexec_b64 s[8:9], s[8:9]
; %bb.1925:
	s_mov_b32 s10, 0x43000000
	v_add_f32_e64 v4, |v3|, s10
; %bb.1926:
	s_or_b64 exec, exec, s[8:9]
                                        ; implicit-def: $vgpr5
.LBB30_1927:
	s_andn2_saveexec_b64 s[2:3], s[2:3]
; %bb.1928:
	s_mov_b32 s8, 0x7f800000
	v_mov_b32_e32 v4, 0x7c
	v_mov_b32_e32 v6, 0x7f
	v_cmp_lt_u32_e32 vcc, s8, v5
	v_cndmask_b32_e32 v4, v4, v6, vcc
; %bb.1929:
	s_or_b64 exec, exec, s[2:3]
	v_lshrrev_b32_e32 v3, 24, v3
	s_movk_i32 s2, 0x80
	v_and_or_b32 v3, v3, s2, v4
	global_store_byte v[0:1], v3, off
.LBB30_1930:
	s_mov_b64 s[2:3], 0
.LBB30_1931:
	s_andn2_b64 vcc, exec, s[2:3]
	s_mov_b64 s[2:3], 0
	s_cbranch_vccnz .LBB30_1938
; %bb.1932:
	s_cmp_gt_i32 s16, 14
	s_mov_b64 s[8:9], -1
	s_cbranch_scc0 .LBB30_1936
; %bb.1933:
	s_cmp_eq_u32 s16, 15
	s_mov_b64 s[0:1], -1
	s_cbranch_scc0 .LBB30_1935
; %bb.1934:
	v_bfe_i32 v3, v2, 0, 8
	v_cvt_f32_i32_sdwa v3, sext(v3) dst_sel:DWORD dst_unused:UNUSED_PAD src0_sel:WORD_0
	s_movk_i32 s0, 0x7fff
	v_bfe_u32 v4, v3, 16, 1
	v_add3_u32 v3, v3, v4, s0
	global_store_short_d16_hi v[0:1], v3, off
	s_mov_b64 s[0:1], 0
.LBB30_1935:
	s_mov_b64 s[8:9], 0
.LBB30_1936:
	s_and_b64 vcc, exec, s[8:9]
	s_cbranch_vccz .LBB30_1938
; %bb.1937:
	s_cmp_lg_u32 s16, 11
	s_mov_b64 s[2:3], -1
	s_cselect_b64 s[0:1], -1, 0
.LBB30_1938:
	s_and_b64 vcc, exec, s[0:1]
	s_cbranch_vccnz .LBB30_2004
.LBB30_1939:
	s_mov_b64 s[0:1], 0
	s_branch .LBB30_1941
.LBB30_1940:
	s_mov_b64 s[0:1], 0
	s_mov_b64 s[2:3], 0
                                        ; implicit-def: $sgpr20
                                        ; implicit-def: $vgpr0_vgpr1
                                        ; implicit-def: $vgpr2
.LBB30_1941:
	s_and_b64 s[12:13], s[2:3], exec
	s_andn2_b64 s[2:3], s[6:7], exec
	s_and_b64 s[6:7], s[14:15], exec
	s_and_b64 s[0:1], s[0:1], exec
	s_or_b64 s[6:7], s[2:3], s[6:7]
.LBB30_1942:
	s_or_b64 exec, exec, s[4:5]
	s_and_saveexec_b64 s[2:3], s[6:7]
	s_cbranch_execz .LBB30_1945
; %bb.1943:
	; divergent unreachable
	s_or_b64 exec, exec, s[2:3]
	s_and_saveexec_b64 s[2:3], s[12:13]
	s_xor_b64 s[2:3], exec, s[2:3]
	s_cbranch_execnz .LBB30_1946
.LBB30_1944:
	s_or_b64 exec, exec, s[2:3]
	s_and_saveexec_b64 s[2:3], s[0:1]
	s_cbranch_execnz .LBB30_1947
	s_branch .LBB30_1984
.LBB30_1945:
	s_or_b64 exec, exec, s[2:3]
	s_and_saveexec_b64 s[2:3], s[12:13]
	s_xor_b64 s[2:3], exec, s[2:3]
	s_cbranch_execz .LBB30_1944
.LBB30_1946:
	s_waitcnt vmcnt(0)
	v_mov_b32_e32 v3, 0
	v_cmp_ne_u16_sdwa s[4:5], v2, v3 src0_sel:BYTE_0 src1_sel:DWORD
	v_cndmask_b32_e64 v3, 0, 1, s[4:5]
	global_store_byte v[0:1], v3, off
	s_or_b64 exec, exec, s[2:3]
	s_and_saveexec_b64 s[2:3], s[0:1]
	s_cbranch_execz .LBB30_1984
.LBB30_1947:
	s_sext_i32_i16 s2, s20
	s_cmp_lt_i32 s2, 5
	s_mov_b64 s[0:1], -1
	s_cbranch_scc1 .LBB30_1968
; %bb.1948:
	s_cmp_lt_i32 s2, 8
	s_cbranch_scc1 .LBB30_1958
; %bb.1949:
	s_cmp_lt_i32 s2, 9
	s_cbranch_scc1 .LBB30_1955
; %bb.1950:
	s_cmp_gt_i32 s2, 9
	s_cbranch_scc0 .LBB30_1952
; %bb.1951:
	s_waitcnt vmcnt(0)
	v_bfe_i32 v3, v2, 0, 8
	v_bfe_i32 v3, v3, 0, 16
	v_cvt_f64_i32_e32 v[3:4], v3
	v_mov_b32_e32 v5, 0
	v_mov_b32_e32 v6, v5
	s_mov_b64 s[0:1], 0
	global_store_dwordx4 v[0:1], v[3:6], off
.LBB30_1952:
	s_andn2_b64 vcc, exec, s[0:1]
	s_cbranch_vccnz .LBB30_1954
; %bb.1953:
	s_waitcnt vmcnt(0)
	v_bfe_i32 v3, v2, 0, 8
	v_cvt_f32_i32_sdwa v3, sext(v3) dst_sel:DWORD dst_unused:UNUSED_PAD src0_sel:WORD_0
	v_mov_b32_e32 v4, 0
	global_store_dwordx2 v[0:1], v[3:4], off
.LBB30_1954:
	s_mov_b64 s[0:1], 0
.LBB30_1955:
	s_andn2_b64 vcc, exec, s[0:1]
	s_cbranch_vccnz .LBB30_1957
; %bb.1956:
	s_waitcnt vmcnt(0)
	v_cvt_f16_i16_sdwa v3, sext(v2) dst_sel:DWORD dst_unused:UNUSED_PAD src0_sel:BYTE_0
	global_store_dword v[0:1], v3, off
.LBB30_1957:
	s_mov_b64 s[0:1], 0
.LBB30_1958:
	s_andn2_b64 vcc, exec, s[0:1]
	s_cbranch_vccnz .LBB30_1967
; %bb.1959:
	s_sext_i32_i16 s2, s20
	s_cmp_lt_i32 s2, 6
	s_mov_b64 s[0:1], -1
	s_cbranch_scc1 .LBB30_1965
; %bb.1960:
	s_cmp_gt_i32 s2, 6
	s_cbranch_scc0 .LBB30_1962
; %bb.1961:
	s_waitcnt vmcnt(0)
	v_bfe_i32 v3, v2, 0, 8
	v_bfe_i32 v3, v3, 0, 16
	v_cvt_f64_i32_e32 v[3:4], v3
	s_mov_b64 s[0:1], 0
	global_store_dwordx2 v[0:1], v[3:4], off
.LBB30_1962:
	s_andn2_b64 vcc, exec, s[0:1]
	s_cbranch_vccnz .LBB30_1964
; %bb.1963:
	s_waitcnt vmcnt(0)
	v_bfe_i32 v3, v2, 0, 8
	v_cvt_f32_i32_sdwa v3, sext(v3) dst_sel:DWORD dst_unused:UNUSED_PAD src0_sel:WORD_0
	global_store_dword v[0:1], v3, off
.LBB30_1964:
	s_mov_b64 s[0:1], 0
.LBB30_1965:
	s_andn2_b64 vcc, exec, s[0:1]
	s_cbranch_vccnz .LBB30_1967
; %bb.1966:
	s_waitcnt vmcnt(0)
	v_cvt_f16_i16_sdwa v3, sext(v2) dst_sel:DWORD dst_unused:UNUSED_PAD src0_sel:BYTE_0
	global_store_short v[0:1], v3, off
.LBB30_1967:
	s_mov_b64 s[0:1], 0
.LBB30_1968:
	s_andn2_b64 vcc, exec, s[0:1]
	s_cbranch_vccnz .LBB30_1984
; %bb.1969:
	s_sext_i32_i16 s2, s20
	s_cmp_lt_i32 s2, 2
	s_mov_b64 s[0:1], -1
	s_cbranch_scc1 .LBB30_1979
; %bb.1970:
	s_cmp_lt_i32 s2, 3
	s_cbranch_scc1 .LBB30_1976
; %bb.1971:
	s_cmp_gt_i32 s2, 3
	s_cbranch_scc0 .LBB30_1973
; %bb.1972:
	s_waitcnt vmcnt(0)
	v_bfe_i32 v3, v2, 0, 8
	v_ashrrev_i32_e32 v4, 31, v3
	global_store_dwordx2 v[0:1], v[3:4], off
	s_mov_b64 s[0:1], 0
.LBB30_1973:
	s_andn2_b64 vcc, exec, s[0:1]
	s_cbranch_vccnz .LBB30_1975
; %bb.1974:
	s_waitcnt vmcnt(0)
	v_bfe_i32 v3, v2, 0, 8
	global_store_dword v[0:1], v3, off
.LBB30_1975:
	s_mov_b64 s[0:1], 0
.LBB30_1976:
	s_andn2_b64 vcc, exec, s[0:1]
	s_cbranch_vccnz .LBB30_1978
; %bb.1977:
	s_waitcnt vmcnt(0)
	v_bfe_i32 v3, v2, 0, 8
	global_store_short v[0:1], v3, off
.LBB30_1978:
	s_mov_b64 s[0:1], 0
.LBB30_1979:
	s_andn2_b64 vcc, exec, s[0:1]
	s_cbranch_vccnz .LBB30_1984
; %bb.1980:
	s_sext_i32_i16 s0, s20
	s_cmp_gt_i32 s0, 0
	s_mov_b64 s[0:1], -1
	s_cbranch_scc0 .LBB30_1982
; %bb.1981:
	s_waitcnt vmcnt(0)
	global_store_byte v[0:1], v2, off
	s_mov_b64 s[0:1], 0
.LBB30_1982:
	s_andn2_b64 vcc, exec, s[0:1]
	s_cbranch_vccnz .LBB30_1984
; %bb.1983:
	s_waitcnt vmcnt(0)
	global_store_byte v[0:1], v2, off
	s_endpgm
.LBB30_1984:
	s_endpgm
.LBB30_1985:
	s_mov_b64 s[2:3], 0
	s_mov_b64 s[0:1], -1
	s_branch .LBB30_1941
.LBB30_1986:
	s_trap 2
	s_or_b64 s[14:15], s[14:15], exec
	s_cbranch_execz .LBB30_1455
	s_branch .LBB30_1456
.LBB30_1987:
	s_andn2_saveexec_b64 s[18:19], s[18:19]
	s_cbranch_execz .LBB30_1535
.LBB30_1988:
	s_mov_b32 s21, 0x46000000
	v_add_f32_e64 v8, |v7|, s21
	v_and_b32_e32 v8, 0xff, v8
	v_cmp_ne_u32_e32 vcc, 0, v8
	s_andn2_b64 s[16:17], s[16:17], exec
	s_and_b64 s[22:23], vcc, exec
	s_or_b64 s[16:17], s[16:17], s[22:23]
	s_or_b64 exec, exec, s[18:19]
	v_mov_b32_e32 v10, 0
	s_and_saveexec_b64 s[18:19], s[16:17]
	s_cbranch_execnz .LBB30_1536
	s_branch .LBB30_1537
.LBB30_1989:
	s_trap 2
	s_or_b64 s[14:15], s[14:15], exec
	s_cbranch_execz .LBB30_1583
	s_branch .LBB30_1584
.LBB30_1990:
	s_andn2_saveexec_b64 s[16:17], s[16:17]
	s_cbranch_execz .LBB30_1548
.LBB30_1991:
	s_mov_b32 s18, 0x42800000
	v_add_f32_e64 v8, |v7|, s18
	v_and_b32_e32 v8, 0xff, v8
	v_cmp_ne_u32_e32 vcc, 0, v8
	s_andn2_b64 s[12:13], s[12:13], exec
	s_and_b64 s[18:19], vcc, exec
	s_or_b64 s[12:13], s[12:13], s[18:19]
	s_or_b64 exec, exec, s[16:17]
	v_mov_b32_e32 v10, 0
	s_and_saveexec_b64 s[16:17], s[12:13]
	s_cbranch_execnz .LBB30_1549
	s_branch .LBB30_1550
.LBB30_1992:
	s_andn2_saveexec_b64 s[16:17], s[16:17]
	s_cbranch_execz .LBB30_1654
.LBB30_1993:
	s_mov_b32 s21, 0x46000000
	v_add_f32_e64 v7, |v6|, s21
	v_and_b32_e32 v7, 0xff, v7
	v_cmp_ne_u32_e32 vcc, 0, v7
	s_andn2_b64 s[12:13], s[12:13], exec
	s_and_b64 s[22:23], vcc, exec
	s_or_b64 s[12:13], s[12:13], s[22:23]
	s_or_b64 exec, exec, s[16:17]
	v_mov_b32_e32 v8, 0
	s_and_saveexec_b64 s[16:17], s[12:13]
	s_cbranch_execnz .LBB30_1655
	s_branch .LBB30_1656
.LBB30_1994:
	s_trap 2
	s_or_b64 s[14:15], s[14:15], exec
	s_cbranch_execz .LBB30_1702
	s_branch .LBB30_1703
.LBB30_1995:
	s_andn2_saveexec_b64 s[12:13], s[12:13]
	s_cbranch_execz .LBB30_1667
.LBB30_1996:
	s_mov_b32 s16, 0x42800000
	v_add_f32_e64 v7, |v6|, s16
	v_and_b32_e32 v7, 0xff, v7
	v_cmp_ne_u32_e32 vcc, 0, v7
	s_andn2_b64 s[10:11], s[10:11], exec
	s_and_b64 s[16:17], vcc, exec
	s_or_b64 s[10:11], s[10:11], s[16:17]
	s_or_b64 exec, exec, s[12:13]
	v_mov_b32_e32 v8, 0
	s_and_saveexec_b64 s[12:13], s[10:11]
	s_cbranch_execnz .LBB30_1668
	s_branch .LBB30_1669
.LBB30_1997:
	s_andn2_saveexec_b64 s[16:17], s[16:17]
	s_cbranch_execz .LBB30_1773
.LBB30_1998:
	s_mov_b32 s21, 0x46000000
	v_add_f32_e64 v6, |v5|, s21
	v_and_b32_e32 v6, 0xff, v6
	v_cmp_ne_u32_e32 vcc, 0, v6
	s_andn2_b64 s[12:13], s[12:13], exec
	s_and_b64 s[22:23], vcc, exec
	s_or_b64 s[12:13], s[12:13], s[22:23]
	s_or_b64 exec, exec, s[16:17]
	v_mov_b32_e32 v7, 0
	s_and_saveexec_b64 s[16:17], s[12:13]
	s_cbranch_execnz .LBB30_1774
	s_branch .LBB30_1775
.LBB30_1999:
	s_trap 2
	s_or_b64 s[14:15], s[14:15], exec
	s_cbranch_execz .LBB30_1821
	s_branch .LBB30_1822
.LBB30_2000:
	s_andn2_saveexec_b64 s[12:13], s[12:13]
	s_cbranch_execz .LBB30_1786
.LBB30_2001:
	s_mov_b32 s16, 0x42800000
	v_add_f32_e64 v6, |v5|, s16
	v_and_b32_e32 v6, 0xff, v6
	v_cmp_ne_u32_e32 vcc, 0, v6
	s_andn2_b64 s[10:11], s[10:11], exec
	s_and_b64 s[16:17], vcc, exec
	s_or_b64 s[10:11], s[10:11], s[16:17]
	s_or_b64 exec, exec, s[12:13]
	v_mov_b32_e32 v7, 0
	s_and_saveexec_b64 s[12:13], s[10:11]
	s_cbranch_execnz .LBB30_1787
	s_branch .LBB30_1788
.LBB30_2002:
	s_andn2_saveexec_b64 s[12:13], s[12:13]
	s_cbranch_execz .LBB30_1893
.LBB30_2003:
	s_mov_b32 s17, 0x46000000
	v_add_f32_e64 v4, |v3|, s17
	v_and_b32_e32 v4, 0xff, v4
	v_cmp_ne_u32_e32 vcc, 0, v4
	s_andn2_b64 s[10:11], s[10:11], exec
	s_and_b64 s[18:19], vcc, exec
	s_or_b64 s[10:11], s[10:11], s[18:19]
	s_or_b64 exec, exec, s[12:13]
	v_mov_b32_e32 v5, 0
	s_and_saveexec_b64 s[12:13], s[10:11]
	s_cbranch_execnz .LBB30_1894
	s_branch .LBB30_1895
.LBB30_2004:
	s_mov_b64 s[2:3], 0
	s_or_b64 s[14:15], s[14:15], exec
	s_trap 2
	s_branch .LBB30_1939
.LBB30_2005:
	s_andn2_saveexec_b64 s[10:11], s[10:11]
	s_cbranch_execz .LBB30_1905
.LBB30_2006:
	s_mov_b32 s12, 0x42800000
	v_add_f32_e64 v4, |v3|, s12
	v_and_b32_e32 v4, 0xff, v4
	v_cmp_ne_u32_e32 vcc, 0, v4
	s_andn2_b64 s[8:9], s[8:9], exec
	s_and_b64 s[12:13], vcc, exec
	s_or_b64 s[8:9], s[8:9], s[12:13]
	s_or_b64 exec, exec, s[10:11]
	v_mov_b32_e32 v5, 0
	s_and_saveexec_b64 s[10:11], s[8:9]
	s_cbranch_execnz .LBB30_1906
	s_branch .LBB30_1907
	.section	.rodata,"a",@progbits
	.p2align	6, 0x0
	.amdhsa_kernel _ZN2at6native32elementwise_kernel_manual_unrollILi128ELi4EZNS0_15gpu_kernel_implINS0_13AUnaryFunctorIaaaZZZNS0_18lshift_kernel_cudaERNS_18TensorIteratorBaseEENKUlvE_clEvENKUlvE0_clEvEUlaaE_EEEEvS5_RKT_EUlibE_EEviT1_
		.amdhsa_group_segment_fixed_size 0
		.amdhsa_private_segment_fixed_size 0
		.amdhsa_kernarg_size 40
		.amdhsa_user_sgpr_count 6
		.amdhsa_user_sgpr_private_segment_buffer 1
		.amdhsa_user_sgpr_dispatch_ptr 0
		.amdhsa_user_sgpr_queue_ptr 0
		.amdhsa_user_sgpr_kernarg_segment_ptr 1
		.amdhsa_user_sgpr_dispatch_id 0
		.amdhsa_user_sgpr_flat_scratch_init 0
		.amdhsa_user_sgpr_private_segment_size 0
		.amdhsa_uses_dynamic_stack 0
		.amdhsa_system_sgpr_private_segment_wavefront_offset 0
		.amdhsa_system_sgpr_workgroup_id_x 1
		.amdhsa_system_sgpr_workgroup_id_y 0
		.amdhsa_system_sgpr_workgroup_id_z 0
		.amdhsa_system_sgpr_workgroup_info 0
		.amdhsa_system_vgpr_workitem_id 0
		.amdhsa_next_free_vgpr 14
		.amdhsa_next_free_sgpr 46
		.amdhsa_reserve_vcc 1
		.amdhsa_reserve_flat_scratch 0
		.amdhsa_float_round_mode_32 0
		.amdhsa_float_round_mode_16_64 0
		.amdhsa_float_denorm_mode_32 3
		.amdhsa_float_denorm_mode_16_64 3
		.amdhsa_dx10_clamp 1
		.amdhsa_ieee_mode 1
		.amdhsa_fp16_overflow 0
		.amdhsa_exception_fp_ieee_invalid_op 0
		.amdhsa_exception_fp_denorm_src 0
		.amdhsa_exception_fp_ieee_div_zero 0
		.amdhsa_exception_fp_ieee_overflow 0
		.amdhsa_exception_fp_ieee_underflow 0
		.amdhsa_exception_fp_ieee_inexact 0
		.amdhsa_exception_int_div_zero 0
	.end_amdhsa_kernel
	.section	.text._ZN2at6native32elementwise_kernel_manual_unrollILi128ELi4EZNS0_15gpu_kernel_implINS0_13AUnaryFunctorIaaaZZZNS0_18lshift_kernel_cudaERNS_18TensorIteratorBaseEENKUlvE_clEvENKUlvE0_clEvEUlaaE_EEEEvS5_RKT_EUlibE_EEviT1_,"axG",@progbits,_ZN2at6native32elementwise_kernel_manual_unrollILi128ELi4EZNS0_15gpu_kernel_implINS0_13AUnaryFunctorIaaaZZZNS0_18lshift_kernel_cudaERNS_18TensorIteratorBaseEENKUlvE_clEvENKUlvE0_clEvEUlaaE_EEEEvS5_RKT_EUlibE_EEviT1_,comdat
.Lfunc_end30:
	.size	_ZN2at6native32elementwise_kernel_manual_unrollILi128ELi4EZNS0_15gpu_kernel_implINS0_13AUnaryFunctorIaaaZZZNS0_18lshift_kernel_cudaERNS_18TensorIteratorBaseEENKUlvE_clEvENKUlvE0_clEvEUlaaE_EEEEvS5_RKT_EUlibE_EEviT1_, .Lfunc_end30-_ZN2at6native32elementwise_kernel_manual_unrollILi128ELi4EZNS0_15gpu_kernel_implINS0_13AUnaryFunctorIaaaZZZNS0_18lshift_kernel_cudaERNS_18TensorIteratorBaseEENKUlvE_clEvENKUlvE0_clEvEUlaaE_EEEEvS5_RKT_EUlibE_EEviT1_
                                        ; -- End function
	.set _ZN2at6native32elementwise_kernel_manual_unrollILi128ELi4EZNS0_15gpu_kernel_implINS0_13AUnaryFunctorIaaaZZZNS0_18lshift_kernel_cudaERNS_18TensorIteratorBaseEENKUlvE_clEvENKUlvE0_clEvEUlaaE_EEEEvS5_RKT_EUlibE_EEviT1_.num_vgpr, 14
	.set _ZN2at6native32elementwise_kernel_manual_unrollILi128ELi4EZNS0_15gpu_kernel_implINS0_13AUnaryFunctorIaaaZZZNS0_18lshift_kernel_cudaERNS_18TensorIteratorBaseEENKUlvE_clEvENKUlvE0_clEvEUlaaE_EEEEvS5_RKT_EUlibE_EEviT1_.num_agpr, 0
	.set _ZN2at6native32elementwise_kernel_manual_unrollILi128ELi4EZNS0_15gpu_kernel_implINS0_13AUnaryFunctorIaaaZZZNS0_18lshift_kernel_cudaERNS_18TensorIteratorBaseEENKUlvE_clEvENKUlvE0_clEvEUlaaE_EEEEvS5_RKT_EUlibE_EEviT1_.numbered_sgpr, 46
	.set _ZN2at6native32elementwise_kernel_manual_unrollILi128ELi4EZNS0_15gpu_kernel_implINS0_13AUnaryFunctorIaaaZZZNS0_18lshift_kernel_cudaERNS_18TensorIteratorBaseEENKUlvE_clEvENKUlvE0_clEvEUlaaE_EEEEvS5_RKT_EUlibE_EEviT1_.num_named_barrier, 0
	.set _ZN2at6native32elementwise_kernel_manual_unrollILi128ELi4EZNS0_15gpu_kernel_implINS0_13AUnaryFunctorIaaaZZZNS0_18lshift_kernel_cudaERNS_18TensorIteratorBaseEENKUlvE_clEvENKUlvE0_clEvEUlaaE_EEEEvS5_RKT_EUlibE_EEviT1_.private_seg_size, 0
	.set _ZN2at6native32elementwise_kernel_manual_unrollILi128ELi4EZNS0_15gpu_kernel_implINS0_13AUnaryFunctorIaaaZZZNS0_18lshift_kernel_cudaERNS_18TensorIteratorBaseEENKUlvE_clEvENKUlvE0_clEvEUlaaE_EEEEvS5_RKT_EUlibE_EEviT1_.uses_vcc, 1
	.set _ZN2at6native32elementwise_kernel_manual_unrollILi128ELi4EZNS0_15gpu_kernel_implINS0_13AUnaryFunctorIaaaZZZNS0_18lshift_kernel_cudaERNS_18TensorIteratorBaseEENKUlvE_clEvENKUlvE0_clEvEUlaaE_EEEEvS5_RKT_EUlibE_EEviT1_.uses_flat_scratch, 0
	.set _ZN2at6native32elementwise_kernel_manual_unrollILi128ELi4EZNS0_15gpu_kernel_implINS0_13AUnaryFunctorIaaaZZZNS0_18lshift_kernel_cudaERNS_18TensorIteratorBaseEENKUlvE_clEvENKUlvE0_clEvEUlaaE_EEEEvS5_RKT_EUlibE_EEviT1_.has_dyn_sized_stack, 0
	.set _ZN2at6native32elementwise_kernel_manual_unrollILi128ELi4EZNS0_15gpu_kernel_implINS0_13AUnaryFunctorIaaaZZZNS0_18lshift_kernel_cudaERNS_18TensorIteratorBaseEENKUlvE_clEvENKUlvE0_clEvEUlaaE_EEEEvS5_RKT_EUlibE_EEviT1_.has_recursion, 0
	.set _ZN2at6native32elementwise_kernel_manual_unrollILi128ELi4EZNS0_15gpu_kernel_implINS0_13AUnaryFunctorIaaaZZZNS0_18lshift_kernel_cudaERNS_18TensorIteratorBaseEENKUlvE_clEvENKUlvE0_clEvEUlaaE_EEEEvS5_RKT_EUlibE_EEviT1_.has_indirect_call, 0
	.section	.AMDGPU.csdata,"",@progbits
; Kernel info:
; codeLenInByte = 31120
; TotalNumSgprs: 50
; NumVgprs: 14
; ScratchSize: 0
; MemoryBound: 1
; FloatMode: 240
; IeeeMode: 1
; LDSByteSize: 0 bytes/workgroup (compile time only)
; SGPRBlocks: 6
; VGPRBlocks: 3
; NumSGPRsForWavesPerEU: 50
; NumVGPRsForWavesPerEU: 14
; Occupancy: 10
; WaveLimiterHint : 0
; COMPUTE_PGM_RSRC2:SCRATCH_EN: 0
; COMPUTE_PGM_RSRC2:USER_SGPR: 6
; COMPUTE_PGM_RSRC2:TRAP_HANDLER: 0
; COMPUTE_PGM_RSRC2:TGID_X_EN: 1
; COMPUTE_PGM_RSRC2:TGID_Y_EN: 0
; COMPUTE_PGM_RSRC2:TGID_Z_EN: 0
; COMPUTE_PGM_RSRC2:TIDIG_COMP_CNT: 0
	.section	.text._ZN2at6native32elementwise_kernel_manual_unrollILi128ELi4EZNS0_15gpu_kernel_implINS0_13AUnaryFunctorIaaaZZZNS0_18lshift_kernel_cudaERNS_18TensorIteratorBaseEENKUlvE_clEvENKUlvE0_clEvEUlaaE_EEEEvS5_RKT_EUlibE0_EEviT1_,"axG",@progbits,_ZN2at6native32elementwise_kernel_manual_unrollILi128ELi4EZNS0_15gpu_kernel_implINS0_13AUnaryFunctorIaaaZZZNS0_18lshift_kernel_cudaERNS_18TensorIteratorBaseEENKUlvE_clEvENKUlvE0_clEvEUlaaE_EEEEvS5_RKT_EUlibE0_EEviT1_,comdat
	.globl	_ZN2at6native32elementwise_kernel_manual_unrollILi128ELi4EZNS0_15gpu_kernel_implINS0_13AUnaryFunctorIaaaZZZNS0_18lshift_kernel_cudaERNS_18TensorIteratorBaseEENKUlvE_clEvENKUlvE0_clEvEUlaaE_EEEEvS5_RKT_EUlibE0_EEviT1_ ; -- Begin function _ZN2at6native32elementwise_kernel_manual_unrollILi128ELi4EZNS0_15gpu_kernel_implINS0_13AUnaryFunctorIaaaZZZNS0_18lshift_kernel_cudaERNS_18TensorIteratorBaseEENKUlvE_clEvENKUlvE0_clEvEUlaaE_EEEEvS5_RKT_EUlibE0_EEviT1_
	.p2align	8
	.type	_ZN2at6native32elementwise_kernel_manual_unrollILi128ELi4EZNS0_15gpu_kernel_implINS0_13AUnaryFunctorIaaaZZZNS0_18lshift_kernel_cudaERNS_18TensorIteratorBaseEENKUlvE_clEvENKUlvE0_clEvEUlaaE_EEEEvS5_RKT_EUlibE0_EEviT1_,@function
_ZN2at6native32elementwise_kernel_manual_unrollILi128ELi4EZNS0_15gpu_kernel_implINS0_13AUnaryFunctorIaaaZZZNS0_18lshift_kernel_cudaERNS_18TensorIteratorBaseEENKUlvE_clEvENKUlvE0_clEvEUlaaE_EEEEvS5_RKT_EUlibE0_EEviT1_: ; @_ZN2at6native32elementwise_kernel_manual_unrollILi128ELi4EZNS0_15gpu_kernel_implINS0_13AUnaryFunctorIaaaZZZNS0_18lshift_kernel_cudaERNS_18TensorIteratorBaseEENKUlvE_clEvENKUlvE0_clEvEUlaaE_EEEEvS5_RKT_EUlibE0_EEviT1_
; %bb.0:
	s_load_dword s70, s[4:5], 0x0
	s_load_dword s33, s[4:5], 0x8
	s_add_u32 s34, s4, 8
	s_addc_u32 s35, s5, 0
	v_lshl_or_b32 v8, s6, 9, v0
	v_or_b32_e32 v15, 0x180, v8
	s_waitcnt lgkmcnt(0)
	s_add_i32 s72, s33, -1
	s_cmp_gt_u32 s72, 1
	v_cmp_le_i32_e32 vcc, s70, v15
	s_cselect_b64 s[40:41], -1, 0
	s_mov_b64 s[6:7], 0
	s_mov_b64 s[28:29], 0
	s_and_saveexec_b64 s[0:1], vcc
	s_xor_b64 s[42:43], exec, s[0:1]
	s_cbranch_execz .LBB31_1070
; %bb.1:
	v_mov_b32_e32 v0, 0
	global_load_ushort v5, v0, s[34:35] offset:345
	global_load_sbyte v1, v0, s[34:35] offset:347
	s_load_dwordx4 s[36:39], s[34:35], 0x4
	s_load_dwordx2 s[44:45], s[34:35], 0x14
	s_load_dwordx4 s[28:31], s[34:35], 0xc4
	s_load_dwordx4 s[24:27], s[34:35], 0x148
	s_cmp_lg_u32 s33, 0
	s_cselect_b64 s[50:51], -1, 0
	s_add_u32 s48, s34, 0xc4
	s_addc_u32 s49, s35, 0
	s_min_u32 s75, s72, 15
	s_cmp_gt_u32 s33, 1
	v_cmp_gt_i32_e32 vcc, s70, v8
	s_mov_b64 s[2:3], -1
	s_mov_b64 s[60:61], 0
	s_mov_b64 s[54:55], 0
	s_cselect_b64 s[46:47], -1, 0
	s_mov_b64 s[52:53], 0
	s_waitcnt vmcnt(1)
	v_readfirstlane_b32 s0, v5
	s_waitcnt vmcnt(0)
	v_readfirstlane_b32 s74, v1
	s_lshr_b32 s73, s0, 8
	s_and_saveexec_b64 s[56:57], vcc
	s_cbranch_execz .LBB31_262
; %bb.2:
	s_andn2_b64 vcc, exec, s[40:41]
	s_cbranch_vccnz .LBB31_7
; %bb.3:
	s_andn2_b64 vcc, exec, s[50:51]
	s_cbranch_vccnz .LBB31_8
; %bb.4:
	s_add_i32 s59, s75, 1
	s_cmp_eq_u32 s72, 2
	s_cbranch_scc1 .LBB31_9
; %bb.5:
	s_and_b32 s58, s59, 28
	v_mov_b32_e32 v2, 0
	s_mov_b32 s62, 0
	s_mov_b64 s[52:53], s[34:35]
	s_mov_b64 s[54:55], s[48:49]
	v_mov_b32_e32 v0, 0
	v_mov_b32_e32 v1, v8
.LBB31_6:                               ; =>This Inner Loop Header: Depth=1
	s_load_dwordx8 s[16:23], s[52:53], 0x4
	s_load_dwordx4 s[0:3], s[52:53], 0x24
	s_load_dwordx8 s[8:15], s[54:55], 0x0
	s_add_u32 s52, s52, 48
	s_addc_u32 s53, s53, 0
	s_waitcnt lgkmcnt(0)
	v_mul_hi_u32 v3, s17, v1
	s_add_i32 s62, s62, 4
	s_add_u32 s54, s54, 32
	s_addc_u32 s55, s55, 0
	v_add_u32_e32 v3, v1, v3
	v_lshrrev_b32_e32 v3, s18, v3
	v_mul_lo_u32 v4, v3, s16
	v_mul_hi_u32 v6, s20, v3
	s_cmp_lg_u32 s58, s62
	v_sub_u32_e32 v1, v1, v4
	v_add_u32_e32 v4, v3, v6
	v_mul_lo_u32 v6, v1, s8
	v_mul_lo_u32 v7, v1, s9
	v_lshrrev_b32_e32 v1, s21, v4
	v_mul_lo_u32 v4, v1, s19
	v_mul_hi_u32 v9, s23, v1
	v_sub_u32_e32 v3, v3, v4
	v_add_u32_e32 v4, v1, v9
	v_lshrrev_b32_e32 v4, s0, v4
	v_mul_hi_u32 v10, s2, v4
	v_mul_lo_u32 v11, v4, s22
	v_mul_lo_u32 v9, v3, s10
	;; [unrolled: 1-line block ×3, first 2 shown]
	v_sub_u32_e32 v11, v1, v11
	v_add_u32_e32 v1, v4, v10
	v_lshrrev_b32_e32 v1, s3, v1
	v_mul_lo_u32 v10, v1, s1
	v_mul_lo_u32 v12, v11, s12
	;; [unrolled: 1-line block ×3, first 2 shown]
	v_add3_u32 v0, v6, v0, v9
	v_sub_u32_e32 v4, v4, v10
	v_mul_lo_u32 v10, v4, s14
	v_mul_lo_u32 v4, v4, s15
	v_add3_u32 v2, v7, v2, v3
	v_add3_u32 v0, v12, v0, v10
	;; [unrolled: 1-line block ×3, first 2 shown]
	s_cbranch_scc1 .LBB31_6
	s_branch .LBB31_10
.LBB31_7:
                                        ; implicit-def: $vgpr0
                                        ; implicit-def: $vgpr2
	s_branch .LBB31_14
.LBB31_8:
	v_mov_b32_e32 v0, 0
	v_mov_b32_e32 v2, 0
	s_branch .LBB31_13
.LBB31_9:
	s_mov_b32 s58, 0
	v_mov_b32_e32 v0, 0
	v_mov_b32_e32 v2, 0
	;; [unrolled: 1-line block ×3, first 2 shown]
.LBB31_10:
	s_and_b32 s8, s59, 3
	s_cmp_eq_u32 s8, 0
	s_cbranch_scc1 .LBB31_13
; %bb.11:
	s_lshl_b32 s0, s58, 3
	s_add_u32 s0, s34, s0
	s_addc_u32 s1, s35, 0
	s_add_u32 s0, s0, 0xc4
	s_addc_u32 s1, s1, 0
	s_mul_i32 s2, s58, 12
	s_add_u32 s2, s34, s2
	s_addc_u32 s3, s35, 0
.LBB31_12:                              ; =>This Inner Loop Header: Depth=1
	s_load_dwordx2 s[10:11], s[2:3], 0x4
	s_load_dword s9, s[2:3], 0xc
	s_load_dwordx2 s[12:13], s[0:1], 0x0
	s_add_u32 s2, s2, 12
	s_addc_u32 s3, s3, 0
	s_waitcnt lgkmcnt(0)
	v_mul_hi_u32 v3, s11, v1
	s_add_u32 s0, s0, 8
	s_addc_u32 s1, s1, 0
	s_add_i32 s8, s8, -1
	v_add_u32_e32 v3, v1, v3
	v_lshrrev_b32_e32 v4, s9, v3
	v_mul_lo_u32 v3, v4, s10
	s_cmp_lg_u32 s8, 0
	v_sub_u32_e32 v3, v1, v3
	v_mad_u64_u32 v[0:1], s[10:11], v3, s12, v[0:1]
	v_mad_u64_u32 v[2:3], s[10:11], v3, s13, v[2:3]
	v_mov_b32_e32 v1, v4
	s_cbranch_scc1 .LBB31_12
.LBB31_13:
	s_cbranch_execnz .LBB31_16
.LBB31_14:
	s_waitcnt lgkmcnt(0)
	v_mul_hi_u32 v0, s37, v8
	s_andn2_b64 vcc, exec, s[46:47]
	v_add_u32_e32 v0, v8, v0
	v_lshrrev_b32_e32 v1, s38, v0
	v_mul_lo_u32 v0, v1, s36
	v_sub_u32_e32 v2, v8, v0
	v_mul_lo_u32 v0, v2, s28
	v_mul_lo_u32 v2, v2, s29
	s_cbranch_vccnz .LBB31_16
; %bb.15:
	v_mul_hi_u32 v3, s44, v1
	v_add_u32_e32 v3, v1, v3
	v_lshrrev_b32_e32 v3, s45, v3
	v_mul_lo_u32 v3, v3, s39
	v_sub_u32_e32 v3, v1, v3
	v_mad_u64_u32 v[0:1], s[0:1], v3, s30, v[0:1]
	v_mad_u64_u32 v[2:3], s[0:1], v3, s31, v[2:3]
.LBB31_16:
	s_waitcnt lgkmcnt(0)
	v_mov_b32_e32 v3, s27
	s_and_b32 s10, s74, 0xff
	v_add_co_u32_e32 v1, vcc, s26, v2
	s_cmp_lt_i32 s10, 11
	v_addc_co_u32_e32 v2, vcc, 0, v3, vcc
	s_cbranch_scc1 .LBB31_23
; %bb.17:
	s_and_b32 s11, 0xffff, s10
	s_cmp_gt_i32 s11, 25
	s_cbranch_scc0 .LBB31_32
; %bb.18:
	s_cmp_gt_i32 s11, 28
	s_cbranch_scc0 .LBB31_35
; %bb.19:
	;; [unrolled: 3-line block ×4, first 2 shown]
	s_cmp_eq_u32 s11, 46
	s_mov_b64 s[8:9], 0
	s_cbranch_scc0 .LBB31_41
; %bb.22:
	global_load_dword v3, v[1:2], off
	s_mov_b64 s[0:1], -1
	s_mov_b64 s[2:3], 0
	s_waitcnt vmcnt(0)
	v_lshlrev_b32_e32 v3, 16, v3
	v_cvt_i32_f32_e32 v3, v3
	s_branch .LBB31_43
.LBB31_23:
	s_mov_b64 s[2:3], 0
                                        ; implicit-def: $vgpr3
	s_mov_b64 s[0:1], 0
	s_cbranch_execnz .LBB31_212
.LBB31_24:
	s_andn2_b64 vcc, exec, s[0:1]
	s_cbranch_vccnz .LBB31_259
.LBB31_25:
	v_mov_b32_e32 v2, 8
	s_waitcnt vmcnt(0)
	v_lshlrev_b32_sdwa v1, v3, v5 dst_sel:DWORD dst_unused:UNUSED_PAD src0_sel:DWORD src1_sel:BYTE_0
	v_cmp_lt_u16_sdwa vcc, v3, v2 src0_sel:BYTE_0 src1_sel:DWORD
	v_cndmask_b32_e32 v2, 0, v1, vcc
	v_mov_b32_e32 v1, s25
	s_and_b32 s14, 0xffff, s73
	v_add_co_u32_e32 v0, vcc, s24, v0
	s_cmp_lt_i32 s14, 11
	v_addc_co_u32_e32 v1, vcc, 0, v1, vcc
	s_cbranch_scc1 .LBB31_33
; %bb.26:
	s_cmp_gt_i32 s14, 25
	s_cbranch_scc0 .LBB31_36
; %bb.27:
	s_cmp_gt_i32 s14, 28
	s_cbranch_scc0 .LBB31_38
	;; [unrolled: 3-line block ×4, first 2 shown]
; %bb.30:
	s_mov_b64 s[10:11], 0
	s_mov_b64 s[0:1], -1
	s_cmp_eq_u32 s14, 46
	s_mov_b64 s[8:9], 0
	s_cbranch_scc0 .LBB31_47
; %bb.31:
	v_bfe_i32 v3, v2, 0, 8
	v_cvt_f32_i32_sdwa v3, sext(v3) dst_sel:DWORD dst_unused:UNUSED_PAD src0_sel:WORD_0
	s_movk_i32 s0, 0x7fff
	s_mov_b64 s[8:9], -1
	v_bfe_u32 v4, v3, 16, 1
	v_add3_u32 v3, v3, v4, s0
	v_lshrrev_b32_e32 v3, 16, v3
	global_store_dword v[0:1], v3, off
	s_mov_b64 s[0:1], 0
	s_branch .LBB31_47
.LBB31_32:
	s_mov_b64 s[2:3], 0
	s_mov_b64 s[0:1], 0
                                        ; implicit-def: $vgpr3
	s_cbranch_execnz .LBB31_179
	s_branch .LBB31_211
.LBB31_33:
	s_mov_b64 s[0:1], 0
	s_mov_b64 s[8:9], 0
	s_cbranch_execnz .LBB31_116
.LBB31_34:
	s_andn2_b64 vcc, exec, s[8:9]
	s_cbranch_vccnz .LBB31_260
	s_branch .LBB31_154
.LBB31_35:
	s_mov_b64 s[8:9], -1
	s_mov_b64 s[2:3], 0
	s_mov_b64 s[0:1], 0
                                        ; implicit-def: $vgpr3
	s_branch .LBB31_162
.LBB31_36:
	s_mov_b64 s[10:11], -1
	s_mov_b64 s[0:1], 0
	s_mov_b64 s[8:9], 0
	s_branch .LBB31_74
.LBB31_37:
	s_mov_b64 s[8:9], -1
	s_mov_b64 s[2:3], 0
	s_mov_b64 s[0:1], 0
                                        ; implicit-def: $vgpr3
	s_branch .LBB31_157
.LBB31_38:
	s_mov_b64 s[10:11], -1
	s_mov_b64 s[0:1], 0
	s_mov_b64 s[8:9], 0
	s_branch .LBB31_57
.LBB31_39:
	s_mov_b64 s[8:9], -1
	s_mov_b64 s[2:3], 0
	s_branch .LBB31_42
.LBB31_40:
	s_mov_b64 s[10:11], -1
	s_mov_b64 s[0:1], 0
	s_mov_b64 s[8:9], 0
	s_branch .LBB31_53
.LBB31_41:
	s_mov_b64 s[2:3], -1
.LBB31_42:
	s_mov_b64 s[0:1], 0
                                        ; implicit-def: $vgpr3
.LBB31_43:
	s_and_b64 vcc, exec, s[8:9]
	s_cbranch_vccz .LBB31_156
; %bb.44:
	s_cmp_eq_u32 s11, 44
	s_cbranch_scc0 .LBB31_155
; %bb.45:
	global_load_ubyte v3, v[1:2], off
	s_mov_b64 s[0:1], -1
	s_mov_b64 s[2:3], 0
	s_waitcnt vmcnt(0)
	v_lshlrev_b32_e32 v4, 23, v3
	v_cvt_i32_f32_e32 v4, v4
	v_cmp_ne_u32_e32 vcc, 0, v3
	v_cndmask_b32_e32 v3, 0, v4, vcc
	s_branch .LBB31_156
.LBB31_46:
	s_mov_b64 s[10:11], -1
	s_mov_b64 s[0:1], 0
	s_mov_b64 s[8:9], 0
.LBB31_47:
	s_and_b64 vcc, exec, s[10:11]
	s_cbranch_vccz .LBB31_52
; %bb.48:
	s_cmp_eq_u32 s14, 44
	s_mov_b64 s[0:1], -1
	s_cbranch_scc0 .LBB31_52
; %bb.49:
	v_bfe_i32 v3, v2, 0, 8
	v_cvt_f32_i32_sdwa v3, sext(v3) dst_sel:DWORD dst_unused:UNUSED_PAD src0_sel:WORD_0
	s_movk_i32 s0, 0xff
	v_mov_b32_e32 v6, 0xff
	v_bfe_u32 v4, v3, 23, 8
	v_cmp_ne_u32_e32 vcc, s0, v4
	s_and_saveexec_b64 s[8:9], vcc
; %bb.50:
	s_mov_b32 s0, 0x3fffff
	v_lshrrev_b32_e32 v6, 23, v3
	v_and_b32_e32 v7, 0x400000, v3
	v_and_or_b32 v3, v3, s0, v4
	v_cmp_ne_u32_e32 vcc, 0, v7
	v_cmp_ne_u32_e64 s[0:1], 0, v3
	s_and_b64 s[0:1], vcc, s[0:1]
	v_cndmask_b32_e64 v3, 0, 1, s[0:1]
	v_add_u32_e32 v6, v6, v3
; %bb.51:
	s_or_b64 exec, exec, s[8:9]
	s_mov_b64 s[8:9], -1
	s_mov_b64 s[0:1], 0
	global_store_byte v[0:1], v6, off
.LBB31_52:
	s_mov_b64 s[10:11], 0
.LBB31_53:
	s_and_b64 vcc, exec, s[10:11]
	s_cbranch_vccz .LBB31_56
; %bb.54:
	s_cmp_eq_u32 s14, 29
	s_mov_b64 s[0:1], -1
	s_cbranch_scc0 .LBB31_56
; %bb.55:
	v_bfe_i32 v3, v2, 0, 8
	v_ashrrev_i32_e32 v4, 31, v3
	global_store_dwordx2 v[0:1], v[3:4], off
	s_mov_b64 s[8:9], -1
	s_mov_b64 s[0:1], 0
.LBB31_56:
	s_mov_b64 s[10:11], 0
.LBB31_57:
	s_and_b64 vcc, exec, s[10:11]
	s_cbranch_vccz .LBB31_73
; %bb.58:
	s_cmp_lt_i32 s14, 27
	s_mov_b64 s[8:9], -1
	s_cbranch_scc1 .LBB31_64
; %bb.59:
	s_cmp_gt_i32 s14, 27
	s_cbranch_scc0 .LBB31_61
; %bb.60:
	v_bfe_i32 v3, v2, 0, 8
	s_mov_b64 s[8:9], 0
	global_store_dword v[0:1], v3, off
.LBB31_61:
	s_andn2_b64 vcc, exec, s[8:9]
	s_cbranch_vccnz .LBB31_63
; %bb.62:
	v_bfe_i32 v3, v2, 0, 8
	global_store_short v[0:1], v3, off
.LBB31_63:
	s_mov_b64 s[8:9], 0
.LBB31_64:
	s_andn2_b64 vcc, exec, s[8:9]
	s_cbranch_vccnz .LBB31_72
; %bb.65:
	v_bfe_i32 v3, v2, 0, 8
	v_cvt_f32_i32_sdwa v3, sext(v3) dst_sel:DWORD dst_unused:UNUSED_PAD src0_sel:WORD_0
	s_mov_b32 s8, 0x43800000
	v_mov_b32_e32 v6, 0x80
	v_and_b32_e32 v4, 0x7fffffff, v3
	v_cmp_gt_u32_e32 vcc, s8, v4
	s_and_saveexec_b64 s[8:9], vcc
	s_cbranch_execz .LBB31_71
; %bb.66:
	s_mov_b32 s10, 0x3bffffff
	v_cmp_lt_u32_e32 vcc, s10, v4
	s_mov_b64 s[10:11], 0
                                        ; implicit-def: $vgpr4
	s_and_saveexec_b64 s[12:13], vcc
	s_xor_b64 s[12:13], exec, s[12:13]
	s_cbranch_execz .LBB31_303
; %bb.67:
	v_bfe_u32 v4, v3, 20, 1
	s_mov_b32 s15, 0x487ffff
	v_add3_u32 v4, v3, v4, s15
	s_mov_b64 s[10:11], exec
	v_lshrrev_b32_e32 v4, 20, v4
	s_andn2_saveexec_b64 s[12:13], s[12:13]
	s_cbranch_execnz .LBB31_304
.LBB31_68:
	s_or_b64 exec, exec, s[12:13]
	v_mov_b32_e32 v6, 0
	s_and_saveexec_b64 s[12:13], s[10:11]
.LBB31_69:
	v_lshrrev_b32_e32 v3, 24, v3
	s_movk_i32 s10, 0x80
	v_and_or_b32 v6, v3, s10, v4
.LBB31_70:
	s_or_b64 exec, exec, s[12:13]
.LBB31_71:
	s_or_b64 exec, exec, s[8:9]
	global_store_byte v[0:1], v6, off
.LBB31_72:
	s_mov_b64 s[8:9], -1
.LBB31_73:
	s_mov_b64 s[10:11], 0
.LBB31_74:
	s_and_b64 vcc, exec, s[10:11]
	s_cbranch_vccz .LBB31_115
; %bb.75:
	s_cmp_gt_i32 s14, 22
	s_mov_b64 s[10:11], -1
	s_cbranch_scc0 .LBB31_107
; %bb.76:
	s_cmp_lt_i32 s14, 24
	s_mov_b64 s[8:9], -1
	s_cbranch_scc1 .LBB31_96
; %bb.77:
	s_cmp_gt_i32 s14, 24
	s_cbranch_scc0 .LBB31_85
; %bb.78:
	v_bfe_i32 v3, v2, 0, 8
	v_cvt_f32_i32_sdwa v3, sext(v3) dst_sel:DWORD dst_unused:UNUSED_PAD src0_sel:WORD_0
	s_mov_b32 s8, 0x47800000
	v_mov_b32_e32 v6, 0x80
	v_and_b32_e32 v4, 0x7fffffff, v3
	v_cmp_gt_u32_e32 vcc, s8, v4
	s_and_saveexec_b64 s[8:9], vcc
	s_cbranch_execz .LBB31_84
; %bb.79:
	s_mov_b32 s10, 0x37ffffff
	v_cmp_lt_u32_e32 vcc, s10, v4
	s_mov_b64 s[10:11], 0
                                        ; implicit-def: $vgpr4
	s_and_saveexec_b64 s[12:13], vcc
	s_xor_b64 s[12:13], exec, s[12:13]
	s_cbranch_execz .LBB31_307
; %bb.80:
	v_bfe_u32 v4, v3, 21, 1
	s_mov_b32 s15, 0x88fffff
	v_add3_u32 v4, v3, v4, s15
	s_mov_b64 s[10:11], exec
	v_lshrrev_b32_e32 v4, 21, v4
	s_andn2_saveexec_b64 s[12:13], s[12:13]
	s_cbranch_execnz .LBB31_308
.LBB31_81:
	s_or_b64 exec, exec, s[12:13]
	v_mov_b32_e32 v6, 0
	s_and_saveexec_b64 s[12:13], s[10:11]
.LBB31_82:
	v_lshrrev_b32_e32 v3, 24, v3
	s_movk_i32 s10, 0x80
	v_and_or_b32 v6, v3, s10, v4
.LBB31_83:
	s_or_b64 exec, exec, s[12:13]
.LBB31_84:
	s_or_b64 exec, exec, s[8:9]
	s_mov_b64 s[8:9], 0
	global_store_byte v[0:1], v6, off
.LBB31_85:
	s_and_b64 vcc, exec, s[8:9]
	s_cbranch_vccz .LBB31_95
; %bb.86:
	v_bfe_i32 v3, v2, 0, 8
	v_cvt_f32_i32_sdwa v3, sext(v3) dst_sel:DWORD dst_unused:UNUSED_PAD src0_sel:WORD_0
	s_mov_b32 s8, 0x43f00000
                                        ; implicit-def: $vgpr4
	v_and_b32_e32 v6, 0x7fffffff, v3
	v_cmp_gt_u32_e32 vcc, s8, v6
	s_and_saveexec_b64 s[8:9], vcc
	s_xor_b64 s[8:9], exec, s[8:9]
	s_cbranch_execz .LBB31_92
; %bb.87:
	s_mov_b32 s10, 0x3c7fffff
	v_cmp_lt_u32_e32 vcc, s10, v6
                                        ; implicit-def: $vgpr4
	s_and_saveexec_b64 s[10:11], vcc
	s_xor_b64 s[10:11], exec, s[10:11]
; %bb.88:
	v_bfe_u32 v4, v3, 20, 1
	s_mov_b32 s12, 0x407ffff
	v_add3_u32 v4, v3, v4, s12
	v_lshrrev_b32_e32 v6, 20, v4
	v_and_b32_e32 v4, 0xff00000, v4
	s_mov_b32 s12, 0x7f00000
	v_mov_b32_e32 v7, 0x7e
	v_cmp_ne_u32_e32 vcc, s12, v4
	v_cndmask_b32_e32 v4, v7, v6, vcc
; %bb.89:
	s_andn2_saveexec_b64 s[10:11], s[10:11]
; %bb.90:
	s_mov_b32 s12, 0x46800000
	v_add_f32_e64 v4, |v3|, s12
; %bb.91:
	s_or_b64 exec, exec, s[10:11]
                                        ; implicit-def: $vgpr6
.LBB31_92:
	s_andn2_saveexec_b64 s[8:9], s[8:9]
; %bb.93:
	s_mov_b32 s10, 0x7f800000
	v_mov_b32_e32 v4, 0x7e
	v_mov_b32_e32 v7, 0x7f
	v_cmp_lt_u32_e32 vcc, s10, v6
	v_cndmask_b32_e32 v4, v4, v7, vcc
; %bb.94:
	s_or_b64 exec, exec, s[8:9]
	v_lshrrev_b32_e32 v3, 24, v3
	s_movk_i32 s8, 0x80
	v_and_or_b32 v3, v3, s8, v4
	global_store_byte v[0:1], v3, off
.LBB31_95:
	s_mov_b64 s[8:9], 0
.LBB31_96:
	s_andn2_b64 vcc, exec, s[8:9]
	s_cbranch_vccnz .LBB31_106
; %bb.97:
	v_bfe_i32 v3, v2, 0, 8
	v_cvt_f32_i32_sdwa v3, sext(v3) dst_sel:DWORD dst_unused:UNUSED_PAD src0_sel:WORD_0
	s_mov_b32 s8, 0x47800000
                                        ; implicit-def: $vgpr4
	v_and_b32_e32 v6, 0x7fffffff, v3
	v_cmp_gt_u32_e32 vcc, s8, v6
	s_and_saveexec_b64 s[8:9], vcc
	s_xor_b64 s[8:9], exec, s[8:9]
	s_cbranch_execz .LBB31_103
; %bb.98:
	s_mov_b32 s10, 0x387fffff
	v_cmp_lt_u32_e32 vcc, s10, v6
                                        ; implicit-def: $vgpr4
	s_and_saveexec_b64 s[10:11], vcc
	s_xor_b64 s[10:11], exec, s[10:11]
; %bb.99:
	v_bfe_u32 v4, v3, 21, 1
	s_mov_b32 s12, 0x80fffff
	v_add3_u32 v4, v3, v4, s12
	v_lshrrev_b32_e32 v4, 21, v4
; %bb.100:
	s_andn2_saveexec_b64 s[10:11], s[10:11]
; %bb.101:
	s_mov_b32 s12, 0x43000000
	v_add_f32_e64 v4, |v3|, s12
; %bb.102:
	s_or_b64 exec, exec, s[10:11]
                                        ; implicit-def: $vgpr6
.LBB31_103:
	s_andn2_saveexec_b64 s[8:9], s[8:9]
; %bb.104:
	s_mov_b32 s10, 0x7f800000
	v_mov_b32_e32 v4, 0x7c
	v_mov_b32_e32 v7, 0x7f
	v_cmp_lt_u32_e32 vcc, s10, v6
	v_cndmask_b32_e32 v4, v4, v7, vcc
; %bb.105:
	s_or_b64 exec, exec, s[8:9]
	v_lshrrev_b32_e32 v3, 24, v3
	s_movk_i32 s8, 0x80
	v_and_or_b32 v3, v3, s8, v4
	global_store_byte v[0:1], v3, off
.LBB31_106:
	s_mov_b64 s[10:11], 0
	s_mov_b64 s[8:9], -1
.LBB31_107:
	s_andn2_b64 vcc, exec, s[10:11]
	s_cbranch_vccnz .LBB31_115
; %bb.108:
	s_cmp_gt_i32 s14, 14
	s_mov_b64 s[10:11], -1
	s_cbranch_scc0 .LBB31_112
; %bb.109:
	s_cmp_eq_u32 s14, 15
	s_mov_b64 s[0:1], -1
	s_cbranch_scc0 .LBB31_111
; %bb.110:
	v_bfe_i32 v3, v2, 0, 8
	v_cvt_f32_i32_sdwa v3, sext(v3) dst_sel:DWORD dst_unused:UNUSED_PAD src0_sel:WORD_0
	s_movk_i32 s0, 0x7fff
	s_mov_b64 s[8:9], -1
	v_bfe_u32 v4, v3, 16, 1
	v_add3_u32 v3, v3, v4, s0
	global_store_short_d16_hi v[0:1], v3, off
	s_mov_b64 s[0:1], 0
.LBB31_111:
	s_mov_b64 s[10:11], 0
.LBB31_112:
	s_and_b64 vcc, exec, s[10:11]
	s_cbranch_vccz .LBB31_115
; %bb.113:
	s_cmp_eq_u32 s14, 11
	s_mov_b64 s[0:1], -1
	s_cbranch_scc0 .LBB31_115
; %bb.114:
	v_mov_b32_e32 v3, 0
	v_cmp_ne_u16_sdwa s[0:1], v2, v3 src0_sel:BYTE_0 src1_sel:DWORD
	v_cndmask_b32_e64 v3, 0, 1, s[0:1]
	s_mov_b64 s[8:9], -1
	s_mov_b64 s[0:1], 0
	global_store_byte v[0:1], v3, off
.LBB31_115:
	s_branch .LBB31_34
.LBB31_116:
	s_cmp_lt_i32 s14, 5
	s_mov_b64 s[8:9], -1
	s_cbranch_scc1 .LBB31_137
; %bb.117:
	s_cmp_lt_i32 s14, 8
	s_cbranch_scc1 .LBB31_127
; %bb.118:
	s_cmp_lt_i32 s14, 9
	s_cbranch_scc1 .LBB31_124
; %bb.119:
	s_cmp_gt_i32 s14, 9
	s_cbranch_scc0 .LBB31_121
; %bb.120:
	v_bfe_i32 v3, v2, 0, 8
	v_bfe_i32 v3, v3, 0, 16
	v_cvt_f64_i32_e32 v[9:10], v3
	v_mov_b32_e32 v11, 0
	v_mov_b32_e32 v12, v11
	s_mov_b64 s[8:9], 0
	global_store_dwordx4 v[0:1], v[9:12], off
.LBB31_121:
	s_andn2_b64 vcc, exec, s[8:9]
	s_cbranch_vccnz .LBB31_123
; %bb.122:
	v_bfe_i32 v3, v2, 0, 8
	v_cvt_f32_i32_sdwa v3, sext(v3) dst_sel:DWORD dst_unused:UNUSED_PAD src0_sel:WORD_0
	v_mov_b32_e32 v4, 0
	global_store_dwordx2 v[0:1], v[3:4], off
.LBB31_123:
	s_mov_b64 s[8:9], 0
.LBB31_124:
	s_andn2_b64 vcc, exec, s[8:9]
	s_cbranch_vccnz .LBB31_126
; %bb.125:
	v_cvt_f16_i16_sdwa v3, sext(v2) dst_sel:DWORD dst_unused:UNUSED_PAD src0_sel:BYTE_0
	global_store_dword v[0:1], v3, off
.LBB31_126:
	s_mov_b64 s[8:9], 0
.LBB31_127:
	s_andn2_b64 vcc, exec, s[8:9]
	s_cbranch_vccnz .LBB31_136
; %bb.128:
	s_cmp_lt_i32 s14, 6
	s_mov_b64 s[8:9], -1
	s_cbranch_scc1 .LBB31_134
; %bb.129:
	s_cmp_gt_i32 s14, 6
	s_cbranch_scc0 .LBB31_131
; %bb.130:
	v_bfe_i32 v3, v2, 0, 8
	v_bfe_i32 v3, v3, 0, 16
	v_cvt_f64_i32_e32 v[3:4], v3
	s_mov_b64 s[8:9], 0
	global_store_dwordx2 v[0:1], v[3:4], off
.LBB31_131:
	s_andn2_b64 vcc, exec, s[8:9]
	s_cbranch_vccnz .LBB31_133
; %bb.132:
	v_bfe_i32 v3, v2, 0, 8
	v_cvt_f32_i32_sdwa v3, sext(v3) dst_sel:DWORD dst_unused:UNUSED_PAD src0_sel:WORD_0
	global_store_dword v[0:1], v3, off
.LBB31_133:
	s_mov_b64 s[8:9], 0
.LBB31_134:
	s_andn2_b64 vcc, exec, s[8:9]
	s_cbranch_vccnz .LBB31_136
; %bb.135:
	v_cvt_f16_i16_sdwa v3, sext(v2) dst_sel:DWORD dst_unused:UNUSED_PAD src0_sel:BYTE_0
	global_store_short v[0:1], v3, off
.LBB31_136:
	s_mov_b64 s[8:9], 0
.LBB31_137:
	s_andn2_b64 vcc, exec, s[8:9]
	s_cbranch_vccnz .LBB31_153
; %bb.138:
	s_cmp_lt_i32 s14, 2
	s_mov_b64 s[8:9], -1
	s_cbranch_scc1 .LBB31_148
; %bb.139:
	s_cmp_lt_i32 s14, 3
	s_cbranch_scc1 .LBB31_145
; %bb.140:
	s_cmp_gt_i32 s14, 3
	s_cbranch_scc0 .LBB31_142
; %bb.141:
	v_bfe_i32 v3, v2, 0, 8
	v_ashrrev_i32_e32 v4, 31, v3
	global_store_dwordx2 v[0:1], v[3:4], off
	s_mov_b64 s[8:9], 0
.LBB31_142:
	s_andn2_b64 vcc, exec, s[8:9]
	s_cbranch_vccnz .LBB31_144
; %bb.143:
	v_bfe_i32 v3, v2, 0, 8
	global_store_dword v[0:1], v3, off
.LBB31_144:
	s_mov_b64 s[8:9], 0
.LBB31_145:
	s_andn2_b64 vcc, exec, s[8:9]
	s_cbranch_vccnz .LBB31_147
; %bb.146:
	v_bfe_i32 v3, v2, 0, 8
	global_store_short v[0:1], v3, off
.LBB31_147:
	s_mov_b64 s[8:9], 0
.LBB31_148:
	s_andn2_b64 vcc, exec, s[8:9]
	s_cbranch_vccnz .LBB31_153
; %bb.149:
	s_cmp_gt_i32 s14, 0
	s_mov_b64 s[8:9], -1
	s_cbranch_scc0 .LBB31_151
; %bb.150:
	global_store_byte v[0:1], v2, off
	s_mov_b64 s[8:9], 0
.LBB31_151:
	s_andn2_b64 vcc, exec, s[8:9]
	s_cbranch_vccnz .LBB31_153
; %bb.152:
	global_store_byte v[0:1], v2, off
.LBB31_153:
.LBB31_154:
	v_add_u32_e32 v8, 0x80, v8
	s_mov_b64 s[8:9], -1
	s_branch .LBB31_261
.LBB31_155:
	s_mov_b64 s[2:3], -1
                                        ; implicit-def: $vgpr3
.LBB31_156:
	s_mov_b64 s[8:9], 0
.LBB31_157:
	s_and_b64 vcc, exec, s[8:9]
	s_cbranch_vccz .LBB31_161
; %bb.158:
	s_cmp_eq_u32 s11, 29
	s_cbranch_scc0 .LBB31_160
; %bb.159:
	global_load_dwordx2 v[3:4], v[1:2], off
	s_mov_b64 s[0:1], -1
	s_mov_b64 s[2:3], 0
	s_branch .LBB31_161
.LBB31_160:
	s_mov_b64 s[2:3], -1
                                        ; implicit-def: $vgpr3
.LBB31_161:
	s_mov_b64 s[8:9], 0
.LBB31_162:
	s_and_b64 vcc, exec, s[8:9]
	s_cbranch_vccz .LBB31_178
; %bb.163:
	s_cmp_lt_i32 s11, 27
	s_cbranch_scc1 .LBB31_166
; %bb.164:
	s_cmp_gt_i32 s11, 27
	s_cbranch_scc0 .LBB31_167
; %bb.165:
	global_load_dword v3, v[1:2], off
	s_mov_b64 s[0:1], 0
	s_branch .LBB31_168
.LBB31_166:
	s_mov_b64 s[0:1], -1
                                        ; implicit-def: $vgpr3
	s_branch .LBB31_171
.LBB31_167:
	s_mov_b64 s[0:1], -1
                                        ; implicit-def: $vgpr3
.LBB31_168:
	s_andn2_b64 vcc, exec, s[0:1]
	s_cbranch_vccnz .LBB31_170
; %bb.169:
	global_load_ushort v3, v[1:2], off
.LBB31_170:
	s_mov_b64 s[0:1], 0
.LBB31_171:
	s_andn2_b64 vcc, exec, s[0:1]
	s_cbranch_vccnz .LBB31_177
; %bb.172:
	global_load_ubyte v4, v[1:2], off
	s_movk_i32 s0, 0x7f
	s_mov_b64 s[8:9], 0
	s_waitcnt vmcnt(0)
	v_cmp_lt_i16_e32 vcc, s0, v4
	s_and_saveexec_b64 s[0:1], vcc
	s_xor_b64 s[0:1], exec, s[0:1]
	s_cbranch_execz .LBB31_188
; %bb.173:
	s_movk_i32 s8, 0x80
	v_cmp_ne_u16_e32 vcc, s8, v4
	s_and_b64 s[8:9], vcc, exec
	s_andn2_saveexec_b64 s[0:1], s[0:1]
	s_cbranch_execnz .LBB31_189
.LBB31_174:
	s_or_b64 exec, exec, s[0:1]
	v_mov_b32_e32 v3, 0
	s_and_saveexec_b64 s[0:1], s[8:9]
	s_cbranch_execz .LBB31_176
.LBB31_175:
	v_lshlrev_b32_e32 v3, 24, v4
	v_and_b32_e32 v4, 0xffff, v4
	v_and_b32_e32 v6, 7, v4
	v_ffbh_u32_e32 v9, v6
	v_min_u32_e32 v9, 32, v9
	v_subrev_u32_e32 v10, 28, v9
	v_bfe_u32 v7, v4, 3, 4
	v_lshlrev_b32_e32 v4, v10, v4
	v_sub_u32_e32 v9, 29, v9
	v_and_b32_e32 v4, 7, v4
	v_cmp_eq_u32_e32 vcc, 0, v7
	v_cndmask_b32_e32 v7, v7, v9, vcc
	v_cndmask_b32_e32 v4, v6, v4, vcc
	v_mov_b32_e32 v6, 0x3b800000
	v_lshlrev_b32_e32 v4, 20, v4
	v_and_b32_e32 v3, 0x80000000, v3
	v_lshl_add_u32 v6, v7, 23, v6
	v_or3_b32 v3, v3, v6, v4
	v_cvt_i32_f32_e32 v3, v3
.LBB31_176:
	s_or_b64 exec, exec, s[0:1]
.LBB31_177:
	s_mov_b64 s[0:1], -1
.LBB31_178:
	s_branch .LBB31_211
.LBB31_179:
	s_cmp_gt_i32 s11, 22
	s_cbranch_scc0 .LBB31_187
; %bb.180:
	s_cmp_lt_i32 s11, 24
	s_cbranch_scc1 .LBB31_190
; %bb.181:
	s_cmp_gt_i32 s11, 24
	s_cbranch_scc0 .LBB31_191
; %bb.182:
	global_load_ubyte v4, v[1:2], off
	s_movk_i32 s0, 0x7f
	s_mov_b64 s[8:9], 0
	s_waitcnt vmcnt(0)
	v_cmp_lt_i16_e32 vcc, s0, v4
	s_and_saveexec_b64 s[0:1], vcc
	s_xor_b64 s[0:1], exec, s[0:1]
	s_cbranch_execz .LBB31_203
; %bb.183:
	s_movk_i32 s8, 0x80
	v_cmp_ne_u16_e32 vcc, s8, v4
	s_and_b64 s[8:9], vcc, exec
	s_andn2_saveexec_b64 s[0:1], s[0:1]
	s_cbranch_execnz .LBB31_204
.LBB31_184:
	s_or_b64 exec, exec, s[0:1]
	v_mov_b32_e32 v3, 0
	s_and_saveexec_b64 s[0:1], s[8:9]
	s_cbranch_execz .LBB31_186
.LBB31_185:
	v_lshlrev_b32_e32 v3, 24, v4
	v_and_b32_e32 v4, 0xffff, v4
	v_and_b32_e32 v6, 3, v4
	v_ffbh_u32_e32 v9, v6
	v_min_u32_e32 v9, 32, v9
	v_subrev_u32_e32 v10, 29, v9
	v_bfe_u32 v7, v4, 2, 5
	v_lshlrev_b32_e32 v4, v10, v4
	v_sub_u32_e32 v9, 30, v9
	v_and_b32_e32 v4, 3, v4
	v_cmp_eq_u32_e32 vcc, 0, v7
	v_cndmask_b32_e32 v7, v7, v9, vcc
	v_cndmask_b32_e32 v4, v6, v4, vcc
	v_mov_b32_e32 v6, 0x37800000
	v_lshlrev_b32_e32 v4, 21, v4
	v_and_b32_e32 v3, 0x80000000, v3
	v_lshl_add_u32 v6, v7, 23, v6
	v_or3_b32 v3, v3, v6, v4
	v_cvt_i32_f32_e32 v3, v3
.LBB31_186:
	s_or_b64 exec, exec, s[0:1]
	s_mov_b64 s[0:1], 0
	s_branch .LBB31_192
.LBB31_187:
	s_mov_b64 s[8:9], -1
                                        ; implicit-def: $vgpr3
	s_branch .LBB31_198
.LBB31_188:
	s_andn2_saveexec_b64 s[0:1], s[0:1]
	s_cbranch_execz .LBB31_174
.LBB31_189:
	v_cmp_ne_u16_e32 vcc, 0, v4
	s_andn2_b64 s[8:9], s[8:9], exec
	s_and_b64 s[12:13], vcc, exec
	s_or_b64 s[8:9], s[8:9], s[12:13]
	s_or_b64 exec, exec, s[0:1]
	v_mov_b32_e32 v3, 0
	s_and_saveexec_b64 s[0:1], s[8:9]
	s_cbranch_execnz .LBB31_175
	s_branch .LBB31_176
.LBB31_190:
	s_mov_b64 s[0:1], -1
                                        ; implicit-def: $vgpr3
	s_branch .LBB31_195
.LBB31_191:
	s_mov_b64 s[0:1], -1
                                        ; implicit-def: $vgpr3
.LBB31_192:
	s_and_b64 vcc, exec, s[0:1]
	s_cbranch_vccz .LBB31_194
; %bb.193:
	global_load_ubyte v3, v[1:2], off
	s_mov_b32 s0, 0x7f800000
	s_waitcnt vmcnt(0)
	v_lshlrev_b32_e32 v3, 24, v3
	v_and_b32_e32 v4, 0x7f000000, v3
	v_ffbh_u32_e32 v6, v4
	v_min_u32_e32 v6, 32, v6
	v_sub_u32_e64 v6, v6, 4 clamp
	v_lshlrev_b32_e32 v9, v6, v4
	v_lshlrev_b32_e32 v6, 23, v6
	v_lshrrev_b32_e32 v9, 4, v9
	v_add_u32_e32 v7, 0x1000000, v4
	v_sub_u32_e32 v6, v9, v6
	v_ashrrev_i32_e32 v7, 8, v7
	v_add_u32_e32 v6, 0x3c000000, v6
	v_and_or_b32 v6, v7, s0, v6
	v_cmp_ne_u32_e32 vcc, 0, v4
	v_cndmask_b32_e32 v4, 0, v6, vcc
	s_brev_b32 s0, 1
	v_and_or_b32 v3, v3, s0, v4
	v_cvt_i32_f32_e32 v3, v3
.LBB31_194:
	s_mov_b64 s[0:1], 0
.LBB31_195:
	s_andn2_b64 vcc, exec, s[0:1]
	s_cbranch_vccnz .LBB31_197
; %bb.196:
	global_load_ubyte v3, v[1:2], off
	s_movk_i32 s0, 0x7f00
	s_brev_b32 s1, 16
	s_waitcnt vmcnt(0)
	v_lshlrev_b16_e32 v4, 8, v3
	v_lshlrev_b32_e32 v3, 25, v3
	v_lshrrev_b32_e32 v6, 4, v3
	v_and_or_b32 v7, v4, s0, 0.5
	v_or_b32_e32 v6, 0x70000000, v6
	v_add_f32_e32 v7, -0.5, v7
	v_mul_f32_e32 v6, 0x7800000, v6
	v_cmp_gt_u32_e32 vcc, s1, v3
	v_bfe_i32 v4, v4, 0, 16
	v_cndmask_b32_e32 v3, v6, v7, vcc
	s_brev_b32 s0, 1
	v_and_or_b32 v3, v4, s0, v3
	v_cvt_i32_f32_e32 v3, v3
.LBB31_197:
	s_mov_b64 s[8:9], 0
	s_mov_b64 s[0:1], -1
.LBB31_198:
	s_andn2_b64 vcc, exec, s[8:9]
	s_cbranch_vccnz .LBB31_211
; %bb.199:
	s_cmp_gt_i32 s11, 14
	s_cbranch_scc0 .LBB31_202
; %bb.200:
	s_cmp_eq_u32 s11, 15
	s_cbranch_scc0 .LBB31_205
; %bb.201:
	global_load_ushort v3, v[1:2], off
	s_mov_b64 s[0:1], -1
	s_mov_b64 s[2:3], 0
	s_waitcnt vmcnt(0)
	v_lshlrev_b32_e32 v3, 16, v3
	v_cvt_i32_f32_e32 v3, v3
	s_branch .LBB31_206
.LBB31_202:
	s_mov_b64 s[8:9], -1
                                        ; implicit-def: $vgpr3
	s_branch .LBB31_207
.LBB31_203:
	s_andn2_saveexec_b64 s[0:1], s[0:1]
	s_cbranch_execz .LBB31_184
.LBB31_204:
	v_cmp_ne_u16_e32 vcc, 0, v4
	s_andn2_b64 s[8:9], s[8:9], exec
	s_and_b64 s[12:13], vcc, exec
	s_or_b64 s[8:9], s[8:9], s[12:13]
	s_or_b64 exec, exec, s[0:1]
	v_mov_b32_e32 v3, 0
	s_and_saveexec_b64 s[0:1], s[8:9]
	s_cbranch_execnz .LBB31_185
	s_branch .LBB31_186
.LBB31_205:
	s_mov_b64 s[2:3], -1
                                        ; implicit-def: $vgpr3
.LBB31_206:
	s_mov_b64 s[8:9], 0
.LBB31_207:
	s_and_b64 vcc, exec, s[8:9]
	s_cbranch_vccz .LBB31_211
; %bb.208:
	s_cmp_eq_u32 s11, 11
	s_cbranch_scc0 .LBB31_210
; %bb.209:
	global_load_ubyte v3, v[1:2], off
	s_mov_b64 s[0:1], -1
	s_mov_b64 s[2:3], 0
	s_waitcnt vmcnt(0)
	v_cmp_ne_u16_e32 vcc, 0, v3
	v_cndmask_b32_e64 v3, 0, 1, vcc
	s_branch .LBB31_211
.LBB31_210:
	s_mov_b64 s[2:3], -1
                                        ; implicit-def: $vgpr3
.LBB31_211:
	s_branch .LBB31_24
.LBB31_212:
	s_and_b32 s8, 0xffff, s10
	s_cmp_lt_i32 s8, 5
	s_cbranch_scc1 .LBB31_217
; %bb.213:
	s_cmp_lt_i32 s8, 8
	s_cbranch_scc1 .LBB31_218
; %bb.214:
	;; [unrolled: 3-line block ×3, first 2 shown]
	s_cmp_gt_i32 s8, 9
	s_cbranch_scc0 .LBB31_220
; %bb.216:
	global_load_dwordx2 v[3:4], v[1:2], off
	s_mov_b64 s[0:1], 0
	s_waitcnt vmcnt(0)
	v_cvt_i32_f64_e32 v3, v[3:4]
	s_branch .LBB31_221
.LBB31_217:
                                        ; implicit-def: $vgpr3
	s_branch .LBB31_239
.LBB31_218:
	s_mov_b64 s[0:1], -1
                                        ; implicit-def: $vgpr3
	s_branch .LBB31_227
.LBB31_219:
	s_mov_b64 s[0:1], -1
                                        ; implicit-def: $vgpr3
	s_branch .LBB31_224
.LBB31_220:
	s_mov_b64 s[0:1], -1
                                        ; implicit-def: $vgpr3
.LBB31_221:
	s_andn2_b64 vcc, exec, s[0:1]
	s_cbranch_vccnz .LBB31_223
; %bb.222:
	global_load_dword v3, v[1:2], off
	s_waitcnt vmcnt(0)
	v_cvt_i32_f32_e32 v3, v3
.LBB31_223:
	s_mov_b64 s[0:1], 0
.LBB31_224:
	s_andn2_b64 vcc, exec, s[0:1]
	s_cbranch_vccnz .LBB31_226
; %bb.225:
	global_load_dword v3, v[1:2], off
	s_waitcnt vmcnt(0)
	v_cvt_i16_f16_e32 v3, v3
.LBB31_226:
	s_mov_b64 s[0:1], 0
.LBB31_227:
	s_andn2_b64 vcc, exec, s[0:1]
	s_cbranch_vccnz .LBB31_238
; %bb.228:
	s_cmp_lt_i32 s8, 6
	s_cbranch_scc1 .LBB31_231
; %bb.229:
	s_cmp_gt_i32 s8, 6
	s_cbranch_scc0 .LBB31_232
; %bb.230:
	global_load_dwordx2 v[3:4], v[1:2], off
	s_mov_b64 s[0:1], 0
	s_waitcnt vmcnt(0)
	v_cvt_i32_f64_e32 v3, v[3:4]
	s_branch .LBB31_233
.LBB31_231:
	s_mov_b64 s[0:1], -1
                                        ; implicit-def: $vgpr3
	s_branch .LBB31_236
.LBB31_232:
	s_mov_b64 s[0:1], -1
                                        ; implicit-def: $vgpr3
.LBB31_233:
	s_andn2_b64 vcc, exec, s[0:1]
	s_cbranch_vccnz .LBB31_235
; %bb.234:
	global_load_dword v3, v[1:2], off
	s_waitcnt vmcnt(0)
	v_cvt_i32_f32_e32 v3, v3
.LBB31_235:
	s_mov_b64 s[0:1], 0
.LBB31_236:
	s_andn2_b64 vcc, exec, s[0:1]
	s_cbranch_vccnz .LBB31_238
; %bb.237:
	global_load_ushort v3, v[1:2], off
	s_waitcnt vmcnt(0)
	v_cvt_i16_f16_e32 v3, v3
.LBB31_238:
	s_cbranch_execnz .LBB31_258
.LBB31_239:
	s_cmp_lt_i32 s8, 2
	s_cbranch_scc1 .LBB31_243
; %bb.240:
	s_cmp_lt_i32 s8, 3
	s_cbranch_scc1 .LBB31_244
; %bb.241:
	s_cmp_gt_i32 s8, 3
	s_cbranch_scc0 .LBB31_245
; %bb.242:
	global_load_dwordx2 v[3:4], v[1:2], off
	s_mov_b64 s[0:1], 0
	s_branch .LBB31_246
.LBB31_243:
	s_mov_b64 s[0:1], -1
                                        ; implicit-def: $vgpr3
	s_branch .LBB31_252
.LBB31_244:
	s_mov_b64 s[0:1], -1
                                        ; implicit-def: $vgpr3
	s_branch .LBB31_249
.LBB31_245:
	s_mov_b64 s[0:1], -1
                                        ; implicit-def: $vgpr3
.LBB31_246:
	s_andn2_b64 vcc, exec, s[0:1]
	s_cbranch_vccnz .LBB31_248
; %bb.247:
	global_load_dword v3, v[1:2], off
.LBB31_248:
	s_mov_b64 s[0:1], 0
.LBB31_249:
	s_andn2_b64 vcc, exec, s[0:1]
	s_cbranch_vccnz .LBB31_251
; %bb.250:
	global_load_ushort v3, v[1:2], off
.LBB31_251:
	s_mov_b64 s[0:1], 0
.LBB31_252:
	s_andn2_b64 vcc, exec, s[0:1]
	s_cbranch_vccnz .LBB31_258
; %bb.253:
	s_cmp_gt_i32 s8, 0
	s_cbranch_scc0 .LBB31_255
; %bb.254:
	global_load_ubyte v3, v[1:2], off
	s_mov_b64 s[0:1], 0
	s_branch .LBB31_256
.LBB31_255:
	s_mov_b64 s[0:1], -1
                                        ; implicit-def: $vgpr3
.LBB31_256:
	s_andn2_b64 vcc, exec, s[0:1]
	s_cbranch_vccnz .LBB31_258
; %bb.257:
	global_load_ubyte v3, v[1:2], off
.LBB31_258:
	s_branch .LBB31_25
.LBB31_259:
	s_mov_b64 s[0:1], 0
.LBB31_260:
	s_mov_b64 s[8:9], 0
                                        ; implicit-def: $vgpr8
.LBB31_261:
	s_and_b64 s[52:53], s[0:1], exec
	s_and_b64 s[54:55], s[2:3], exec
	s_orn2_b64 s[2:3], s[8:9], exec
.LBB31_262:
	s_or_b64 exec, exec, s[56:57]
	s_mov_b64 s[10:11], 0
	s_mov_b64 s[0:1], 0
                                        ; implicit-def: $sgpr14
                                        ; implicit-def: $vgpr1_vgpr2
                                        ; implicit-def: $vgpr0
                                        ; implicit-def: $vgpr3
	s_and_saveexec_b64 s[56:57], s[2:3]
	s_cbranch_execz .LBB31_269
; %bb.263:
	v_cmp_gt_i32_e32 vcc, s70, v8
	s_mov_b64 s[0:1], -1
	s_mov_b64 s[58:59], s[54:55]
	s_mov_b64 s[60:61], s[52:53]
	s_and_saveexec_b64 s[62:63], vcc
	s_cbranch_execz .LBB31_534
; %bb.264:
	s_andn2_b64 vcc, exec, s[40:41]
	s_cbranch_vccnz .LBB31_272
; %bb.265:
	s_andn2_b64 vcc, exec, s[50:51]
	s_cbranch_vccnz .LBB31_273
; %bb.266:
	s_add_i32 s65, s75, 1
	s_cmp_eq_u32 s72, 2
	s_cbranch_scc1 .LBB31_274
; %bb.267:
	s_and_b32 s64, s65, 28
	v_mov_b32_e32 v2, 0
	s_mov_b32 s66, 0
	s_mov_b64 s[58:59], s[34:35]
	s_mov_b64 s[60:61], s[48:49]
	v_mov_b32_e32 v0, 0
	v_mov_b32_e32 v1, v8
.LBB31_268:                             ; =>This Inner Loop Header: Depth=1
	s_load_dwordx8 s[16:23], s[58:59], 0x4
	s_load_dwordx4 s[0:3], s[58:59], 0x24
	s_load_dwordx8 s[8:15], s[60:61], 0x0
	s_add_u32 s58, s58, 48
	s_addc_u32 s59, s59, 0
	s_waitcnt vmcnt(0) lgkmcnt(0)
	v_mul_hi_u32 v3, s17, v1
	s_add_i32 s66, s66, 4
	s_add_u32 s60, s60, 32
	s_addc_u32 s61, s61, 0
	v_add_u32_e32 v3, v1, v3
	v_lshrrev_b32_e32 v3, s18, v3
	v_mul_lo_u32 v4, v3, s16
	v_mul_hi_u32 v6, s20, v3
	s_cmp_eq_u32 s64, s66
	v_sub_u32_e32 v1, v1, v4
	v_add_u32_e32 v4, v3, v6
	v_mul_lo_u32 v6, v1, s8
	v_mul_lo_u32 v7, v1, s9
	v_lshrrev_b32_e32 v1, s21, v4
	v_mul_lo_u32 v4, v1, s19
	v_mul_hi_u32 v9, s23, v1
	v_sub_u32_e32 v3, v3, v4
	v_add_u32_e32 v4, v1, v9
	v_lshrrev_b32_e32 v4, s0, v4
	v_mul_hi_u32 v10, s2, v4
	v_mul_lo_u32 v11, v4, s22
	v_mul_lo_u32 v9, v3, s10
	;; [unrolled: 1-line block ×3, first 2 shown]
	v_sub_u32_e32 v11, v1, v11
	v_add_u32_e32 v1, v4, v10
	v_lshrrev_b32_e32 v1, s3, v1
	v_mul_lo_u32 v10, v1, s1
	v_mul_lo_u32 v12, v11, s12
	;; [unrolled: 1-line block ×3, first 2 shown]
	v_add3_u32 v0, v6, v0, v9
	v_sub_u32_e32 v4, v4, v10
	v_mul_lo_u32 v10, v4, s14
	v_mul_lo_u32 v4, v4, s15
	v_add3_u32 v2, v7, v2, v3
	v_add3_u32 v0, v12, v0, v10
	v_add3_u32 v2, v11, v2, v4
	s_cbranch_scc0 .LBB31_268
	s_branch .LBB31_275
.LBB31_269:
	s_or_b64 exec, exec, s[56:57]
	s_mov_b64 s[2:3], 0
	s_and_saveexec_b64 s[8:9], s[54:55]
	s_cbranch_execnz .LBB31_902
.LBB31_270:
	s_or_b64 exec, exec, s[8:9]
	s_and_saveexec_b64 s[8:9], s[60:61]
	s_xor_b64 s[8:9], exec, s[8:9]
	s_cbranch_execz .LBB31_903
.LBB31_271:
	global_load_ubyte v3, v[1:2], off
	s_or_b64 s[0:1], s[0:1], exec
	s_waitcnt vmcnt(0)
	v_cmp_ne_u16_e32 vcc, 0, v3
	v_cndmask_b32_e64 v3, 0, 1, vcc
	s_or_b64 exec, exec, s[8:9]
	s_and_saveexec_b64 s[8:9], s[10:11]
	s_cbranch_execz .LBB31_949
	s_branch .LBB31_904
.LBB31_272:
                                        ; implicit-def: $vgpr0
                                        ; implicit-def: $vgpr2
	s_andn2_b64 vcc, exec, s[0:1]
	s_cbranch_vccz .LBB31_279
	s_branch .LBB31_281
.LBB31_273:
	v_mov_b32_e32 v0, 0
	v_mov_b32_e32 v2, 0
	s_branch .LBB31_278
.LBB31_274:
	s_mov_b32 s64, 0
	v_mov_b32_e32 v0, 0
	v_mov_b32_e32 v2, 0
	;; [unrolled: 1-line block ×3, first 2 shown]
.LBB31_275:
	s_and_b32 s8, s65, 3
	s_cmp_eq_u32 s8, 0
	s_cbranch_scc1 .LBB31_278
; %bb.276:
	s_lshl_b32 s0, s64, 3
	s_add_u32 s0, s34, s0
	s_addc_u32 s1, s35, 0
	s_add_u32 s0, s0, 0xc4
	s_addc_u32 s1, s1, 0
	s_mul_i32 s2, s64, 12
	s_add_u32 s2, s34, s2
	s_addc_u32 s3, s35, 0
.LBB31_277:                             ; =>This Inner Loop Header: Depth=1
	s_load_dwordx2 s[10:11], s[2:3], 0x4
	s_load_dword s9, s[2:3], 0xc
	s_load_dwordx2 s[12:13], s[0:1], 0x0
	s_add_u32 s2, s2, 12
	s_addc_u32 s3, s3, 0
	s_waitcnt vmcnt(0) lgkmcnt(0)
	v_mul_hi_u32 v3, s11, v1
	s_add_u32 s0, s0, 8
	s_addc_u32 s1, s1, 0
	s_add_i32 s8, s8, -1
	v_add_u32_e32 v3, v1, v3
	v_lshrrev_b32_e32 v4, s9, v3
	v_mul_lo_u32 v3, v4, s10
	s_cmp_lg_u32 s8, 0
	v_sub_u32_e32 v3, v1, v3
	v_mad_u64_u32 v[0:1], s[10:11], v3, s12, v[0:1]
	v_mad_u64_u32 v[2:3], s[10:11], v3, s13, v[2:3]
	v_mov_b32_e32 v1, v4
	s_cbranch_scc1 .LBB31_277
.LBB31_278:
	s_cbranch_execnz .LBB31_281
.LBB31_279:
	s_waitcnt lgkmcnt(0)
	v_mul_hi_u32 v0, s37, v8
	s_andn2_b64 vcc, exec, s[46:47]
	v_add_u32_e32 v0, v8, v0
	v_lshrrev_b32_e32 v1, s38, v0
	v_mul_lo_u32 v0, v1, s36
	v_sub_u32_e32 v2, v8, v0
	v_mul_lo_u32 v0, v2, s28
	v_mul_lo_u32 v2, v2, s29
	s_cbranch_vccnz .LBB31_281
; %bb.280:
	s_waitcnt vmcnt(0)
	v_mul_hi_u32 v3, s44, v1
	v_add_u32_e32 v3, v1, v3
	v_lshrrev_b32_e32 v3, s45, v3
	v_mul_lo_u32 v3, v3, s39
	v_sub_u32_e32 v3, v1, v3
	v_mad_u64_u32 v[0:1], s[0:1], v3, s30, v[0:1]
	v_mad_u64_u32 v[2:3], s[0:1], v3, s31, v[2:3]
.LBB31_281:
	s_waitcnt vmcnt(0) lgkmcnt(0)
	v_mov_b32_e32 v3, s27
	s_and_b32 s10, s74, 0xff
	v_add_co_u32_e32 v1, vcc, s26, v2
	s_cmp_lt_i32 s10, 11
	v_addc_co_u32_e32 v2, vcc, 0, v3, vcc
	s_cbranch_scc1 .LBB31_288
; %bb.282:
	s_and_b32 s11, 0xffff, s10
	s_cmp_gt_i32 s11, 25
	s_cbranch_scc0 .LBB31_297
; %bb.283:
	s_cmp_gt_i32 s11, 28
	s_cbranch_scc0 .LBB31_299
; %bb.284:
	;; [unrolled: 3-line block ×4, first 2 shown]
	s_cmp_eq_u32 s11, 46
	s_mov_b64 s[8:9], 0
	s_cbranch_scc0 .LBB31_309
; %bb.287:
	global_load_dword v3, v[1:2], off
	s_mov_b64 s[0:1], -1
	s_mov_b64 s[2:3], 0
	s_waitcnt vmcnt(0)
	v_lshlrev_b32_e32 v3, 16, v3
	v_cvt_i32_f32_e32 v3, v3
	s_branch .LBB31_310
.LBB31_288:
	s_mov_b64 s[0:1], 0
                                        ; implicit-def: $vgpr3
	s_mov_b64 s[2:3], s[54:55]
	s_cbranch_execnz .LBB31_483
.LBB31_289:
	s_andn2_b64 vcc, exec, s[0:1]
	s_cbranch_vccnz .LBB31_531
.LBB31_290:
	v_mov_b32_e32 v2, 8
	s_waitcnt vmcnt(0)
	v_lshlrev_b32_sdwa v1, v3, v5 dst_sel:DWORD dst_unused:UNUSED_PAD src0_sel:DWORD src1_sel:BYTE_0
	v_cmp_lt_u16_sdwa vcc, v3, v2 src0_sel:BYTE_0 src1_sel:DWORD
	v_cndmask_b32_e32 v2, 0, v1, vcc
	v_mov_b32_e32 v1, s25
	s_and_b32 s14, 0xffff, s73
	v_add_co_u32_e32 v0, vcc, s24, v0
	s_cmp_lt_i32 s14, 11
	v_addc_co_u32_e32 v1, vcc, 0, v1, vcc
	s_cbranch_scc1 .LBB31_298
; %bb.291:
	s_cmp_gt_i32 s14, 25
	s_cbranch_scc0 .LBB31_300
; %bb.292:
	s_cmp_gt_i32 s14, 28
	s_cbranch_scc0 .LBB31_302
	;; [unrolled: 3-line block ×4, first 2 shown]
; %bb.295:
	s_mov_b64 s[10:11], 0
	s_mov_b64 s[0:1], -1
	s_cmp_eq_u32 s14, 46
	s_mov_b64 s[8:9], 0
	s_cbranch_scc0 .LBB31_314
; %bb.296:
	v_bfe_i32 v3, v2, 0, 8
	v_cvt_f32_i32_sdwa v3, sext(v3) dst_sel:DWORD dst_unused:UNUSED_PAD src0_sel:WORD_0
	s_movk_i32 s0, 0x7fff
	s_mov_b64 s[8:9], -1
	v_bfe_u32 v4, v3, 16, 1
	v_add3_u32 v3, v3, v4, s0
	v_lshrrev_b32_e32 v3, 16, v3
	global_store_dword v[0:1], v3, off
	s_mov_b64 s[0:1], 0
	s_branch .LBB31_314
.LBB31_297:
	s_mov_b64 s[8:9], -1
	s_mov_b64 s[0:1], 0
	s_mov_b64 s[2:3], s[54:55]
                                        ; implicit-def: $vgpr3
	s_branch .LBB31_449
.LBB31_298:
	s_mov_b64 s[10:11], -1
	s_mov_b64 s[8:9], 0
	s_mov_b64 s[0:1], s[52:53]
	s_branch .LBB31_383
.LBB31_299:
	s_mov_b64 s[8:9], -1
	s_mov_b64 s[0:1], 0
	s_mov_b64 s[2:3], s[54:55]
                                        ; implicit-def: $vgpr3
	s_branch .LBB31_432
.LBB31_300:
	s_mov_b64 s[10:11], -1
	s_mov_b64 s[8:9], 0
	s_mov_b64 s[0:1], s[52:53]
	s_branch .LBB31_341
.LBB31_301:
	s_mov_b64 s[8:9], -1
	s_mov_b64 s[0:1], 0
	s_mov_b64 s[2:3], s[54:55]
                                        ; implicit-def: $vgpr3
	s_branch .LBB31_427
.LBB31_302:
	s_mov_b64 s[10:11], -1
	s_mov_b64 s[8:9], 0
	s_mov_b64 s[0:1], s[52:53]
	s_branch .LBB31_324
.LBB31_303:
	s_andn2_saveexec_b64 s[12:13], s[12:13]
	s_cbranch_execz .LBB31_68
.LBB31_304:
	s_mov_b32 s15, 0x46000000
	v_add_f32_e64 v4, |v3|, s15
	v_and_b32_e32 v4, 0xff, v4
	v_cmp_ne_u32_e32 vcc, 0, v4
	s_andn2_b64 s[10:11], s[10:11], exec
	s_and_b64 s[16:17], vcc, exec
	s_or_b64 s[10:11], s[10:11], s[16:17]
	s_or_b64 exec, exec, s[12:13]
	v_mov_b32_e32 v6, 0
	s_and_saveexec_b64 s[12:13], s[10:11]
	s_cbranch_execnz .LBB31_69
	s_branch .LBB31_70
.LBB31_305:
	s_mov_b64 s[8:9], -1
	s_mov_b64 s[0:1], 0
	s_mov_b64 s[2:3], s[54:55]
                                        ; implicit-def: $vgpr3
	s_branch .LBB31_310
.LBB31_306:
	s_mov_b64 s[10:11], -1
	s_mov_b64 s[8:9], 0
	s_mov_b64 s[0:1], s[52:53]
	s_branch .LBB31_320
.LBB31_307:
	s_andn2_saveexec_b64 s[12:13], s[12:13]
	s_cbranch_execz .LBB31_81
.LBB31_308:
	s_mov_b32 s15, 0x42800000
	v_add_f32_e64 v4, |v3|, s15
	v_and_b32_e32 v4, 0xff, v4
	v_cmp_ne_u32_e32 vcc, 0, v4
	s_andn2_b64 s[10:11], s[10:11], exec
	s_and_b64 s[16:17], vcc, exec
	s_or_b64 s[10:11], s[10:11], s[16:17]
	s_or_b64 exec, exec, s[12:13]
	v_mov_b32_e32 v6, 0
	s_and_saveexec_b64 s[12:13], s[10:11]
	s_cbranch_execnz .LBB31_82
	s_branch .LBB31_83
.LBB31_309:
	s_mov_b64 s[2:3], -1
                                        ; implicit-def: $vgpr3
	s_mov_b64 s[0:1], 0
.LBB31_310:
	s_and_b64 vcc, exec, s[8:9]
	s_cbranch_vccz .LBB31_426
; %bb.311:
	s_cmp_eq_u32 s11, 44
	s_cbranch_scc0 .LBB31_425
; %bb.312:
	global_load_ubyte v3, v[1:2], off
	s_mov_b64 s[0:1], -1
	s_mov_b64 s[2:3], 0
	s_waitcnt vmcnt(0)
	v_lshlrev_b32_e32 v4, 23, v3
	v_cvt_i32_f32_e32 v4, v4
	v_cmp_ne_u32_e32 vcc, 0, v3
	v_cndmask_b32_e32 v3, 0, v4, vcc
	s_branch .LBB31_426
.LBB31_313:
	s_mov_b64 s[10:11], -1
	s_mov_b64 s[8:9], 0
	s_mov_b64 s[0:1], s[52:53]
.LBB31_314:
	s_and_b64 vcc, exec, s[10:11]
	s_cbranch_vccz .LBB31_319
; %bb.315:
	s_cmp_eq_u32 s14, 44
	s_mov_b64 s[0:1], -1
	s_cbranch_scc0 .LBB31_319
; %bb.316:
	v_bfe_i32 v3, v2, 0, 8
	v_cvt_f32_i32_sdwa v3, sext(v3) dst_sel:DWORD dst_unused:UNUSED_PAD src0_sel:WORD_0
	s_movk_i32 s0, 0xff
	v_mov_b32_e32 v6, 0xff
	v_bfe_u32 v4, v3, 23, 8
	v_cmp_ne_u32_e32 vcc, s0, v4
	s_and_saveexec_b64 s[8:9], vcc
; %bb.317:
	s_mov_b32 s0, 0x3fffff
	v_lshrrev_b32_e32 v6, 23, v3
	v_and_b32_e32 v7, 0x400000, v3
	v_and_or_b32 v3, v3, s0, v4
	v_cmp_ne_u32_e32 vcc, 0, v7
	v_cmp_ne_u32_e64 s[0:1], 0, v3
	s_and_b64 s[0:1], vcc, s[0:1]
	v_cndmask_b32_e64 v3, 0, 1, s[0:1]
	v_add_u32_e32 v6, v6, v3
; %bb.318:
	s_or_b64 exec, exec, s[8:9]
	s_mov_b64 s[8:9], -1
	s_mov_b64 s[0:1], 0
	global_store_byte v[0:1], v6, off
.LBB31_319:
	s_mov_b64 s[10:11], 0
.LBB31_320:
	s_and_b64 vcc, exec, s[10:11]
	s_cbranch_vccz .LBB31_323
; %bb.321:
	s_cmp_eq_u32 s14, 29
	s_mov_b64 s[0:1], -1
	s_cbranch_scc0 .LBB31_323
; %bb.322:
	v_bfe_i32 v3, v2, 0, 8
	v_ashrrev_i32_e32 v4, 31, v3
	global_store_dwordx2 v[0:1], v[3:4], off
	s_mov_b64 s[8:9], -1
	s_mov_b64 s[0:1], 0
.LBB31_323:
	s_mov_b64 s[10:11], 0
.LBB31_324:
	s_and_b64 vcc, exec, s[10:11]
	s_cbranch_vccz .LBB31_340
; %bb.325:
	s_cmp_lt_i32 s14, 27
	s_mov_b64 s[8:9], -1
	s_cbranch_scc1 .LBB31_331
; %bb.326:
	s_cmp_gt_i32 s14, 27
	s_cbranch_scc0 .LBB31_328
; %bb.327:
	v_bfe_i32 v3, v2, 0, 8
	s_mov_b64 s[8:9], 0
	global_store_dword v[0:1], v3, off
.LBB31_328:
	s_andn2_b64 vcc, exec, s[8:9]
	s_cbranch_vccnz .LBB31_330
; %bb.329:
	v_bfe_i32 v3, v2, 0, 8
	global_store_short v[0:1], v3, off
.LBB31_330:
	s_mov_b64 s[8:9], 0
.LBB31_331:
	s_andn2_b64 vcc, exec, s[8:9]
	s_cbranch_vccnz .LBB31_339
; %bb.332:
	v_bfe_i32 v3, v2, 0, 8
	v_cvt_f32_i32_sdwa v3, sext(v3) dst_sel:DWORD dst_unused:UNUSED_PAD src0_sel:WORD_0
	s_mov_b32 s8, 0x43800000
	v_mov_b32_e32 v6, 0x80
	v_and_b32_e32 v4, 0x7fffffff, v3
	v_cmp_gt_u32_e32 vcc, s8, v4
	s_and_saveexec_b64 s[8:9], vcc
	s_cbranch_execz .LBB31_338
; %bb.333:
	s_mov_b32 s10, 0x3bffffff
	v_cmp_lt_u32_e32 vcc, s10, v4
	s_mov_b64 s[10:11], 0
                                        ; implicit-def: $vgpr4
	s_and_saveexec_b64 s[12:13], vcc
	s_xor_b64 s[12:13], exec, s[12:13]
	s_cbranch_execz .LBB31_562
; %bb.334:
	v_bfe_u32 v4, v3, 20, 1
	s_mov_b32 s15, 0x487ffff
	v_add3_u32 v4, v3, v4, s15
	s_mov_b64 s[10:11], exec
	v_lshrrev_b32_e32 v4, 20, v4
	s_andn2_saveexec_b64 s[12:13], s[12:13]
	s_cbranch_execnz .LBB31_563
.LBB31_335:
	s_or_b64 exec, exec, s[12:13]
	v_mov_b32_e32 v6, 0
	s_and_saveexec_b64 s[12:13], s[10:11]
.LBB31_336:
	v_lshrrev_b32_e32 v3, 24, v3
	s_movk_i32 s10, 0x80
	v_and_or_b32 v6, v3, s10, v4
.LBB31_337:
	s_or_b64 exec, exec, s[12:13]
.LBB31_338:
	s_or_b64 exec, exec, s[8:9]
	global_store_byte v[0:1], v6, off
.LBB31_339:
	s_mov_b64 s[8:9], -1
.LBB31_340:
	s_mov_b64 s[10:11], 0
.LBB31_341:
	s_and_b64 vcc, exec, s[10:11]
	s_cbranch_vccz .LBB31_382
; %bb.342:
	s_cmp_gt_i32 s14, 22
	s_mov_b64 s[10:11], -1
	s_cbranch_scc0 .LBB31_374
; %bb.343:
	s_cmp_lt_i32 s14, 24
	s_mov_b64 s[8:9], -1
	s_cbranch_scc1 .LBB31_363
; %bb.344:
	s_cmp_gt_i32 s14, 24
	s_cbranch_scc0 .LBB31_352
; %bb.345:
	v_bfe_i32 v3, v2, 0, 8
	v_cvt_f32_i32_sdwa v3, sext(v3) dst_sel:DWORD dst_unused:UNUSED_PAD src0_sel:WORD_0
	s_mov_b32 s8, 0x47800000
	v_mov_b32_e32 v6, 0x80
	v_and_b32_e32 v4, 0x7fffffff, v3
	v_cmp_gt_u32_e32 vcc, s8, v4
	s_and_saveexec_b64 s[8:9], vcc
	s_cbranch_execz .LBB31_351
; %bb.346:
	s_mov_b32 s10, 0x37ffffff
	v_cmp_lt_u32_e32 vcc, s10, v4
	s_mov_b64 s[10:11], 0
                                        ; implicit-def: $vgpr4
	s_and_saveexec_b64 s[12:13], vcc
	s_xor_b64 s[12:13], exec, s[12:13]
	s_cbranch_execz .LBB31_565
; %bb.347:
	v_bfe_u32 v4, v3, 21, 1
	s_mov_b32 s15, 0x88fffff
	v_add3_u32 v4, v3, v4, s15
	s_mov_b64 s[10:11], exec
	v_lshrrev_b32_e32 v4, 21, v4
	s_andn2_saveexec_b64 s[12:13], s[12:13]
	s_cbranch_execnz .LBB31_566
.LBB31_348:
	s_or_b64 exec, exec, s[12:13]
	v_mov_b32_e32 v6, 0
	s_and_saveexec_b64 s[12:13], s[10:11]
.LBB31_349:
	v_lshrrev_b32_e32 v3, 24, v3
	s_movk_i32 s10, 0x80
	v_and_or_b32 v6, v3, s10, v4
.LBB31_350:
	s_or_b64 exec, exec, s[12:13]
.LBB31_351:
	s_or_b64 exec, exec, s[8:9]
	s_mov_b64 s[8:9], 0
	global_store_byte v[0:1], v6, off
.LBB31_352:
	s_and_b64 vcc, exec, s[8:9]
	s_cbranch_vccz .LBB31_362
; %bb.353:
	v_bfe_i32 v3, v2, 0, 8
	v_cvt_f32_i32_sdwa v3, sext(v3) dst_sel:DWORD dst_unused:UNUSED_PAD src0_sel:WORD_0
	s_mov_b32 s8, 0x43f00000
                                        ; implicit-def: $vgpr4
	v_and_b32_e32 v6, 0x7fffffff, v3
	v_cmp_gt_u32_e32 vcc, s8, v6
	s_and_saveexec_b64 s[8:9], vcc
	s_xor_b64 s[8:9], exec, s[8:9]
	s_cbranch_execz .LBB31_359
; %bb.354:
	s_mov_b32 s10, 0x3c7fffff
	v_cmp_lt_u32_e32 vcc, s10, v6
                                        ; implicit-def: $vgpr4
	s_and_saveexec_b64 s[10:11], vcc
	s_xor_b64 s[10:11], exec, s[10:11]
; %bb.355:
	v_bfe_u32 v4, v3, 20, 1
	s_mov_b32 s12, 0x407ffff
	v_add3_u32 v4, v3, v4, s12
	v_lshrrev_b32_e32 v6, 20, v4
	v_and_b32_e32 v4, 0xff00000, v4
	s_mov_b32 s12, 0x7f00000
	v_mov_b32_e32 v7, 0x7e
	v_cmp_ne_u32_e32 vcc, s12, v4
	v_cndmask_b32_e32 v4, v7, v6, vcc
; %bb.356:
	s_andn2_saveexec_b64 s[10:11], s[10:11]
; %bb.357:
	s_mov_b32 s12, 0x46800000
	v_add_f32_e64 v4, |v3|, s12
; %bb.358:
	s_or_b64 exec, exec, s[10:11]
                                        ; implicit-def: $vgpr6
.LBB31_359:
	s_andn2_saveexec_b64 s[8:9], s[8:9]
; %bb.360:
	s_mov_b32 s10, 0x7f800000
	v_mov_b32_e32 v4, 0x7e
	v_mov_b32_e32 v7, 0x7f
	v_cmp_lt_u32_e32 vcc, s10, v6
	v_cndmask_b32_e32 v4, v4, v7, vcc
; %bb.361:
	s_or_b64 exec, exec, s[8:9]
	v_lshrrev_b32_e32 v3, 24, v3
	s_movk_i32 s8, 0x80
	v_and_or_b32 v3, v3, s8, v4
	global_store_byte v[0:1], v3, off
.LBB31_362:
	s_mov_b64 s[8:9], 0
.LBB31_363:
	s_andn2_b64 vcc, exec, s[8:9]
	s_cbranch_vccnz .LBB31_373
; %bb.364:
	v_bfe_i32 v3, v2, 0, 8
	v_cvt_f32_i32_sdwa v3, sext(v3) dst_sel:DWORD dst_unused:UNUSED_PAD src0_sel:WORD_0
	s_mov_b32 s8, 0x47800000
                                        ; implicit-def: $vgpr4
	v_and_b32_e32 v6, 0x7fffffff, v3
	v_cmp_gt_u32_e32 vcc, s8, v6
	s_and_saveexec_b64 s[8:9], vcc
	s_xor_b64 s[8:9], exec, s[8:9]
	s_cbranch_execz .LBB31_370
; %bb.365:
	s_mov_b32 s10, 0x387fffff
	v_cmp_lt_u32_e32 vcc, s10, v6
                                        ; implicit-def: $vgpr4
	s_and_saveexec_b64 s[10:11], vcc
	s_xor_b64 s[10:11], exec, s[10:11]
; %bb.366:
	v_bfe_u32 v4, v3, 21, 1
	s_mov_b32 s12, 0x80fffff
	v_add3_u32 v4, v3, v4, s12
	v_lshrrev_b32_e32 v4, 21, v4
; %bb.367:
	s_andn2_saveexec_b64 s[10:11], s[10:11]
; %bb.368:
	s_mov_b32 s12, 0x43000000
	v_add_f32_e64 v4, |v3|, s12
; %bb.369:
	s_or_b64 exec, exec, s[10:11]
                                        ; implicit-def: $vgpr6
.LBB31_370:
	s_andn2_saveexec_b64 s[8:9], s[8:9]
; %bb.371:
	s_mov_b32 s10, 0x7f800000
	v_mov_b32_e32 v4, 0x7c
	v_mov_b32_e32 v7, 0x7f
	v_cmp_lt_u32_e32 vcc, s10, v6
	v_cndmask_b32_e32 v4, v4, v7, vcc
; %bb.372:
	s_or_b64 exec, exec, s[8:9]
	v_lshrrev_b32_e32 v3, 24, v3
	s_movk_i32 s8, 0x80
	v_and_or_b32 v3, v3, s8, v4
	global_store_byte v[0:1], v3, off
.LBB31_373:
	s_mov_b64 s[10:11], 0
	s_mov_b64 s[8:9], -1
.LBB31_374:
	s_andn2_b64 vcc, exec, s[10:11]
	s_cbranch_vccnz .LBB31_382
; %bb.375:
	s_cmp_gt_i32 s14, 14
	s_mov_b64 s[10:11], -1
	s_cbranch_scc0 .LBB31_379
; %bb.376:
	s_cmp_eq_u32 s14, 15
	s_mov_b64 s[0:1], -1
	s_cbranch_scc0 .LBB31_378
; %bb.377:
	v_bfe_i32 v3, v2, 0, 8
	v_cvt_f32_i32_sdwa v3, sext(v3) dst_sel:DWORD dst_unused:UNUSED_PAD src0_sel:WORD_0
	s_movk_i32 s0, 0x7fff
	s_mov_b64 s[8:9], -1
	v_bfe_u32 v4, v3, 16, 1
	v_add3_u32 v3, v3, v4, s0
	global_store_short_d16_hi v[0:1], v3, off
	s_mov_b64 s[0:1], 0
.LBB31_378:
	s_mov_b64 s[10:11], 0
.LBB31_379:
	s_and_b64 vcc, exec, s[10:11]
	s_cbranch_vccz .LBB31_382
; %bb.380:
	s_cmp_eq_u32 s14, 11
	s_mov_b64 s[0:1], -1
	s_cbranch_scc0 .LBB31_382
; %bb.381:
	v_mov_b32_e32 v3, 0
	v_cmp_ne_u16_sdwa s[0:1], v2, v3 src0_sel:BYTE_0 src1_sel:DWORD
	v_cndmask_b32_e64 v3, 0, 1, s[0:1]
	s_mov_b64 s[8:9], -1
	s_mov_b64 s[0:1], 0
	global_store_byte v[0:1], v3, off
.LBB31_382:
	s_mov_b64 s[10:11], 0
.LBB31_383:
	s_and_b64 vcc, exec, s[10:11]
	s_cbranch_vccz .LBB31_422
; %bb.384:
	s_cmp_lt_i32 s14, 5
	s_mov_b64 s[8:9], -1
	s_cbranch_scc1 .LBB31_405
; %bb.385:
	s_cmp_lt_i32 s14, 8
	s_cbranch_scc1 .LBB31_395
; %bb.386:
	s_cmp_lt_i32 s14, 9
	s_cbranch_scc1 .LBB31_392
; %bb.387:
	s_cmp_gt_i32 s14, 9
	s_cbranch_scc0 .LBB31_389
; %bb.388:
	v_bfe_i32 v3, v2, 0, 8
	v_bfe_i32 v3, v3, 0, 16
	v_cvt_f64_i32_e32 v[9:10], v3
	v_mov_b32_e32 v11, 0
	v_mov_b32_e32 v12, v11
	s_mov_b64 s[8:9], 0
	global_store_dwordx4 v[0:1], v[9:12], off
.LBB31_389:
	s_andn2_b64 vcc, exec, s[8:9]
	s_cbranch_vccnz .LBB31_391
; %bb.390:
	v_bfe_i32 v3, v2, 0, 8
	v_cvt_f32_i32_sdwa v3, sext(v3) dst_sel:DWORD dst_unused:UNUSED_PAD src0_sel:WORD_0
	v_mov_b32_e32 v4, 0
	global_store_dwordx2 v[0:1], v[3:4], off
.LBB31_391:
	s_mov_b64 s[8:9], 0
.LBB31_392:
	s_andn2_b64 vcc, exec, s[8:9]
	s_cbranch_vccnz .LBB31_394
; %bb.393:
	v_cvt_f16_i16_sdwa v3, sext(v2) dst_sel:DWORD dst_unused:UNUSED_PAD src0_sel:BYTE_0
	global_store_dword v[0:1], v3, off
.LBB31_394:
	s_mov_b64 s[8:9], 0
.LBB31_395:
	s_andn2_b64 vcc, exec, s[8:9]
	s_cbranch_vccnz .LBB31_404
; %bb.396:
	s_cmp_lt_i32 s14, 6
	s_mov_b64 s[8:9], -1
	s_cbranch_scc1 .LBB31_402
; %bb.397:
	s_cmp_gt_i32 s14, 6
	s_cbranch_scc0 .LBB31_399
; %bb.398:
	v_bfe_i32 v3, v2, 0, 8
	v_bfe_i32 v3, v3, 0, 16
	v_cvt_f64_i32_e32 v[3:4], v3
	s_mov_b64 s[8:9], 0
	global_store_dwordx2 v[0:1], v[3:4], off
.LBB31_399:
	s_andn2_b64 vcc, exec, s[8:9]
	s_cbranch_vccnz .LBB31_401
; %bb.400:
	v_bfe_i32 v3, v2, 0, 8
	v_cvt_f32_i32_sdwa v3, sext(v3) dst_sel:DWORD dst_unused:UNUSED_PAD src0_sel:WORD_0
	global_store_dword v[0:1], v3, off
.LBB31_401:
	s_mov_b64 s[8:9], 0
.LBB31_402:
	s_andn2_b64 vcc, exec, s[8:9]
	s_cbranch_vccnz .LBB31_404
; %bb.403:
	v_cvt_f16_i16_sdwa v3, sext(v2) dst_sel:DWORD dst_unused:UNUSED_PAD src0_sel:BYTE_0
	global_store_short v[0:1], v3, off
.LBB31_404:
	s_mov_b64 s[8:9], 0
.LBB31_405:
	s_andn2_b64 vcc, exec, s[8:9]
	s_cbranch_vccnz .LBB31_421
; %bb.406:
	s_cmp_lt_i32 s14, 2
	s_mov_b64 s[8:9], -1
	s_cbranch_scc1 .LBB31_416
; %bb.407:
	s_cmp_lt_i32 s14, 3
	s_cbranch_scc1 .LBB31_413
; %bb.408:
	s_cmp_gt_i32 s14, 3
	s_cbranch_scc0 .LBB31_410
; %bb.409:
	v_bfe_i32 v3, v2, 0, 8
	v_ashrrev_i32_e32 v4, 31, v3
	s_mov_b64 s[8:9], 0
	global_store_dwordx2 v[0:1], v[3:4], off
.LBB31_410:
	s_andn2_b64 vcc, exec, s[8:9]
	s_cbranch_vccnz .LBB31_412
; %bb.411:
	v_bfe_i32 v3, v2, 0, 8
	global_store_dword v[0:1], v3, off
.LBB31_412:
	s_mov_b64 s[8:9], 0
.LBB31_413:
	s_andn2_b64 vcc, exec, s[8:9]
	s_cbranch_vccnz .LBB31_415
; %bb.414:
	v_bfe_i32 v3, v2, 0, 8
	global_store_short v[0:1], v3, off
.LBB31_415:
	s_mov_b64 s[8:9], 0
.LBB31_416:
	s_andn2_b64 vcc, exec, s[8:9]
	s_cbranch_vccnz .LBB31_421
; %bb.417:
	s_cmp_gt_i32 s14, 0
	s_mov_b64 s[8:9], -1
	s_cbranch_scc0 .LBB31_419
; %bb.418:
	s_mov_b64 s[8:9], 0
	global_store_byte v[0:1], v2, off
.LBB31_419:
	s_andn2_b64 vcc, exec, s[8:9]
	s_cbranch_vccnz .LBB31_421
; %bb.420:
	global_store_byte v[0:1], v2, off
.LBB31_421:
	s_mov_b64 s[8:9], -1
.LBB31_422:
	s_andn2_b64 vcc, exec, s[8:9]
	s_cbranch_vccnz .LBB31_424
; %bb.423:
	v_add_u32_e32 v8, 0x80, v8
	s_mov_b64 s[8:9], -1
	s_branch .LBB31_533
.LBB31_424:
	s_mov_b64 s[8:9], 0
	s_branch .LBB31_532
.LBB31_425:
	s_mov_b64 s[2:3], -1
                                        ; implicit-def: $vgpr3
.LBB31_426:
	s_mov_b64 s[8:9], 0
.LBB31_427:
	s_and_b64 vcc, exec, s[8:9]
	s_cbranch_vccz .LBB31_431
; %bb.428:
	s_cmp_eq_u32 s11, 29
	s_cbranch_scc0 .LBB31_430
; %bb.429:
	global_load_dwordx2 v[3:4], v[1:2], off
	s_mov_b64 s[0:1], -1
	s_mov_b64 s[2:3], 0
	s_branch .LBB31_431
.LBB31_430:
	s_mov_b64 s[2:3], -1
                                        ; implicit-def: $vgpr3
.LBB31_431:
	s_mov_b64 s[8:9], 0
.LBB31_432:
	s_and_b64 vcc, exec, s[8:9]
	s_cbranch_vccz .LBB31_448
; %bb.433:
	s_cmp_lt_i32 s11, 27
	s_cbranch_scc1 .LBB31_436
; %bb.434:
	s_cmp_gt_i32 s11, 27
	s_cbranch_scc0 .LBB31_437
; %bb.435:
	global_load_dword v3, v[1:2], off
	s_mov_b64 s[0:1], 0
	s_branch .LBB31_438
.LBB31_436:
	s_mov_b64 s[0:1], -1
                                        ; implicit-def: $vgpr3
	s_branch .LBB31_441
.LBB31_437:
	s_mov_b64 s[0:1], -1
                                        ; implicit-def: $vgpr3
.LBB31_438:
	s_andn2_b64 vcc, exec, s[0:1]
	s_cbranch_vccnz .LBB31_440
; %bb.439:
	global_load_ushort v3, v[1:2], off
.LBB31_440:
	s_mov_b64 s[0:1], 0
.LBB31_441:
	s_andn2_b64 vcc, exec, s[0:1]
	s_cbranch_vccnz .LBB31_447
; %bb.442:
	global_load_ubyte v4, v[1:2], off
	s_movk_i32 s0, 0x7f
	s_mov_b64 s[8:9], 0
	s_waitcnt vmcnt(0)
	v_cmp_lt_i16_e32 vcc, s0, v4
	s_and_saveexec_b64 s[0:1], vcc
	s_xor_b64 s[0:1], exec, s[0:1]
	s_cbranch_execz .LBB31_459
; %bb.443:
	s_movk_i32 s8, 0x80
	v_cmp_ne_u16_e32 vcc, s8, v4
	s_and_b64 s[8:9], vcc, exec
	s_andn2_saveexec_b64 s[0:1], s[0:1]
	s_cbranch_execnz .LBB31_460
.LBB31_444:
	s_or_b64 exec, exec, s[0:1]
	v_mov_b32_e32 v3, 0
	s_and_saveexec_b64 s[0:1], s[8:9]
	s_cbranch_execz .LBB31_446
.LBB31_445:
	v_lshlrev_b32_e32 v3, 24, v4
	v_and_b32_e32 v4, 0xffff, v4
	v_and_b32_e32 v6, 7, v4
	v_ffbh_u32_e32 v9, v6
	v_min_u32_e32 v9, 32, v9
	v_subrev_u32_e32 v10, 28, v9
	v_bfe_u32 v7, v4, 3, 4
	v_lshlrev_b32_e32 v4, v10, v4
	v_sub_u32_e32 v9, 29, v9
	v_and_b32_e32 v4, 7, v4
	v_cmp_eq_u32_e32 vcc, 0, v7
	v_cndmask_b32_e32 v7, v7, v9, vcc
	v_cndmask_b32_e32 v4, v6, v4, vcc
	v_mov_b32_e32 v6, 0x3b800000
	v_lshlrev_b32_e32 v4, 20, v4
	v_and_b32_e32 v3, 0x80000000, v3
	v_lshl_add_u32 v6, v7, 23, v6
	v_or3_b32 v3, v3, v6, v4
	v_cvt_i32_f32_e32 v3, v3
.LBB31_446:
	s_or_b64 exec, exec, s[0:1]
.LBB31_447:
	s_mov_b64 s[0:1], -1
.LBB31_448:
	s_mov_b64 s[8:9], 0
.LBB31_449:
	s_and_b64 vcc, exec, s[8:9]
	s_cbranch_vccz .LBB31_482
; %bb.450:
	s_cmp_gt_i32 s11, 22
	s_cbranch_scc0 .LBB31_458
; %bb.451:
	s_cmp_lt_i32 s11, 24
	s_cbranch_scc1 .LBB31_461
; %bb.452:
	s_cmp_gt_i32 s11, 24
	s_cbranch_scc0 .LBB31_462
; %bb.453:
	global_load_ubyte v4, v[1:2], off
	s_movk_i32 s0, 0x7f
	s_mov_b64 s[8:9], 0
	s_waitcnt vmcnt(0)
	v_cmp_lt_i16_e32 vcc, s0, v4
	s_and_saveexec_b64 s[0:1], vcc
	s_xor_b64 s[0:1], exec, s[0:1]
	s_cbranch_execz .LBB31_474
; %bb.454:
	s_movk_i32 s8, 0x80
	v_cmp_ne_u16_e32 vcc, s8, v4
	s_and_b64 s[8:9], vcc, exec
	s_andn2_saveexec_b64 s[0:1], s[0:1]
	s_cbranch_execnz .LBB31_475
.LBB31_455:
	s_or_b64 exec, exec, s[0:1]
	v_mov_b32_e32 v3, 0
	s_and_saveexec_b64 s[0:1], s[8:9]
	s_cbranch_execz .LBB31_457
.LBB31_456:
	v_lshlrev_b32_e32 v3, 24, v4
	v_and_b32_e32 v4, 0xffff, v4
	v_and_b32_e32 v6, 3, v4
	v_ffbh_u32_e32 v9, v6
	v_min_u32_e32 v9, 32, v9
	v_subrev_u32_e32 v10, 29, v9
	v_bfe_u32 v7, v4, 2, 5
	v_lshlrev_b32_e32 v4, v10, v4
	v_sub_u32_e32 v9, 30, v9
	v_and_b32_e32 v4, 3, v4
	v_cmp_eq_u32_e32 vcc, 0, v7
	v_cndmask_b32_e32 v7, v7, v9, vcc
	v_cndmask_b32_e32 v4, v6, v4, vcc
	v_mov_b32_e32 v6, 0x37800000
	v_lshlrev_b32_e32 v4, 21, v4
	v_and_b32_e32 v3, 0x80000000, v3
	v_lshl_add_u32 v6, v7, 23, v6
	v_or3_b32 v3, v3, v6, v4
	v_cvt_i32_f32_e32 v3, v3
.LBB31_457:
	s_or_b64 exec, exec, s[0:1]
	s_mov_b64 s[0:1], 0
	s_branch .LBB31_463
.LBB31_458:
	s_mov_b64 s[8:9], -1
                                        ; implicit-def: $vgpr3
	s_branch .LBB31_469
.LBB31_459:
	s_andn2_saveexec_b64 s[0:1], s[0:1]
	s_cbranch_execz .LBB31_444
.LBB31_460:
	v_cmp_ne_u16_e32 vcc, 0, v4
	s_andn2_b64 s[8:9], s[8:9], exec
	s_and_b64 s[12:13], vcc, exec
	s_or_b64 s[8:9], s[8:9], s[12:13]
	s_or_b64 exec, exec, s[0:1]
	v_mov_b32_e32 v3, 0
	s_and_saveexec_b64 s[0:1], s[8:9]
	s_cbranch_execnz .LBB31_445
	s_branch .LBB31_446
.LBB31_461:
	s_mov_b64 s[0:1], -1
                                        ; implicit-def: $vgpr3
	s_branch .LBB31_466
.LBB31_462:
	s_mov_b64 s[0:1], -1
                                        ; implicit-def: $vgpr3
.LBB31_463:
	s_and_b64 vcc, exec, s[0:1]
	s_cbranch_vccz .LBB31_465
; %bb.464:
	global_load_ubyte v3, v[1:2], off
	s_mov_b32 s0, 0x7f800000
	s_waitcnt vmcnt(0)
	v_lshlrev_b32_e32 v3, 24, v3
	v_and_b32_e32 v4, 0x7f000000, v3
	v_ffbh_u32_e32 v6, v4
	v_min_u32_e32 v6, 32, v6
	v_sub_u32_e64 v6, v6, 4 clamp
	v_lshlrev_b32_e32 v9, v6, v4
	v_lshlrev_b32_e32 v6, 23, v6
	v_lshrrev_b32_e32 v9, 4, v9
	v_add_u32_e32 v7, 0x1000000, v4
	v_sub_u32_e32 v6, v9, v6
	v_ashrrev_i32_e32 v7, 8, v7
	v_add_u32_e32 v6, 0x3c000000, v6
	v_and_or_b32 v6, v7, s0, v6
	v_cmp_ne_u32_e32 vcc, 0, v4
	v_cndmask_b32_e32 v4, 0, v6, vcc
	s_brev_b32 s0, 1
	v_and_or_b32 v3, v3, s0, v4
	v_cvt_i32_f32_e32 v3, v3
.LBB31_465:
	s_mov_b64 s[0:1], 0
.LBB31_466:
	s_andn2_b64 vcc, exec, s[0:1]
	s_cbranch_vccnz .LBB31_468
; %bb.467:
	global_load_ubyte v3, v[1:2], off
	s_movk_i32 s0, 0x7f00
	s_brev_b32 s1, 16
	s_waitcnt vmcnt(0)
	v_lshlrev_b16_e32 v4, 8, v3
	v_lshlrev_b32_e32 v3, 25, v3
	v_lshrrev_b32_e32 v6, 4, v3
	v_and_or_b32 v7, v4, s0, 0.5
	v_or_b32_e32 v6, 0x70000000, v6
	v_add_f32_e32 v7, -0.5, v7
	v_mul_f32_e32 v6, 0x7800000, v6
	v_cmp_gt_u32_e32 vcc, s1, v3
	v_bfe_i32 v4, v4, 0, 16
	v_cndmask_b32_e32 v3, v6, v7, vcc
	s_brev_b32 s0, 1
	v_and_or_b32 v3, v4, s0, v3
	v_cvt_i32_f32_e32 v3, v3
.LBB31_468:
	s_mov_b64 s[8:9], 0
	s_mov_b64 s[0:1], -1
.LBB31_469:
	s_andn2_b64 vcc, exec, s[8:9]
	s_cbranch_vccnz .LBB31_482
; %bb.470:
	s_cmp_gt_i32 s11, 14
	s_cbranch_scc0 .LBB31_473
; %bb.471:
	s_cmp_eq_u32 s11, 15
	s_cbranch_scc0 .LBB31_476
; %bb.472:
	global_load_ushort v3, v[1:2], off
	s_mov_b64 s[0:1], -1
	s_mov_b64 s[2:3], 0
	s_waitcnt vmcnt(0)
	v_lshlrev_b32_e32 v3, 16, v3
	v_cvt_i32_f32_e32 v3, v3
	s_branch .LBB31_477
.LBB31_473:
	s_mov_b64 s[8:9], -1
                                        ; implicit-def: $vgpr3
	s_branch .LBB31_478
.LBB31_474:
	s_andn2_saveexec_b64 s[0:1], s[0:1]
	s_cbranch_execz .LBB31_455
.LBB31_475:
	v_cmp_ne_u16_e32 vcc, 0, v4
	s_andn2_b64 s[8:9], s[8:9], exec
	s_and_b64 s[12:13], vcc, exec
	s_or_b64 s[8:9], s[8:9], s[12:13]
	s_or_b64 exec, exec, s[0:1]
	v_mov_b32_e32 v3, 0
	s_and_saveexec_b64 s[0:1], s[8:9]
	s_cbranch_execnz .LBB31_456
	s_branch .LBB31_457
.LBB31_476:
	s_mov_b64 s[2:3], -1
                                        ; implicit-def: $vgpr3
.LBB31_477:
	s_mov_b64 s[8:9], 0
.LBB31_478:
	s_and_b64 vcc, exec, s[8:9]
	s_cbranch_vccz .LBB31_482
; %bb.479:
	s_cmp_eq_u32 s11, 11
	s_cbranch_scc0 .LBB31_481
; %bb.480:
	global_load_ubyte v3, v[1:2], off
	s_mov_b64 s[0:1], -1
	s_mov_b64 s[2:3], 0
	s_waitcnt vmcnt(0)
	v_cmp_ne_u16_e32 vcc, 0, v3
	v_cndmask_b32_e64 v3, 0, 1, vcc
	s_branch .LBB31_482
.LBB31_481:
	s_mov_b64 s[2:3], -1
                                        ; implicit-def: $vgpr3
.LBB31_482:
	s_branch .LBB31_289
.LBB31_483:
	s_and_b32 s8, 0xffff, s10
	s_cmp_lt_i32 s8, 5
	s_cbranch_scc1 .LBB31_488
; %bb.484:
	s_cmp_lt_i32 s8, 8
	s_cbranch_scc1 .LBB31_489
; %bb.485:
	;; [unrolled: 3-line block ×3, first 2 shown]
	s_cmp_gt_i32 s8, 9
	s_cbranch_scc0 .LBB31_491
; %bb.487:
	global_load_dwordx2 v[3:4], v[1:2], off
	s_mov_b64 s[0:1], 0
	s_waitcnt vmcnt(0)
	v_cvt_i32_f64_e32 v3, v[3:4]
	s_branch .LBB31_492
.LBB31_488:
	s_mov_b64 s[0:1], -1
                                        ; implicit-def: $vgpr3
	s_branch .LBB31_510
.LBB31_489:
	s_mov_b64 s[0:1], -1
                                        ; implicit-def: $vgpr3
	s_branch .LBB31_498
.LBB31_490:
	s_mov_b64 s[0:1], -1
                                        ; implicit-def: $vgpr3
	s_branch .LBB31_495
.LBB31_491:
	s_mov_b64 s[0:1], -1
                                        ; implicit-def: $vgpr3
.LBB31_492:
	s_andn2_b64 vcc, exec, s[0:1]
	s_cbranch_vccnz .LBB31_494
; %bb.493:
	global_load_dword v3, v[1:2], off
	s_waitcnt vmcnt(0)
	v_cvt_i32_f32_e32 v3, v3
.LBB31_494:
	s_mov_b64 s[0:1], 0
.LBB31_495:
	s_andn2_b64 vcc, exec, s[0:1]
	s_cbranch_vccnz .LBB31_497
; %bb.496:
	global_load_dword v3, v[1:2], off
	s_waitcnt vmcnt(0)
	v_cvt_i16_f16_e32 v3, v3
.LBB31_497:
	s_mov_b64 s[0:1], 0
.LBB31_498:
	s_andn2_b64 vcc, exec, s[0:1]
	s_cbranch_vccnz .LBB31_509
; %bb.499:
	s_cmp_lt_i32 s8, 6
	s_cbranch_scc1 .LBB31_502
; %bb.500:
	s_cmp_gt_i32 s8, 6
	s_cbranch_scc0 .LBB31_503
; %bb.501:
	global_load_dwordx2 v[3:4], v[1:2], off
	s_mov_b64 s[0:1], 0
	s_waitcnt vmcnt(0)
	v_cvt_i32_f64_e32 v3, v[3:4]
	s_branch .LBB31_504
.LBB31_502:
	s_mov_b64 s[0:1], -1
                                        ; implicit-def: $vgpr3
	s_branch .LBB31_507
.LBB31_503:
	s_mov_b64 s[0:1], -1
                                        ; implicit-def: $vgpr3
.LBB31_504:
	s_andn2_b64 vcc, exec, s[0:1]
	s_cbranch_vccnz .LBB31_506
; %bb.505:
	global_load_dword v3, v[1:2], off
	s_waitcnt vmcnt(0)
	v_cvt_i32_f32_e32 v3, v3
.LBB31_506:
	s_mov_b64 s[0:1], 0
.LBB31_507:
	s_andn2_b64 vcc, exec, s[0:1]
	s_cbranch_vccnz .LBB31_509
; %bb.508:
	global_load_ushort v3, v[1:2], off
	s_waitcnt vmcnt(0)
	v_cvt_i16_f16_e32 v3, v3
.LBB31_509:
	s_mov_b64 s[0:1], 0
.LBB31_510:
	s_andn2_b64 vcc, exec, s[0:1]
	s_cbranch_vccnz .LBB31_530
; %bb.511:
	s_cmp_lt_i32 s8, 2
	s_cbranch_scc1 .LBB31_515
; %bb.512:
	s_cmp_lt_i32 s8, 3
	s_cbranch_scc1 .LBB31_516
; %bb.513:
	s_cmp_gt_i32 s8, 3
	s_cbranch_scc0 .LBB31_517
; %bb.514:
	global_load_dwordx2 v[3:4], v[1:2], off
	s_mov_b64 s[0:1], 0
	s_branch .LBB31_518
.LBB31_515:
	s_mov_b64 s[0:1], -1
                                        ; implicit-def: $vgpr3
	s_branch .LBB31_524
.LBB31_516:
	s_mov_b64 s[0:1], -1
                                        ; implicit-def: $vgpr3
	s_branch .LBB31_521
.LBB31_517:
	s_mov_b64 s[0:1], -1
                                        ; implicit-def: $vgpr3
.LBB31_518:
	s_andn2_b64 vcc, exec, s[0:1]
	s_cbranch_vccnz .LBB31_520
; %bb.519:
	global_load_dword v3, v[1:2], off
.LBB31_520:
	s_mov_b64 s[0:1], 0
.LBB31_521:
	s_andn2_b64 vcc, exec, s[0:1]
	s_cbranch_vccnz .LBB31_523
; %bb.522:
	global_load_ushort v3, v[1:2], off
.LBB31_523:
	s_mov_b64 s[0:1], 0
.LBB31_524:
	s_andn2_b64 vcc, exec, s[0:1]
	s_cbranch_vccnz .LBB31_530
; %bb.525:
	s_cmp_gt_i32 s8, 0
	s_cbranch_scc0 .LBB31_527
; %bb.526:
	global_load_ubyte v3, v[1:2], off
	s_mov_b64 s[0:1], 0
	s_branch .LBB31_528
.LBB31_527:
	s_mov_b64 s[0:1], -1
                                        ; implicit-def: $vgpr3
.LBB31_528:
	s_andn2_b64 vcc, exec, s[0:1]
	s_cbranch_vccnz .LBB31_530
; %bb.529:
	global_load_ubyte v3, v[1:2], off
.LBB31_530:
	s_branch .LBB31_290
.LBB31_531:
	s_mov_b64 s[8:9], 0
	s_mov_b64 s[0:1], s[52:53]
.LBB31_532:
                                        ; implicit-def: $vgpr8
.LBB31_533:
	s_andn2_b64 s[10:11], s[52:53], exec
	s_and_b64 s[0:1], s[0:1], exec
	s_or_b64 s[60:61], s[10:11], s[0:1]
	s_andn2_b64 s[0:1], s[54:55], exec
	s_and_b64 s[2:3], s[2:3], exec
	s_or_b64 s[58:59], s[0:1], s[2:3]
	s_orn2_b64 s[0:1], s[8:9], exec
.LBB31_534:
	s_or_b64 exec, exec, s[62:63]
	s_mov_b64 s[2:3], 0
	s_mov_b64 s[8:9], 0
	;; [unrolled: 1-line block ×3, first 2 shown]
                                        ; implicit-def: $sgpr14
                                        ; implicit-def: $vgpr1_vgpr2
                                        ; implicit-def: $vgpr0
                                        ; implicit-def: $vgpr3
	s_and_saveexec_b64 s[62:63], s[0:1]
	s_cbranch_execz .LBB31_901
; %bb.535:
	v_cmp_gt_i32_e32 vcc, s70, v8
	s_mov_b64 s[2:3], -1
	s_mov_b64 s[66:67], s[58:59]
	s_mov_b64 s[68:69], s[60:61]
	s_and_saveexec_b64 s[64:65], vcc
	s_cbranch_execz .LBB31_805
; %bb.536:
	s_andn2_b64 vcc, exec, s[40:41]
	s_cbranch_vccnz .LBB31_541
; %bb.537:
	s_andn2_b64 vcc, exec, s[50:51]
	s_cbranch_vccnz .LBB31_542
; %bb.538:
	s_add_i32 s76, s75, 1
	s_cmp_eq_u32 s72, 2
	s_cbranch_scc1 .LBB31_543
; %bb.539:
	s_and_b32 s71, s76, 28
	v_mov_b32_e32 v2, 0
	s_mov_b32 s77, 0
	s_mov_b64 s[66:67], s[34:35]
	s_mov_b64 s[68:69], s[48:49]
	v_mov_b32_e32 v0, 0
	v_mov_b32_e32 v1, v8
.LBB31_540:                             ; =>This Inner Loop Header: Depth=1
	s_load_dwordx8 s[16:23], s[66:67], 0x4
	s_load_dwordx4 s[0:3], s[66:67], 0x24
	s_load_dwordx8 s[8:15], s[68:69], 0x0
	s_add_u32 s66, s66, 48
	s_addc_u32 s67, s67, 0
	s_waitcnt vmcnt(0) lgkmcnt(0)
	v_mul_hi_u32 v3, s17, v1
	s_add_i32 s77, s77, 4
	s_add_u32 s68, s68, 32
	s_addc_u32 s69, s69, 0
	v_add_u32_e32 v3, v1, v3
	v_lshrrev_b32_e32 v3, s18, v3
	v_mul_lo_u32 v4, v3, s16
	v_mul_hi_u32 v6, s20, v3
	s_cmp_eq_u32 s71, s77
	v_sub_u32_e32 v1, v1, v4
	v_add_u32_e32 v4, v3, v6
	v_mul_lo_u32 v6, v1, s8
	v_mul_lo_u32 v7, v1, s9
	v_lshrrev_b32_e32 v1, s21, v4
	v_mul_lo_u32 v4, v1, s19
	v_mul_hi_u32 v9, s23, v1
	v_sub_u32_e32 v3, v3, v4
	v_add_u32_e32 v4, v1, v9
	v_lshrrev_b32_e32 v4, s0, v4
	v_mul_hi_u32 v10, s2, v4
	v_mul_lo_u32 v11, v4, s22
	v_mul_lo_u32 v9, v3, s10
	;; [unrolled: 1-line block ×3, first 2 shown]
	v_sub_u32_e32 v11, v1, v11
	v_add_u32_e32 v1, v4, v10
	v_lshrrev_b32_e32 v1, s3, v1
	v_mul_lo_u32 v10, v1, s1
	v_mul_lo_u32 v12, v11, s12
	;; [unrolled: 1-line block ×3, first 2 shown]
	v_add3_u32 v0, v6, v0, v9
	v_sub_u32_e32 v4, v4, v10
	v_mul_lo_u32 v10, v4, s14
	v_mul_lo_u32 v4, v4, s15
	v_add3_u32 v2, v7, v2, v3
	v_add3_u32 v0, v12, v0, v10
	;; [unrolled: 1-line block ×3, first 2 shown]
	s_cbranch_scc0 .LBB31_540
	s_branch .LBB31_544
.LBB31_541:
	s_mov_b64 s[0:1], -1
                                        ; implicit-def: $vgpr0
                                        ; implicit-def: $vgpr2
	s_branch .LBB31_548
.LBB31_542:
	v_mov_b32_e32 v0, 0
	v_mov_b32_e32 v2, 0
	s_branch .LBB31_547
.LBB31_543:
	s_mov_b32 s71, 0
	v_mov_b32_e32 v0, 0
	v_mov_b32_e32 v2, 0
	;; [unrolled: 1-line block ×3, first 2 shown]
.LBB31_544:
	s_and_b32 s8, s76, 3
	s_cmp_eq_u32 s8, 0
	s_cbranch_scc1 .LBB31_547
; %bb.545:
	s_lshl_b32 s0, s71, 3
	s_add_u32 s0, s34, s0
	s_addc_u32 s1, s35, 0
	s_add_u32 s0, s0, 0xc4
	s_addc_u32 s1, s1, 0
	s_mul_i32 s2, s71, 12
	s_add_u32 s2, s34, s2
	s_addc_u32 s3, s35, 0
.LBB31_546:                             ; =>This Inner Loop Header: Depth=1
	s_load_dwordx2 s[10:11], s[2:3], 0x4
	s_load_dword s9, s[2:3], 0xc
	s_load_dwordx2 s[12:13], s[0:1], 0x0
	s_add_u32 s2, s2, 12
	s_addc_u32 s3, s3, 0
	s_waitcnt vmcnt(0) lgkmcnt(0)
	v_mul_hi_u32 v3, s11, v1
	s_add_u32 s0, s0, 8
	s_addc_u32 s1, s1, 0
	s_add_i32 s8, s8, -1
	v_add_u32_e32 v3, v1, v3
	v_lshrrev_b32_e32 v4, s9, v3
	v_mul_lo_u32 v3, v4, s10
	s_cmp_lg_u32 s8, 0
	v_sub_u32_e32 v3, v1, v3
	v_mad_u64_u32 v[0:1], s[10:11], v3, s12, v[0:1]
	v_mad_u64_u32 v[2:3], s[10:11], v3, s13, v[2:3]
	v_mov_b32_e32 v1, v4
	s_cbranch_scc1 .LBB31_546
.LBB31_547:
	s_mov_b64 s[0:1], 0
.LBB31_548:
	s_andn2_b64 vcc, exec, s[0:1]
	s_cbranch_vccnz .LBB31_551
; %bb.549:
	s_waitcnt lgkmcnt(0)
	v_mul_hi_u32 v0, s37, v8
	s_andn2_b64 vcc, exec, s[46:47]
	v_add_u32_e32 v0, v8, v0
	v_lshrrev_b32_e32 v1, s38, v0
	v_mul_lo_u32 v0, v1, s36
	v_sub_u32_e32 v2, v8, v0
	v_mul_lo_u32 v0, v2, s28
	v_mul_lo_u32 v2, v2, s29
	s_cbranch_vccnz .LBB31_551
; %bb.550:
	s_waitcnt vmcnt(0)
	v_mul_hi_u32 v3, s44, v1
	v_add_u32_e32 v3, v1, v3
	v_lshrrev_b32_e32 v3, s45, v3
	v_mul_lo_u32 v3, v3, s39
	v_sub_u32_e32 v3, v1, v3
	v_mad_u64_u32 v[0:1], s[0:1], v3, s30, v[0:1]
	v_mad_u64_u32 v[2:3], s[0:1], v3, s31, v[2:3]
.LBB31_551:
	s_waitcnt vmcnt(0) lgkmcnt(0)
	v_mov_b32_e32 v3, s27
	s_and_b32 s10, s74, 0xff
	v_add_co_u32_e32 v1, vcc, s26, v2
	s_cmp_lt_i32 s10, 11
	v_addc_co_u32_e32 v2, vcc, 0, v3, vcc
	s_cbranch_scc1 .LBB31_558
; %bb.552:
	s_and_b32 s11, 0xffff, s10
	s_cmp_gt_i32 s11, 25
	s_cbranch_scc0 .LBB31_559
; %bb.553:
	s_cmp_gt_i32 s11, 28
	s_cbranch_scc0 .LBB31_560
; %bb.554:
	;; [unrolled: 3-line block ×4, first 2 shown]
	s_cmp_eq_u32 s11, 46
	s_mov_b64 s[8:9], 0
	s_cbranch_scc0 .LBB31_567
; %bb.557:
	global_load_dword v3, v[1:2], off
	s_mov_b64 s[0:1], -1
	s_mov_b64 s[2:3], 0
	s_waitcnt vmcnt(0)
	v_lshlrev_b32_e32 v3, 16, v3
	v_cvt_i32_f32_e32 v3, v3
	s_branch .LBB31_568
.LBB31_558:
	s_mov_b64 s[8:9], -1
	s_mov_b64 s[0:1], 0
                                        ; implicit-def: $vgpr3
	s_mov_b64 s[2:3], s[58:59]
	s_branch .LBB31_629
.LBB31_559:
	s_mov_b64 s[8:9], -1
	s_mov_b64 s[0:1], 0
	s_mov_b64 s[2:3], s[58:59]
                                        ; implicit-def: $vgpr3
	s_branch .LBB31_595
.LBB31_560:
	s_mov_b64 s[8:9], -1
	s_mov_b64 s[0:1], 0
	s_mov_b64 s[2:3], s[58:59]
                                        ; implicit-def: $vgpr3
	s_branch .LBB31_578
.LBB31_561:
	s_mov_b64 s[8:9], -1
	s_mov_b64 s[0:1], 0
	s_mov_b64 s[2:3], s[58:59]
                                        ; implicit-def: $vgpr3
	s_branch .LBB31_573
.LBB31_562:
	s_andn2_saveexec_b64 s[12:13], s[12:13]
	s_cbranch_execz .LBB31_335
.LBB31_563:
	s_mov_b32 s15, 0x46000000
	v_add_f32_e64 v4, |v3|, s15
	v_and_b32_e32 v4, 0xff, v4
	v_cmp_ne_u32_e32 vcc, 0, v4
	s_andn2_b64 s[10:11], s[10:11], exec
	s_and_b64 s[16:17], vcc, exec
	s_or_b64 s[10:11], s[10:11], s[16:17]
	s_or_b64 exec, exec, s[12:13]
	v_mov_b32_e32 v6, 0
	s_and_saveexec_b64 s[12:13], s[10:11]
	s_cbranch_execnz .LBB31_336
	s_branch .LBB31_337
.LBB31_564:
	s_mov_b64 s[8:9], -1
	s_mov_b64 s[0:1], 0
	s_mov_b64 s[2:3], s[58:59]
                                        ; implicit-def: $vgpr3
	s_branch .LBB31_568
.LBB31_565:
	s_andn2_saveexec_b64 s[12:13], s[12:13]
	s_cbranch_execz .LBB31_348
.LBB31_566:
	s_mov_b32 s15, 0x42800000
	v_add_f32_e64 v4, |v3|, s15
	v_and_b32_e32 v4, 0xff, v4
	v_cmp_ne_u32_e32 vcc, 0, v4
	s_andn2_b64 s[10:11], s[10:11], exec
	s_and_b64 s[16:17], vcc, exec
	s_or_b64 s[10:11], s[10:11], s[16:17]
	s_or_b64 exec, exec, s[12:13]
	v_mov_b32_e32 v6, 0
	s_and_saveexec_b64 s[12:13], s[10:11]
	s_cbranch_execnz .LBB31_349
	s_branch .LBB31_350
.LBB31_567:
	s_mov_b64 s[2:3], -1
                                        ; implicit-def: $vgpr3
	s_mov_b64 s[0:1], 0
.LBB31_568:
	s_and_b64 vcc, exec, s[8:9]
	s_cbranch_vccz .LBB31_572
; %bb.569:
	s_cmp_eq_u32 s11, 44
	s_cbranch_scc0 .LBB31_571
; %bb.570:
	global_load_ubyte v3, v[1:2], off
	s_mov_b64 s[0:1], -1
	s_mov_b64 s[2:3], 0
	s_waitcnt vmcnt(0)
	v_lshlrev_b32_e32 v4, 23, v3
	v_cvt_i32_f32_e32 v4, v4
	v_cmp_ne_u32_e32 vcc, 0, v3
	v_cndmask_b32_e32 v3, 0, v4, vcc
	s_branch .LBB31_572
.LBB31_571:
	s_mov_b64 s[2:3], -1
                                        ; implicit-def: $vgpr3
.LBB31_572:
	s_mov_b64 s[8:9], 0
.LBB31_573:
	s_and_b64 vcc, exec, s[8:9]
	s_cbranch_vccz .LBB31_577
; %bb.574:
	s_cmp_eq_u32 s11, 29
	s_cbranch_scc0 .LBB31_576
; %bb.575:
	global_load_dwordx2 v[3:4], v[1:2], off
	s_mov_b64 s[0:1], -1
	s_mov_b64 s[2:3], 0
	s_branch .LBB31_577
.LBB31_576:
	s_mov_b64 s[2:3], -1
                                        ; implicit-def: $vgpr3
.LBB31_577:
	s_mov_b64 s[8:9], 0
.LBB31_578:
	s_and_b64 vcc, exec, s[8:9]
	s_cbranch_vccz .LBB31_594
; %bb.579:
	s_cmp_lt_i32 s11, 27
	s_cbranch_scc1 .LBB31_582
; %bb.580:
	s_cmp_gt_i32 s11, 27
	s_cbranch_scc0 .LBB31_583
; %bb.581:
	global_load_dword v3, v[1:2], off
	s_mov_b64 s[0:1], 0
	s_branch .LBB31_584
.LBB31_582:
	s_mov_b64 s[0:1], -1
                                        ; implicit-def: $vgpr3
	s_branch .LBB31_587
.LBB31_583:
	s_mov_b64 s[0:1], -1
                                        ; implicit-def: $vgpr3
.LBB31_584:
	s_andn2_b64 vcc, exec, s[0:1]
	s_cbranch_vccnz .LBB31_586
; %bb.585:
	global_load_ushort v3, v[1:2], off
.LBB31_586:
	s_mov_b64 s[0:1], 0
.LBB31_587:
	s_andn2_b64 vcc, exec, s[0:1]
	s_cbranch_vccnz .LBB31_593
; %bb.588:
	global_load_ubyte v4, v[1:2], off
	s_movk_i32 s0, 0x7f
	s_mov_b64 s[8:9], 0
	s_waitcnt vmcnt(0)
	v_cmp_lt_i16_e32 vcc, s0, v4
	s_and_saveexec_b64 s[0:1], vcc
	s_xor_b64 s[0:1], exec, s[0:1]
	s_cbranch_execz .LBB31_605
; %bb.589:
	s_movk_i32 s8, 0x80
	v_cmp_ne_u16_e32 vcc, s8, v4
	s_and_b64 s[8:9], vcc, exec
	s_andn2_saveexec_b64 s[0:1], s[0:1]
	s_cbranch_execnz .LBB31_606
.LBB31_590:
	s_or_b64 exec, exec, s[0:1]
	v_mov_b32_e32 v3, 0
	s_and_saveexec_b64 s[0:1], s[8:9]
	s_cbranch_execz .LBB31_592
.LBB31_591:
	v_lshlrev_b32_e32 v3, 24, v4
	v_and_b32_e32 v4, 0xffff, v4
	v_and_b32_e32 v6, 7, v4
	v_ffbh_u32_e32 v9, v6
	v_min_u32_e32 v9, 32, v9
	v_subrev_u32_e32 v10, 28, v9
	v_bfe_u32 v7, v4, 3, 4
	v_lshlrev_b32_e32 v4, v10, v4
	v_sub_u32_e32 v9, 29, v9
	v_and_b32_e32 v4, 7, v4
	v_cmp_eq_u32_e32 vcc, 0, v7
	v_cndmask_b32_e32 v7, v7, v9, vcc
	v_cndmask_b32_e32 v4, v6, v4, vcc
	v_mov_b32_e32 v6, 0x3b800000
	v_lshlrev_b32_e32 v4, 20, v4
	v_and_b32_e32 v3, 0x80000000, v3
	v_lshl_add_u32 v6, v7, 23, v6
	v_or3_b32 v3, v3, v6, v4
	v_cvt_i32_f32_e32 v3, v3
.LBB31_592:
	s_or_b64 exec, exec, s[0:1]
.LBB31_593:
	s_mov_b64 s[0:1], -1
.LBB31_594:
	s_mov_b64 s[8:9], 0
.LBB31_595:
	s_and_b64 vcc, exec, s[8:9]
	s_cbranch_vccz .LBB31_628
; %bb.596:
	s_cmp_gt_i32 s11, 22
	s_cbranch_scc0 .LBB31_604
; %bb.597:
	s_cmp_lt_i32 s11, 24
	s_cbranch_scc1 .LBB31_607
; %bb.598:
	s_cmp_gt_i32 s11, 24
	s_cbranch_scc0 .LBB31_608
; %bb.599:
	global_load_ubyte v4, v[1:2], off
	s_movk_i32 s0, 0x7f
	s_mov_b64 s[8:9], 0
	s_waitcnt vmcnt(0)
	v_cmp_lt_i16_e32 vcc, s0, v4
	s_and_saveexec_b64 s[0:1], vcc
	s_xor_b64 s[0:1], exec, s[0:1]
	s_cbranch_execz .LBB31_620
; %bb.600:
	s_movk_i32 s8, 0x80
	v_cmp_ne_u16_e32 vcc, s8, v4
	s_and_b64 s[8:9], vcc, exec
	s_andn2_saveexec_b64 s[0:1], s[0:1]
	s_cbranch_execnz .LBB31_621
.LBB31_601:
	s_or_b64 exec, exec, s[0:1]
	v_mov_b32_e32 v3, 0
	s_and_saveexec_b64 s[0:1], s[8:9]
	s_cbranch_execz .LBB31_603
.LBB31_602:
	v_lshlrev_b32_e32 v3, 24, v4
	v_and_b32_e32 v4, 0xffff, v4
	v_and_b32_e32 v6, 3, v4
	v_ffbh_u32_e32 v9, v6
	v_min_u32_e32 v9, 32, v9
	v_subrev_u32_e32 v10, 29, v9
	v_bfe_u32 v7, v4, 2, 5
	v_lshlrev_b32_e32 v4, v10, v4
	v_sub_u32_e32 v9, 30, v9
	v_and_b32_e32 v4, 3, v4
	v_cmp_eq_u32_e32 vcc, 0, v7
	v_cndmask_b32_e32 v7, v7, v9, vcc
	v_cndmask_b32_e32 v4, v6, v4, vcc
	v_mov_b32_e32 v6, 0x37800000
	v_lshlrev_b32_e32 v4, 21, v4
	v_and_b32_e32 v3, 0x80000000, v3
	v_lshl_add_u32 v6, v7, 23, v6
	v_or3_b32 v3, v3, v6, v4
	v_cvt_i32_f32_e32 v3, v3
.LBB31_603:
	s_or_b64 exec, exec, s[0:1]
	s_mov_b64 s[0:1], 0
	s_branch .LBB31_609
.LBB31_604:
	s_mov_b64 s[8:9], -1
                                        ; implicit-def: $vgpr3
	s_branch .LBB31_615
.LBB31_605:
	s_andn2_saveexec_b64 s[0:1], s[0:1]
	s_cbranch_execz .LBB31_590
.LBB31_606:
	v_cmp_ne_u16_e32 vcc, 0, v4
	s_andn2_b64 s[8:9], s[8:9], exec
	s_and_b64 s[12:13], vcc, exec
	s_or_b64 s[8:9], s[8:9], s[12:13]
	s_or_b64 exec, exec, s[0:1]
	v_mov_b32_e32 v3, 0
	s_and_saveexec_b64 s[0:1], s[8:9]
	s_cbranch_execnz .LBB31_591
	s_branch .LBB31_592
.LBB31_607:
	s_mov_b64 s[0:1], -1
                                        ; implicit-def: $vgpr3
	s_branch .LBB31_612
.LBB31_608:
	s_mov_b64 s[0:1], -1
                                        ; implicit-def: $vgpr3
.LBB31_609:
	s_and_b64 vcc, exec, s[0:1]
	s_cbranch_vccz .LBB31_611
; %bb.610:
	global_load_ubyte v3, v[1:2], off
	s_mov_b32 s0, 0x7f800000
	s_waitcnt vmcnt(0)
	v_lshlrev_b32_e32 v3, 24, v3
	v_and_b32_e32 v4, 0x7f000000, v3
	v_ffbh_u32_e32 v6, v4
	v_min_u32_e32 v6, 32, v6
	v_sub_u32_e64 v6, v6, 4 clamp
	v_lshlrev_b32_e32 v9, v6, v4
	v_lshlrev_b32_e32 v6, 23, v6
	v_lshrrev_b32_e32 v9, 4, v9
	v_add_u32_e32 v7, 0x1000000, v4
	v_sub_u32_e32 v6, v9, v6
	v_ashrrev_i32_e32 v7, 8, v7
	v_add_u32_e32 v6, 0x3c000000, v6
	v_and_or_b32 v6, v7, s0, v6
	v_cmp_ne_u32_e32 vcc, 0, v4
	v_cndmask_b32_e32 v4, 0, v6, vcc
	s_brev_b32 s0, 1
	v_and_or_b32 v3, v3, s0, v4
	v_cvt_i32_f32_e32 v3, v3
.LBB31_611:
	s_mov_b64 s[0:1], 0
.LBB31_612:
	s_andn2_b64 vcc, exec, s[0:1]
	s_cbranch_vccnz .LBB31_614
; %bb.613:
	global_load_ubyte v3, v[1:2], off
	s_movk_i32 s0, 0x7f00
	s_brev_b32 s1, 16
	s_waitcnt vmcnt(0)
	v_lshlrev_b16_e32 v4, 8, v3
	v_lshlrev_b32_e32 v3, 25, v3
	v_lshrrev_b32_e32 v6, 4, v3
	v_and_or_b32 v7, v4, s0, 0.5
	v_or_b32_e32 v6, 0x70000000, v6
	v_add_f32_e32 v7, -0.5, v7
	v_mul_f32_e32 v6, 0x7800000, v6
	v_cmp_gt_u32_e32 vcc, s1, v3
	v_bfe_i32 v4, v4, 0, 16
	v_cndmask_b32_e32 v3, v6, v7, vcc
	s_brev_b32 s0, 1
	v_and_or_b32 v3, v4, s0, v3
	v_cvt_i32_f32_e32 v3, v3
.LBB31_614:
	s_mov_b64 s[8:9], 0
	s_mov_b64 s[0:1], -1
.LBB31_615:
	s_andn2_b64 vcc, exec, s[8:9]
	s_cbranch_vccnz .LBB31_628
; %bb.616:
	s_cmp_gt_i32 s11, 14
	s_cbranch_scc0 .LBB31_619
; %bb.617:
	s_cmp_eq_u32 s11, 15
	s_cbranch_scc0 .LBB31_622
; %bb.618:
	global_load_ushort v3, v[1:2], off
	s_mov_b64 s[0:1], -1
	s_mov_b64 s[2:3], 0
	s_waitcnt vmcnt(0)
	v_lshlrev_b32_e32 v3, 16, v3
	v_cvt_i32_f32_e32 v3, v3
	s_branch .LBB31_623
.LBB31_619:
	s_mov_b64 s[8:9], -1
                                        ; implicit-def: $vgpr3
	s_branch .LBB31_624
.LBB31_620:
	s_andn2_saveexec_b64 s[0:1], s[0:1]
	s_cbranch_execz .LBB31_601
.LBB31_621:
	v_cmp_ne_u16_e32 vcc, 0, v4
	s_andn2_b64 s[8:9], s[8:9], exec
	s_and_b64 s[12:13], vcc, exec
	s_or_b64 s[8:9], s[8:9], s[12:13]
	s_or_b64 exec, exec, s[0:1]
	v_mov_b32_e32 v3, 0
	s_and_saveexec_b64 s[0:1], s[8:9]
	s_cbranch_execnz .LBB31_602
	s_branch .LBB31_603
.LBB31_622:
	s_mov_b64 s[2:3], -1
                                        ; implicit-def: $vgpr3
.LBB31_623:
	s_mov_b64 s[8:9], 0
.LBB31_624:
	s_and_b64 vcc, exec, s[8:9]
	s_cbranch_vccz .LBB31_628
; %bb.625:
	s_cmp_eq_u32 s11, 11
	s_cbranch_scc0 .LBB31_627
; %bb.626:
	global_load_ubyte v3, v[1:2], off
	s_mov_b64 s[0:1], -1
	s_mov_b64 s[2:3], 0
	s_waitcnt vmcnt(0)
	v_cmp_ne_u16_e32 vcc, 0, v3
	v_cndmask_b32_e64 v3, 0, 1, vcc
	s_branch .LBB31_628
.LBB31_627:
	s_mov_b64 s[2:3], -1
                                        ; implicit-def: $vgpr3
.LBB31_628:
	s_mov_b64 s[8:9], 0
.LBB31_629:
	s_and_b64 vcc, exec, s[8:9]
	s_cbranch_vccz .LBB31_678
; %bb.630:
	s_and_b32 s8, 0xffff, s10
	s_cmp_lt_i32 s8, 5
	s_cbranch_scc1 .LBB31_635
; %bb.631:
	s_cmp_lt_i32 s8, 8
	s_cbranch_scc1 .LBB31_636
; %bb.632:
	;; [unrolled: 3-line block ×3, first 2 shown]
	s_cmp_gt_i32 s8, 9
	s_cbranch_scc0 .LBB31_638
; %bb.634:
	global_load_dwordx2 v[3:4], v[1:2], off
	s_mov_b64 s[0:1], 0
	s_waitcnt vmcnt(0)
	v_cvt_i32_f64_e32 v3, v[3:4]
	s_branch .LBB31_639
.LBB31_635:
	s_mov_b64 s[0:1], -1
                                        ; implicit-def: $vgpr3
	s_branch .LBB31_657
.LBB31_636:
	s_mov_b64 s[0:1], -1
                                        ; implicit-def: $vgpr3
	s_branch .LBB31_645
.LBB31_637:
	s_mov_b64 s[0:1], -1
                                        ; implicit-def: $vgpr3
	s_branch .LBB31_642
.LBB31_638:
	s_mov_b64 s[0:1], -1
                                        ; implicit-def: $vgpr3
.LBB31_639:
	s_andn2_b64 vcc, exec, s[0:1]
	s_cbranch_vccnz .LBB31_641
; %bb.640:
	global_load_dword v3, v[1:2], off
	s_waitcnt vmcnt(0)
	v_cvt_i32_f32_e32 v3, v3
.LBB31_641:
	s_mov_b64 s[0:1], 0
.LBB31_642:
	s_andn2_b64 vcc, exec, s[0:1]
	s_cbranch_vccnz .LBB31_644
; %bb.643:
	global_load_dword v3, v[1:2], off
	s_waitcnt vmcnt(0)
	v_cvt_i16_f16_e32 v3, v3
.LBB31_644:
	s_mov_b64 s[0:1], 0
.LBB31_645:
	s_andn2_b64 vcc, exec, s[0:1]
	s_cbranch_vccnz .LBB31_656
; %bb.646:
	s_cmp_lt_i32 s8, 6
	s_cbranch_scc1 .LBB31_649
; %bb.647:
	s_cmp_gt_i32 s8, 6
	s_cbranch_scc0 .LBB31_650
; %bb.648:
	global_load_dwordx2 v[3:4], v[1:2], off
	s_mov_b64 s[0:1], 0
	s_waitcnt vmcnt(0)
	v_cvt_i32_f64_e32 v3, v[3:4]
	s_branch .LBB31_651
.LBB31_649:
	s_mov_b64 s[0:1], -1
                                        ; implicit-def: $vgpr3
	s_branch .LBB31_654
.LBB31_650:
	s_mov_b64 s[0:1], -1
                                        ; implicit-def: $vgpr3
.LBB31_651:
	s_andn2_b64 vcc, exec, s[0:1]
	s_cbranch_vccnz .LBB31_653
; %bb.652:
	global_load_dword v3, v[1:2], off
	s_waitcnt vmcnt(0)
	v_cvt_i32_f32_e32 v3, v3
.LBB31_653:
	s_mov_b64 s[0:1], 0
.LBB31_654:
	s_andn2_b64 vcc, exec, s[0:1]
	s_cbranch_vccnz .LBB31_656
; %bb.655:
	global_load_ushort v3, v[1:2], off
	s_waitcnt vmcnt(0)
	v_cvt_i16_f16_e32 v3, v3
.LBB31_656:
	s_mov_b64 s[0:1], 0
.LBB31_657:
	s_andn2_b64 vcc, exec, s[0:1]
	s_cbranch_vccnz .LBB31_677
; %bb.658:
	s_cmp_lt_i32 s8, 2
	s_cbranch_scc1 .LBB31_662
; %bb.659:
	s_cmp_lt_i32 s8, 3
	s_cbranch_scc1 .LBB31_663
; %bb.660:
	s_cmp_gt_i32 s8, 3
	s_cbranch_scc0 .LBB31_664
; %bb.661:
	global_load_dwordx2 v[3:4], v[1:2], off
	s_mov_b64 s[0:1], 0
	s_branch .LBB31_665
.LBB31_662:
	s_mov_b64 s[0:1], -1
                                        ; implicit-def: $vgpr3
	s_branch .LBB31_671
.LBB31_663:
	s_mov_b64 s[0:1], -1
                                        ; implicit-def: $vgpr3
	s_branch .LBB31_668
.LBB31_664:
	s_mov_b64 s[0:1], -1
                                        ; implicit-def: $vgpr3
.LBB31_665:
	s_andn2_b64 vcc, exec, s[0:1]
	s_cbranch_vccnz .LBB31_667
; %bb.666:
	global_load_dword v3, v[1:2], off
.LBB31_667:
	s_mov_b64 s[0:1], 0
.LBB31_668:
	s_andn2_b64 vcc, exec, s[0:1]
	s_cbranch_vccnz .LBB31_670
; %bb.669:
	global_load_ushort v3, v[1:2], off
.LBB31_670:
	s_mov_b64 s[0:1], 0
.LBB31_671:
	s_andn2_b64 vcc, exec, s[0:1]
	s_cbranch_vccnz .LBB31_677
; %bb.672:
	s_cmp_gt_i32 s8, 0
	s_cbranch_scc0 .LBB31_674
; %bb.673:
	global_load_ubyte v3, v[1:2], off
	s_mov_b64 s[0:1], 0
	s_branch .LBB31_675
.LBB31_674:
	s_mov_b64 s[0:1], -1
                                        ; implicit-def: $vgpr3
.LBB31_675:
	s_andn2_b64 vcc, exec, s[0:1]
	s_cbranch_vccnz .LBB31_677
; %bb.676:
	global_load_ubyte v3, v[1:2], off
.LBB31_677:
	s_mov_b64 s[0:1], -1
.LBB31_678:
	s_andn2_b64 vcc, exec, s[0:1]
	s_cbranch_vccnz .LBB31_686
; %bb.679:
	v_mov_b32_e32 v2, 8
	s_waitcnt vmcnt(0)
	v_lshlrev_b32_sdwa v1, v3, v5 dst_sel:DWORD dst_unused:UNUSED_PAD src0_sel:DWORD src1_sel:BYTE_0
	v_cmp_lt_u16_sdwa vcc, v3, v2 src0_sel:BYTE_0 src1_sel:DWORD
	v_cndmask_b32_e32 v2, 0, v1, vcc
	v_mov_b32_e32 v1, s25
	s_and_b32 s14, 0xffff, s73
	v_add_co_u32_e32 v0, vcc, s24, v0
	s_cmp_lt_i32 s14, 11
	v_addc_co_u32_e32 v1, vcc, 0, v1, vcc
	s_cbranch_scc1 .LBB31_687
; %bb.680:
	s_cmp_gt_i32 s14, 25
	s_cbranch_scc0 .LBB31_688
; %bb.681:
	s_cmp_gt_i32 s14, 28
	s_cbranch_scc0 .LBB31_689
	;; [unrolled: 3-line block ×4, first 2 shown]
; %bb.684:
	s_mov_b64 s[10:11], 0
	s_mov_b64 s[0:1], -1
	s_cmp_eq_u32 s14, 46
	s_mov_b64 s[8:9], 0
	s_cbranch_scc0 .LBB31_692
; %bb.685:
	v_bfe_i32 v3, v2, 0, 8
	v_cvt_f32_i32_sdwa v3, sext(v3) dst_sel:DWORD dst_unused:UNUSED_PAD src0_sel:WORD_0
	s_movk_i32 s0, 0x7fff
	s_mov_b64 s[8:9], -1
	v_bfe_u32 v4, v3, 16, 1
	v_add3_u32 v3, v3, v4, s0
	v_lshrrev_b32_e32 v3, 16, v3
	global_store_dword v[0:1], v3, off
	s_mov_b64 s[0:1], 0
	s_branch .LBB31_692
.LBB31_686:
	s_mov_b64 s[8:9], 0
	s_mov_b64 s[0:1], s[60:61]
	s_branch .LBB31_803
.LBB31_687:
	s_mov_b64 s[10:11], -1
	s_mov_b64 s[8:9], 0
	s_mov_b64 s[0:1], s[60:61]
	s_branch .LBB31_761
.LBB31_688:
	s_mov_b64 s[10:11], -1
	s_mov_b64 s[8:9], 0
	s_mov_b64 s[0:1], s[60:61]
	s_branch .LBB31_719
.LBB31_689:
	s_mov_b64 s[10:11], -1
	s_mov_b64 s[8:9], 0
	s_mov_b64 s[0:1], s[60:61]
	s_branch .LBB31_702
.LBB31_690:
	s_mov_b64 s[10:11], -1
	s_mov_b64 s[8:9], 0
	s_mov_b64 s[0:1], s[60:61]
	s_branch .LBB31_698
.LBB31_691:
	s_mov_b64 s[10:11], -1
	s_mov_b64 s[8:9], 0
	s_mov_b64 s[0:1], s[60:61]
.LBB31_692:
	s_and_b64 vcc, exec, s[10:11]
	s_cbranch_vccz .LBB31_697
; %bb.693:
	s_cmp_eq_u32 s14, 44
	s_mov_b64 s[0:1], -1
	s_cbranch_scc0 .LBB31_697
; %bb.694:
	v_bfe_i32 v3, v2, 0, 8
	v_cvt_f32_i32_sdwa v3, sext(v3) dst_sel:DWORD dst_unused:UNUSED_PAD src0_sel:WORD_0
	s_movk_i32 s0, 0xff
	v_mov_b32_e32 v6, 0xff
	v_bfe_u32 v4, v3, 23, 8
	v_cmp_ne_u32_e32 vcc, s0, v4
	s_and_saveexec_b64 s[8:9], vcc
; %bb.695:
	s_mov_b32 s0, 0x3fffff
	v_lshrrev_b32_e32 v6, 23, v3
	v_and_b32_e32 v7, 0x400000, v3
	v_and_or_b32 v3, v3, s0, v4
	v_cmp_ne_u32_e32 vcc, 0, v7
	v_cmp_ne_u32_e64 s[0:1], 0, v3
	s_and_b64 s[0:1], vcc, s[0:1]
	v_cndmask_b32_e64 v3, 0, 1, s[0:1]
	v_add_u32_e32 v6, v6, v3
; %bb.696:
	s_or_b64 exec, exec, s[8:9]
	s_mov_b64 s[8:9], -1
	s_mov_b64 s[0:1], 0
	global_store_byte v[0:1], v6, off
.LBB31_697:
	s_mov_b64 s[10:11], 0
.LBB31_698:
	s_and_b64 vcc, exec, s[10:11]
	s_cbranch_vccz .LBB31_701
; %bb.699:
	s_cmp_eq_u32 s14, 29
	s_mov_b64 s[0:1], -1
	s_cbranch_scc0 .LBB31_701
; %bb.700:
	v_bfe_i32 v3, v2, 0, 8
	v_ashrrev_i32_e32 v4, 31, v3
	global_store_dwordx2 v[0:1], v[3:4], off
	s_mov_b64 s[8:9], -1
	s_mov_b64 s[0:1], 0
.LBB31_701:
	s_mov_b64 s[10:11], 0
.LBB31_702:
	s_and_b64 vcc, exec, s[10:11]
	s_cbranch_vccz .LBB31_718
; %bb.703:
	s_cmp_lt_i32 s14, 27
	s_mov_b64 s[8:9], -1
	s_cbranch_scc1 .LBB31_709
; %bb.704:
	s_cmp_gt_i32 s14, 27
	s_cbranch_scc0 .LBB31_706
; %bb.705:
	v_bfe_i32 v3, v2, 0, 8
	s_mov_b64 s[8:9], 0
	global_store_dword v[0:1], v3, off
.LBB31_706:
	s_andn2_b64 vcc, exec, s[8:9]
	s_cbranch_vccnz .LBB31_708
; %bb.707:
	v_bfe_i32 v3, v2, 0, 8
	global_store_short v[0:1], v3, off
.LBB31_708:
	s_mov_b64 s[8:9], 0
.LBB31_709:
	s_andn2_b64 vcc, exec, s[8:9]
	s_cbranch_vccnz .LBB31_717
; %bb.710:
	v_bfe_i32 v3, v2, 0, 8
	v_cvt_f32_i32_sdwa v3, sext(v3) dst_sel:DWORD dst_unused:UNUSED_PAD src0_sel:WORD_0
	s_mov_b32 s8, 0x43800000
	v_mov_b32_e32 v6, 0x80
	v_and_b32_e32 v4, 0x7fffffff, v3
	v_cmp_gt_u32_e32 vcc, s8, v4
	s_and_saveexec_b64 s[8:9], vcc
	s_cbranch_execz .LBB31_716
; %bb.711:
	s_mov_b32 s10, 0x3bffffff
	v_cmp_lt_u32_e32 vcc, s10, v4
	s_mov_b64 s[10:11], 0
                                        ; implicit-def: $vgpr4
	s_and_saveexec_b64 s[12:13], vcc
	s_xor_b64 s[12:13], exec, s[12:13]
	s_cbranch_execz .LBB31_833
; %bb.712:
	v_bfe_u32 v4, v3, 20, 1
	s_mov_b32 s15, 0x487ffff
	v_add3_u32 v4, v3, v4, s15
	s_mov_b64 s[10:11], exec
	v_lshrrev_b32_e32 v4, 20, v4
	s_andn2_saveexec_b64 s[12:13], s[12:13]
	s_cbranch_execnz .LBB31_834
.LBB31_713:
	s_or_b64 exec, exec, s[12:13]
	v_mov_b32_e32 v6, 0
	s_and_saveexec_b64 s[12:13], s[10:11]
.LBB31_714:
	v_lshrrev_b32_e32 v3, 24, v3
	s_movk_i32 s10, 0x80
	v_and_or_b32 v6, v3, s10, v4
.LBB31_715:
	s_or_b64 exec, exec, s[12:13]
.LBB31_716:
	s_or_b64 exec, exec, s[8:9]
	global_store_byte v[0:1], v6, off
.LBB31_717:
	s_mov_b64 s[8:9], -1
.LBB31_718:
	s_mov_b64 s[10:11], 0
.LBB31_719:
	s_and_b64 vcc, exec, s[10:11]
	s_cbranch_vccz .LBB31_760
; %bb.720:
	s_cmp_gt_i32 s14, 22
	s_mov_b64 s[10:11], -1
	s_cbranch_scc0 .LBB31_752
; %bb.721:
	s_cmp_lt_i32 s14, 24
	s_mov_b64 s[8:9], -1
	s_cbranch_scc1 .LBB31_741
; %bb.722:
	s_cmp_gt_i32 s14, 24
	s_cbranch_scc0 .LBB31_730
; %bb.723:
	v_bfe_i32 v3, v2, 0, 8
	v_cvt_f32_i32_sdwa v3, sext(v3) dst_sel:DWORD dst_unused:UNUSED_PAD src0_sel:WORD_0
	s_mov_b32 s8, 0x47800000
	v_mov_b32_e32 v6, 0x80
	v_and_b32_e32 v4, 0x7fffffff, v3
	v_cmp_gt_u32_e32 vcc, s8, v4
	s_and_saveexec_b64 s[8:9], vcc
	s_cbranch_execz .LBB31_729
; %bb.724:
	s_mov_b32 s10, 0x37ffffff
	v_cmp_lt_u32_e32 vcc, s10, v4
	s_mov_b64 s[10:11], 0
                                        ; implicit-def: $vgpr4
	s_and_saveexec_b64 s[12:13], vcc
	s_xor_b64 s[12:13], exec, s[12:13]
	s_cbranch_execz .LBB31_836
; %bb.725:
	v_bfe_u32 v4, v3, 21, 1
	s_mov_b32 s15, 0x88fffff
	v_add3_u32 v4, v3, v4, s15
	s_mov_b64 s[10:11], exec
	v_lshrrev_b32_e32 v4, 21, v4
	s_andn2_saveexec_b64 s[12:13], s[12:13]
	s_cbranch_execnz .LBB31_837
.LBB31_726:
	s_or_b64 exec, exec, s[12:13]
	v_mov_b32_e32 v6, 0
	s_and_saveexec_b64 s[12:13], s[10:11]
.LBB31_727:
	v_lshrrev_b32_e32 v3, 24, v3
	s_movk_i32 s10, 0x80
	v_and_or_b32 v6, v3, s10, v4
.LBB31_728:
	s_or_b64 exec, exec, s[12:13]
.LBB31_729:
	s_or_b64 exec, exec, s[8:9]
	s_mov_b64 s[8:9], 0
	global_store_byte v[0:1], v6, off
.LBB31_730:
	s_and_b64 vcc, exec, s[8:9]
	s_cbranch_vccz .LBB31_740
; %bb.731:
	v_bfe_i32 v3, v2, 0, 8
	v_cvt_f32_i32_sdwa v3, sext(v3) dst_sel:DWORD dst_unused:UNUSED_PAD src0_sel:WORD_0
	s_mov_b32 s8, 0x43f00000
                                        ; implicit-def: $vgpr4
	v_and_b32_e32 v6, 0x7fffffff, v3
	v_cmp_gt_u32_e32 vcc, s8, v6
	s_and_saveexec_b64 s[8:9], vcc
	s_xor_b64 s[8:9], exec, s[8:9]
	s_cbranch_execz .LBB31_737
; %bb.732:
	s_mov_b32 s10, 0x3c7fffff
	v_cmp_lt_u32_e32 vcc, s10, v6
                                        ; implicit-def: $vgpr4
	s_and_saveexec_b64 s[10:11], vcc
	s_xor_b64 s[10:11], exec, s[10:11]
; %bb.733:
	v_bfe_u32 v4, v3, 20, 1
	s_mov_b32 s12, 0x407ffff
	v_add3_u32 v4, v3, v4, s12
	v_lshrrev_b32_e32 v6, 20, v4
	v_and_b32_e32 v4, 0xff00000, v4
	s_mov_b32 s12, 0x7f00000
	v_mov_b32_e32 v7, 0x7e
	v_cmp_ne_u32_e32 vcc, s12, v4
	v_cndmask_b32_e32 v4, v7, v6, vcc
; %bb.734:
	s_andn2_saveexec_b64 s[10:11], s[10:11]
; %bb.735:
	s_mov_b32 s12, 0x46800000
	v_add_f32_e64 v4, |v3|, s12
; %bb.736:
	s_or_b64 exec, exec, s[10:11]
                                        ; implicit-def: $vgpr6
.LBB31_737:
	s_andn2_saveexec_b64 s[8:9], s[8:9]
; %bb.738:
	s_mov_b32 s10, 0x7f800000
	v_mov_b32_e32 v4, 0x7e
	v_mov_b32_e32 v7, 0x7f
	v_cmp_lt_u32_e32 vcc, s10, v6
	v_cndmask_b32_e32 v4, v4, v7, vcc
; %bb.739:
	s_or_b64 exec, exec, s[8:9]
	v_lshrrev_b32_e32 v3, 24, v3
	s_movk_i32 s8, 0x80
	v_and_or_b32 v3, v3, s8, v4
	global_store_byte v[0:1], v3, off
.LBB31_740:
	s_mov_b64 s[8:9], 0
.LBB31_741:
	s_andn2_b64 vcc, exec, s[8:9]
	s_cbranch_vccnz .LBB31_751
; %bb.742:
	v_bfe_i32 v3, v2, 0, 8
	v_cvt_f32_i32_sdwa v3, sext(v3) dst_sel:DWORD dst_unused:UNUSED_PAD src0_sel:WORD_0
	s_mov_b32 s8, 0x47800000
                                        ; implicit-def: $vgpr4
	v_and_b32_e32 v6, 0x7fffffff, v3
	v_cmp_gt_u32_e32 vcc, s8, v6
	s_and_saveexec_b64 s[8:9], vcc
	s_xor_b64 s[8:9], exec, s[8:9]
	s_cbranch_execz .LBB31_748
; %bb.743:
	s_mov_b32 s10, 0x387fffff
	v_cmp_lt_u32_e32 vcc, s10, v6
                                        ; implicit-def: $vgpr4
	s_and_saveexec_b64 s[10:11], vcc
	s_xor_b64 s[10:11], exec, s[10:11]
; %bb.744:
	v_bfe_u32 v4, v3, 21, 1
	s_mov_b32 s12, 0x80fffff
	v_add3_u32 v4, v3, v4, s12
	v_lshrrev_b32_e32 v4, 21, v4
; %bb.745:
	s_andn2_saveexec_b64 s[10:11], s[10:11]
; %bb.746:
	s_mov_b32 s12, 0x43000000
	v_add_f32_e64 v4, |v3|, s12
; %bb.747:
	s_or_b64 exec, exec, s[10:11]
                                        ; implicit-def: $vgpr6
.LBB31_748:
	s_andn2_saveexec_b64 s[8:9], s[8:9]
; %bb.749:
	s_mov_b32 s10, 0x7f800000
	v_mov_b32_e32 v4, 0x7c
	v_mov_b32_e32 v7, 0x7f
	v_cmp_lt_u32_e32 vcc, s10, v6
	v_cndmask_b32_e32 v4, v4, v7, vcc
; %bb.750:
	s_or_b64 exec, exec, s[8:9]
	v_lshrrev_b32_e32 v3, 24, v3
	s_movk_i32 s8, 0x80
	v_and_or_b32 v3, v3, s8, v4
	global_store_byte v[0:1], v3, off
.LBB31_751:
	s_mov_b64 s[10:11], 0
	s_mov_b64 s[8:9], -1
.LBB31_752:
	s_andn2_b64 vcc, exec, s[10:11]
	s_cbranch_vccnz .LBB31_760
; %bb.753:
	s_cmp_gt_i32 s14, 14
	s_mov_b64 s[10:11], -1
	s_cbranch_scc0 .LBB31_757
; %bb.754:
	s_cmp_eq_u32 s14, 15
	s_mov_b64 s[0:1], -1
	s_cbranch_scc0 .LBB31_756
; %bb.755:
	v_bfe_i32 v3, v2, 0, 8
	v_cvt_f32_i32_sdwa v3, sext(v3) dst_sel:DWORD dst_unused:UNUSED_PAD src0_sel:WORD_0
	s_movk_i32 s0, 0x7fff
	s_mov_b64 s[8:9], -1
	v_bfe_u32 v4, v3, 16, 1
	v_add3_u32 v3, v3, v4, s0
	global_store_short_d16_hi v[0:1], v3, off
	s_mov_b64 s[0:1], 0
.LBB31_756:
	s_mov_b64 s[10:11], 0
.LBB31_757:
	s_and_b64 vcc, exec, s[10:11]
	s_cbranch_vccz .LBB31_760
; %bb.758:
	s_cmp_eq_u32 s14, 11
	s_mov_b64 s[0:1], -1
	s_cbranch_scc0 .LBB31_760
; %bb.759:
	v_mov_b32_e32 v3, 0
	v_cmp_ne_u16_sdwa s[0:1], v2, v3 src0_sel:BYTE_0 src1_sel:DWORD
	v_cndmask_b32_e64 v3, 0, 1, s[0:1]
	s_mov_b64 s[8:9], -1
	s_mov_b64 s[0:1], 0
	global_store_byte v[0:1], v3, off
.LBB31_760:
	s_mov_b64 s[10:11], 0
.LBB31_761:
	s_and_b64 vcc, exec, s[10:11]
	s_cbranch_vccz .LBB31_800
; %bb.762:
	s_cmp_lt_i32 s14, 5
	s_mov_b64 s[8:9], -1
	s_cbranch_scc1 .LBB31_783
; %bb.763:
	s_cmp_lt_i32 s14, 8
	s_cbranch_scc1 .LBB31_773
; %bb.764:
	s_cmp_lt_i32 s14, 9
	s_cbranch_scc1 .LBB31_770
; %bb.765:
	s_cmp_gt_i32 s14, 9
	s_cbranch_scc0 .LBB31_767
; %bb.766:
	v_bfe_i32 v3, v2, 0, 8
	v_bfe_i32 v3, v3, 0, 16
	v_cvt_f64_i32_e32 v[9:10], v3
	v_mov_b32_e32 v11, 0
	v_mov_b32_e32 v12, v11
	s_mov_b64 s[8:9], 0
	global_store_dwordx4 v[0:1], v[9:12], off
.LBB31_767:
	s_andn2_b64 vcc, exec, s[8:9]
	s_cbranch_vccnz .LBB31_769
; %bb.768:
	v_bfe_i32 v3, v2, 0, 8
	v_cvt_f32_i32_sdwa v3, sext(v3) dst_sel:DWORD dst_unused:UNUSED_PAD src0_sel:WORD_0
	v_mov_b32_e32 v4, 0
	global_store_dwordx2 v[0:1], v[3:4], off
.LBB31_769:
	s_mov_b64 s[8:9], 0
.LBB31_770:
	s_andn2_b64 vcc, exec, s[8:9]
	s_cbranch_vccnz .LBB31_772
; %bb.771:
	v_cvt_f16_i16_sdwa v3, sext(v2) dst_sel:DWORD dst_unused:UNUSED_PAD src0_sel:BYTE_0
	global_store_dword v[0:1], v3, off
.LBB31_772:
	s_mov_b64 s[8:9], 0
.LBB31_773:
	s_andn2_b64 vcc, exec, s[8:9]
	s_cbranch_vccnz .LBB31_782
; %bb.774:
	s_cmp_lt_i32 s14, 6
	s_mov_b64 s[8:9], -1
	s_cbranch_scc1 .LBB31_780
; %bb.775:
	s_cmp_gt_i32 s14, 6
	s_cbranch_scc0 .LBB31_777
; %bb.776:
	v_bfe_i32 v3, v2, 0, 8
	v_bfe_i32 v3, v3, 0, 16
	v_cvt_f64_i32_e32 v[3:4], v3
	s_mov_b64 s[8:9], 0
	global_store_dwordx2 v[0:1], v[3:4], off
.LBB31_777:
	s_andn2_b64 vcc, exec, s[8:9]
	s_cbranch_vccnz .LBB31_779
; %bb.778:
	v_bfe_i32 v3, v2, 0, 8
	v_cvt_f32_i32_sdwa v3, sext(v3) dst_sel:DWORD dst_unused:UNUSED_PAD src0_sel:WORD_0
	global_store_dword v[0:1], v3, off
.LBB31_779:
	s_mov_b64 s[8:9], 0
.LBB31_780:
	s_andn2_b64 vcc, exec, s[8:9]
	s_cbranch_vccnz .LBB31_782
; %bb.781:
	v_cvt_f16_i16_sdwa v3, sext(v2) dst_sel:DWORD dst_unused:UNUSED_PAD src0_sel:BYTE_0
	global_store_short v[0:1], v3, off
.LBB31_782:
	s_mov_b64 s[8:9], 0
.LBB31_783:
	s_andn2_b64 vcc, exec, s[8:9]
	s_cbranch_vccnz .LBB31_799
; %bb.784:
	s_cmp_lt_i32 s14, 2
	s_mov_b64 s[8:9], -1
	s_cbranch_scc1 .LBB31_794
; %bb.785:
	s_cmp_lt_i32 s14, 3
	s_cbranch_scc1 .LBB31_791
; %bb.786:
	s_cmp_gt_i32 s14, 3
	s_cbranch_scc0 .LBB31_788
; %bb.787:
	v_bfe_i32 v3, v2, 0, 8
	v_ashrrev_i32_e32 v4, 31, v3
	s_mov_b64 s[8:9], 0
	global_store_dwordx2 v[0:1], v[3:4], off
.LBB31_788:
	s_andn2_b64 vcc, exec, s[8:9]
	s_cbranch_vccnz .LBB31_790
; %bb.789:
	v_bfe_i32 v3, v2, 0, 8
	global_store_dword v[0:1], v3, off
.LBB31_790:
	s_mov_b64 s[8:9], 0
.LBB31_791:
	s_andn2_b64 vcc, exec, s[8:9]
	s_cbranch_vccnz .LBB31_793
; %bb.792:
	v_bfe_i32 v3, v2, 0, 8
	global_store_short v[0:1], v3, off
.LBB31_793:
	s_mov_b64 s[8:9], 0
.LBB31_794:
	s_andn2_b64 vcc, exec, s[8:9]
	s_cbranch_vccnz .LBB31_799
; %bb.795:
	s_cmp_gt_i32 s14, 0
	s_mov_b64 s[8:9], -1
	s_cbranch_scc0 .LBB31_797
; %bb.796:
	s_mov_b64 s[8:9], 0
	global_store_byte v[0:1], v2, off
.LBB31_797:
	s_andn2_b64 vcc, exec, s[8:9]
	s_cbranch_vccnz .LBB31_799
; %bb.798:
	global_store_byte v[0:1], v2, off
.LBB31_799:
	s_mov_b64 s[8:9], -1
.LBB31_800:
	s_andn2_b64 vcc, exec, s[8:9]
	s_cbranch_vccnz .LBB31_802
; %bb.801:
	v_add_u32_e32 v8, 0x80, v8
	s_mov_b64 s[8:9], -1
	s_branch .LBB31_804
.LBB31_802:
	s_mov_b64 s[8:9], 0
.LBB31_803:
                                        ; implicit-def: $vgpr8
.LBB31_804:
	s_andn2_b64 s[10:11], s[60:61], exec
	s_and_b64 s[0:1], s[0:1], exec
	s_or_b64 s[68:69], s[10:11], s[0:1]
	s_andn2_b64 s[0:1], s[58:59], exec
	s_and_b64 s[2:3], s[2:3], exec
	s_or_b64 s[66:67], s[0:1], s[2:3]
	s_orn2_b64 s[2:3], s[8:9], exec
.LBB31_805:
	s_or_b64 exec, exec, s[64:65]
	s_mov_b64 s[0:1], 0
	s_mov_b64 s[8:9], 0
	;; [unrolled: 1-line block ×3, first 2 shown]
                                        ; implicit-def: $sgpr14
                                        ; implicit-def: $vgpr1_vgpr2
                                        ; implicit-def: $vgpr0
                                        ; implicit-def: $vgpr3
	s_and_saveexec_b64 s[64:65], s[2:3]
	s_cbranch_execz .LBB31_900
; %bb.806:
	v_cmp_gt_i32_e32 vcc, s70, v8
	s_mov_b64 s[2:3], 0
	s_mov_b64 s[12:13], s[66:67]
                                        ; implicit-def: $sgpr14
                                        ; implicit-def: $vgpr1_vgpr2
                                        ; implicit-def: $vgpr0
                                        ; implicit-def: $vgpr3
	s_and_saveexec_b64 s[70:71], vcc
	s_cbranch_execz .LBB31_899
; %bb.807:
	s_andn2_b64 vcc, exec, s[40:41]
	s_cbranch_vccnz .LBB31_812
; %bb.808:
	s_andn2_b64 vcc, exec, s[50:51]
	s_cbranch_vccnz .LBB31_813
; %bb.809:
	s_add_i32 s76, s75, 1
	s_cmp_eq_u32 s72, 2
	s_cbranch_scc1 .LBB31_814
; %bb.810:
	s_and_b32 s75, s76, 28
	v_mov_b32_e32 v2, 0
	s_mov_b32 s77, 0
	s_mov_b64 s[50:51], s[34:35]
	v_mov_b32_e32 v0, 0
	v_mov_b32_e32 v1, v8
.LBB31_811:                             ; =>This Inner Loop Header: Depth=1
	s_load_dwordx8 s[16:23], s[50:51], 0x4
	s_load_dwordx4 s[0:3], s[50:51], 0x24
	s_load_dwordx8 s[8:15], s[48:49], 0x0
	s_add_u32 s50, s50, 48
	s_addc_u32 s51, s51, 0
	s_waitcnt vmcnt(0) lgkmcnt(0)
	v_mul_hi_u32 v3, s17, v1
	s_add_i32 s77, s77, 4
	s_add_u32 s48, s48, 32
	s_addc_u32 s49, s49, 0
	v_add_u32_e32 v3, v1, v3
	v_lshrrev_b32_e32 v3, s18, v3
	v_mul_lo_u32 v4, v3, s16
	v_mul_hi_u32 v6, s20, v3
	s_cmp_eq_u32 s75, s77
	v_sub_u32_e32 v1, v1, v4
	v_add_u32_e32 v4, v3, v6
	v_mul_lo_u32 v6, v1, s8
	v_mul_lo_u32 v7, v1, s9
	v_lshrrev_b32_e32 v1, s21, v4
	v_mul_lo_u32 v4, v1, s19
	v_mul_hi_u32 v9, s23, v1
	v_sub_u32_e32 v3, v3, v4
	v_add_u32_e32 v4, v1, v9
	v_lshrrev_b32_e32 v4, s0, v4
	v_mul_hi_u32 v10, s2, v4
	v_mul_lo_u32 v11, v4, s22
	v_mul_lo_u32 v9, v3, s10
	;; [unrolled: 1-line block ×3, first 2 shown]
	v_sub_u32_e32 v11, v1, v11
	v_add_u32_e32 v1, v4, v10
	v_lshrrev_b32_e32 v1, s3, v1
	v_mul_lo_u32 v10, v1, s1
	v_mul_lo_u32 v12, v11, s12
	v_mul_lo_u32 v11, v11, s13
	v_add3_u32 v0, v6, v0, v9
	v_sub_u32_e32 v4, v4, v10
	v_mul_lo_u32 v10, v4, s14
	v_mul_lo_u32 v4, v4, s15
	v_add3_u32 v2, v7, v2, v3
	v_add3_u32 v0, v12, v0, v10
	;; [unrolled: 1-line block ×3, first 2 shown]
	s_cbranch_scc0 .LBB31_811
	s_branch .LBB31_815
.LBB31_812:
	s_mov_b64 s[0:1], -1
                                        ; implicit-def: $vgpr0
                                        ; implicit-def: $vgpr2
	s_branch .LBB31_819
.LBB31_813:
	v_mov_b32_e32 v0, 0
	v_mov_b32_e32 v2, 0
	s_branch .LBB31_818
.LBB31_814:
	s_mov_b32 s75, 0
	v_mov_b32_e32 v0, 0
	v_mov_b32_e32 v2, 0
	;; [unrolled: 1-line block ×3, first 2 shown]
.LBB31_815:
	s_and_b32 s8, s76, 3
	s_cmp_eq_u32 s8, 0
	s_cbranch_scc1 .LBB31_818
; %bb.816:
	s_lshl_b32 s0, s75, 3
	s_add_u32 s0, s34, s0
	s_addc_u32 s1, s35, 0
	s_add_u32 s0, s0, 0xc4
	s_addc_u32 s1, s1, 0
	s_mul_i32 s2, s75, 12
	s_add_u32 s2, s34, s2
	s_addc_u32 s3, s35, 0
.LBB31_817:                             ; =>This Inner Loop Header: Depth=1
	s_load_dwordx2 s[10:11], s[2:3], 0x4
	s_load_dword s9, s[2:3], 0xc
	s_load_dwordx2 s[12:13], s[0:1], 0x0
	s_add_u32 s2, s2, 12
	s_addc_u32 s3, s3, 0
	s_waitcnt vmcnt(0) lgkmcnt(0)
	v_mul_hi_u32 v3, s11, v1
	s_add_u32 s0, s0, 8
	s_addc_u32 s1, s1, 0
	s_add_i32 s8, s8, -1
	v_add_u32_e32 v3, v1, v3
	v_lshrrev_b32_e32 v4, s9, v3
	v_mul_lo_u32 v3, v4, s10
	s_cmp_lg_u32 s8, 0
	v_sub_u32_e32 v3, v1, v3
	v_mad_u64_u32 v[0:1], s[10:11], v3, s12, v[0:1]
	v_mad_u64_u32 v[2:3], s[10:11], v3, s13, v[2:3]
	v_mov_b32_e32 v1, v4
	s_cbranch_scc1 .LBB31_817
.LBB31_818:
	s_mov_b64 s[0:1], 0
.LBB31_819:
	s_andn2_b64 vcc, exec, s[0:1]
	s_cbranch_vccnz .LBB31_822
; %bb.820:
	s_waitcnt lgkmcnt(0)
	v_mul_hi_u32 v0, s37, v8
	s_andn2_b64 vcc, exec, s[46:47]
	v_add_u32_e32 v0, v8, v0
	v_lshrrev_b32_e32 v1, s38, v0
	v_mul_lo_u32 v0, v1, s36
	v_sub_u32_e32 v2, v8, v0
	v_mul_lo_u32 v0, v2, s28
	v_mul_lo_u32 v2, v2, s29
	s_cbranch_vccnz .LBB31_822
; %bb.821:
	s_waitcnt vmcnt(0)
	v_mul_hi_u32 v3, s44, v1
	v_add_u32_e32 v3, v1, v3
	v_lshrrev_b32_e32 v3, s45, v3
	v_mul_lo_u32 v3, v3, s39
	v_sub_u32_e32 v3, v1, v3
	v_mad_u64_u32 v[0:1], s[0:1], v3, s30, v[0:1]
	v_mad_u64_u32 v[2:3], s[0:1], v3, s31, v[2:3]
.LBB31_822:
	s_waitcnt vmcnt(0) lgkmcnt(0)
	v_mov_b32_e32 v3, s27
	s_and_b32 s14, s74, 0xff
	v_add_co_u32_e32 v1, vcc, s26, v2
	s_cmp_lt_i32 s14, 11
	v_addc_co_u32_e32 v2, vcc, 0, v3, vcc
	s_cbranch_scc1 .LBB31_829
; %bb.823:
	s_and_b32 s12, 0xffff, s14
	s_cmp_gt_i32 s12, 25
	s_mov_b64 s[2:3], 0
	s_cbranch_scc0 .LBB31_830
; %bb.824:
	s_cmp_gt_i32 s12, 28
	s_cbranch_scc0 .LBB31_831
; %bb.825:
	s_cmp_gt_i32 s12, 43
	s_cbranch_scc0 .LBB31_832
; %bb.826:
	s_cmp_gt_i32 s12, 45
	s_cbranch_scc0 .LBB31_835
; %bb.827:
	s_cmp_eq_u32 s12, 46
	s_mov_b64 s[10:11], 0
	s_cbranch_scc0 .LBB31_838
; %bb.828:
	global_load_dword v3, v[1:2], off
	s_mov_b64 s[0:1], 0
	s_mov_b64 s[8:9], -1
	s_waitcnt vmcnt(0)
	v_lshlrev_b32_e32 v3, 16, v3
	v_cvt_i32_f32_e32 v3, v3
	s_branch .LBB31_839
.LBB31_829:
	s_mov_b64 s[12:13], -1
	s_mov_b64 s[8:9], 0
	s_mov_b64 s[2:3], 0
	s_mov_b64 s[0:1], s[66:67]
                                        ; implicit-def: $vgpr3
	s_branch .LBB31_898
.LBB31_830:
	s_mov_b64 s[10:11], -1
	s_mov_b64 s[8:9], 0
	s_mov_b64 s[0:1], s[66:67]
                                        ; implicit-def: $vgpr3
	s_branch .LBB31_866
.LBB31_831:
	s_mov_b64 s[10:11], -1
	s_mov_b64 s[8:9], 0
	s_mov_b64 s[0:1], s[66:67]
                                        ; implicit-def: $vgpr3
	s_branch .LBB31_849
.LBB31_832:
	s_mov_b64 s[10:11], -1
	s_mov_b64 s[8:9], 0
	s_mov_b64 s[0:1], s[66:67]
                                        ; implicit-def: $vgpr3
	s_branch .LBB31_844
.LBB31_833:
	s_andn2_saveexec_b64 s[12:13], s[12:13]
	s_cbranch_execz .LBB31_713
.LBB31_834:
	s_mov_b32 s15, 0x46000000
	v_add_f32_e64 v4, |v3|, s15
	v_and_b32_e32 v4, 0xff, v4
	v_cmp_ne_u32_e32 vcc, 0, v4
	s_andn2_b64 s[10:11], s[10:11], exec
	s_and_b64 s[16:17], vcc, exec
	s_or_b64 s[10:11], s[10:11], s[16:17]
	s_or_b64 exec, exec, s[12:13]
	v_mov_b32_e32 v6, 0
	s_and_saveexec_b64 s[12:13], s[10:11]
	s_cbranch_execnz .LBB31_714
	s_branch .LBB31_715
.LBB31_835:
	s_mov_b64 s[10:11], -1
	s_mov_b64 s[8:9], 0
	s_mov_b64 s[0:1], s[66:67]
                                        ; implicit-def: $vgpr3
	s_branch .LBB31_839
.LBB31_836:
	s_andn2_saveexec_b64 s[12:13], s[12:13]
	s_cbranch_execz .LBB31_726
.LBB31_837:
	s_mov_b32 s15, 0x42800000
	v_add_f32_e64 v4, |v3|, s15
	v_and_b32_e32 v4, 0xff, v4
	v_cmp_ne_u32_e32 vcc, 0, v4
	s_andn2_b64 s[10:11], s[10:11], exec
	s_and_b64 s[16:17], vcc, exec
	s_or_b64 s[10:11], s[10:11], s[16:17]
	s_or_b64 exec, exec, s[12:13]
	v_mov_b32_e32 v6, 0
	s_and_saveexec_b64 s[12:13], s[10:11]
	s_cbranch_execnz .LBB31_727
	s_branch .LBB31_728
.LBB31_838:
	s_mov_b64 s[0:1], -1
                                        ; implicit-def: $vgpr3
	s_mov_b64 s[8:9], 0
.LBB31_839:
	s_and_b64 vcc, exec, s[10:11]
	s_cbranch_vccz .LBB31_843
; %bb.840:
	s_cmp_eq_u32 s12, 44
	s_cbranch_scc0 .LBB31_842
; %bb.841:
	global_load_ubyte v3, v[1:2], off
	s_mov_b64 s[0:1], 0
	s_mov_b64 s[8:9], -1
	s_waitcnt vmcnt(0)
	v_lshlrev_b32_e32 v4, 23, v3
	v_cvt_i32_f32_e32 v4, v4
	v_cmp_ne_u32_e32 vcc, 0, v3
	v_cndmask_b32_e32 v3, 0, v4, vcc
	s_branch .LBB31_843
.LBB31_842:
	s_mov_b64 s[0:1], -1
                                        ; implicit-def: $vgpr3
.LBB31_843:
	s_mov_b64 s[10:11], 0
.LBB31_844:
	s_and_b64 vcc, exec, s[10:11]
	s_cbranch_vccz .LBB31_848
; %bb.845:
	s_cmp_eq_u32 s12, 29
	s_cbranch_scc0 .LBB31_847
; %bb.846:
	global_load_dwordx2 v[3:4], v[1:2], off
	s_mov_b64 s[0:1], 0
	s_mov_b64 s[8:9], -1
	s_branch .LBB31_848
.LBB31_847:
	s_mov_b64 s[0:1], -1
                                        ; implicit-def: $vgpr3
.LBB31_848:
	s_mov_b64 s[10:11], 0
.LBB31_849:
	s_and_b64 vcc, exec, s[10:11]
	s_cbranch_vccz .LBB31_865
; %bb.850:
	s_cmp_lt_i32 s12, 27
	s_cbranch_scc1 .LBB31_853
; %bb.851:
	s_cmp_gt_i32 s12, 27
	s_cbranch_scc0 .LBB31_854
; %bb.852:
	global_load_dword v3, v[1:2], off
	s_mov_b64 s[8:9], 0
	s_branch .LBB31_855
.LBB31_853:
	s_mov_b64 s[8:9], -1
                                        ; implicit-def: $vgpr3
	s_branch .LBB31_858
.LBB31_854:
	s_mov_b64 s[8:9], -1
                                        ; implicit-def: $vgpr3
.LBB31_855:
	s_andn2_b64 vcc, exec, s[8:9]
	s_cbranch_vccnz .LBB31_857
; %bb.856:
	global_load_ushort v3, v[1:2], off
.LBB31_857:
	s_mov_b64 s[8:9], 0
.LBB31_858:
	s_andn2_b64 vcc, exec, s[8:9]
	s_cbranch_vccnz .LBB31_864
; %bb.859:
	global_load_ubyte v4, v[1:2], off
	s_movk_i32 s8, 0x7f
	s_mov_b64 s[10:11], 0
	s_waitcnt vmcnt(0)
	v_cmp_lt_i16_e32 vcc, s8, v4
	s_and_saveexec_b64 s[8:9], vcc
	s_xor_b64 s[8:9], exec, s[8:9]
	s_cbranch_execz .LBB31_876
; %bb.860:
	s_movk_i32 s10, 0x80
	v_cmp_ne_u16_e32 vcc, s10, v4
	s_and_b64 s[10:11], vcc, exec
	s_andn2_saveexec_b64 s[8:9], s[8:9]
	s_cbranch_execnz .LBB31_877
.LBB31_861:
	s_or_b64 exec, exec, s[8:9]
	v_mov_b32_e32 v3, 0
	s_and_saveexec_b64 s[8:9], s[10:11]
	s_cbranch_execz .LBB31_863
.LBB31_862:
	v_lshlrev_b32_e32 v3, 24, v4
	v_and_b32_e32 v4, 0xffff, v4
	v_and_b32_e32 v6, 7, v4
	v_ffbh_u32_e32 v8, v6
	v_min_u32_e32 v8, 32, v8
	v_subrev_u32_e32 v9, 28, v8
	v_bfe_u32 v7, v4, 3, 4
	v_lshlrev_b32_e32 v4, v9, v4
	v_sub_u32_e32 v8, 29, v8
	v_and_b32_e32 v4, 7, v4
	v_cmp_eq_u32_e32 vcc, 0, v7
	v_cndmask_b32_e32 v7, v7, v8, vcc
	v_cndmask_b32_e32 v4, v6, v4, vcc
	v_mov_b32_e32 v6, 0x3b800000
	v_lshlrev_b32_e32 v4, 20, v4
	v_and_b32_e32 v3, 0x80000000, v3
	v_lshl_add_u32 v6, v7, 23, v6
	v_or3_b32 v3, v3, v6, v4
	v_cvt_i32_f32_e32 v3, v3
.LBB31_863:
	s_or_b64 exec, exec, s[8:9]
.LBB31_864:
	s_mov_b64 s[8:9], -1
.LBB31_865:
	s_mov_b64 s[10:11], 0
.LBB31_866:
	s_and_b64 vcc, exec, s[10:11]
	s_cbranch_vccz .LBB31_897
; %bb.867:
	s_cmp_gt_i32 s12, 22
	s_cbranch_scc0 .LBB31_875
; %bb.868:
	s_cmp_lt_i32 s12, 24
	s_cbranch_scc1 .LBB31_878
; %bb.869:
	s_cmp_gt_i32 s12, 24
	s_cbranch_scc0 .LBB31_879
; %bb.870:
	global_load_ubyte v4, v[1:2], off
	s_movk_i32 s2, 0x7f
	s_mov_b64 s[8:9], 0
	s_waitcnt vmcnt(0)
	v_cmp_lt_i16_e32 vcc, s2, v4
	s_and_saveexec_b64 s[2:3], vcc
	s_xor_b64 s[2:3], exec, s[2:3]
	s_cbranch_execz .LBB31_891
; %bb.871:
	s_movk_i32 s8, 0x80
	v_cmp_ne_u16_e32 vcc, s8, v4
	s_and_b64 s[8:9], vcc, exec
	s_andn2_saveexec_b64 s[2:3], s[2:3]
	s_cbranch_execnz .LBB31_892
.LBB31_872:
	s_or_b64 exec, exec, s[2:3]
	v_mov_b32_e32 v3, 0
	s_and_saveexec_b64 s[2:3], s[8:9]
	s_cbranch_execz .LBB31_874
.LBB31_873:
	v_lshlrev_b32_e32 v3, 24, v4
	v_and_b32_e32 v4, 0xffff, v4
	v_and_b32_e32 v6, 3, v4
	v_ffbh_u32_e32 v8, v6
	v_min_u32_e32 v8, 32, v8
	v_subrev_u32_e32 v9, 29, v8
	v_bfe_u32 v7, v4, 2, 5
	v_lshlrev_b32_e32 v4, v9, v4
	v_sub_u32_e32 v8, 30, v8
	v_and_b32_e32 v4, 3, v4
	v_cmp_eq_u32_e32 vcc, 0, v7
	v_cndmask_b32_e32 v7, v7, v8, vcc
	v_cndmask_b32_e32 v4, v6, v4, vcc
	v_mov_b32_e32 v6, 0x37800000
	v_lshlrev_b32_e32 v4, 21, v4
	v_and_b32_e32 v3, 0x80000000, v3
	v_lshl_add_u32 v6, v7, 23, v6
	v_or3_b32 v3, v3, v6, v4
	v_cvt_i32_f32_e32 v3, v3
.LBB31_874:
	s_or_b64 exec, exec, s[2:3]
	s_mov_b64 s[2:3], 0
	s_branch .LBB31_880
.LBB31_875:
	s_mov_b64 s[2:3], -1
                                        ; implicit-def: $vgpr3
	s_branch .LBB31_886
.LBB31_876:
	s_andn2_saveexec_b64 s[8:9], s[8:9]
	s_cbranch_execz .LBB31_861
.LBB31_877:
	v_cmp_ne_u16_e32 vcc, 0, v4
	s_andn2_b64 s[10:11], s[10:11], exec
	s_and_b64 s[16:17], vcc, exec
	s_or_b64 s[10:11], s[10:11], s[16:17]
	s_or_b64 exec, exec, s[8:9]
	v_mov_b32_e32 v3, 0
	s_and_saveexec_b64 s[8:9], s[10:11]
	s_cbranch_execnz .LBB31_862
	s_branch .LBB31_863
.LBB31_878:
	s_mov_b64 s[2:3], -1
                                        ; implicit-def: $vgpr3
	s_branch .LBB31_883
.LBB31_879:
	s_mov_b64 s[2:3], -1
                                        ; implicit-def: $vgpr3
.LBB31_880:
	s_and_b64 vcc, exec, s[2:3]
	s_cbranch_vccz .LBB31_882
; %bb.881:
	global_load_ubyte v3, v[1:2], off
	s_mov_b32 s2, 0x7f800000
	s_waitcnt vmcnt(0)
	v_lshlrev_b32_e32 v3, 24, v3
	v_and_b32_e32 v4, 0x7f000000, v3
	v_ffbh_u32_e32 v6, v4
	v_min_u32_e32 v6, 32, v6
	v_sub_u32_e64 v6, v6, 4 clamp
	v_lshlrev_b32_e32 v8, v6, v4
	v_lshlrev_b32_e32 v6, 23, v6
	v_lshrrev_b32_e32 v8, 4, v8
	v_add_u32_e32 v7, 0x1000000, v4
	v_sub_u32_e32 v6, v8, v6
	v_ashrrev_i32_e32 v7, 8, v7
	v_add_u32_e32 v6, 0x3c000000, v6
	v_and_or_b32 v6, v7, s2, v6
	v_cmp_ne_u32_e32 vcc, 0, v4
	v_cndmask_b32_e32 v4, 0, v6, vcc
	s_brev_b32 s2, 1
	v_and_or_b32 v3, v3, s2, v4
	v_cvt_i32_f32_e32 v3, v3
.LBB31_882:
	s_mov_b64 s[2:3], 0
.LBB31_883:
	s_andn2_b64 vcc, exec, s[2:3]
	s_cbranch_vccnz .LBB31_885
; %bb.884:
	global_load_ubyte v3, v[1:2], off
	s_movk_i32 s2, 0x7f00
	s_brev_b32 s3, 16
	s_waitcnt vmcnt(0)
	v_lshlrev_b16_e32 v4, 8, v3
	v_lshlrev_b32_e32 v3, 25, v3
	v_lshrrev_b32_e32 v6, 4, v3
	v_and_or_b32 v7, v4, s2, 0.5
	v_or_b32_e32 v6, 0x70000000, v6
	v_add_f32_e32 v7, -0.5, v7
	v_mul_f32_e32 v6, 0x7800000, v6
	v_cmp_gt_u32_e32 vcc, s3, v3
	v_bfe_i32 v4, v4, 0, 16
	v_cndmask_b32_e32 v3, v6, v7, vcc
	s_brev_b32 s2, 1
	v_and_or_b32 v3, v4, s2, v3
	v_cvt_i32_f32_e32 v3, v3
.LBB31_885:
	s_mov_b64 s[2:3], 0
	s_mov_b64 s[8:9], -1
.LBB31_886:
	s_andn2_b64 vcc, exec, s[2:3]
	s_mov_b64 s[2:3], 0
	s_cbranch_vccnz .LBB31_897
; %bb.887:
	s_cmp_gt_i32 s12, 14
	s_cbranch_scc0 .LBB31_890
; %bb.888:
	s_cmp_eq_u32 s12, 15
	s_cbranch_scc0 .LBB31_893
; %bb.889:
	global_load_ushort v3, v[1:2], off
	s_mov_b64 s[0:1], 0
	s_mov_b64 s[8:9], -1
	s_waitcnt vmcnt(0)
	v_lshlrev_b32_e32 v3, 16, v3
	v_cvt_i32_f32_e32 v3, v3
	s_branch .LBB31_894
.LBB31_890:
	s_mov_b64 s[10:11], -1
                                        ; implicit-def: $vgpr3
	s_branch .LBB31_895
.LBB31_891:
	s_andn2_saveexec_b64 s[2:3], s[2:3]
	s_cbranch_execz .LBB31_872
.LBB31_892:
	v_cmp_ne_u16_e32 vcc, 0, v4
	s_andn2_b64 s[8:9], s[8:9], exec
	s_and_b64 s[10:11], vcc, exec
	s_or_b64 s[8:9], s[8:9], s[10:11]
	s_or_b64 exec, exec, s[2:3]
	v_mov_b32_e32 v3, 0
	s_and_saveexec_b64 s[2:3], s[8:9]
	s_cbranch_execnz .LBB31_873
	s_branch .LBB31_874
.LBB31_893:
	s_mov_b64 s[0:1], -1
                                        ; implicit-def: $vgpr3
.LBB31_894:
	s_mov_b64 s[10:11], 0
.LBB31_895:
	s_and_b64 vcc, exec, s[10:11]
	s_cbranch_vccz .LBB31_897
; %bb.896:
	s_cmp_lg_u32 s12, 11
	s_cselect_b64 s[10:11], -1, 0
	s_andn2_b64 s[0:1], s[0:1], exec
	s_and_b64 s[10:11], s[10:11], exec
	s_mov_b64 s[2:3], -1
	s_or_b64 s[0:1], s[0:1], s[10:11]
.LBB31_897:
	s_mov_b64 s[12:13], 0
.LBB31_898:
	s_and_b64 s[10:11], s[8:9], exec
	s_and_b64 s[8:9], s[12:13], exec
	s_andn2_b64 s[12:13], s[66:67], exec
	s_and_b64 s[0:1], s[0:1], exec
	s_and_b64 s[2:3], s[2:3], exec
	s_or_b64 s[12:13], s[12:13], s[0:1]
.LBB31_899:
	s_or_b64 exec, exec, s[70:71]
	s_and_b64 s[0:1], s[2:3], exec
	s_andn2_b64 s[2:3], s[66:67], exec
	s_and_b64 s[12:13], s[12:13], exec
	s_and_b64 s[10:11], s[10:11], exec
	;; [unrolled: 1-line block ×3, first 2 shown]
	s_or_b64 s[66:67], s[2:3], s[12:13]
.LBB31_900:
	s_or_b64 exec, exec, s[64:65]
	s_andn2_b64 s[2:3], s[60:61], exec
	s_and_b64 s[12:13], s[68:69], exec
	s_or_b64 s[60:61], s[2:3], s[12:13]
	s_and_b64 s[2:3], s[0:1], exec
	s_andn2_b64 s[0:1], s[58:59], exec
	s_and_b64 s[12:13], s[66:67], exec
	s_and_b64 s[10:11], s[10:11], exec
	;; [unrolled: 1-line block ×3, first 2 shown]
	s_or_b64 s[58:59], s[0:1], s[12:13]
.LBB31_901:
	s_or_b64 exec, exec, s[62:63]
	s_andn2_b64 s[0:1], s[52:53], exec
	s_and_b64 s[12:13], s[60:61], exec
	s_or_b64 s[52:53], s[0:1], s[12:13]
	s_and_b64 s[0:1], s[10:11], exec
	s_and_b64 s[10:11], s[8:9], exec
	;; [unrolled: 1-line block ×3, first 2 shown]
	s_andn2_b64 s[2:3], s[54:55], exec
	s_and_b64 s[8:9], s[58:59], exec
	s_or_b64 s[54:55], s[2:3], s[8:9]
	s_or_b64 exec, exec, s[56:57]
	s_mov_b64 s[2:3], 0
	s_and_saveexec_b64 s[8:9], s[54:55]
	s_cbranch_execz .LBB31_270
.LBB31_902:
	s_mov_b64 s[2:3], exec
	s_andn2_b64 s[60:61], s[60:61], exec
	s_trap 2
	s_or_b64 exec, exec, s[8:9]
	s_and_saveexec_b64 s[8:9], s[60:61]
	s_xor_b64 s[8:9], exec, s[8:9]
	s_cbranch_execnz .LBB31_271
.LBB31_903:
	s_or_b64 exec, exec, s[8:9]
	s_and_saveexec_b64 s[8:9], s[10:11]
	s_cbranch_execz .LBB31_949
.LBB31_904:
	s_sext_i32_i16 s10, s14
	s_cmp_lt_i32 s10, 5
	s_cbranch_scc1 .LBB31_909
; %bb.905:
	s_cmp_lt_i32 s10, 8
	s_cbranch_scc1 .LBB31_910
; %bb.906:
	;; [unrolled: 3-line block ×3, first 2 shown]
	s_cmp_gt_i32 s10, 9
	s_cbranch_scc0 .LBB31_912
; %bb.908:
	global_load_dwordx2 v[3:4], v[1:2], off
	s_mov_b64 s[10:11], 0
	s_waitcnt vmcnt(0)
	v_cvt_i32_f64_e32 v3, v[3:4]
	s_branch .LBB31_913
.LBB31_909:
                                        ; implicit-def: $vgpr3
	s_branch .LBB31_930
.LBB31_910:
                                        ; implicit-def: $vgpr3
	s_branch .LBB31_919
.LBB31_911:
	s_mov_b64 s[10:11], -1
                                        ; implicit-def: $vgpr3
	s_branch .LBB31_916
.LBB31_912:
	s_mov_b64 s[10:11], -1
                                        ; implicit-def: $vgpr3
.LBB31_913:
	s_andn2_b64 vcc, exec, s[10:11]
	s_cbranch_vccnz .LBB31_915
; %bb.914:
	global_load_dword v3, v[1:2], off
	s_waitcnt vmcnt(0)
	v_cvt_i32_f32_e32 v3, v3
.LBB31_915:
	s_mov_b64 s[10:11], 0
.LBB31_916:
	s_andn2_b64 vcc, exec, s[10:11]
	s_cbranch_vccnz .LBB31_918
; %bb.917:
	global_load_dword v3, v[1:2], off
	s_waitcnt vmcnt(0)
	v_cvt_i16_f16_e32 v3, v3
.LBB31_918:
	s_cbranch_execnz .LBB31_929
.LBB31_919:
	s_sext_i32_i16 s10, s14
	s_cmp_lt_i32 s10, 6
	s_cbranch_scc1 .LBB31_922
; %bb.920:
	s_cmp_gt_i32 s10, 6
	s_cbranch_scc0 .LBB31_923
; %bb.921:
	global_load_dwordx2 v[3:4], v[1:2], off
	s_mov_b64 s[10:11], 0
	s_waitcnt vmcnt(0)
	v_cvt_i32_f64_e32 v3, v[3:4]
	s_branch .LBB31_924
.LBB31_922:
	s_mov_b64 s[10:11], -1
                                        ; implicit-def: $vgpr3
	s_branch .LBB31_927
.LBB31_923:
	s_mov_b64 s[10:11], -1
                                        ; implicit-def: $vgpr3
.LBB31_924:
	s_andn2_b64 vcc, exec, s[10:11]
	s_cbranch_vccnz .LBB31_926
; %bb.925:
	global_load_dword v3, v[1:2], off
	s_waitcnt vmcnt(0)
	v_cvt_i32_f32_e32 v3, v3
.LBB31_926:
	s_mov_b64 s[10:11], 0
.LBB31_927:
	s_andn2_b64 vcc, exec, s[10:11]
	s_cbranch_vccnz .LBB31_929
; %bb.928:
	global_load_ushort v3, v[1:2], off
	s_waitcnt vmcnt(0)
	v_cvt_i16_f16_e32 v3, v3
.LBB31_929:
	s_cbranch_execnz .LBB31_948
.LBB31_930:
	s_sext_i32_i16 s10, s14
	s_cmp_lt_i32 s10, 2
	s_cbranch_scc1 .LBB31_934
; %bb.931:
	s_cmp_lt_i32 s10, 3
	s_cbranch_scc1 .LBB31_935
; %bb.932:
	s_cmp_gt_i32 s10, 3
	s_cbranch_scc0 .LBB31_936
; %bb.933:
	global_load_dwordx2 v[3:4], v[1:2], off
	s_mov_b64 s[10:11], 0
	s_branch .LBB31_937
.LBB31_934:
                                        ; implicit-def: $vgpr3
	s_branch .LBB31_943
.LBB31_935:
	s_mov_b64 s[10:11], -1
                                        ; implicit-def: $vgpr3
	s_branch .LBB31_940
.LBB31_936:
	s_mov_b64 s[10:11], -1
                                        ; implicit-def: $vgpr3
.LBB31_937:
	s_andn2_b64 vcc, exec, s[10:11]
	s_cbranch_vccnz .LBB31_939
; %bb.938:
	global_load_dword v3, v[1:2], off
.LBB31_939:
	s_mov_b64 s[10:11], 0
.LBB31_940:
	s_andn2_b64 vcc, exec, s[10:11]
	s_cbranch_vccnz .LBB31_942
; %bb.941:
	global_load_ushort v3, v[1:2], off
.LBB31_942:
	s_cbranch_execnz .LBB31_948
.LBB31_943:
	s_sext_i32_i16 s10, s14
	s_cmp_gt_i32 s10, 0
	s_cbranch_scc0 .LBB31_945
; %bb.944:
	global_load_ubyte v3, v[1:2], off
	s_mov_b64 s[10:11], 0
	s_branch .LBB31_946
.LBB31_945:
	s_mov_b64 s[10:11], -1
                                        ; implicit-def: $vgpr3
.LBB31_946:
	s_andn2_b64 vcc, exec, s[10:11]
	s_cbranch_vccnz .LBB31_948
; %bb.947:
	global_load_ubyte v3, v[1:2], off
.LBB31_948:
	s_or_b64 s[0:1], s[0:1], exec
.LBB31_949:
	s_or_b64 exec, exec, s[8:9]
	s_mov_b64 s[12:13], 0
	s_mov_b64 s[10:11], 0
                                        ; implicit-def: $vgpr1_vgpr2
                                        ; implicit-def: $vgpr4
	s_and_saveexec_b64 s[8:9], s[0:1]
	s_cbranch_execz .LBB31_957
; %bb.950:
	v_mov_b32_e32 v2, 8
	s_waitcnt vmcnt(0)
	v_lshlrev_b32_sdwa v1, v3, v5 dst_sel:DWORD dst_unused:UNUSED_PAD src0_sel:DWORD src1_sel:BYTE_0
	v_cmp_lt_u16_sdwa vcc, v3, v2 src0_sel:BYTE_0 src1_sel:DWORD
	v_cndmask_b32_e32 v4, 0, v1, vcc
	s_waitcnt lgkmcnt(0)
	v_mov_b32_e32 v2, s25
	s_and_b32 s18, 0xffff, s73
	v_add_co_u32_e32 v1, vcc, s24, v0
	s_cmp_lt_i32 s18, 11
	v_addc_co_u32_e32 v2, vcc, 0, v2, vcc
	s_cbranch_scc1 .LBB31_960
; %bb.951:
	s_mov_b64 s[12:13], -1
	s_cmp_gt_i32 s18, 25
	s_mov_b64 s[0:1], s[52:53]
	s_cbranch_scc0 .LBB31_988
; %bb.952:
	s_mov_b64 s[10:11], -1
	s_cmp_gt_i32 s18, 28
	s_mov_b64 s[0:1], s[52:53]
	s_cbranch_scc0 .LBB31_972
; %bb.953:
	s_cmp_gt_i32 s18, 43
	s_mov_b64 s[0:1], s[52:53]
	s_cbranch_scc0 .LBB31_968
; %bb.954:
	;; [unrolled: 4-line block ×3, first 2 shown]
	s_cmp_eq_u32 s18, 46
	s_mov_b64 s[0:1], -1
	s_cbranch_scc0 .LBB31_961
; %bb.956:
	v_bfe_i32 v0, v4, 0, 8
	v_cvt_f32_i32_sdwa v0, sext(v0) dst_sel:DWORD dst_unused:UNUSED_PAD src0_sel:WORD_0
	s_movk_i32 s0, 0x7fff
	s_mov_b64 s[10:11], 0
	v_bfe_u32 v3, v0, 16, 1
	v_add3_u32 v0, v0, v3, s0
	v_lshrrev_b32_e32 v0, 16, v0
	global_store_dword v[1:2], v0, off
	s_mov_b64 s[0:1], 0
	s_branch .LBB31_962
.LBB31_957:
	s_or_b64 exec, exec, s[8:9]
	s_and_saveexec_b64 s[0:1], s[52:53]
	s_cbranch_execnz .LBB31_1030
.LBB31_958:
	s_or_b64 exec, exec, s[0:1]
	s_and_saveexec_b64 s[0:1], s[12:13]
	s_xor_b64 s[0:1], exec, s[0:1]
	s_cbranch_execz .LBB31_1031
.LBB31_959:
	v_mov_b32_e32 v0, 0
	s_waitcnt vmcnt(0)
	v_cmp_ne_u16_sdwa s[8:9], v4, v0 src0_sel:BYTE_0 src1_sel:DWORD
	v_cndmask_b32_e64 v0, 0, 1, s[8:9]
	global_store_byte v[1:2], v0, off
	s_or_b64 exec, exec, s[0:1]
	s_and_saveexec_b64 s[0:1], s[10:11]
	s_xor_b64 s[0:1], exec, s[0:1]
	s_cbranch_execz .LBB31_1069
	s_branch .LBB31_1032
.LBB31_960:
	s_mov_b64 s[10:11], -1
	s_mov_b64 s[0:1], s[52:53]
	s_branch .LBB31_1029
.LBB31_961:
	s_mov_b64 s[10:11], 0
.LBB31_962:
	s_and_b64 vcc, exec, s[10:11]
	s_cbranch_vccz .LBB31_967
; %bb.963:
	s_cmp_eq_u32 s18, 44
	s_mov_b64 s[0:1], -1
	s_cbranch_scc0 .LBB31_967
; %bb.964:
	v_bfe_i32 v0, v4, 0, 8
	v_cvt_f32_i32_sdwa v0, sext(v0) dst_sel:DWORD dst_unused:UNUSED_PAD src0_sel:WORD_0
	s_movk_i32 s0, 0xff
	v_mov_b32_e32 v5, 0xff
	v_bfe_u32 v3, v0, 23, 8
	v_cmp_ne_u32_e32 vcc, s0, v3
	s_and_saveexec_b64 s[10:11], vcc
; %bb.965:
	s_mov_b32 s0, 0x3fffff
	v_lshrrev_b32_e32 v5, 23, v0
	v_and_b32_e32 v6, 0x400000, v0
	v_and_or_b32 v0, v0, s0, v3
	v_cmp_ne_u32_e32 vcc, 0, v6
	v_cmp_ne_u32_e64 s[0:1], 0, v0
	s_and_b64 s[0:1], vcc, s[0:1]
	v_cndmask_b32_e64 v0, 0, 1, s[0:1]
	v_add_u32_e32 v5, v5, v0
; %bb.966:
	s_or_b64 exec, exec, s[10:11]
	s_mov_b64 s[0:1], 0
	global_store_byte v[1:2], v5, off
.LBB31_967:
	s_mov_b64 s[10:11], 0
.LBB31_968:
	s_and_b64 vcc, exec, s[10:11]
	s_cbranch_vccz .LBB31_971
; %bb.969:
	s_cmp_eq_u32 s18, 29
	s_mov_b64 s[0:1], -1
	s_cbranch_scc0 .LBB31_971
; %bb.970:
	v_bfe_i32 v5, v4, 0, 8
	v_ashrrev_i32_e32 v6, 31, v5
	global_store_dwordx2 v[1:2], v[5:6], off
	s_mov_b64 s[0:1], 0
.LBB31_971:
	s_mov_b64 s[10:11], 0
.LBB31_972:
	s_and_b64 vcc, exec, s[10:11]
	s_cbranch_vccz .LBB31_987
; %bb.973:
	s_cmp_lt_i32 s18, 27
	s_mov_b64 s[10:11], -1
	s_cbranch_scc1 .LBB31_979
; %bb.974:
	s_cmp_gt_i32 s18, 27
	s_cbranch_scc0 .LBB31_976
; %bb.975:
	v_bfe_i32 v0, v4, 0, 8
	s_mov_b64 s[10:11], 0
	global_store_dword v[1:2], v0, off
.LBB31_976:
	s_andn2_b64 vcc, exec, s[10:11]
	s_cbranch_vccnz .LBB31_978
; %bb.977:
	v_bfe_i32 v0, v4, 0, 8
	global_store_short v[1:2], v0, off
.LBB31_978:
	s_mov_b64 s[10:11], 0
.LBB31_979:
	s_andn2_b64 vcc, exec, s[10:11]
	s_cbranch_vccnz .LBB31_987
; %bb.980:
	v_bfe_i32 v0, v4, 0, 8
	v_cvt_f32_i32_sdwa v0, sext(v0) dst_sel:DWORD dst_unused:UNUSED_PAD src0_sel:WORD_0
	s_mov_b32 s10, 0x43800000
	v_mov_b32_e32 v5, 0x80
	v_and_b32_e32 v3, 0x7fffffff, v0
	v_cmp_gt_u32_e32 vcc, s10, v3
	s_and_saveexec_b64 s[10:11], vcc
	s_cbranch_execz .LBB31_986
; %bb.981:
	s_mov_b32 s12, 0x3bffffff
	v_cmp_lt_u32_e32 vcc, s12, v3
	s_mov_b64 s[12:13], 0
                                        ; implicit-def: $vgpr3
	s_and_saveexec_b64 s[14:15], vcc
	s_xor_b64 s[14:15], exec, s[14:15]
	s_cbranch_execz .LBB31_1140
; %bb.982:
	v_bfe_u32 v3, v0, 20, 1
	s_mov_b32 s16, 0x487ffff
	v_add3_u32 v3, v0, v3, s16
	s_mov_b64 s[12:13], exec
	v_lshrrev_b32_e32 v3, 20, v3
	s_andn2_saveexec_b64 s[14:15], s[14:15]
	s_cbranch_execnz .LBB31_1141
.LBB31_983:
	s_or_b64 exec, exec, s[14:15]
	v_mov_b32_e32 v5, 0
	s_and_saveexec_b64 s[14:15], s[12:13]
.LBB31_984:
	v_lshrrev_b32_e32 v0, 24, v0
	s_movk_i32 s12, 0x80
	v_and_or_b32 v5, v0, s12, v3
.LBB31_985:
	s_or_b64 exec, exec, s[14:15]
.LBB31_986:
	s_or_b64 exec, exec, s[10:11]
	global_store_byte v[1:2], v5, off
.LBB31_987:
	s_mov_b64 s[12:13], 0
.LBB31_988:
	s_mov_b64 s[10:11], 0
	s_and_b64 vcc, exec, s[12:13]
	s_cbranch_vccz .LBB31_1028
; %bb.989:
	s_cmp_gt_i32 s18, 22
	s_mov_b64 s[12:13], -1
	s_cbranch_scc0 .LBB31_1021
; %bb.990:
	s_cmp_lt_i32 s18, 24
	s_cbranch_scc1 .LBB31_1010
; %bb.991:
	s_cmp_gt_i32 s18, 24
	s_cbranch_scc0 .LBB31_999
; %bb.992:
	v_bfe_i32 v0, v4, 0, 8
	v_cvt_f32_i32_sdwa v0, sext(v0) dst_sel:DWORD dst_unused:UNUSED_PAD src0_sel:WORD_0
	s_mov_b32 s12, 0x47800000
	v_mov_b32_e32 v5, 0x80
	v_and_b32_e32 v3, 0x7fffffff, v0
	v_cmp_gt_u32_e32 vcc, s12, v3
	s_and_saveexec_b64 s[12:13], vcc
	s_cbranch_execz .LBB31_998
; %bb.993:
	s_mov_b32 s14, 0x37ffffff
	v_cmp_lt_u32_e32 vcc, s14, v3
	s_mov_b64 s[14:15], 0
                                        ; implicit-def: $vgpr3
	s_and_saveexec_b64 s[16:17], vcc
	s_xor_b64 s[16:17], exec, s[16:17]
	s_cbranch_execz .LBB31_1260
; %bb.994:
	v_bfe_u32 v3, v0, 21, 1
	s_mov_b32 s19, 0x88fffff
	v_add3_u32 v3, v0, v3, s19
	s_mov_b64 s[14:15], exec
	v_lshrrev_b32_e32 v3, 21, v3
	s_andn2_saveexec_b64 s[16:17], s[16:17]
	s_cbranch_execnz .LBB31_1261
.LBB31_995:
	s_or_b64 exec, exec, s[16:17]
	v_mov_b32_e32 v5, 0
	s_and_saveexec_b64 s[16:17], s[14:15]
.LBB31_996:
	v_lshrrev_b32_e32 v0, 24, v0
	s_movk_i32 s14, 0x80
	v_and_or_b32 v5, v0, s14, v3
.LBB31_997:
	s_or_b64 exec, exec, s[16:17]
.LBB31_998:
	s_or_b64 exec, exec, s[12:13]
	s_mov_b64 s[12:13], 0
	global_store_byte v[1:2], v5, off
.LBB31_999:
	s_and_b64 vcc, exec, s[12:13]
	s_cbranch_vccz .LBB31_1009
; %bb.1000:
	v_bfe_i32 v0, v4, 0, 8
	v_cvt_f32_i32_sdwa v0, sext(v0) dst_sel:DWORD dst_unused:UNUSED_PAD src0_sel:WORD_0
	s_mov_b32 s12, 0x43f00000
                                        ; implicit-def: $vgpr3
	v_and_b32_e32 v5, 0x7fffffff, v0
	v_cmp_gt_u32_e32 vcc, s12, v5
	s_and_saveexec_b64 s[12:13], vcc
	s_xor_b64 s[12:13], exec, s[12:13]
	s_cbranch_execz .LBB31_1006
; %bb.1001:
	s_mov_b32 s14, 0x3c7fffff
	v_cmp_lt_u32_e32 vcc, s14, v5
                                        ; implicit-def: $vgpr3
	s_and_saveexec_b64 s[14:15], vcc
	s_xor_b64 s[14:15], exec, s[14:15]
; %bb.1002:
	v_bfe_u32 v3, v0, 20, 1
	s_mov_b32 s16, 0x407ffff
	v_add3_u32 v3, v0, v3, s16
	v_lshrrev_b32_e32 v5, 20, v3
	v_and_b32_e32 v3, 0xff00000, v3
	s_mov_b32 s16, 0x7f00000
	v_mov_b32_e32 v6, 0x7e
	v_cmp_ne_u32_e32 vcc, s16, v3
	v_cndmask_b32_e32 v3, v6, v5, vcc
; %bb.1003:
	s_andn2_saveexec_b64 s[14:15], s[14:15]
; %bb.1004:
	s_mov_b32 s16, 0x46800000
	v_add_f32_e64 v3, |v0|, s16
; %bb.1005:
	s_or_b64 exec, exec, s[14:15]
                                        ; implicit-def: $vgpr5
.LBB31_1006:
	s_andn2_saveexec_b64 s[12:13], s[12:13]
; %bb.1007:
	s_mov_b32 s14, 0x7f800000
	v_mov_b32_e32 v3, 0x7e
	v_mov_b32_e32 v6, 0x7f
	v_cmp_lt_u32_e32 vcc, s14, v5
	v_cndmask_b32_e32 v3, v3, v6, vcc
; %bb.1008:
	s_or_b64 exec, exec, s[12:13]
	v_lshrrev_b32_e32 v0, 24, v0
	s_movk_i32 s12, 0x80
	v_and_or_b32 v0, v0, s12, v3
	global_store_byte v[1:2], v0, off
.LBB31_1009:
	s_mov_b64 s[12:13], 0
.LBB31_1010:
	s_andn2_b64 vcc, exec, s[12:13]
	s_cbranch_vccnz .LBB31_1020
; %bb.1011:
	v_bfe_i32 v0, v4, 0, 8
	v_cvt_f32_i32_sdwa v0, sext(v0) dst_sel:DWORD dst_unused:UNUSED_PAD src0_sel:WORD_0
	s_mov_b32 s12, 0x47800000
                                        ; implicit-def: $vgpr3
	v_and_b32_e32 v5, 0x7fffffff, v0
	v_cmp_gt_u32_e32 vcc, s12, v5
	s_and_saveexec_b64 s[12:13], vcc
	s_xor_b64 s[12:13], exec, s[12:13]
	s_cbranch_execz .LBB31_1017
; %bb.1012:
	s_mov_b32 s14, 0x387fffff
	v_cmp_lt_u32_e32 vcc, s14, v5
                                        ; implicit-def: $vgpr3
	s_and_saveexec_b64 s[14:15], vcc
	s_xor_b64 s[14:15], exec, s[14:15]
; %bb.1013:
	v_bfe_u32 v3, v0, 21, 1
	s_mov_b32 s16, 0x80fffff
	v_add3_u32 v3, v0, v3, s16
	v_lshrrev_b32_e32 v3, 21, v3
; %bb.1014:
	s_andn2_saveexec_b64 s[14:15], s[14:15]
; %bb.1015:
	s_mov_b32 s16, 0x43000000
	v_add_f32_e64 v3, |v0|, s16
; %bb.1016:
	s_or_b64 exec, exec, s[14:15]
                                        ; implicit-def: $vgpr5
.LBB31_1017:
	s_andn2_saveexec_b64 s[12:13], s[12:13]
; %bb.1018:
	s_mov_b32 s14, 0x7f800000
	v_mov_b32_e32 v3, 0x7c
	v_mov_b32_e32 v6, 0x7f
	v_cmp_lt_u32_e32 vcc, s14, v5
	v_cndmask_b32_e32 v3, v3, v6, vcc
; %bb.1019:
	s_or_b64 exec, exec, s[12:13]
	v_lshrrev_b32_e32 v0, 24, v0
	s_movk_i32 s12, 0x80
	v_and_or_b32 v0, v0, s12, v3
	global_store_byte v[1:2], v0, off
.LBB31_1020:
	s_mov_b64 s[12:13], 0
.LBB31_1021:
	s_andn2_b64 vcc, exec, s[12:13]
	s_mov_b64 s[12:13], 0
	s_cbranch_vccnz .LBB31_1029
; %bb.1022:
	s_cmp_gt_i32 s18, 14
	s_mov_b64 s[14:15], -1
	s_cbranch_scc0 .LBB31_1026
; %bb.1023:
	s_cmp_eq_u32 s18, 15
	s_mov_b64 s[0:1], -1
	s_cbranch_scc0 .LBB31_1025
; %bb.1024:
	v_bfe_i32 v0, v4, 0, 8
	v_cvt_f32_i32_sdwa v0, sext(v0) dst_sel:DWORD dst_unused:UNUSED_PAD src0_sel:WORD_0
	s_movk_i32 s0, 0x7fff
	v_bfe_u32 v3, v0, 16, 1
	v_add3_u32 v0, v0, v3, s0
	global_store_short_d16_hi v[1:2], v0, off
	s_mov_b64 s[0:1], 0
.LBB31_1025:
	s_mov_b64 s[14:15], 0
.LBB31_1026:
	s_and_b64 vcc, exec, s[14:15]
	s_cbranch_vccz .LBB31_1029
; %bb.1027:
	s_cmp_lg_u32 s18, 11
	s_cselect_b64 s[14:15], -1, 0
	s_andn2_b64 s[0:1], s[0:1], exec
	s_and_b64 s[14:15], s[14:15], exec
	s_mov_b64 s[12:13], -1
	s_or_b64 s[0:1], s[0:1], s[14:15]
	s_branch .LBB31_1029
.LBB31_1028:
	s_mov_b64 s[12:13], 0
.LBB31_1029:
	s_andn2_b64 s[14:15], s[52:53], exec
	s_and_b64 s[0:1], s[0:1], exec
	s_and_b64 s[10:11], s[10:11], exec
	;; [unrolled: 1-line block ×3, first 2 shown]
	s_or_b64 s[52:53], s[14:15], s[0:1]
	s_or_b64 exec, exec, s[8:9]
	s_and_saveexec_b64 s[0:1], s[52:53]
	s_cbranch_execz .LBB31_958
.LBB31_1030:
	s_or_b64 s[2:3], s[2:3], exec
	s_andn2_b64 s[12:13], s[12:13], exec
	s_trap 2
	s_or_b64 exec, exec, s[0:1]
	s_and_saveexec_b64 s[0:1], s[12:13]
	s_xor_b64 s[0:1], exec, s[0:1]
	s_cbranch_execnz .LBB31_959
.LBB31_1031:
	s_or_b64 exec, exec, s[0:1]
	s_and_saveexec_b64 s[0:1], s[10:11]
	s_xor_b64 s[0:1], exec, s[0:1]
	s_cbranch_execz .LBB31_1069
.LBB31_1032:
	s_sext_i32_i16 s10, s73
	s_cmp_lt_i32 s10, 5
	s_mov_b64 s[8:9], -1
	s_cbranch_scc1 .LBB31_1053
; %bb.1033:
	s_cmp_lt_i32 s10, 8
	s_cbranch_scc1 .LBB31_1043
; %bb.1034:
	s_cmp_lt_i32 s10, 9
	s_cbranch_scc1 .LBB31_1040
; %bb.1035:
	s_cmp_gt_i32 s10, 9
	s_cbranch_scc0 .LBB31_1037
; %bb.1036:
	s_waitcnt vmcnt(0)
	v_bfe_i32 v0, v4, 0, 8
	v_bfe_i32 v0, v0, 0, 16
	v_cvt_f64_i32_e32 v[5:6], v0
	v_mov_b32_e32 v7, 0
	v_mov_b32_e32 v8, v7
	s_mov_b64 s[8:9], 0
	global_store_dwordx4 v[1:2], v[5:8], off
.LBB31_1037:
	s_andn2_b64 vcc, exec, s[8:9]
	s_cbranch_vccnz .LBB31_1039
; %bb.1038:
	s_waitcnt vmcnt(0)
	v_bfe_i32 v0, v4, 0, 8
	v_cvt_f32_i32_sdwa v5, sext(v0) dst_sel:DWORD dst_unused:UNUSED_PAD src0_sel:WORD_0
	v_mov_b32_e32 v6, 0
	global_store_dwordx2 v[1:2], v[5:6], off
.LBB31_1039:
	s_mov_b64 s[8:9], 0
.LBB31_1040:
	s_andn2_b64 vcc, exec, s[8:9]
	s_cbranch_vccnz .LBB31_1042
; %bb.1041:
	s_waitcnt vmcnt(0)
	v_cvt_f16_i16_sdwa v0, sext(v4) dst_sel:DWORD dst_unused:UNUSED_PAD src0_sel:BYTE_0
	global_store_dword v[1:2], v0, off
.LBB31_1042:
	s_mov_b64 s[8:9], 0
.LBB31_1043:
	s_andn2_b64 vcc, exec, s[8:9]
	s_cbranch_vccnz .LBB31_1052
; %bb.1044:
	s_sext_i32_i16 s10, s73
	s_cmp_lt_i32 s10, 6
	s_mov_b64 s[8:9], -1
	s_cbranch_scc1 .LBB31_1050
; %bb.1045:
	s_cmp_gt_i32 s10, 6
	s_cbranch_scc0 .LBB31_1047
; %bb.1046:
	s_waitcnt vmcnt(0)
	v_bfe_i32 v0, v4, 0, 8
	v_bfe_i32 v0, v0, 0, 16
	v_cvt_f64_i32_e32 v[5:6], v0
	s_mov_b64 s[8:9], 0
	global_store_dwordx2 v[1:2], v[5:6], off
.LBB31_1047:
	s_andn2_b64 vcc, exec, s[8:9]
	s_cbranch_vccnz .LBB31_1049
; %bb.1048:
	s_waitcnt vmcnt(0)
	v_bfe_i32 v0, v4, 0, 8
	v_cvt_f32_i32_sdwa v0, sext(v0) dst_sel:DWORD dst_unused:UNUSED_PAD src0_sel:WORD_0
	global_store_dword v[1:2], v0, off
.LBB31_1049:
	s_mov_b64 s[8:9], 0
.LBB31_1050:
	s_andn2_b64 vcc, exec, s[8:9]
	s_cbranch_vccnz .LBB31_1052
; %bb.1051:
	s_waitcnt vmcnt(0)
	v_cvt_f16_i16_sdwa v0, sext(v4) dst_sel:DWORD dst_unused:UNUSED_PAD src0_sel:BYTE_0
	global_store_short v[1:2], v0, off
.LBB31_1052:
	s_mov_b64 s[8:9], 0
.LBB31_1053:
	s_andn2_b64 vcc, exec, s[8:9]
	s_cbranch_vccnz .LBB31_1069
; %bb.1054:
	s_sext_i32_i16 s10, s73
	s_cmp_lt_i32 s10, 2
	s_mov_b64 s[8:9], -1
	s_cbranch_scc1 .LBB31_1064
; %bb.1055:
	s_cmp_lt_i32 s10, 3
	s_cbranch_scc1 .LBB31_1061
; %bb.1056:
	s_cmp_gt_i32 s10, 3
	s_cbranch_scc0 .LBB31_1058
; %bb.1057:
	s_waitcnt vmcnt(0)
	v_bfe_i32 v5, v4, 0, 8
	v_ashrrev_i32_e32 v6, 31, v5
	s_mov_b64 s[8:9], 0
	global_store_dwordx2 v[1:2], v[5:6], off
.LBB31_1058:
	s_andn2_b64 vcc, exec, s[8:9]
	s_cbranch_vccnz .LBB31_1060
; %bb.1059:
	s_waitcnt vmcnt(0)
	v_bfe_i32 v0, v4, 0, 8
	global_store_dword v[1:2], v0, off
.LBB31_1060:
	s_mov_b64 s[8:9], 0
.LBB31_1061:
	s_andn2_b64 vcc, exec, s[8:9]
	s_cbranch_vccnz .LBB31_1063
; %bb.1062:
	s_waitcnt vmcnt(0)
	v_bfe_i32 v0, v4, 0, 8
	global_store_short v[1:2], v0, off
.LBB31_1063:
	s_mov_b64 s[8:9], 0
.LBB31_1064:
	s_andn2_b64 vcc, exec, s[8:9]
	s_cbranch_vccnz .LBB31_1069
; %bb.1065:
	s_sext_i32_i16 s8, s73
	s_cmp_gt_i32 s8, 0
	s_mov_b64 s[8:9], -1
	s_cbranch_scc0 .LBB31_1067
; %bb.1066:
	s_mov_b64 s[8:9], 0
	s_waitcnt vmcnt(0)
	global_store_byte v[1:2], v4, off
.LBB31_1067:
	s_andn2_b64 vcc, exec, s[8:9]
	s_cbranch_vccnz .LBB31_1069
; %bb.1068:
	s_waitcnt vmcnt(0)
	global_store_byte v[1:2], v4, off
.LBB31_1069:
	s_or_b64 exec, exec, s[0:1]
	s_waitcnt lgkmcnt(0)
	s_and_b64 s[28:29], s[2:3], exec
                                        ; implicit-def: $vgpr15
                                        ; implicit-def: $vgpr8
.LBB31_1070:
	s_or_saveexec_b64 s[30:31], s[42:43]
	s_mov_b64 s[0:1], 0
                                        ; implicit-def: $vgpr0_vgpr1
                                        ; implicit-def: $sgpr14
                                        ; implicit-def: $vgpr2
	s_xor_b64 exec, exec, s[30:31]
	s_cbranch_execz .LBB31_2057
; %bb.1071:
	v_cndmask_b32_e64 v0, 0, 1, s[40:41]
	v_cmp_ne_u32_e64 s[0:1], 1, v0
	s_andn2_b64 vcc, exec, s[40:41]
	s_cbranch_vccnz .LBB31_1077
; %bb.1072:
	s_cmp_lg_u32 s33, 0
	s_mov_b32 s36, 0
	s_cbranch_scc0 .LBB31_1078
; %bb.1073:
	s_min_u32 s37, s72, 15
	s_add_i32 s37, s37, 1
	s_cmp_eq_u32 s72, 2
	s_cbranch_scc1 .LBB31_1079
; %bb.1074:
	s_and_b32 s36, s37, 28
	s_add_u32 s2, s34, 0xc4
	s_addc_u32 s3, s35, 0
	v_mov_b32_e32 v13, 0
	s_mov_b32 s38, 0
	s_mov_b64 s[6:7], s[34:35]
	v_mov_b32_e32 v6, 0
	v_mov_b32_e32 v0, v8
.LBB31_1075:                            ; =>This Inner Loop Header: Depth=1
	s_load_dwordx8 s[16:23], s[6:7], 0x4
	s_load_dwordx4 s[24:27], s[6:7], 0x24
	s_load_dwordx8 s[8:15], s[2:3], 0x0
	s_add_u32 s6, s6, 48
	s_addc_u32 s7, s7, 0
	s_waitcnt lgkmcnt(0)
	v_mul_hi_u32 v1, s17, v0
	s_add_i32 s38, s38, 4
	s_add_u32 s2, s2, 32
	s_addc_u32 s3, s3, 0
	v_add_u32_e32 v1, v0, v1
	v_lshrrev_b32_e32 v1, s18, v1
	v_mul_lo_u32 v2, v1, s16
	s_waitcnt vmcnt(0)
	v_mul_hi_u32 v3, s20, v1
	s_cmp_lg_u32 s36, s38
	v_sub_u32_e32 v0, v0, v2
	v_add_u32_e32 v2, v1, v3
	v_mul_lo_u32 v3, v0, s8
	v_mul_lo_u32 v4, v0, s9
	v_lshrrev_b32_e32 v0, s21, v2
	v_mul_lo_u32 v2, v0, s19
	v_mul_hi_u32 v5, s23, v0
	v_sub_u32_e32 v1, v1, v2
	v_add_u32_e32 v2, v0, v5
	v_lshrrev_b32_e32 v2, s24, v2
	v_mul_hi_u32 v7, s26, v2
	v_mul_lo_u32 v9, v2, s22
	v_mul_lo_u32 v5, v1, s10
	;; [unrolled: 1-line block ×3, first 2 shown]
	v_sub_u32_e32 v9, v0, v9
	v_add_u32_e32 v0, v2, v7
	v_lshrrev_b32_e32 v0, s27, v0
	v_mul_lo_u32 v7, v0, s25
	v_mul_lo_u32 v10, v9, s12
	;; [unrolled: 1-line block ×3, first 2 shown]
	v_add3_u32 v3, v3, v6, v5
	v_sub_u32_e32 v2, v2, v7
	v_mul_lo_u32 v7, v2, s14
	v_mul_lo_u32 v2, v2, s15
	v_add3_u32 v1, v4, v13, v1
	v_add3_u32 v6, v10, v3, v7
	;; [unrolled: 1-line block ×3, first 2 shown]
	s_cbranch_scc1 .LBB31_1075
; %bb.1076:
	s_and_b32 s8, s37, 3
	s_cmp_eq_u32 s8, 0
	s_cbranch_scc0 .LBB31_1080
	s_branch .LBB31_1082
.LBB31_1077:
                                        ; implicit-def: $vgpr6
                                        ; implicit-def: $vgpr13
	s_branch .LBB31_1083
.LBB31_1078:
	v_mov_b32_e32 v6, 0
	v_mov_b32_e32 v13, 0
	s_branch .LBB31_1082
.LBB31_1079:
	v_mov_b32_e32 v6, 0
	v_mov_b32_e32 v13, 0
	;; [unrolled: 1-line block ×3, first 2 shown]
	s_and_b32 s8, s37, 3
	s_cmp_eq_u32 s8, 0
	s_cbranch_scc1 .LBB31_1082
.LBB31_1080:
	s_lshl_b32 s2, s36, 3
	s_add_u32 s2, s34, s2
	s_addc_u32 s3, s35, 0
	s_add_u32 s2, s2, 0xc4
	s_addc_u32 s3, s3, 0
	s_mul_i32 s6, s36, 12
	s_add_u32 s6, s34, s6
	s_addc_u32 s7, s35, 0
.LBB31_1081:                            ; =>This Inner Loop Header: Depth=1
	s_load_dwordx2 s[10:11], s[6:7], 0x4
	s_load_dword s9, s[6:7], 0xc
	s_load_dwordx2 s[12:13], s[2:3], 0x0
	s_add_u32 s6, s6, 12
	s_addc_u32 s7, s7, 0
	s_waitcnt lgkmcnt(0)
	v_mul_hi_u32 v1, s11, v0
	s_add_u32 s2, s2, 8
	s_addc_u32 s3, s3, 0
	s_add_i32 s8, s8, -1
	v_add_u32_e32 v1, v0, v1
	v_lshrrev_b32_e32 v1, s9, v1
	v_mul_lo_u32 v2, v1, s10
	s_cmp_lg_u32 s8, 0
	v_sub_u32_e32 v0, v0, v2
	v_mad_u64_u32 v[6:7], s[10:11], v0, s12, v[6:7]
	v_mad_u64_u32 v[13:14], s[10:11], v0, s13, v[13:14]
	v_mov_b32_e32 v0, v1
	s_cbranch_scc1 .LBB31_1081
.LBB31_1082:
	s_cbranch_execnz .LBB31_1085
.LBB31_1083:
	s_load_dwordx4 s[8:11], s[34:35], 0x4
	s_load_dwordx2 s[2:3], s[34:35], 0xc4
	s_cmp_lt_u32 s33, 2
	s_waitcnt lgkmcnt(0)
	v_mul_hi_u32 v0, s9, v8
	v_add_u32_e32 v0, v8, v0
	v_lshrrev_b32_e32 v0, s10, v0
	v_mul_lo_u32 v1, v0, s8
	v_sub_u32_e32 v1, v8, v1
	v_mul_lo_u32 v6, v1, s2
	v_mul_lo_u32 v13, v1, s3
	s_cbranch_scc1 .LBB31_1085
; %bb.1084:
	s_load_dwordx4 s[8:11], s[34:35], 0x10
	s_load_dwordx2 s[2:3], s[34:35], 0xcc
	s_waitcnt lgkmcnt(0)
	v_mul_hi_u32 v1, s9, v0
	v_add_u32_e32 v1, v0, v1
	v_lshrrev_b32_e32 v1, s10, v1
	v_mul_lo_u32 v1, v1, s8
	v_sub_u32_e32 v0, v0, v1
	v_mad_u64_u32 v[6:7], s[6:7], v0, s2, v[6:7]
	v_mad_u64_u32 v[13:14], s[2:3], v0, s3, v[13:14]
.LBB31_1085:
	s_and_b64 vcc, exec, s[0:1]
	v_add_u32_e32 v0, 0x80, v8
	s_cbranch_vccnz .LBB31_1091
; %bb.1086:
	s_cmp_lg_u32 s33, 0
	s_mov_b32 s36, 0
	s_cbranch_scc0 .LBB31_1092
; %bb.1087:
	s_min_u32 s37, s72, 15
	s_add_i32 s37, s37, 1
	s_cmp_eq_u32 s72, 2
	s_cbranch_scc1 .LBB31_1093
; %bb.1088:
	s_and_b32 s36, s37, 28
	s_add_u32 s2, s34, 0xc4
	s_addc_u32 s3, s35, 0
	v_mov_b32_e32 v11, 0
	s_mov_b32 s38, 0
	s_mov_b64 s[6:7], s[34:35]
	s_waitcnt vmcnt(0)
	v_mov_b32_e32 v4, 0
	v_mov_b32_e32 v1, v0
.LBB31_1089:                            ; =>This Inner Loop Header: Depth=1
	s_load_dwordx8 s[16:23], s[6:7], 0x4
	s_load_dwordx4 s[24:27], s[6:7], 0x24
	s_load_dwordx8 s[8:15], s[2:3], 0x0
	s_add_u32 s6, s6, 48
	s_addc_u32 s7, s7, 0
	s_waitcnt lgkmcnt(0)
	v_mul_hi_u32 v2, s17, v1
	s_add_i32 s38, s38, 4
	s_add_u32 s2, s2, 32
	s_addc_u32 s3, s3, 0
	v_add_u32_e32 v2, v1, v2
	v_lshrrev_b32_e32 v2, s18, v2
	v_mul_lo_u32 v3, v2, s16
	v_mul_hi_u32 v5, s20, v2
	s_cmp_lg_u32 s36, s38
	v_sub_u32_e32 v1, v1, v3
	v_add_u32_e32 v3, v2, v5
	v_mul_lo_u32 v5, v1, s8
	v_mul_lo_u32 v7, v1, s9
	v_lshrrev_b32_e32 v1, s21, v3
	v_mul_lo_u32 v3, v1, s19
	v_mul_hi_u32 v9, s23, v1
	v_sub_u32_e32 v2, v2, v3
	v_add_u32_e32 v3, v1, v9
	v_lshrrev_b32_e32 v3, s24, v3
	v_mul_hi_u32 v10, s26, v3
	v_mul_lo_u32 v12, v3, s22
	v_mul_lo_u32 v9, v2, s10
	;; [unrolled: 1-line block ×3, first 2 shown]
	v_sub_u32_e32 v12, v1, v12
	v_add_u32_e32 v1, v3, v10
	v_lshrrev_b32_e32 v1, s27, v1
	v_mul_lo_u32 v10, v1, s25
	v_mul_lo_u32 v14, v12, s12
	;; [unrolled: 1-line block ×3, first 2 shown]
	v_add3_u32 v4, v5, v4, v9
	v_sub_u32_e32 v3, v3, v10
	v_mul_lo_u32 v10, v3, s14
	v_mul_lo_u32 v3, v3, s15
	v_add3_u32 v2, v7, v11, v2
	v_add3_u32 v4, v14, v4, v10
	;; [unrolled: 1-line block ×3, first 2 shown]
	s_cbranch_scc1 .LBB31_1089
; %bb.1090:
	s_and_b32 s8, s37, 3
	s_cmp_eq_u32 s8, 0
	s_cbranch_scc0 .LBB31_1094
	s_branch .LBB31_1096
.LBB31_1091:
                                        ; implicit-def: $vgpr4
                                        ; implicit-def: $vgpr11
	s_branch .LBB31_1097
.LBB31_1092:
	s_waitcnt vmcnt(0)
	v_mov_b32_e32 v4, 0
	v_mov_b32_e32 v11, 0
	s_branch .LBB31_1096
.LBB31_1093:
	s_waitcnt vmcnt(0)
	v_mov_b32_e32 v4, 0
	v_mov_b32_e32 v11, 0
	;; [unrolled: 1-line block ×3, first 2 shown]
	s_and_b32 s8, s37, 3
	s_cmp_eq_u32 s8, 0
	s_cbranch_scc1 .LBB31_1096
.LBB31_1094:
	s_lshl_b32 s2, s36, 3
	s_add_u32 s2, s34, s2
	s_addc_u32 s3, s35, 0
	s_add_u32 s2, s2, 0xc4
	s_addc_u32 s3, s3, 0
	s_mul_i32 s6, s36, 12
	s_add_u32 s6, s34, s6
	s_addc_u32 s7, s35, 0
.LBB31_1095:                            ; =>This Inner Loop Header: Depth=1
	s_load_dwordx2 s[10:11], s[6:7], 0x4
	s_load_dword s9, s[6:7], 0xc
	s_load_dwordx2 s[12:13], s[2:3], 0x0
	s_add_u32 s6, s6, 12
	s_addc_u32 s7, s7, 0
	s_waitcnt lgkmcnt(0)
	v_mul_hi_u32 v2, s11, v1
	s_add_u32 s2, s2, 8
	s_addc_u32 s3, s3, 0
	s_add_i32 s8, s8, -1
	v_add_u32_e32 v2, v1, v2
	v_lshrrev_b32_e32 v2, s9, v2
	v_mul_lo_u32 v3, v2, s10
	s_cmp_lg_u32 s8, 0
	v_sub_u32_e32 v1, v1, v3
	v_mad_u64_u32 v[4:5], s[10:11], v1, s12, v[4:5]
	v_mad_u64_u32 v[11:12], s[10:11], v1, s13, v[11:12]
	v_mov_b32_e32 v1, v2
	s_cbranch_scc1 .LBB31_1095
.LBB31_1096:
	s_cbranch_execnz .LBB31_1099
.LBB31_1097:
	s_load_dwordx4 s[8:11], s[34:35], 0x4
	s_load_dwordx2 s[2:3], s[34:35], 0xc4
	s_cmp_lt_u32 s33, 2
	s_waitcnt lgkmcnt(0)
	v_mul_hi_u32 v1, s9, v0
	v_add_u32_e32 v1, v0, v1
	v_lshrrev_b32_e32 v1, s10, v1
	v_mul_lo_u32 v2, v1, s8
	v_sub_u32_e32 v0, v0, v2
	s_waitcnt vmcnt(0)
	v_mul_lo_u32 v4, v0, s2
	v_mul_lo_u32 v11, v0, s3
	s_cbranch_scc1 .LBB31_1099
; %bb.1098:
	s_load_dwordx4 s[8:11], s[34:35], 0x10
	s_load_dwordx2 s[2:3], s[34:35], 0xcc
	s_waitcnt lgkmcnt(0)
	v_mul_hi_u32 v0, s9, v1
	v_add_u32_e32 v0, v1, v0
	v_lshrrev_b32_e32 v0, s10, v0
	v_mul_lo_u32 v0, v0, s8
	v_sub_u32_e32 v0, v1, v0
	v_mad_u64_u32 v[4:5], s[6:7], v0, s2, v[4:5]
	v_mad_u64_u32 v[11:12], s[2:3], v0, s3, v[11:12]
.LBB31_1099:
	s_and_b64 vcc, exec, s[0:1]
	v_add_u32_e32 v0, 0x100, v8
	s_cbranch_vccnz .LBB31_1105
; %bb.1100:
	s_cmp_lg_u32 s33, 0
	s_mov_b32 s36, 0
	s_cbranch_scc0 .LBB31_1106
; %bb.1101:
	s_min_u32 s37, s72, 15
	s_add_i32 s37, s37, 1
	s_cmp_eq_u32 s72, 2
	s_cbranch_scc1 .LBB31_1107
; %bb.1102:
	s_and_b32 s36, s37, 28
	s_add_u32 s2, s34, 0xc4
	s_addc_u32 s3, s35, 0
	v_mov_b32_e32 v9, 0
	s_mov_b32 s38, 0
	s_mov_b64 s[6:7], s[34:35]
	v_mov_b32_e32 v2, 0
	v_mov_b32_e32 v1, v0
.LBB31_1103:                            ; =>This Inner Loop Header: Depth=1
	s_load_dwordx8 s[16:23], s[6:7], 0x4
	s_load_dwordx4 s[24:27], s[6:7], 0x24
	s_load_dwordx8 s[8:15], s[2:3], 0x0
	s_add_u32 s6, s6, 48
	s_addc_u32 s7, s7, 0
	s_waitcnt vmcnt(0) lgkmcnt(0)
	v_mul_hi_u32 v3, s17, v1
	s_add_i32 s38, s38, 4
	s_add_u32 s2, s2, 32
	s_addc_u32 s3, s3, 0
	v_add_u32_e32 v3, v1, v3
	v_lshrrev_b32_e32 v3, s18, v3
	v_mul_lo_u32 v5, v3, s16
	v_mul_hi_u32 v7, s20, v3
	s_cmp_lg_u32 s36, s38
	v_sub_u32_e32 v1, v1, v5
	v_add_u32_e32 v5, v3, v7
	v_mul_lo_u32 v7, v1, s8
	v_mul_lo_u32 v8, v1, s9
	v_lshrrev_b32_e32 v1, s21, v5
	v_mul_lo_u32 v5, v1, s19
	v_mul_hi_u32 v10, s23, v1
	v_sub_u32_e32 v3, v3, v5
	v_add_u32_e32 v5, v1, v10
	v_lshrrev_b32_e32 v5, s24, v5
	v_mul_hi_u32 v12, s26, v5
	v_mul_lo_u32 v14, v5, s22
	v_mul_lo_u32 v10, v3, s10
	;; [unrolled: 1-line block ×3, first 2 shown]
	v_sub_u32_e32 v14, v1, v14
	v_add_u32_e32 v1, v5, v12
	v_lshrrev_b32_e32 v1, s27, v1
	v_mul_lo_u32 v12, v1, s25
	v_mul_lo_u32 v16, v14, s12
	;; [unrolled: 1-line block ×3, first 2 shown]
	v_add3_u32 v2, v7, v2, v10
	v_sub_u32_e32 v5, v5, v12
	v_mul_lo_u32 v12, v5, s14
	v_mul_lo_u32 v5, v5, s15
	v_add3_u32 v3, v8, v9, v3
	v_add3_u32 v2, v16, v2, v12
	;; [unrolled: 1-line block ×3, first 2 shown]
	s_cbranch_scc1 .LBB31_1103
; %bb.1104:
	s_and_b32 s8, s37, 3
	s_cmp_eq_u32 s8, 0
	s_cbranch_scc0 .LBB31_1108
	s_branch .LBB31_1110
.LBB31_1105:
                                        ; implicit-def: $vgpr2
                                        ; implicit-def: $vgpr9
	s_branch .LBB31_1111
.LBB31_1106:
	v_mov_b32_e32 v2, 0
	v_mov_b32_e32 v9, 0
	s_branch .LBB31_1110
.LBB31_1107:
	v_mov_b32_e32 v2, 0
	v_mov_b32_e32 v9, 0
	;; [unrolled: 1-line block ×3, first 2 shown]
	s_and_b32 s8, s37, 3
	s_cmp_eq_u32 s8, 0
	s_cbranch_scc1 .LBB31_1110
.LBB31_1108:
	s_lshl_b32 s2, s36, 3
	s_add_u32 s2, s34, s2
	s_addc_u32 s3, s35, 0
	s_add_u32 s2, s2, 0xc4
	s_addc_u32 s3, s3, 0
	s_mul_i32 s6, s36, 12
	s_add_u32 s6, s34, s6
	s_addc_u32 s7, s35, 0
.LBB31_1109:                            ; =>This Inner Loop Header: Depth=1
	s_load_dwordx2 s[10:11], s[6:7], 0x4
	s_load_dword s9, s[6:7], 0xc
	s_load_dwordx2 s[12:13], s[2:3], 0x0
	s_add_u32 s6, s6, 12
	s_addc_u32 s7, s7, 0
	s_waitcnt vmcnt(0) lgkmcnt(0)
	v_mul_hi_u32 v3, s11, v1
	s_add_u32 s2, s2, 8
	s_addc_u32 s3, s3, 0
	s_add_i32 s8, s8, -1
	v_add_u32_e32 v3, v1, v3
	v_lshrrev_b32_e32 v5, s9, v3
	v_mul_lo_u32 v3, v5, s10
	s_cmp_lg_u32 s8, 0
	v_sub_u32_e32 v1, v1, v3
	v_mad_u64_u32 v[2:3], s[10:11], v1, s12, v[2:3]
	v_mad_u64_u32 v[9:10], s[10:11], v1, s13, v[9:10]
	v_mov_b32_e32 v1, v5
	s_cbranch_scc1 .LBB31_1109
.LBB31_1110:
	s_cbranch_execnz .LBB31_1113
.LBB31_1111:
	s_load_dwordx4 s[8:11], s[34:35], 0x4
	s_load_dwordx2 s[2:3], s[34:35], 0xc4
	s_cmp_lt_u32 s33, 2
	s_waitcnt lgkmcnt(0)
	v_mul_hi_u32 v1, s9, v0
	v_add_u32_e32 v1, v0, v1
	v_lshrrev_b32_e32 v1, s10, v1
	v_mul_lo_u32 v2, v1, s8
	v_sub_u32_e32 v0, v0, v2
	v_mul_lo_u32 v2, v0, s2
	v_mul_lo_u32 v9, v0, s3
	s_cbranch_scc1 .LBB31_1113
; %bb.1112:
	s_load_dwordx4 s[8:11], s[34:35], 0x10
	s_load_dwordx2 s[2:3], s[34:35], 0xcc
	s_waitcnt lgkmcnt(0)
	v_mul_hi_u32 v0, s9, v1
	v_add_u32_e32 v0, v1, v0
	v_lshrrev_b32_e32 v0, s10, v0
	v_mul_lo_u32 v0, v0, s8
	v_sub_u32_e32 v0, v1, v0
	s_waitcnt vmcnt(0)
	v_mad_u64_u32 v[2:3], s[6:7], v0, s2, v[2:3]
	v_mad_u64_u32 v[9:10], s[2:3], v0, s3, v[9:10]
.LBB31_1113:
	s_and_b64 vcc, exec, s[0:1]
	s_cbranch_vccnz .LBB31_1119
; %bb.1114:
	s_cmp_lg_u32 s33, 0
	s_mov_b32 s26, 0
	s_cbranch_scc0 .LBB31_1120
; %bb.1115:
	s_min_u32 s27, s72, 15
	s_add_i32 s27, s27, 1
	s_cmp_eq_u32 s72, 2
	s_cbranch_scc1 .LBB31_1121
; %bb.1116:
	s_and_b32 s26, s27, 28
	s_add_u32 s6, s34, 0xc4
	s_addc_u32 s7, s35, 0
	v_mov_b32_e32 v7, 0
	s_mov_b32 s36, 0
	s_mov_b64 s[24:25], s[34:35]
	v_mov_b32_e32 v0, 0
	v_mov_b32_e32 v1, v15
.LBB31_1117:                            ; =>This Inner Loop Header: Depth=1
	s_load_dwordx8 s[16:23], s[24:25], 0x4
	s_load_dwordx4 s[0:3], s[24:25], 0x24
	s_load_dwordx8 s[8:15], s[6:7], 0x0
	s_add_u32 s24, s24, 48
	s_addc_u32 s25, s25, 0
	s_waitcnt vmcnt(0) lgkmcnt(0)
	v_mul_hi_u32 v3, s17, v1
	s_add_i32 s36, s36, 4
	s_add_u32 s6, s6, 32
	s_addc_u32 s7, s7, 0
	v_add_u32_e32 v3, v1, v3
	v_lshrrev_b32_e32 v3, s18, v3
	v_mul_lo_u32 v5, v3, s16
	v_mul_hi_u32 v8, s20, v3
	s_cmp_lg_u32 s26, s36
	v_sub_u32_e32 v1, v1, v5
	v_add_u32_e32 v5, v3, v8
	v_mul_lo_u32 v8, v1, s8
	v_mul_lo_u32 v10, v1, s9
	v_lshrrev_b32_e32 v1, s21, v5
	v_mul_lo_u32 v5, v1, s19
	v_mul_hi_u32 v12, s23, v1
	v_sub_u32_e32 v3, v3, v5
	v_add_u32_e32 v5, v1, v12
	v_lshrrev_b32_e32 v5, s0, v5
	v_mul_hi_u32 v14, s2, v5
	v_mul_lo_u32 v16, v5, s22
	v_mul_lo_u32 v12, v3, s10
	;; [unrolled: 1-line block ×3, first 2 shown]
	v_sub_u32_e32 v16, v1, v16
	v_add_u32_e32 v1, v5, v14
	v_lshrrev_b32_e32 v1, s3, v1
	v_mul_lo_u32 v14, v1, s1
	v_mul_lo_u32 v17, v16, s12
	;; [unrolled: 1-line block ×3, first 2 shown]
	v_add3_u32 v0, v8, v0, v12
	v_sub_u32_e32 v5, v5, v14
	v_mul_lo_u32 v14, v5, s14
	v_mul_lo_u32 v5, v5, s15
	v_add3_u32 v3, v10, v7, v3
	v_add3_u32 v0, v17, v0, v14
	;; [unrolled: 1-line block ×3, first 2 shown]
	s_cbranch_scc1 .LBB31_1117
; %bb.1118:
	s_and_b32 s6, s27, 3
	s_cmp_eq_u32 s6, 0
	s_cbranch_scc0 .LBB31_1122
	s_branch .LBB31_1124
.LBB31_1119:
                                        ; implicit-def: $vgpr0
                                        ; implicit-def: $vgpr7
	s_branch .LBB31_1125
.LBB31_1120:
	v_mov_b32_e32 v0, 0
	v_mov_b32_e32 v7, 0
	s_branch .LBB31_1124
.LBB31_1121:
	v_mov_b32_e32 v0, 0
	v_mov_b32_e32 v7, 0
	v_mov_b32_e32 v1, v15
	s_and_b32 s6, s27, 3
	s_cmp_eq_u32 s6, 0
	s_cbranch_scc1 .LBB31_1124
.LBB31_1122:
	s_lshl_b32 s0, s26, 3
	s_add_u32 s0, s34, s0
	s_addc_u32 s1, s35, 0
	s_add_u32 s0, s0, 0xc4
	s_addc_u32 s1, s1, 0
	s_mul_i32 s2, s26, 12
	s_add_u32 s2, s34, s2
	s_addc_u32 s3, s35, 0
.LBB31_1123:                            ; =>This Inner Loop Header: Depth=1
	s_load_dwordx2 s[8:9], s[2:3], 0x4
	s_load_dword s7, s[2:3], 0xc
	s_load_dwordx2 s[10:11], s[0:1], 0x0
	s_add_u32 s2, s2, 12
	s_addc_u32 s3, s3, 0
	s_waitcnt vmcnt(0) lgkmcnt(0)
	v_mul_hi_u32 v3, s9, v1
	s_add_u32 s0, s0, 8
	s_addc_u32 s1, s1, 0
	s_add_i32 s6, s6, -1
	v_add_u32_e32 v3, v1, v3
	v_lshrrev_b32_e32 v3, s7, v3
	v_mul_lo_u32 v5, v3, s8
	s_cmp_lg_u32 s6, 0
	v_sub_u32_e32 v5, v1, v5
	v_mad_u64_u32 v[0:1], s[8:9], v5, s10, v[0:1]
	v_mad_u64_u32 v[7:8], s[8:9], v5, s11, v[7:8]
	v_mov_b32_e32 v1, v3
	s_cbranch_scc1 .LBB31_1123
.LBB31_1124:
	s_cbranch_execnz .LBB31_1127
.LBB31_1125:
	s_load_dwordx4 s[0:3], s[34:35], 0x4
	s_load_dwordx2 s[6:7], s[34:35], 0xc4
	s_cmp_lt_u32 s33, 2
	s_waitcnt lgkmcnt(0)
	v_mul_hi_u32 v0, s1, v15
	v_add_u32_e32 v0, v15, v0
	v_lshrrev_b32_e32 v1, s2, v0
	v_mul_lo_u32 v0, v1, s0
	s_waitcnt vmcnt(0)
	v_sub_u32_e32 v3, v15, v0
	v_mul_lo_u32 v0, v3, s6
	v_mul_lo_u32 v7, v3, s7
	s_cbranch_scc1 .LBB31_1127
; %bb.1126:
	s_load_dwordx4 s[0:3], s[34:35], 0x10
	s_load_dwordx2 s[6:7], s[34:35], 0xcc
	s_waitcnt lgkmcnt(0)
	v_mul_hi_u32 v3, s1, v1
	v_add_u32_e32 v3, v1, v3
	v_lshrrev_b32_e32 v3, s2, v3
	v_mul_lo_u32 v3, v3, s0
	v_sub_u32_e32 v3, v1, v3
	v_mad_u64_u32 v[0:1], s[0:1], v3, s6, v[0:1]
	v_mad_u64_u32 v[7:8], s[0:1], v3, s7, v[7:8]
.LBB31_1127:
	s_load_dword s14, s[4:5], 0x160
	s_load_dwordx4 s[8:11], s[34:35], 0x148
	s_waitcnt lgkmcnt(0)
	s_lshr_b32 s12, s14, 24
	v_mov_b32_e32 v1, s11
	v_add_co_u32_e32 v15, vcc, s10, v13
	s_cmp_lt_i32 s12, 11
	v_addc_co_u32_e32 v16, vcc, 0, v1, vcc
	s_cbranch_scc1 .LBB31_1134
; %bb.1128:
	s_and_b32 s13, 0xffff, s12
	s_cmp_gt_i32 s13, 25
	s_mov_b64 s[4:5], 0
	s_cbranch_scc0 .LBB31_1136
; %bb.1129:
	s_cmp_gt_i32 s13, 28
	s_cbranch_scc0 .LBB31_1137
; %bb.1130:
	s_cmp_gt_i32 s13, 43
	;; [unrolled: 3-line block ×3, first 2 shown]
	s_cbranch_scc0 .LBB31_1139
; %bb.1132:
	s_cmp_eq_u32 s13, 46
	s_mov_b64 s[2:3], 0
	s_cbranch_scc0 .LBB31_1142
; %bb.1133:
	global_load_dword v1, v[15:16], off
	s_mov_b64 s[0:1], 0
	s_mov_b64 s[6:7], -1
	s_waitcnt vmcnt(0)
	v_lshlrev_b32_e32 v1, 16, v1
	v_cvt_i32_f32_e32 v13, v1
	s_branch .LBB31_1143
.LBB31_1134:
	s_mov_b64 s[6:7], 0
                                        ; implicit-def: $vgpr13
	s_mov_b64 s[2:3], s[28:29]
	s_cbranch_execnz .LBB31_1201
.LBB31_1135:
	s_andn2_b64 vcc, exec, s[6:7]
	s_cbranch_vccz .LBB31_1246
	s_branch .LBB31_2055
.LBB31_1136:
	s_mov_b64 s[6:7], 0
	s_mov_b64 s[0:1], 0
                                        ; implicit-def: $vgpr13
	s_cbranch_execnz .LBB31_1168
	s_branch .LBB31_1197
.LBB31_1137:
	s_mov_b64 s[6:7], 0
	s_mov_b64 s[0:1], 0
                                        ; implicit-def: $vgpr13
	s_cbranch_execz .LBB31_1167
	s_branch .LBB31_1152
.LBB31_1138:
	s_mov_b64 s[6:7], 0
	s_mov_b64 s[0:1], 0
                                        ; implicit-def: $vgpr13
	s_cbranch_execnz .LBB31_1148
	s_branch .LBB31_1151
.LBB31_1139:
	s_mov_b64 s[2:3], -1
	s_mov_b64 s[6:7], 0
	s_mov_b64 s[0:1], 0
                                        ; implicit-def: $vgpr13
	s_branch .LBB31_1143
.LBB31_1140:
	s_andn2_saveexec_b64 s[14:15], s[14:15]
	s_cbranch_execz .LBB31_983
.LBB31_1141:
	s_mov_b32 s16, 0x46000000
	v_add_f32_e64 v3, |v0|, s16
	v_and_b32_e32 v3, 0xff, v3
	v_cmp_ne_u32_e32 vcc, 0, v3
	s_andn2_b64 s[12:13], s[12:13], exec
	s_and_b64 s[16:17], vcc, exec
	s_or_b64 s[12:13], s[12:13], s[16:17]
	s_or_b64 exec, exec, s[14:15]
	v_mov_b32_e32 v5, 0
	s_and_saveexec_b64 s[14:15], s[12:13]
	s_cbranch_execnz .LBB31_984
	s_branch .LBB31_985
.LBB31_1142:
	s_mov_b64 s[0:1], -1
                                        ; implicit-def: $vgpr13
	s_mov_b64 s[6:7], 0
.LBB31_1143:
	s_and_b64 vcc, exec, s[2:3]
	s_cbranch_vccz .LBB31_1146
; %bb.1144:
	s_cmp_eq_u32 s13, 44
	s_cbranch_scc0 .LBB31_1147
; %bb.1145:
	global_load_ubyte v1, v[15:16], off
	s_mov_b64 s[0:1], 0
	s_mov_b64 s[6:7], -1
	s_waitcnt vmcnt(0)
	v_lshlrev_b32_e32 v3, 23, v1
	v_cvt_i32_f32_e32 v3, v3
	v_cmp_ne_u32_e32 vcc, 0, v1
	v_cndmask_b32_e32 v13, 0, v3, vcc
.LBB31_1146:
	s_branch .LBB31_1151
.LBB31_1147:
	s_mov_b64 s[0:1], -1
                                        ; implicit-def: $vgpr13
	s_branch .LBB31_1151
.LBB31_1148:
	s_cmp_eq_u32 s13, 29
	s_cbranch_scc0 .LBB31_1150
; %bb.1149:
	global_load_dwordx2 v[13:14], v[15:16], off
	s_mov_b64 s[0:1], 0
	s_mov_b64 s[6:7], -1
	s_branch .LBB31_1151
.LBB31_1150:
	s_mov_b64 s[0:1], -1
                                        ; implicit-def: $vgpr13
.LBB31_1151:
	s_branch .LBB31_1167
.LBB31_1152:
	s_cmp_lt_i32 s13, 27
	s_cbranch_scc1 .LBB31_1155
; %bb.1153:
	s_cmp_gt_i32 s13, 27
	s_cbranch_scc0 .LBB31_1156
; %bb.1154:
	global_load_dword v13, v[15:16], off
	s_mov_b64 s[2:3], 0
	s_branch .LBB31_1157
.LBB31_1155:
	s_mov_b64 s[2:3], -1
                                        ; implicit-def: $vgpr13
	s_branch .LBB31_1160
.LBB31_1156:
	s_mov_b64 s[2:3], -1
                                        ; implicit-def: $vgpr13
.LBB31_1157:
	s_andn2_b64 vcc, exec, s[2:3]
	s_cbranch_vccnz .LBB31_1159
; %bb.1158:
	global_load_ushort v13, v[15:16], off
.LBB31_1159:
	s_mov_b64 s[2:3], 0
.LBB31_1160:
	s_andn2_b64 vcc, exec, s[2:3]
	s_cbranch_vccnz .LBB31_1166
; %bb.1161:
	global_load_ubyte v1, v[15:16], off
	s_movk_i32 s2, 0x7f
	s_mov_b64 s[6:7], 0
	s_waitcnt vmcnt(0)
	v_cmp_lt_i16_e32 vcc, s2, v1
	s_and_saveexec_b64 s[2:3], vcc
	s_xor_b64 s[2:3], exec, s[2:3]
	s_cbranch_execz .LBB31_1177
; %bb.1162:
	s_movk_i32 s6, 0x80
	v_cmp_ne_u16_e32 vcc, s6, v1
	s_and_b64 s[6:7], vcc, exec
	s_andn2_saveexec_b64 s[2:3], s[2:3]
	s_cbranch_execnz .LBB31_1178
.LBB31_1163:
	s_or_b64 exec, exec, s[2:3]
	v_mov_b32_e32 v13, 0
	s_and_saveexec_b64 s[2:3], s[6:7]
	s_cbranch_execz .LBB31_1165
.LBB31_1164:
	v_lshlrev_b32_e32 v3, 24, v1
	v_and_b32_e32 v1, 0xffff, v1
	v_and_b32_e32 v5, 7, v1
	v_ffbh_u32_e32 v10, v5
	v_min_u32_e32 v10, 32, v10
	v_subrev_u32_e32 v12, 28, v10
	v_bfe_u32 v8, v1, 3, 4
	v_lshlrev_b32_e32 v1, v12, v1
	v_sub_u32_e32 v10, 29, v10
	v_and_b32_e32 v1, 7, v1
	v_cmp_eq_u32_e32 vcc, 0, v8
	v_cndmask_b32_e32 v8, v8, v10, vcc
	v_cndmask_b32_e32 v1, v5, v1, vcc
	v_mov_b32_e32 v5, 0x3b800000
	v_lshlrev_b32_e32 v1, 20, v1
	v_and_b32_e32 v3, 0x80000000, v3
	v_lshl_add_u32 v5, v8, 23, v5
	v_or3_b32 v1, v3, v5, v1
	v_cvt_i32_f32_e32 v13, v1
.LBB31_1165:
	s_or_b64 exec, exec, s[2:3]
.LBB31_1166:
	s_mov_b64 s[6:7], -1
.LBB31_1167:
	s_branch .LBB31_1197
.LBB31_1168:
	s_cmp_gt_i32 s13, 22
	s_cbranch_scc0 .LBB31_1176
; %bb.1169:
	s_cmp_lt_i32 s13, 24
	s_cbranch_scc1 .LBB31_1179
; %bb.1170:
	s_cmp_gt_i32 s13, 24
	s_cbranch_scc0 .LBB31_1180
; %bb.1171:
	global_load_ubyte v1, v[15:16], off
	s_movk_i32 s2, 0x7f
	s_waitcnt vmcnt(0)
	v_cmp_lt_i16_e32 vcc, s2, v1
	s_and_saveexec_b64 s[2:3], vcc
	s_xor_b64 s[2:3], exec, s[2:3]
	s_cbranch_execz .LBB31_1191
; %bb.1172:
	s_movk_i32 s4, 0x80
	v_cmp_ne_u16_e32 vcc, s4, v1
	s_and_b64 s[4:5], vcc, exec
	s_andn2_saveexec_b64 s[2:3], s[2:3]
	s_cbranch_execnz .LBB31_1192
.LBB31_1173:
	s_or_b64 exec, exec, s[2:3]
	v_mov_b32_e32 v13, 0
	s_and_saveexec_b64 s[2:3], s[4:5]
	s_cbranch_execz .LBB31_1175
.LBB31_1174:
	v_lshlrev_b32_e32 v3, 24, v1
	v_and_b32_e32 v1, 0xffff, v1
	v_and_b32_e32 v5, 3, v1
	v_ffbh_u32_e32 v10, v5
	v_min_u32_e32 v10, 32, v10
	v_subrev_u32_e32 v12, 29, v10
	v_bfe_u32 v8, v1, 2, 5
	v_lshlrev_b32_e32 v1, v12, v1
	v_sub_u32_e32 v10, 30, v10
	v_and_b32_e32 v1, 3, v1
	v_cmp_eq_u32_e32 vcc, 0, v8
	v_cndmask_b32_e32 v8, v8, v10, vcc
	v_cndmask_b32_e32 v1, v5, v1, vcc
	v_mov_b32_e32 v5, 0x37800000
	v_lshlrev_b32_e32 v1, 21, v1
	v_and_b32_e32 v3, 0x80000000, v3
	v_lshl_add_u32 v5, v8, 23, v5
	v_or3_b32 v1, v3, v5, v1
	v_cvt_i32_f32_e32 v13, v1
.LBB31_1175:
	s_or_b64 exec, exec, s[2:3]
	s_mov_b64 s[2:3], 0
	s_branch .LBB31_1181
.LBB31_1176:
                                        ; implicit-def: $vgpr13
	s_mov_b64 s[4:5], 0
	s_branch .LBB31_1187
.LBB31_1177:
	s_andn2_saveexec_b64 s[2:3], s[2:3]
	s_cbranch_execz .LBB31_1163
.LBB31_1178:
	v_cmp_ne_u16_e32 vcc, 0, v1
	s_andn2_b64 s[6:7], s[6:7], exec
	s_and_b64 s[16:17], vcc, exec
	s_or_b64 s[6:7], s[6:7], s[16:17]
	s_or_b64 exec, exec, s[2:3]
	v_mov_b32_e32 v13, 0
	s_and_saveexec_b64 s[2:3], s[6:7]
	s_cbranch_execnz .LBB31_1164
	s_branch .LBB31_1165
.LBB31_1179:
	s_mov_b64 s[2:3], -1
                                        ; implicit-def: $vgpr13
	s_branch .LBB31_1184
.LBB31_1180:
	s_mov_b64 s[2:3], -1
                                        ; implicit-def: $vgpr13
.LBB31_1181:
	s_and_b64 vcc, exec, s[2:3]
	s_cbranch_vccz .LBB31_1183
; %bb.1182:
	global_load_ubyte v1, v[15:16], off
	s_mov_b32 s2, 0x7f800000
	s_waitcnt vmcnt(0)
	v_lshlrev_b32_e32 v1, 24, v1
	v_and_b32_e32 v3, 0x7f000000, v1
	v_ffbh_u32_e32 v5, v3
	v_min_u32_e32 v5, 32, v5
	v_sub_u32_e64 v5, v5, 4 clamp
	v_lshlrev_b32_e32 v10, v5, v3
	v_lshlrev_b32_e32 v5, 23, v5
	v_lshrrev_b32_e32 v10, 4, v10
	v_add_u32_e32 v8, 0x1000000, v3
	v_sub_u32_e32 v5, v10, v5
	v_ashrrev_i32_e32 v8, 8, v8
	v_add_u32_e32 v5, 0x3c000000, v5
	v_and_or_b32 v5, v8, s2, v5
	v_cmp_ne_u32_e32 vcc, 0, v3
	v_cndmask_b32_e32 v3, 0, v5, vcc
	s_brev_b32 s2, 1
	v_and_or_b32 v1, v1, s2, v3
	v_cvt_i32_f32_e32 v13, v1
.LBB31_1183:
	s_mov_b64 s[2:3], 0
.LBB31_1184:
	s_andn2_b64 vcc, exec, s[2:3]
	s_cbranch_vccnz .LBB31_1186
; %bb.1185:
	global_load_ubyte v1, v[15:16], off
	s_movk_i32 s2, 0x7f00
	s_brev_b32 s3, 16
	s_waitcnt vmcnt(0)
	v_lshlrev_b16_e32 v3, 8, v1
	v_lshlrev_b32_e32 v1, 25, v1
	v_lshrrev_b32_e32 v5, 4, v1
	v_and_or_b32 v8, v3, s2, 0.5
	v_or_b32_e32 v5, 0x70000000, v5
	v_add_f32_e32 v8, -0.5, v8
	v_mul_f32_e32 v5, 0x7800000, v5
	v_cmp_gt_u32_e32 vcc, s3, v1
	v_bfe_i32 v3, v3, 0, 16
	v_cndmask_b32_e32 v1, v5, v8, vcc
	s_brev_b32 s2, 1
	v_and_or_b32 v1, v3, s2, v1
	v_cvt_i32_f32_e32 v13, v1
.LBB31_1186:
	s_mov_b64 s[6:7], -1
	s_mov_b64 s[4:5], 0
	s_cbranch_execnz .LBB31_1197
.LBB31_1187:
	s_cmp_gt_i32 s13, 14
	s_cbranch_scc0 .LBB31_1190
; %bb.1188:
	s_cmp_eq_u32 s13, 15
	s_cbranch_scc0 .LBB31_1193
; %bb.1189:
	global_load_ushort v1, v[15:16], off
	s_mov_b64 s[0:1], 0
	s_mov_b64 s[6:7], -1
	s_waitcnt vmcnt(0)
	v_lshlrev_b32_e32 v1, 16, v1
	v_cvt_i32_f32_e32 v13, v1
	s_branch .LBB31_1194
.LBB31_1190:
	s_mov_b64 s[2:3], -1
                                        ; implicit-def: $vgpr13
	s_branch .LBB31_1195
.LBB31_1191:
	s_andn2_saveexec_b64 s[2:3], s[2:3]
	s_cbranch_execz .LBB31_1173
.LBB31_1192:
	v_cmp_ne_u16_e32 vcc, 0, v1
	s_andn2_b64 s[4:5], s[4:5], exec
	s_and_b64 s[6:7], vcc, exec
	s_or_b64 s[4:5], s[4:5], s[6:7]
	s_or_b64 exec, exec, s[2:3]
	v_mov_b32_e32 v13, 0
	s_and_saveexec_b64 s[2:3], s[4:5]
	s_cbranch_execnz .LBB31_1174
	s_branch .LBB31_1175
.LBB31_1193:
	s_mov_b64 s[0:1], -1
                                        ; implicit-def: $vgpr13
.LBB31_1194:
	s_mov_b64 s[2:3], 0
.LBB31_1195:
	s_and_b64 vcc, exec, s[2:3]
	s_cbranch_vccz .LBB31_1197
; %bb.1196:
	s_cmp_lg_u32 s13, 11
	s_mov_b64 s[4:5], -1
	s_cselect_b64 s[0:1], -1, 0
.LBB31_1197:
	s_and_b64 vcc, exec, s[0:1]
	s_mov_b64 s[2:3], s[28:29]
	s_cbranch_vccnz .LBB31_1258
; %bb.1198:
	s_andn2_b64 vcc, exec, s[4:5]
	s_cbranch_vccnz .LBB31_1200
.LBB31_1199:
	global_load_ubyte v1, v[15:16], off
	s_mov_b64 s[6:7], -1
	s_waitcnt vmcnt(0)
	v_cmp_ne_u16_e32 vcc, 0, v1
	v_cndmask_b32_e64 v13, 0, 1, vcc
.LBB31_1200:
	s_branch .LBB31_1135
.LBB31_1201:
	s_and_b32 s4, 0xffff, s12
	s_cmp_lt_i32 s4, 5
	s_cbranch_scc1 .LBB31_1206
; %bb.1202:
	s_cmp_lt_i32 s4, 8
	s_cbranch_scc1 .LBB31_1207
; %bb.1203:
	;; [unrolled: 3-line block ×3, first 2 shown]
	s_cmp_gt_i32 s4, 9
	s_cbranch_scc0 .LBB31_1209
; %bb.1205:
	global_load_dwordx2 v[12:13], v[15:16], off
	s_mov_b64 s[0:1], 0
	s_waitcnt vmcnt(0)
	v_cvt_i32_f64_e32 v13, v[12:13]
	s_branch .LBB31_1210
.LBB31_1206:
                                        ; implicit-def: $vgpr13
	s_branch .LBB31_1227
.LBB31_1207:
                                        ; implicit-def: $vgpr13
	s_branch .LBB31_1216
.LBB31_1208:
	s_mov_b64 s[0:1], -1
                                        ; implicit-def: $vgpr13
	s_branch .LBB31_1213
.LBB31_1209:
	s_mov_b64 s[0:1], -1
                                        ; implicit-def: $vgpr13
.LBB31_1210:
	s_andn2_b64 vcc, exec, s[0:1]
	s_cbranch_vccnz .LBB31_1212
; %bb.1211:
	global_load_dword v1, v[15:16], off
	s_waitcnt vmcnt(0)
	v_cvt_i32_f32_e32 v13, v1
.LBB31_1212:
	s_mov_b64 s[0:1], 0
.LBB31_1213:
	s_andn2_b64 vcc, exec, s[0:1]
	s_cbranch_vccnz .LBB31_1215
; %bb.1214:
	global_load_dword v1, v[15:16], off
	s_waitcnt vmcnt(0)
	v_cvt_i16_f16_e32 v13, v1
.LBB31_1215:
	s_cbranch_execnz .LBB31_1226
.LBB31_1216:
	s_cmp_lt_i32 s4, 6
	s_cbranch_scc1 .LBB31_1219
; %bb.1217:
	s_cmp_gt_i32 s4, 6
	s_cbranch_scc0 .LBB31_1220
; %bb.1218:
	global_load_dwordx2 v[12:13], v[15:16], off
	s_mov_b64 s[0:1], 0
	s_waitcnt vmcnt(0)
	v_cvt_i32_f64_e32 v13, v[12:13]
	s_branch .LBB31_1221
.LBB31_1219:
	s_mov_b64 s[0:1], -1
                                        ; implicit-def: $vgpr13
	s_branch .LBB31_1224
.LBB31_1220:
	s_mov_b64 s[0:1], -1
                                        ; implicit-def: $vgpr13
.LBB31_1221:
	s_andn2_b64 vcc, exec, s[0:1]
	s_cbranch_vccnz .LBB31_1223
; %bb.1222:
	global_load_dword v1, v[15:16], off
	s_waitcnt vmcnt(0)
	v_cvt_i32_f32_e32 v13, v1
.LBB31_1223:
	s_mov_b64 s[0:1], 0
.LBB31_1224:
	s_andn2_b64 vcc, exec, s[0:1]
	s_cbranch_vccnz .LBB31_1226
; %bb.1225:
	global_load_ushort v1, v[15:16], off
	s_waitcnt vmcnt(0)
	v_cvt_i16_f16_e32 v13, v1
.LBB31_1226:
	s_cbranch_execnz .LBB31_1245
.LBB31_1227:
	s_cmp_lt_i32 s4, 2
	s_cbranch_scc1 .LBB31_1231
; %bb.1228:
	s_cmp_lt_i32 s4, 3
	s_cbranch_scc1 .LBB31_1232
; %bb.1229:
	s_cmp_gt_i32 s4, 3
	s_cbranch_scc0 .LBB31_1233
; %bb.1230:
	global_load_dwordx2 v[13:14], v[15:16], off
	s_mov_b64 s[0:1], 0
	s_branch .LBB31_1234
.LBB31_1231:
                                        ; implicit-def: $vgpr13
	s_branch .LBB31_1240
.LBB31_1232:
	s_mov_b64 s[0:1], -1
                                        ; implicit-def: $vgpr13
	s_branch .LBB31_1237
.LBB31_1233:
	s_mov_b64 s[0:1], -1
                                        ; implicit-def: $vgpr13
.LBB31_1234:
	s_andn2_b64 vcc, exec, s[0:1]
	s_cbranch_vccnz .LBB31_1236
; %bb.1235:
	global_load_dword v13, v[15:16], off
.LBB31_1236:
	s_mov_b64 s[0:1], 0
.LBB31_1237:
	s_andn2_b64 vcc, exec, s[0:1]
	s_cbranch_vccnz .LBB31_1239
; %bb.1238:
	global_load_ushort v13, v[15:16], off
.LBB31_1239:
	s_cbranch_execnz .LBB31_1245
.LBB31_1240:
	s_cmp_gt_i32 s4, 0
	s_cbranch_scc0 .LBB31_1242
; %bb.1241:
	global_load_ubyte v13, v[15:16], off
	s_mov_b64 s[0:1], 0
	s_branch .LBB31_1243
.LBB31_1242:
	s_mov_b64 s[0:1], -1
                                        ; implicit-def: $vgpr13
.LBB31_1243:
	s_andn2_b64 vcc, exec, s[0:1]
	s_cbranch_vccnz .LBB31_1245
; %bb.1244:
	global_load_ubyte v13, v[15:16], off
.LBB31_1245:
.LBB31_1246:
	v_mov_b32_e32 v1, s11
	s_and_b32 s15, 0xffff, s12
	s_waitcnt vmcnt(0)
	v_add_co_u32_e32 v14, vcc, s10, v11
	s_cmp_lt_i32 s15, 11
	v_addc_co_u32_e32 v15, vcc, 0, v1, vcc
	s_cbranch_scc1 .LBB31_1253
; %bb.1247:
	s_cmp_gt_i32 s15, 25
	s_mov_b64 s[4:5], 0
	s_cbranch_scc0 .LBB31_1255
; %bb.1248:
	s_cmp_gt_i32 s15, 28
	s_cbranch_scc0 .LBB31_1256
; %bb.1249:
	s_cmp_gt_i32 s15, 43
	;; [unrolled: 3-line block ×3, first 2 shown]
	s_cbranch_scc0 .LBB31_1259
; %bb.1251:
	s_cmp_eq_u32 s15, 46
	s_mov_b64 s[12:13], 0
	s_cbranch_scc0 .LBB31_1262
; %bb.1252:
	global_load_dword v1, v[14:15], off
	s_mov_b64 s[0:1], 0
	s_mov_b64 s[6:7], -1
	s_waitcnt vmcnt(0)
	v_lshlrev_b32_e32 v1, 16, v1
	v_cvt_i32_f32_e32 v11, v1
	s_branch .LBB31_1263
.LBB31_1253:
	s_mov_b64 s[6:7], 0
                                        ; implicit-def: $vgpr11
	s_cbranch_execnz .LBB31_1324
.LBB31_1254:
	s_andn2_b64 vcc, exec, s[6:7]
	s_cbranch_vccnz .LBB31_2055
	s_branch .LBB31_1371
.LBB31_1255:
	s_mov_b64 s[6:7], 0
	s_mov_b64 s[0:1], 0
                                        ; implicit-def: $vgpr11
	s_cbranch_execnz .LBB31_1290
	s_branch .LBB31_1320
.LBB31_1256:
	s_mov_b64 s[12:13], -1
	s_mov_b64 s[6:7], 0
	s_mov_b64 s[0:1], 0
                                        ; implicit-def: $vgpr11
	s_branch .LBB31_1273
.LBB31_1257:
	s_mov_b64 s[12:13], -1
	s_mov_b64 s[6:7], 0
	s_mov_b64 s[0:1], 0
                                        ; implicit-def: $vgpr11
	s_branch .LBB31_1268
.LBB31_1258:
	s_or_b64 s[2:3], s[28:29], exec
	s_trap 2
	s_cbranch_execz .LBB31_1199
	s_branch .LBB31_1200
.LBB31_1259:
	s_mov_b64 s[12:13], -1
	s_mov_b64 s[6:7], 0
	s_mov_b64 s[0:1], 0
                                        ; implicit-def: $vgpr11
	s_branch .LBB31_1263
.LBB31_1260:
	s_andn2_saveexec_b64 s[16:17], s[16:17]
	s_cbranch_execz .LBB31_995
.LBB31_1261:
	s_mov_b32 s19, 0x42800000
	v_add_f32_e64 v3, |v0|, s19
	v_and_b32_e32 v3, 0xff, v3
	v_cmp_ne_u32_e32 vcc, 0, v3
	s_andn2_b64 s[14:15], s[14:15], exec
	s_and_b64 s[20:21], vcc, exec
	s_or_b64 s[14:15], s[14:15], s[20:21]
	s_or_b64 exec, exec, s[16:17]
	v_mov_b32_e32 v5, 0
	s_and_saveexec_b64 s[16:17], s[14:15]
	s_cbranch_execnz .LBB31_996
	s_branch .LBB31_997
.LBB31_1262:
	s_mov_b64 s[0:1], -1
                                        ; implicit-def: $vgpr11
	s_mov_b64 s[6:7], 0
.LBB31_1263:
	s_and_b64 vcc, exec, s[12:13]
	s_cbranch_vccz .LBB31_1267
; %bb.1264:
	s_cmp_eq_u32 s15, 44
	s_cbranch_scc0 .LBB31_1266
; %bb.1265:
	global_load_ubyte v1, v[14:15], off
	s_mov_b64 s[0:1], 0
	s_mov_b64 s[6:7], -1
	s_waitcnt vmcnt(0)
	v_lshlrev_b32_e32 v3, 23, v1
	v_cvt_i32_f32_e32 v3, v3
	v_cmp_ne_u32_e32 vcc, 0, v1
	v_cndmask_b32_e32 v11, 0, v3, vcc
	s_branch .LBB31_1267
.LBB31_1266:
	s_mov_b64 s[0:1], -1
                                        ; implicit-def: $vgpr11
.LBB31_1267:
	s_mov_b64 s[12:13], 0
.LBB31_1268:
	s_and_b64 vcc, exec, s[12:13]
	s_cbranch_vccz .LBB31_1272
; %bb.1269:
	s_cmp_eq_u32 s15, 29
	s_cbranch_scc0 .LBB31_1271
; %bb.1270:
	global_load_dwordx2 v[11:12], v[14:15], off
	s_mov_b64 s[0:1], 0
	s_mov_b64 s[6:7], -1
	s_branch .LBB31_1272
.LBB31_1271:
	s_mov_b64 s[0:1], -1
                                        ; implicit-def: $vgpr11
.LBB31_1272:
	s_mov_b64 s[12:13], 0
.LBB31_1273:
	s_and_b64 vcc, exec, s[12:13]
	s_cbranch_vccz .LBB31_1289
; %bb.1274:
	s_cmp_lt_i32 s15, 27
	s_cbranch_scc1 .LBB31_1277
; %bb.1275:
	s_cmp_gt_i32 s15, 27
	s_cbranch_scc0 .LBB31_1278
; %bb.1276:
	global_load_dword v11, v[14:15], off
	s_mov_b64 s[6:7], 0
	s_branch .LBB31_1279
.LBB31_1277:
	s_mov_b64 s[6:7], -1
                                        ; implicit-def: $vgpr11
	s_branch .LBB31_1282
.LBB31_1278:
	s_mov_b64 s[6:7], -1
                                        ; implicit-def: $vgpr11
.LBB31_1279:
	s_andn2_b64 vcc, exec, s[6:7]
	s_cbranch_vccnz .LBB31_1281
; %bb.1280:
	global_load_ushort v11, v[14:15], off
.LBB31_1281:
	s_mov_b64 s[6:7], 0
.LBB31_1282:
	s_andn2_b64 vcc, exec, s[6:7]
	s_cbranch_vccnz .LBB31_1288
; %bb.1283:
	global_load_ubyte v1, v[14:15], off
	s_movk_i32 s6, 0x7f
	s_mov_b64 s[12:13], 0
	s_waitcnt vmcnt(0)
	v_cmp_lt_i16_e32 vcc, s6, v1
	s_and_saveexec_b64 s[6:7], vcc
	s_xor_b64 s[6:7], exec, s[6:7]
	s_cbranch_execz .LBB31_1299
; %bb.1284:
	s_movk_i32 s12, 0x80
	v_cmp_ne_u16_e32 vcc, s12, v1
	s_and_b64 s[12:13], vcc, exec
	s_andn2_saveexec_b64 s[6:7], s[6:7]
	s_cbranch_execnz .LBB31_1300
.LBB31_1285:
	s_or_b64 exec, exec, s[6:7]
	v_mov_b32_e32 v11, 0
	s_and_saveexec_b64 s[6:7], s[12:13]
	s_cbranch_execz .LBB31_1287
.LBB31_1286:
	v_lshlrev_b32_e32 v3, 24, v1
	v_and_b32_e32 v1, 0xffff, v1
	v_and_b32_e32 v5, 7, v1
	v_ffbh_u32_e32 v10, v5
	v_min_u32_e32 v10, 32, v10
	v_subrev_u32_e32 v11, 28, v10
	v_bfe_u32 v8, v1, 3, 4
	v_lshlrev_b32_e32 v1, v11, v1
	v_sub_u32_e32 v10, 29, v10
	v_and_b32_e32 v1, 7, v1
	v_cmp_eq_u32_e32 vcc, 0, v8
	v_cndmask_b32_e32 v8, v8, v10, vcc
	v_cndmask_b32_e32 v1, v5, v1, vcc
	v_mov_b32_e32 v5, 0x3b800000
	v_lshlrev_b32_e32 v1, 20, v1
	v_and_b32_e32 v3, 0x80000000, v3
	v_lshl_add_u32 v5, v8, 23, v5
	v_or3_b32 v1, v3, v5, v1
	v_cvt_i32_f32_e32 v11, v1
.LBB31_1287:
	s_or_b64 exec, exec, s[6:7]
.LBB31_1288:
	s_mov_b64 s[6:7], -1
.LBB31_1289:
	s_branch .LBB31_1320
.LBB31_1290:
	s_cmp_gt_i32 s15, 22
	s_cbranch_scc0 .LBB31_1298
; %bb.1291:
	s_cmp_lt_i32 s15, 24
	s_cbranch_scc1 .LBB31_1301
; %bb.1292:
	s_cmp_gt_i32 s15, 24
	s_cbranch_scc0 .LBB31_1302
; %bb.1293:
	global_load_ubyte v1, v[14:15], off
	s_movk_i32 s4, 0x7f
	s_mov_b64 s[6:7], 0
	s_waitcnt vmcnt(0)
	v_cmp_lt_i16_e32 vcc, s4, v1
	s_and_saveexec_b64 s[4:5], vcc
	s_xor_b64 s[4:5], exec, s[4:5]
	s_cbranch_execz .LBB31_1314
; %bb.1294:
	s_movk_i32 s6, 0x80
	v_cmp_ne_u16_e32 vcc, s6, v1
	s_and_b64 s[6:7], vcc, exec
	s_andn2_saveexec_b64 s[4:5], s[4:5]
	s_cbranch_execnz .LBB31_1315
.LBB31_1295:
	s_or_b64 exec, exec, s[4:5]
	v_mov_b32_e32 v11, 0
	s_and_saveexec_b64 s[4:5], s[6:7]
	s_cbranch_execz .LBB31_1297
.LBB31_1296:
	v_lshlrev_b32_e32 v3, 24, v1
	v_and_b32_e32 v1, 0xffff, v1
	v_and_b32_e32 v5, 3, v1
	v_ffbh_u32_e32 v10, v5
	v_min_u32_e32 v10, 32, v10
	v_subrev_u32_e32 v11, 29, v10
	v_bfe_u32 v8, v1, 2, 5
	v_lshlrev_b32_e32 v1, v11, v1
	v_sub_u32_e32 v10, 30, v10
	v_and_b32_e32 v1, 3, v1
	v_cmp_eq_u32_e32 vcc, 0, v8
	v_cndmask_b32_e32 v8, v8, v10, vcc
	v_cndmask_b32_e32 v1, v5, v1, vcc
	v_mov_b32_e32 v5, 0x37800000
	v_lshlrev_b32_e32 v1, 21, v1
	v_and_b32_e32 v3, 0x80000000, v3
	v_lshl_add_u32 v5, v8, 23, v5
	v_or3_b32 v1, v3, v5, v1
	v_cvt_i32_f32_e32 v11, v1
.LBB31_1297:
	s_or_b64 exec, exec, s[4:5]
	s_mov_b64 s[4:5], 0
	s_branch .LBB31_1303
.LBB31_1298:
	s_mov_b64 s[4:5], -1
                                        ; implicit-def: $vgpr11
	s_branch .LBB31_1309
.LBB31_1299:
	s_andn2_saveexec_b64 s[6:7], s[6:7]
	s_cbranch_execz .LBB31_1285
.LBB31_1300:
	v_cmp_ne_u16_e32 vcc, 0, v1
	s_andn2_b64 s[12:13], s[12:13], exec
	s_and_b64 s[16:17], vcc, exec
	s_or_b64 s[12:13], s[12:13], s[16:17]
	s_or_b64 exec, exec, s[6:7]
	v_mov_b32_e32 v11, 0
	s_and_saveexec_b64 s[6:7], s[12:13]
	s_cbranch_execnz .LBB31_1286
	s_branch .LBB31_1287
.LBB31_1301:
	s_mov_b64 s[4:5], -1
                                        ; implicit-def: $vgpr11
	s_branch .LBB31_1306
.LBB31_1302:
	s_mov_b64 s[4:5], -1
                                        ; implicit-def: $vgpr11
.LBB31_1303:
	s_and_b64 vcc, exec, s[4:5]
	s_cbranch_vccz .LBB31_1305
; %bb.1304:
	global_load_ubyte v1, v[14:15], off
	s_mov_b32 s4, 0x7f800000
	s_waitcnt vmcnt(0)
	v_lshlrev_b32_e32 v1, 24, v1
	v_and_b32_e32 v3, 0x7f000000, v1
	v_ffbh_u32_e32 v5, v3
	v_min_u32_e32 v5, 32, v5
	v_sub_u32_e64 v5, v5, 4 clamp
	v_lshlrev_b32_e32 v10, v5, v3
	v_lshlrev_b32_e32 v5, 23, v5
	v_lshrrev_b32_e32 v10, 4, v10
	v_add_u32_e32 v8, 0x1000000, v3
	v_sub_u32_e32 v5, v10, v5
	v_ashrrev_i32_e32 v8, 8, v8
	v_add_u32_e32 v5, 0x3c000000, v5
	v_and_or_b32 v5, v8, s4, v5
	v_cmp_ne_u32_e32 vcc, 0, v3
	v_cndmask_b32_e32 v3, 0, v5, vcc
	s_brev_b32 s4, 1
	v_and_or_b32 v1, v1, s4, v3
	v_cvt_i32_f32_e32 v11, v1
.LBB31_1305:
	s_mov_b64 s[4:5], 0
.LBB31_1306:
	s_andn2_b64 vcc, exec, s[4:5]
	s_cbranch_vccnz .LBB31_1308
; %bb.1307:
	global_load_ubyte v1, v[14:15], off
	s_movk_i32 s4, 0x7f00
	s_brev_b32 s5, 16
	s_waitcnt vmcnt(0)
	v_lshlrev_b16_e32 v3, 8, v1
	v_lshlrev_b32_e32 v1, 25, v1
	v_lshrrev_b32_e32 v5, 4, v1
	v_and_or_b32 v8, v3, s4, 0.5
	v_or_b32_e32 v5, 0x70000000, v5
	v_add_f32_e32 v8, -0.5, v8
	v_mul_f32_e32 v5, 0x7800000, v5
	v_cmp_gt_u32_e32 vcc, s5, v1
	v_bfe_i32 v3, v3, 0, 16
	v_cndmask_b32_e32 v1, v5, v8, vcc
	s_brev_b32 s4, 1
	v_and_or_b32 v1, v3, s4, v1
	v_cvt_i32_f32_e32 v11, v1
.LBB31_1308:
	s_mov_b64 s[4:5], 0
	s_mov_b64 s[6:7], -1
.LBB31_1309:
	s_andn2_b64 vcc, exec, s[4:5]
	s_mov_b64 s[4:5], 0
	s_cbranch_vccnz .LBB31_1320
; %bb.1310:
	s_cmp_gt_i32 s15, 14
	s_cbranch_scc0 .LBB31_1313
; %bb.1311:
	s_cmp_eq_u32 s15, 15
	s_cbranch_scc0 .LBB31_1316
; %bb.1312:
	global_load_ushort v1, v[14:15], off
	s_mov_b64 s[0:1], 0
	s_mov_b64 s[6:7], -1
	s_waitcnt vmcnt(0)
	v_lshlrev_b32_e32 v1, 16, v1
	v_cvt_i32_f32_e32 v11, v1
	s_branch .LBB31_1317
.LBB31_1313:
	s_mov_b64 s[12:13], -1
                                        ; implicit-def: $vgpr11
	s_branch .LBB31_1318
.LBB31_1314:
	s_andn2_saveexec_b64 s[4:5], s[4:5]
	s_cbranch_execz .LBB31_1295
.LBB31_1315:
	v_cmp_ne_u16_e32 vcc, 0, v1
	s_andn2_b64 s[6:7], s[6:7], exec
	s_and_b64 s[12:13], vcc, exec
	s_or_b64 s[6:7], s[6:7], s[12:13]
	s_or_b64 exec, exec, s[4:5]
	v_mov_b32_e32 v11, 0
	s_and_saveexec_b64 s[4:5], s[6:7]
	s_cbranch_execnz .LBB31_1296
	s_branch .LBB31_1297
.LBB31_1316:
	s_mov_b64 s[0:1], -1
                                        ; implicit-def: $vgpr11
.LBB31_1317:
	s_mov_b64 s[12:13], 0
.LBB31_1318:
	s_and_b64 vcc, exec, s[12:13]
	s_cbranch_vccz .LBB31_1320
; %bb.1319:
	s_cmp_lg_u32 s15, 11
	s_mov_b64 s[4:5], -1
	s_cselect_b64 s[0:1], -1, 0
.LBB31_1320:
	s_and_b64 vcc, exec, s[0:1]
	s_cbranch_vccnz .LBB31_1383
; %bb.1321:
	s_andn2_b64 vcc, exec, s[4:5]
	s_cbranch_vccnz .LBB31_1323
.LBB31_1322:
	global_load_ubyte v1, v[14:15], off
	s_mov_b64 s[6:7], -1
	s_waitcnt vmcnt(0)
	v_cmp_ne_u16_e32 vcc, 0, v1
	v_cndmask_b32_e64 v11, 0, 1, vcc
.LBB31_1323:
	s_branch .LBB31_1254
.LBB31_1324:
	s_cmp_lt_i32 s15, 5
	s_cbranch_scc1 .LBB31_1329
; %bb.1325:
	s_cmp_lt_i32 s15, 8
	s_cbranch_scc1 .LBB31_1330
; %bb.1326:
	;; [unrolled: 3-line block ×3, first 2 shown]
	s_cmp_gt_i32 s15, 9
	s_cbranch_scc0 .LBB31_1332
; %bb.1328:
	global_load_dwordx2 v[10:11], v[14:15], off
	s_mov_b64 s[0:1], 0
	s_waitcnt vmcnt(0)
	v_cvt_i32_f64_e32 v11, v[10:11]
	s_branch .LBB31_1333
.LBB31_1329:
                                        ; implicit-def: $vgpr11
	s_branch .LBB31_1351
.LBB31_1330:
	s_mov_b64 s[0:1], -1
                                        ; implicit-def: $vgpr11
	s_branch .LBB31_1339
.LBB31_1331:
	s_mov_b64 s[0:1], -1
                                        ; implicit-def: $vgpr11
	s_branch .LBB31_1336
.LBB31_1332:
	s_mov_b64 s[0:1], -1
                                        ; implicit-def: $vgpr11
.LBB31_1333:
	s_andn2_b64 vcc, exec, s[0:1]
	s_cbranch_vccnz .LBB31_1335
; %bb.1334:
	global_load_dword v1, v[14:15], off
	s_waitcnt vmcnt(0)
	v_cvt_i32_f32_e32 v11, v1
.LBB31_1335:
	s_mov_b64 s[0:1], 0
.LBB31_1336:
	s_andn2_b64 vcc, exec, s[0:1]
	s_cbranch_vccnz .LBB31_1338
; %bb.1337:
	global_load_dword v1, v[14:15], off
	s_waitcnt vmcnt(0)
	v_cvt_i16_f16_e32 v11, v1
.LBB31_1338:
	s_mov_b64 s[0:1], 0
.LBB31_1339:
	s_andn2_b64 vcc, exec, s[0:1]
	s_cbranch_vccnz .LBB31_1350
; %bb.1340:
	s_cmp_lt_i32 s15, 6
	s_cbranch_scc1 .LBB31_1343
; %bb.1341:
	s_cmp_gt_i32 s15, 6
	s_cbranch_scc0 .LBB31_1344
; %bb.1342:
	global_load_dwordx2 v[10:11], v[14:15], off
	s_mov_b64 s[0:1], 0
	s_waitcnt vmcnt(0)
	v_cvt_i32_f64_e32 v11, v[10:11]
	s_branch .LBB31_1345
.LBB31_1343:
	s_mov_b64 s[0:1], -1
                                        ; implicit-def: $vgpr11
	s_branch .LBB31_1348
.LBB31_1344:
	s_mov_b64 s[0:1], -1
                                        ; implicit-def: $vgpr11
.LBB31_1345:
	s_andn2_b64 vcc, exec, s[0:1]
	s_cbranch_vccnz .LBB31_1347
; %bb.1346:
	global_load_dword v1, v[14:15], off
	s_waitcnt vmcnt(0)
	v_cvt_i32_f32_e32 v11, v1
.LBB31_1347:
	s_mov_b64 s[0:1], 0
.LBB31_1348:
	s_andn2_b64 vcc, exec, s[0:1]
	s_cbranch_vccnz .LBB31_1350
; %bb.1349:
	global_load_ushort v1, v[14:15], off
	s_waitcnt vmcnt(0)
	v_cvt_i16_f16_e32 v11, v1
.LBB31_1350:
	s_cbranch_execnz .LBB31_1370
.LBB31_1351:
	s_cmp_lt_i32 s15, 2
	s_cbranch_scc1 .LBB31_1355
; %bb.1352:
	s_cmp_lt_i32 s15, 3
	s_cbranch_scc1 .LBB31_1356
; %bb.1353:
	s_cmp_gt_i32 s15, 3
	s_cbranch_scc0 .LBB31_1357
; %bb.1354:
	global_load_dwordx2 v[11:12], v[14:15], off
	s_mov_b64 s[0:1], 0
	s_branch .LBB31_1358
.LBB31_1355:
	s_mov_b64 s[0:1], -1
                                        ; implicit-def: $vgpr11
	s_branch .LBB31_1364
.LBB31_1356:
	s_mov_b64 s[0:1], -1
                                        ; implicit-def: $vgpr11
	s_branch .LBB31_1361
.LBB31_1357:
	s_mov_b64 s[0:1], -1
                                        ; implicit-def: $vgpr11
.LBB31_1358:
	s_andn2_b64 vcc, exec, s[0:1]
	s_cbranch_vccnz .LBB31_1360
; %bb.1359:
	global_load_dword v11, v[14:15], off
.LBB31_1360:
	s_mov_b64 s[0:1], 0
.LBB31_1361:
	s_andn2_b64 vcc, exec, s[0:1]
	s_cbranch_vccnz .LBB31_1363
; %bb.1362:
	global_load_ushort v11, v[14:15], off
.LBB31_1363:
	s_mov_b64 s[0:1], 0
.LBB31_1364:
	s_andn2_b64 vcc, exec, s[0:1]
	s_cbranch_vccnz .LBB31_1370
; %bb.1365:
	s_cmp_gt_i32 s15, 0
	s_cbranch_scc0 .LBB31_1367
; %bb.1366:
	global_load_ubyte v11, v[14:15], off
	s_mov_b64 s[0:1], 0
	s_branch .LBB31_1368
.LBB31_1367:
	s_mov_b64 s[0:1], -1
                                        ; implicit-def: $vgpr11
.LBB31_1368:
	s_andn2_b64 vcc, exec, s[0:1]
	s_cbranch_vccnz .LBB31_1370
; %bb.1369:
	global_load_ubyte v11, v[14:15], off
.LBB31_1370:
.LBB31_1371:
	v_mov_b32_e32 v1, s11
	v_add_co_u32_e32 v14, vcc, s10, v9
	s_cmp_lt_i32 s15, 11
	v_addc_co_u32_e32 v15, vcc, 0, v1, vcc
	s_cbranch_scc1 .LBB31_1378
; %bb.1372:
	s_cmp_gt_i32 s15, 25
	s_mov_b64 s[4:5], 0
	s_cbranch_scc0 .LBB31_1380
; %bb.1373:
	s_cmp_gt_i32 s15, 28
	s_cbranch_scc0 .LBB31_1381
; %bb.1374:
	s_cmp_gt_i32 s15, 43
	s_cbranch_scc0 .LBB31_1382
; %bb.1375:
	s_cmp_gt_i32 s15, 45
	s_cbranch_scc0 .LBB31_1384
; %bb.1376:
	s_cmp_eq_u32 s15, 46
	s_mov_b64 s[12:13], 0
	s_cbranch_scc0 .LBB31_1385
; %bb.1377:
	global_load_dword v1, v[14:15], off
	s_mov_b64 s[0:1], 0
	s_mov_b64 s[6:7], -1
	s_waitcnt vmcnt(0)
	v_lshlrev_b32_e32 v1, 16, v1
	v_cvt_i32_f32_e32 v9, v1
	s_branch .LBB31_1386
.LBB31_1378:
	s_mov_b64 s[6:7], 0
                                        ; implicit-def: $vgpr9
	s_cbranch_execnz .LBB31_1448
.LBB31_1379:
	s_andn2_b64 vcc, exec, s[6:7]
	s_cbranch_vccnz .LBB31_2055
	s_branch .LBB31_1496
.LBB31_1380:
	s_mov_b64 s[12:13], -1
	s_mov_b64 s[6:7], 0
	s_mov_b64 s[0:1], 0
                                        ; implicit-def: $vgpr9
	s_branch .LBB31_1413
.LBB31_1381:
	s_mov_b64 s[12:13], -1
	s_mov_b64 s[6:7], 0
	s_mov_b64 s[0:1], 0
                                        ; implicit-def: $vgpr9
	s_branch .LBB31_1396
.LBB31_1382:
	s_mov_b64 s[12:13], -1
	s_mov_b64 s[6:7], 0
	s_mov_b64 s[0:1], 0
                                        ; implicit-def: $vgpr9
	s_branch .LBB31_1391
.LBB31_1383:
	s_trap 2
	s_or_b64 s[2:3], s[2:3], exec
	s_cbranch_execz .LBB31_1322
	s_branch .LBB31_1323
.LBB31_1384:
	s_mov_b64 s[12:13], -1
	s_mov_b64 s[6:7], 0
	s_mov_b64 s[0:1], 0
                                        ; implicit-def: $vgpr9
	s_branch .LBB31_1386
.LBB31_1385:
	s_mov_b64 s[0:1], -1
                                        ; implicit-def: $vgpr9
	s_mov_b64 s[6:7], 0
.LBB31_1386:
	s_and_b64 vcc, exec, s[12:13]
	s_cbranch_vccz .LBB31_1390
; %bb.1387:
	s_cmp_eq_u32 s15, 44
	s_cbranch_scc0 .LBB31_1389
; %bb.1388:
	global_load_ubyte v1, v[14:15], off
	s_mov_b64 s[0:1], 0
	s_mov_b64 s[6:7], -1
	s_waitcnt vmcnt(0)
	v_lshlrev_b32_e32 v3, 23, v1
	v_cvt_i32_f32_e32 v3, v3
	v_cmp_ne_u32_e32 vcc, 0, v1
	v_cndmask_b32_e32 v9, 0, v3, vcc
	s_branch .LBB31_1390
.LBB31_1389:
	s_mov_b64 s[0:1], -1
                                        ; implicit-def: $vgpr9
.LBB31_1390:
	s_mov_b64 s[12:13], 0
.LBB31_1391:
	s_and_b64 vcc, exec, s[12:13]
	s_cbranch_vccz .LBB31_1395
; %bb.1392:
	s_cmp_eq_u32 s15, 29
	s_cbranch_scc0 .LBB31_1394
; %bb.1393:
	global_load_dwordx2 v[9:10], v[14:15], off
	s_mov_b64 s[0:1], 0
	s_mov_b64 s[6:7], -1
	s_branch .LBB31_1395
.LBB31_1394:
	s_mov_b64 s[0:1], -1
                                        ; implicit-def: $vgpr9
.LBB31_1395:
	s_mov_b64 s[12:13], 0
.LBB31_1396:
	s_and_b64 vcc, exec, s[12:13]
	s_cbranch_vccz .LBB31_1412
; %bb.1397:
	s_cmp_lt_i32 s15, 27
	s_cbranch_scc1 .LBB31_1400
; %bb.1398:
	s_cmp_gt_i32 s15, 27
	s_cbranch_scc0 .LBB31_1401
; %bb.1399:
	global_load_dword v9, v[14:15], off
	s_mov_b64 s[6:7], 0
	s_branch .LBB31_1402
.LBB31_1400:
	s_mov_b64 s[6:7], -1
                                        ; implicit-def: $vgpr9
	s_branch .LBB31_1405
.LBB31_1401:
	s_mov_b64 s[6:7], -1
                                        ; implicit-def: $vgpr9
.LBB31_1402:
	s_andn2_b64 vcc, exec, s[6:7]
	s_cbranch_vccnz .LBB31_1404
; %bb.1403:
	global_load_ushort v9, v[14:15], off
.LBB31_1404:
	s_mov_b64 s[6:7], 0
.LBB31_1405:
	s_andn2_b64 vcc, exec, s[6:7]
	s_cbranch_vccnz .LBB31_1411
; %bb.1406:
	global_load_ubyte v1, v[14:15], off
	s_movk_i32 s6, 0x7f
	s_mov_b64 s[12:13], 0
	s_waitcnt vmcnt(0)
	v_cmp_lt_i16_e32 vcc, s6, v1
	s_and_saveexec_b64 s[6:7], vcc
	s_xor_b64 s[6:7], exec, s[6:7]
	s_cbranch_execz .LBB31_1423
; %bb.1407:
	s_movk_i32 s12, 0x80
	v_cmp_ne_u16_e32 vcc, s12, v1
	s_and_b64 s[12:13], vcc, exec
	s_andn2_saveexec_b64 s[6:7], s[6:7]
	s_cbranch_execnz .LBB31_1424
.LBB31_1408:
	s_or_b64 exec, exec, s[6:7]
	v_mov_b32_e32 v9, 0
	s_and_saveexec_b64 s[6:7], s[12:13]
	s_cbranch_execz .LBB31_1410
.LBB31_1409:
	v_lshlrev_b32_e32 v3, 24, v1
	v_and_b32_e32 v1, 0xffff, v1
	v_and_b32_e32 v5, 7, v1
	v_ffbh_u32_e32 v9, v5
	v_min_u32_e32 v9, 32, v9
	v_subrev_u32_e32 v10, 28, v9
	v_bfe_u32 v8, v1, 3, 4
	v_lshlrev_b32_e32 v1, v10, v1
	v_sub_u32_e32 v9, 29, v9
	v_and_b32_e32 v1, 7, v1
	v_cmp_eq_u32_e32 vcc, 0, v8
	v_cndmask_b32_e32 v8, v8, v9, vcc
	v_cndmask_b32_e32 v1, v5, v1, vcc
	v_mov_b32_e32 v5, 0x3b800000
	v_lshlrev_b32_e32 v1, 20, v1
	v_and_b32_e32 v3, 0x80000000, v3
	v_lshl_add_u32 v5, v8, 23, v5
	v_or3_b32 v1, v3, v5, v1
	v_cvt_i32_f32_e32 v9, v1
.LBB31_1410:
	s_or_b64 exec, exec, s[6:7]
.LBB31_1411:
	s_mov_b64 s[6:7], -1
.LBB31_1412:
	s_mov_b64 s[12:13], 0
.LBB31_1413:
	s_and_b64 vcc, exec, s[12:13]
	s_cbranch_vccz .LBB31_1444
; %bb.1414:
	s_cmp_gt_i32 s15, 22
	s_cbranch_scc0 .LBB31_1422
; %bb.1415:
	s_cmp_lt_i32 s15, 24
	s_cbranch_scc1 .LBB31_1425
; %bb.1416:
	s_cmp_gt_i32 s15, 24
	s_cbranch_scc0 .LBB31_1426
; %bb.1417:
	global_load_ubyte v1, v[14:15], off
	s_movk_i32 s4, 0x7f
	s_mov_b64 s[6:7], 0
	s_waitcnt vmcnt(0)
	v_cmp_lt_i16_e32 vcc, s4, v1
	s_and_saveexec_b64 s[4:5], vcc
	s_xor_b64 s[4:5], exec, s[4:5]
	s_cbranch_execz .LBB31_1438
; %bb.1418:
	s_movk_i32 s6, 0x80
	v_cmp_ne_u16_e32 vcc, s6, v1
	s_and_b64 s[6:7], vcc, exec
	s_andn2_saveexec_b64 s[4:5], s[4:5]
	s_cbranch_execnz .LBB31_1439
.LBB31_1419:
	s_or_b64 exec, exec, s[4:5]
	v_mov_b32_e32 v9, 0
	s_and_saveexec_b64 s[4:5], s[6:7]
	s_cbranch_execz .LBB31_1421
.LBB31_1420:
	v_lshlrev_b32_e32 v3, 24, v1
	v_and_b32_e32 v1, 0xffff, v1
	v_and_b32_e32 v5, 3, v1
	v_ffbh_u32_e32 v9, v5
	v_min_u32_e32 v9, 32, v9
	v_subrev_u32_e32 v10, 29, v9
	v_bfe_u32 v8, v1, 2, 5
	v_lshlrev_b32_e32 v1, v10, v1
	v_sub_u32_e32 v9, 30, v9
	v_and_b32_e32 v1, 3, v1
	v_cmp_eq_u32_e32 vcc, 0, v8
	v_cndmask_b32_e32 v8, v8, v9, vcc
	v_cndmask_b32_e32 v1, v5, v1, vcc
	v_mov_b32_e32 v5, 0x37800000
	v_lshlrev_b32_e32 v1, 21, v1
	v_and_b32_e32 v3, 0x80000000, v3
	v_lshl_add_u32 v5, v8, 23, v5
	v_or3_b32 v1, v3, v5, v1
	v_cvt_i32_f32_e32 v9, v1
.LBB31_1421:
	s_or_b64 exec, exec, s[4:5]
	s_mov_b64 s[4:5], 0
	s_branch .LBB31_1427
.LBB31_1422:
	s_mov_b64 s[4:5], -1
                                        ; implicit-def: $vgpr9
	s_branch .LBB31_1433
.LBB31_1423:
	s_andn2_saveexec_b64 s[6:7], s[6:7]
	s_cbranch_execz .LBB31_1408
.LBB31_1424:
	v_cmp_ne_u16_e32 vcc, 0, v1
	s_andn2_b64 s[12:13], s[12:13], exec
	s_and_b64 s[16:17], vcc, exec
	s_or_b64 s[12:13], s[12:13], s[16:17]
	s_or_b64 exec, exec, s[6:7]
	v_mov_b32_e32 v9, 0
	s_and_saveexec_b64 s[6:7], s[12:13]
	s_cbranch_execnz .LBB31_1409
	s_branch .LBB31_1410
.LBB31_1425:
	s_mov_b64 s[4:5], -1
                                        ; implicit-def: $vgpr9
	s_branch .LBB31_1430
.LBB31_1426:
	s_mov_b64 s[4:5], -1
                                        ; implicit-def: $vgpr9
.LBB31_1427:
	s_and_b64 vcc, exec, s[4:5]
	s_cbranch_vccz .LBB31_1429
; %bb.1428:
	global_load_ubyte v1, v[14:15], off
	s_mov_b32 s4, 0x7f800000
	s_waitcnt vmcnt(0)
	v_lshlrev_b32_e32 v1, 24, v1
	v_and_b32_e32 v3, 0x7f000000, v1
	v_ffbh_u32_e32 v5, v3
	v_min_u32_e32 v5, 32, v5
	v_sub_u32_e64 v5, v5, 4 clamp
	v_lshlrev_b32_e32 v9, v5, v3
	v_lshlrev_b32_e32 v5, 23, v5
	v_lshrrev_b32_e32 v9, 4, v9
	v_add_u32_e32 v8, 0x1000000, v3
	v_sub_u32_e32 v5, v9, v5
	v_ashrrev_i32_e32 v8, 8, v8
	v_add_u32_e32 v5, 0x3c000000, v5
	v_and_or_b32 v5, v8, s4, v5
	v_cmp_ne_u32_e32 vcc, 0, v3
	v_cndmask_b32_e32 v3, 0, v5, vcc
	s_brev_b32 s4, 1
	v_and_or_b32 v1, v1, s4, v3
	v_cvt_i32_f32_e32 v9, v1
.LBB31_1429:
	s_mov_b64 s[4:5], 0
.LBB31_1430:
	s_andn2_b64 vcc, exec, s[4:5]
	s_cbranch_vccnz .LBB31_1432
; %bb.1431:
	global_load_ubyte v1, v[14:15], off
	s_movk_i32 s4, 0x7f00
	s_brev_b32 s5, 16
	s_waitcnt vmcnt(0)
	v_lshlrev_b16_e32 v3, 8, v1
	v_lshlrev_b32_e32 v1, 25, v1
	v_lshrrev_b32_e32 v5, 4, v1
	v_and_or_b32 v8, v3, s4, 0.5
	v_or_b32_e32 v5, 0x70000000, v5
	v_add_f32_e32 v8, -0.5, v8
	v_mul_f32_e32 v5, 0x7800000, v5
	v_cmp_gt_u32_e32 vcc, s5, v1
	v_bfe_i32 v3, v3, 0, 16
	v_cndmask_b32_e32 v1, v5, v8, vcc
	s_brev_b32 s4, 1
	v_and_or_b32 v1, v3, s4, v1
	v_cvt_i32_f32_e32 v9, v1
.LBB31_1432:
	s_mov_b64 s[4:5], 0
	s_mov_b64 s[6:7], -1
.LBB31_1433:
	s_andn2_b64 vcc, exec, s[4:5]
	s_mov_b64 s[4:5], 0
	s_cbranch_vccnz .LBB31_1444
; %bb.1434:
	s_cmp_gt_i32 s15, 14
	s_cbranch_scc0 .LBB31_1437
; %bb.1435:
	s_cmp_eq_u32 s15, 15
	s_cbranch_scc0 .LBB31_1440
; %bb.1436:
	global_load_ushort v1, v[14:15], off
	s_mov_b64 s[0:1], 0
	s_mov_b64 s[6:7], -1
	s_waitcnt vmcnt(0)
	v_lshlrev_b32_e32 v1, 16, v1
	v_cvt_i32_f32_e32 v9, v1
	s_branch .LBB31_1441
.LBB31_1437:
	s_mov_b64 s[12:13], -1
                                        ; implicit-def: $vgpr9
	s_branch .LBB31_1442
.LBB31_1438:
	s_andn2_saveexec_b64 s[4:5], s[4:5]
	s_cbranch_execz .LBB31_1419
.LBB31_1439:
	v_cmp_ne_u16_e32 vcc, 0, v1
	s_andn2_b64 s[6:7], s[6:7], exec
	s_and_b64 s[12:13], vcc, exec
	s_or_b64 s[6:7], s[6:7], s[12:13]
	s_or_b64 exec, exec, s[4:5]
	v_mov_b32_e32 v9, 0
	s_and_saveexec_b64 s[4:5], s[6:7]
	s_cbranch_execnz .LBB31_1420
	s_branch .LBB31_1421
.LBB31_1440:
	s_mov_b64 s[0:1], -1
                                        ; implicit-def: $vgpr9
.LBB31_1441:
	s_mov_b64 s[12:13], 0
.LBB31_1442:
	s_and_b64 vcc, exec, s[12:13]
	s_cbranch_vccz .LBB31_1444
; %bb.1443:
	s_cmp_lg_u32 s15, 11
	s_mov_b64 s[4:5], -1
	s_cselect_b64 s[0:1], -1, 0
.LBB31_1444:
	s_and_b64 vcc, exec, s[0:1]
	s_cbranch_vccnz .LBB31_1507
; %bb.1445:
	s_andn2_b64 vcc, exec, s[4:5]
	s_cbranch_vccnz .LBB31_1447
.LBB31_1446:
	global_load_ubyte v1, v[14:15], off
	s_mov_b64 s[6:7], -1
	s_waitcnt vmcnt(0)
	v_cmp_ne_u16_e32 vcc, 0, v1
	v_cndmask_b32_e64 v9, 0, 1, vcc
.LBB31_1447:
	s_branch .LBB31_1379
.LBB31_1448:
	s_cmp_lt_i32 s15, 5
	s_cbranch_scc1 .LBB31_1453
; %bb.1449:
	s_cmp_lt_i32 s15, 8
	s_cbranch_scc1 .LBB31_1454
; %bb.1450:
	;; [unrolled: 3-line block ×3, first 2 shown]
	s_cmp_gt_i32 s15, 9
	s_cbranch_scc0 .LBB31_1456
; %bb.1452:
	global_load_dwordx2 v[8:9], v[14:15], off
	s_mov_b64 s[0:1], 0
	s_waitcnt vmcnt(0)
	v_cvt_i32_f64_e32 v9, v[8:9]
	s_branch .LBB31_1457
.LBB31_1453:
	s_mov_b64 s[0:1], -1
                                        ; implicit-def: $vgpr9
	s_branch .LBB31_1475
.LBB31_1454:
	s_mov_b64 s[0:1], -1
                                        ; implicit-def: $vgpr9
	s_branch .LBB31_1463
.LBB31_1455:
	s_mov_b64 s[0:1], -1
                                        ; implicit-def: $vgpr9
	s_branch .LBB31_1460
.LBB31_1456:
	s_mov_b64 s[0:1], -1
                                        ; implicit-def: $vgpr9
.LBB31_1457:
	s_andn2_b64 vcc, exec, s[0:1]
	s_cbranch_vccnz .LBB31_1459
; %bb.1458:
	global_load_dword v1, v[14:15], off
	s_waitcnt vmcnt(0)
	v_cvt_i32_f32_e32 v9, v1
.LBB31_1459:
	s_mov_b64 s[0:1], 0
.LBB31_1460:
	s_andn2_b64 vcc, exec, s[0:1]
	s_cbranch_vccnz .LBB31_1462
; %bb.1461:
	global_load_dword v1, v[14:15], off
	s_waitcnt vmcnt(0)
	v_cvt_i16_f16_e32 v9, v1
.LBB31_1462:
	s_mov_b64 s[0:1], 0
.LBB31_1463:
	s_andn2_b64 vcc, exec, s[0:1]
	s_cbranch_vccnz .LBB31_1474
; %bb.1464:
	s_cmp_lt_i32 s15, 6
	s_cbranch_scc1 .LBB31_1467
; %bb.1465:
	s_cmp_gt_i32 s15, 6
	s_cbranch_scc0 .LBB31_1468
; %bb.1466:
	global_load_dwordx2 v[8:9], v[14:15], off
	s_mov_b64 s[0:1], 0
	s_waitcnt vmcnt(0)
	v_cvt_i32_f64_e32 v9, v[8:9]
	s_branch .LBB31_1469
.LBB31_1467:
	s_mov_b64 s[0:1], -1
                                        ; implicit-def: $vgpr9
	s_branch .LBB31_1472
.LBB31_1468:
	s_mov_b64 s[0:1], -1
                                        ; implicit-def: $vgpr9
.LBB31_1469:
	s_andn2_b64 vcc, exec, s[0:1]
	s_cbranch_vccnz .LBB31_1471
; %bb.1470:
	global_load_dword v1, v[14:15], off
	s_waitcnt vmcnt(0)
	v_cvt_i32_f32_e32 v9, v1
.LBB31_1471:
	s_mov_b64 s[0:1], 0
.LBB31_1472:
	s_andn2_b64 vcc, exec, s[0:1]
	s_cbranch_vccnz .LBB31_1474
; %bb.1473:
	global_load_ushort v1, v[14:15], off
	s_waitcnt vmcnt(0)
	v_cvt_i16_f16_e32 v9, v1
.LBB31_1474:
	s_mov_b64 s[0:1], 0
.LBB31_1475:
	s_andn2_b64 vcc, exec, s[0:1]
	s_cbranch_vccnz .LBB31_1495
; %bb.1476:
	s_cmp_lt_i32 s15, 2
	s_cbranch_scc1 .LBB31_1480
; %bb.1477:
	s_cmp_lt_i32 s15, 3
	s_cbranch_scc1 .LBB31_1481
; %bb.1478:
	s_cmp_gt_i32 s15, 3
	s_cbranch_scc0 .LBB31_1482
; %bb.1479:
	global_load_dwordx2 v[9:10], v[14:15], off
	s_mov_b64 s[0:1], 0
	s_branch .LBB31_1483
.LBB31_1480:
	s_mov_b64 s[0:1], -1
                                        ; implicit-def: $vgpr9
	s_branch .LBB31_1489
.LBB31_1481:
	s_mov_b64 s[0:1], -1
                                        ; implicit-def: $vgpr9
	s_branch .LBB31_1486
.LBB31_1482:
	s_mov_b64 s[0:1], -1
                                        ; implicit-def: $vgpr9
.LBB31_1483:
	s_andn2_b64 vcc, exec, s[0:1]
	s_cbranch_vccnz .LBB31_1485
; %bb.1484:
	global_load_dword v9, v[14:15], off
.LBB31_1485:
	s_mov_b64 s[0:1], 0
.LBB31_1486:
	s_andn2_b64 vcc, exec, s[0:1]
	s_cbranch_vccnz .LBB31_1488
; %bb.1487:
	global_load_ushort v9, v[14:15], off
.LBB31_1488:
	s_mov_b64 s[0:1], 0
.LBB31_1489:
	s_andn2_b64 vcc, exec, s[0:1]
	s_cbranch_vccnz .LBB31_1495
; %bb.1490:
	s_cmp_gt_i32 s15, 0
	s_cbranch_scc0 .LBB31_1492
; %bb.1491:
	global_load_ubyte v9, v[14:15], off
	s_mov_b64 s[0:1], 0
	s_branch .LBB31_1493
.LBB31_1492:
	s_mov_b64 s[0:1], -1
                                        ; implicit-def: $vgpr9
.LBB31_1493:
	s_andn2_b64 vcc, exec, s[0:1]
	s_cbranch_vccnz .LBB31_1495
; %bb.1494:
	global_load_ubyte v9, v[14:15], off
.LBB31_1495:
.LBB31_1496:
	v_mov_b32_e32 v1, s11
	v_add_co_u32_e32 v14, vcc, s10, v7
	s_cmp_lt_i32 s15, 11
	v_addc_co_u32_e32 v15, vcc, 0, v1, vcc
	s_cbranch_scc1 .LBB31_1503
; %bb.1497:
	s_cmp_gt_i32 s15, 25
	s_mov_b64 s[4:5], 0
	s_cbranch_scc0 .LBB31_1504
; %bb.1498:
	s_cmp_gt_i32 s15, 28
	s_cbranch_scc0 .LBB31_1505
; %bb.1499:
	s_cmp_gt_i32 s15, 43
	;; [unrolled: 3-line block ×3, first 2 shown]
	s_cbranch_scc0 .LBB31_1508
; %bb.1501:
	s_cmp_eq_u32 s15, 46
	s_mov_b64 s[10:11], 0
	s_cbranch_scc0 .LBB31_1509
; %bb.1502:
	global_load_dword v1, v[14:15], off
	s_mov_b64 s[0:1], 0
	s_mov_b64 s[6:7], -1
	s_waitcnt vmcnt(0)
	v_lshlrev_b32_e32 v1, 16, v1
	v_cvt_i32_f32_e32 v7, v1
	s_branch .LBB31_1510
.LBB31_1503:
	s_mov_b64 s[0:1], -1
	s_mov_b64 s[6:7], 0
                                        ; implicit-def: $vgpr7
	s_branch .LBB31_1572
.LBB31_1504:
	s_mov_b64 s[10:11], -1
	s_mov_b64 s[6:7], 0
	s_mov_b64 s[0:1], 0
                                        ; implicit-def: $vgpr7
	s_branch .LBB31_1537
.LBB31_1505:
	s_mov_b64 s[10:11], -1
	s_mov_b64 s[6:7], 0
	s_mov_b64 s[0:1], 0
                                        ; implicit-def: $vgpr7
	s_branch .LBB31_1520
.LBB31_1506:
	s_mov_b64 s[10:11], -1
	s_mov_b64 s[6:7], 0
	s_mov_b64 s[0:1], 0
                                        ; implicit-def: $vgpr7
	s_branch .LBB31_1515
.LBB31_1507:
	s_trap 2
	s_or_b64 s[2:3], s[2:3], exec
	s_cbranch_execz .LBB31_1446
	s_branch .LBB31_1447
.LBB31_1508:
	s_mov_b64 s[10:11], -1
	s_mov_b64 s[6:7], 0
	s_mov_b64 s[0:1], 0
                                        ; implicit-def: $vgpr7
	s_branch .LBB31_1510
.LBB31_1509:
	s_mov_b64 s[0:1], -1
                                        ; implicit-def: $vgpr7
	s_mov_b64 s[6:7], 0
.LBB31_1510:
	s_and_b64 vcc, exec, s[10:11]
	s_cbranch_vccz .LBB31_1514
; %bb.1511:
	s_cmp_eq_u32 s15, 44
	s_cbranch_scc0 .LBB31_1513
; %bb.1512:
	global_load_ubyte v1, v[14:15], off
	s_mov_b64 s[0:1], 0
	s_mov_b64 s[6:7], -1
	s_waitcnt vmcnt(0)
	v_lshlrev_b32_e32 v3, 23, v1
	v_cvt_i32_f32_e32 v3, v3
	v_cmp_ne_u32_e32 vcc, 0, v1
	v_cndmask_b32_e32 v7, 0, v3, vcc
	s_branch .LBB31_1514
.LBB31_1513:
	s_mov_b64 s[0:1], -1
                                        ; implicit-def: $vgpr7
.LBB31_1514:
	s_mov_b64 s[10:11], 0
.LBB31_1515:
	s_and_b64 vcc, exec, s[10:11]
	s_cbranch_vccz .LBB31_1519
; %bb.1516:
	s_cmp_eq_u32 s15, 29
	s_cbranch_scc0 .LBB31_1518
; %bb.1517:
	global_load_dwordx2 v[7:8], v[14:15], off
	s_mov_b64 s[0:1], 0
	s_mov_b64 s[6:7], -1
	s_branch .LBB31_1519
.LBB31_1518:
	s_mov_b64 s[0:1], -1
                                        ; implicit-def: $vgpr7
.LBB31_1519:
	s_mov_b64 s[10:11], 0
.LBB31_1520:
	s_and_b64 vcc, exec, s[10:11]
	s_cbranch_vccz .LBB31_1536
; %bb.1521:
	s_cmp_lt_i32 s15, 27
	s_cbranch_scc1 .LBB31_1524
; %bb.1522:
	s_cmp_gt_i32 s15, 27
	s_cbranch_scc0 .LBB31_1525
; %bb.1523:
	global_load_dword v7, v[14:15], off
	s_mov_b64 s[6:7], 0
	s_branch .LBB31_1526
.LBB31_1524:
	s_mov_b64 s[6:7], -1
                                        ; implicit-def: $vgpr7
	s_branch .LBB31_1529
.LBB31_1525:
	s_mov_b64 s[6:7], -1
                                        ; implicit-def: $vgpr7
.LBB31_1526:
	s_andn2_b64 vcc, exec, s[6:7]
	s_cbranch_vccnz .LBB31_1528
; %bb.1527:
	global_load_ushort v7, v[14:15], off
.LBB31_1528:
	s_mov_b64 s[6:7], 0
.LBB31_1529:
	s_andn2_b64 vcc, exec, s[6:7]
	s_cbranch_vccnz .LBB31_1535
; %bb.1530:
	global_load_ubyte v1, v[14:15], off
	s_movk_i32 s6, 0x7f
	s_mov_b64 s[10:11], 0
	s_waitcnt vmcnt(0)
	v_cmp_lt_i16_e32 vcc, s6, v1
	s_and_saveexec_b64 s[6:7], vcc
	s_xor_b64 s[6:7], exec, s[6:7]
	s_cbranch_execz .LBB31_1547
; %bb.1531:
	s_movk_i32 s10, 0x80
	v_cmp_ne_u16_e32 vcc, s10, v1
	s_and_b64 s[10:11], vcc, exec
	s_andn2_saveexec_b64 s[6:7], s[6:7]
	s_cbranch_execnz .LBB31_1548
.LBB31_1532:
	s_or_b64 exec, exec, s[6:7]
	v_mov_b32_e32 v7, 0
	s_and_saveexec_b64 s[6:7], s[10:11]
	s_cbranch_execz .LBB31_1534
.LBB31_1533:
	v_lshlrev_b32_e32 v3, 24, v1
	v_and_b32_e32 v1, 0xffff, v1
	v_and_b32_e32 v5, 7, v1
	v_ffbh_u32_e32 v8, v5
	v_min_u32_e32 v8, 32, v8
	v_subrev_u32_e32 v10, 28, v8
	v_bfe_u32 v7, v1, 3, 4
	v_lshlrev_b32_e32 v1, v10, v1
	v_sub_u32_e32 v8, 29, v8
	v_and_b32_e32 v1, 7, v1
	v_cmp_eq_u32_e32 vcc, 0, v7
	v_cndmask_b32_e32 v7, v7, v8, vcc
	v_cndmask_b32_e32 v1, v5, v1, vcc
	v_mov_b32_e32 v5, 0x3b800000
	v_lshlrev_b32_e32 v1, 20, v1
	v_and_b32_e32 v3, 0x80000000, v3
	v_lshl_add_u32 v5, v7, 23, v5
	v_or3_b32 v1, v3, v5, v1
	v_cvt_i32_f32_e32 v7, v1
.LBB31_1534:
	s_or_b64 exec, exec, s[6:7]
.LBB31_1535:
	s_mov_b64 s[6:7], -1
.LBB31_1536:
	s_mov_b64 s[10:11], 0
.LBB31_1537:
	s_and_b64 vcc, exec, s[10:11]
	s_cbranch_vccz .LBB31_1568
; %bb.1538:
	s_cmp_gt_i32 s15, 22
	s_cbranch_scc0 .LBB31_1546
; %bb.1539:
	s_cmp_lt_i32 s15, 24
	s_cbranch_scc1 .LBB31_1549
; %bb.1540:
	s_cmp_gt_i32 s15, 24
	s_cbranch_scc0 .LBB31_1550
; %bb.1541:
	global_load_ubyte v1, v[14:15], off
	s_movk_i32 s4, 0x7f
	s_mov_b64 s[6:7], 0
	s_waitcnt vmcnt(0)
	v_cmp_lt_i16_e32 vcc, s4, v1
	s_and_saveexec_b64 s[4:5], vcc
	s_xor_b64 s[4:5], exec, s[4:5]
	s_cbranch_execz .LBB31_1562
; %bb.1542:
	s_movk_i32 s6, 0x80
	v_cmp_ne_u16_e32 vcc, s6, v1
	s_and_b64 s[6:7], vcc, exec
	s_andn2_saveexec_b64 s[4:5], s[4:5]
	s_cbranch_execnz .LBB31_1563
.LBB31_1543:
	s_or_b64 exec, exec, s[4:5]
	v_mov_b32_e32 v7, 0
	s_and_saveexec_b64 s[4:5], s[6:7]
	s_cbranch_execz .LBB31_1545
.LBB31_1544:
	v_lshlrev_b32_e32 v3, 24, v1
	v_and_b32_e32 v1, 0xffff, v1
	v_and_b32_e32 v5, 3, v1
	v_ffbh_u32_e32 v8, v5
	v_min_u32_e32 v8, 32, v8
	v_subrev_u32_e32 v10, 29, v8
	v_bfe_u32 v7, v1, 2, 5
	v_lshlrev_b32_e32 v1, v10, v1
	v_sub_u32_e32 v8, 30, v8
	v_and_b32_e32 v1, 3, v1
	v_cmp_eq_u32_e32 vcc, 0, v7
	v_cndmask_b32_e32 v7, v7, v8, vcc
	v_cndmask_b32_e32 v1, v5, v1, vcc
	v_mov_b32_e32 v5, 0x37800000
	v_lshlrev_b32_e32 v1, 21, v1
	v_and_b32_e32 v3, 0x80000000, v3
	v_lshl_add_u32 v5, v7, 23, v5
	v_or3_b32 v1, v3, v5, v1
	v_cvt_i32_f32_e32 v7, v1
.LBB31_1545:
	s_or_b64 exec, exec, s[4:5]
	s_mov_b64 s[4:5], 0
	s_branch .LBB31_1551
.LBB31_1546:
	s_mov_b64 s[4:5], -1
                                        ; implicit-def: $vgpr7
	s_branch .LBB31_1557
.LBB31_1547:
	s_andn2_saveexec_b64 s[6:7], s[6:7]
	s_cbranch_execz .LBB31_1532
.LBB31_1548:
	v_cmp_ne_u16_e32 vcc, 0, v1
	s_andn2_b64 s[10:11], s[10:11], exec
	s_and_b64 s[12:13], vcc, exec
	s_or_b64 s[10:11], s[10:11], s[12:13]
	s_or_b64 exec, exec, s[6:7]
	v_mov_b32_e32 v7, 0
	s_and_saveexec_b64 s[6:7], s[10:11]
	s_cbranch_execnz .LBB31_1533
	s_branch .LBB31_1534
.LBB31_1549:
	s_mov_b64 s[4:5], -1
                                        ; implicit-def: $vgpr7
	s_branch .LBB31_1554
.LBB31_1550:
	s_mov_b64 s[4:5], -1
                                        ; implicit-def: $vgpr7
.LBB31_1551:
	s_and_b64 vcc, exec, s[4:5]
	s_cbranch_vccz .LBB31_1553
; %bb.1552:
	global_load_ubyte v1, v[14:15], off
	s_mov_b32 s4, 0x7f800000
	s_waitcnt vmcnt(0)
	v_lshlrev_b32_e32 v1, 24, v1
	v_and_b32_e32 v3, 0x7f000000, v1
	v_ffbh_u32_e32 v5, v3
	v_min_u32_e32 v5, 32, v5
	v_sub_u32_e64 v5, v5, 4 clamp
	v_lshlrev_b32_e32 v8, v5, v3
	v_lshlrev_b32_e32 v5, 23, v5
	v_lshrrev_b32_e32 v8, 4, v8
	v_add_u32_e32 v7, 0x1000000, v3
	v_sub_u32_e32 v5, v8, v5
	v_ashrrev_i32_e32 v7, 8, v7
	v_add_u32_e32 v5, 0x3c000000, v5
	v_and_or_b32 v5, v7, s4, v5
	v_cmp_ne_u32_e32 vcc, 0, v3
	v_cndmask_b32_e32 v3, 0, v5, vcc
	s_brev_b32 s4, 1
	v_and_or_b32 v1, v1, s4, v3
	v_cvt_i32_f32_e32 v7, v1
.LBB31_1553:
	s_mov_b64 s[4:5], 0
.LBB31_1554:
	s_andn2_b64 vcc, exec, s[4:5]
	s_cbranch_vccnz .LBB31_1556
; %bb.1555:
	global_load_ubyte v1, v[14:15], off
	s_movk_i32 s4, 0x7f00
	s_brev_b32 s5, 16
	s_waitcnt vmcnt(0)
	v_lshlrev_b16_e32 v3, 8, v1
	v_lshlrev_b32_e32 v1, 25, v1
	v_lshrrev_b32_e32 v5, 4, v1
	v_and_or_b32 v7, v3, s4, 0.5
	v_or_b32_e32 v5, 0x70000000, v5
	v_add_f32_e32 v7, -0.5, v7
	v_mul_f32_e32 v5, 0x7800000, v5
	v_cmp_gt_u32_e32 vcc, s5, v1
	v_bfe_i32 v3, v3, 0, 16
	v_cndmask_b32_e32 v1, v5, v7, vcc
	s_brev_b32 s4, 1
	v_and_or_b32 v1, v3, s4, v1
	v_cvt_i32_f32_e32 v7, v1
.LBB31_1556:
	s_mov_b64 s[4:5], 0
	s_mov_b64 s[6:7], -1
.LBB31_1557:
	s_andn2_b64 vcc, exec, s[4:5]
	s_mov_b64 s[4:5], 0
	s_cbranch_vccnz .LBB31_1568
; %bb.1558:
	s_cmp_gt_i32 s15, 14
	s_cbranch_scc0 .LBB31_1561
; %bb.1559:
	s_cmp_eq_u32 s15, 15
	s_cbranch_scc0 .LBB31_1564
; %bb.1560:
	global_load_ushort v1, v[14:15], off
	s_mov_b64 s[0:1], 0
	s_mov_b64 s[6:7], -1
	s_waitcnt vmcnt(0)
	v_lshlrev_b32_e32 v1, 16, v1
	v_cvt_i32_f32_e32 v7, v1
	s_branch .LBB31_1565
.LBB31_1561:
	s_mov_b64 s[10:11], -1
                                        ; implicit-def: $vgpr7
	s_branch .LBB31_1566
.LBB31_1562:
	s_andn2_saveexec_b64 s[4:5], s[4:5]
	s_cbranch_execz .LBB31_1543
.LBB31_1563:
	v_cmp_ne_u16_e32 vcc, 0, v1
	s_andn2_b64 s[6:7], s[6:7], exec
	s_and_b64 s[10:11], vcc, exec
	s_or_b64 s[6:7], s[6:7], s[10:11]
	s_or_b64 exec, exec, s[4:5]
	v_mov_b32_e32 v7, 0
	s_and_saveexec_b64 s[4:5], s[6:7]
	s_cbranch_execnz .LBB31_1544
	s_branch .LBB31_1545
.LBB31_1564:
	s_mov_b64 s[0:1], -1
                                        ; implicit-def: $vgpr7
.LBB31_1565:
	s_mov_b64 s[10:11], 0
.LBB31_1566:
	s_and_b64 vcc, exec, s[10:11]
	s_cbranch_vccz .LBB31_1568
; %bb.1567:
	s_cmp_lg_u32 s15, 11
	s_mov_b64 s[4:5], -1
	s_cselect_b64 s[0:1], -1, 0
.LBB31_1568:
	s_and_b64 vcc, exec, s[0:1]
	s_cbranch_vccnz .LBB31_2101
; %bb.1569:
	s_andn2_b64 vcc, exec, s[4:5]
	s_cbranch_vccnz .LBB31_1571
.LBB31_1570:
	global_load_ubyte v1, v[14:15], off
	s_mov_b64 s[6:7], -1
	s_waitcnt vmcnt(0)
	v_cmp_ne_u16_e32 vcc, 0, v1
	v_cndmask_b32_e64 v7, 0, 1, vcc
.LBB31_1571:
	s_mov_b64 s[0:1], 0
.LBB31_1572:
	s_and_b64 vcc, exec, s[0:1]
	s_cbranch_vccz .LBB31_1621
; %bb.1573:
	s_cmp_lt_i32 s15, 5
	s_cbranch_scc1 .LBB31_1578
; %bb.1574:
	s_cmp_lt_i32 s15, 8
	s_cbranch_scc1 .LBB31_1579
	;; [unrolled: 3-line block ×3, first 2 shown]
; %bb.1576:
	s_cmp_gt_i32 s15, 9
	s_cbranch_scc0 .LBB31_1581
; %bb.1577:
	global_load_dwordx2 v[7:8], v[14:15], off
	s_mov_b64 s[0:1], 0
	s_waitcnt vmcnt(0)
	v_cvt_i32_f64_e32 v7, v[7:8]
	s_branch .LBB31_1582
.LBB31_1578:
	s_mov_b64 s[0:1], -1
                                        ; implicit-def: $vgpr7
	s_branch .LBB31_1600
.LBB31_1579:
	s_mov_b64 s[0:1], -1
                                        ; implicit-def: $vgpr7
	s_branch .LBB31_1588
.LBB31_1580:
	s_mov_b64 s[0:1], -1
                                        ; implicit-def: $vgpr7
	s_branch .LBB31_1585
.LBB31_1581:
	s_mov_b64 s[0:1], -1
                                        ; implicit-def: $vgpr7
.LBB31_1582:
	s_andn2_b64 vcc, exec, s[0:1]
	s_cbranch_vccnz .LBB31_1584
; %bb.1583:
	global_load_dword v1, v[14:15], off
	s_waitcnt vmcnt(0)
	v_cvt_i32_f32_e32 v7, v1
.LBB31_1584:
	s_mov_b64 s[0:1], 0
.LBB31_1585:
	s_andn2_b64 vcc, exec, s[0:1]
	s_cbranch_vccnz .LBB31_1587
; %bb.1586:
	global_load_dword v1, v[14:15], off
	s_waitcnt vmcnt(0)
	v_cvt_i16_f16_e32 v7, v1
.LBB31_1587:
	s_mov_b64 s[0:1], 0
.LBB31_1588:
	s_andn2_b64 vcc, exec, s[0:1]
	s_cbranch_vccnz .LBB31_1599
; %bb.1589:
	s_cmp_lt_i32 s15, 6
	s_cbranch_scc1 .LBB31_1592
; %bb.1590:
	s_cmp_gt_i32 s15, 6
	s_cbranch_scc0 .LBB31_1593
; %bb.1591:
	global_load_dwordx2 v[7:8], v[14:15], off
	s_mov_b64 s[0:1], 0
	s_waitcnt vmcnt(0)
	v_cvt_i32_f64_e32 v7, v[7:8]
	s_branch .LBB31_1594
.LBB31_1592:
	s_mov_b64 s[0:1], -1
                                        ; implicit-def: $vgpr7
	s_branch .LBB31_1597
.LBB31_1593:
	s_mov_b64 s[0:1], -1
                                        ; implicit-def: $vgpr7
.LBB31_1594:
	s_andn2_b64 vcc, exec, s[0:1]
	s_cbranch_vccnz .LBB31_1596
; %bb.1595:
	global_load_dword v1, v[14:15], off
	s_waitcnt vmcnt(0)
	v_cvt_i32_f32_e32 v7, v1
.LBB31_1596:
	s_mov_b64 s[0:1], 0
.LBB31_1597:
	s_andn2_b64 vcc, exec, s[0:1]
	s_cbranch_vccnz .LBB31_1599
; %bb.1598:
	global_load_ushort v1, v[14:15], off
	s_waitcnt vmcnt(0)
	v_cvt_i16_f16_e32 v7, v1
.LBB31_1599:
	s_mov_b64 s[0:1], 0
.LBB31_1600:
	s_andn2_b64 vcc, exec, s[0:1]
	s_cbranch_vccnz .LBB31_1620
; %bb.1601:
	s_cmp_lt_i32 s15, 2
	s_cbranch_scc1 .LBB31_1605
; %bb.1602:
	s_cmp_lt_i32 s15, 3
	s_cbranch_scc1 .LBB31_1606
; %bb.1603:
	s_cmp_gt_i32 s15, 3
	s_cbranch_scc0 .LBB31_1607
; %bb.1604:
	global_load_dwordx2 v[7:8], v[14:15], off
	s_mov_b64 s[0:1], 0
	s_branch .LBB31_1608
.LBB31_1605:
	s_mov_b64 s[0:1], -1
                                        ; implicit-def: $vgpr7
	s_branch .LBB31_1614
.LBB31_1606:
	s_mov_b64 s[0:1], -1
                                        ; implicit-def: $vgpr7
	s_branch .LBB31_1611
.LBB31_1607:
	s_mov_b64 s[0:1], -1
                                        ; implicit-def: $vgpr7
.LBB31_1608:
	s_andn2_b64 vcc, exec, s[0:1]
	s_cbranch_vccnz .LBB31_1610
; %bb.1609:
	global_load_dword v7, v[14:15], off
.LBB31_1610:
	s_mov_b64 s[0:1], 0
.LBB31_1611:
	s_andn2_b64 vcc, exec, s[0:1]
	s_cbranch_vccnz .LBB31_1613
; %bb.1612:
	global_load_ushort v7, v[14:15], off
.LBB31_1613:
	s_mov_b64 s[0:1], 0
.LBB31_1614:
	s_andn2_b64 vcc, exec, s[0:1]
	s_cbranch_vccnz .LBB31_1620
; %bb.1615:
	s_cmp_gt_i32 s15, 0
	s_cbranch_scc0 .LBB31_1617
; %bb.1616:
	global_load_ubyte v7, v[14:15], off
	s_mov_b64 s[0:1], 0
	s_branch .LBB31_1618
.LBB31_1617:
	s_mov_b64 s[0:1], -1
                                        ; implicit-def: $vgpr7
.LBB31_1618:
	s_andn2_b64 vcc, exec, s[0:1]
	s_cbranch_vccnz .LBB31_1620
; %bb.1619:
	global_load_ubyte v7, v[14:15], off
.LBB31_1620:
	s_mov_b64 s[6:7], -1
.LBB31_1621:
	s_andn2_b64 vcc, exec, s[6:7]
	s_cbranch_vccnz .LBB31_2055
; %bb.1622:
	s_lshr_b32 s0, s14, 8
	s_and_b32 s15, s0, 0xff
	v_mov_b32_e32 v3, 8
	v_lshlrev_b32_e64 v1, v13, s15
	v_cmp_lt_u16_sdwa vcc, v13, v3 src0_sel:BYTE_0 src1_sel:DWORD
	s_bfe_u32 s16, s14, 0x80010
	v_cndmask_b32_e32 v1, 0, v1, vcc
	v_mov_b32_e32 v3, s9
	v_add_co_u32_e32 v5, vcc, s8, v6
	s_cmp_lt_i32 s16, 11
	v_addc_co_u32_e32 v6, vcc, 0, v3, vcc
	s_cbranch_scc1 .LBB31_1700
; %bb.1623:
	s_and_b32 s17, 0xffff, s16
	s_mov_b64 s[10:11], -1
	s_mov_b64 s[4:5], 0
	s_cmp_gt_i32 s17, 25
	s_mov_b64 s[6:7], 0
	s_mov_b64 s[0:1], 0
	s_cbranch_scc0 .LBB31_1656
; %bb.1624:
	s_cmp_gt_i32 s17, 28
	s_cbranch_scc0 .LBB31_1639
; %bb.1625:
	s_cmp_gt_i32 s17, 43
	;; [unrolled: 3-line block ×3, first 2 shown]
	s_cbranch_scc0 .LBB31_1629
; %bb.1627:
	s_mov_b64 s[0:1], -1
	s_mov_b64 s[10:11], 0
	s_cmp_eq_u32 s17, 46
	s_cbranch_scc0 .LBB31_1629
; %bb.1628:
	v_bfe_i32 v3, v1, 0, 8
	v_cvt_f32_i32_sdwa v3, sext(v3) dst_sel:DWORD dst_unused:UNUSED_PAD src0_sel:WORD_0
	s_movk_i32 s6, 0x7fff
	s_mov_b64 s[0:1], 0
	s_waitcnt vmcnt(0)
	v_bfe_u32 v8, v3, 16, 1
	v_add3_u32 v3, v3, v8, s6
	v_lshrrev_b32_e32 v3, 16, v3
	global_store_dword v[5:6], v3, off
	s_mov_b64 s[6:7], -1
.LBB31_1629:
	s_and_b64 vcc, exec, s[10:11]
	s_cbranch_vccz .LBB31_1634
; %bb.1630:
	s_cmp_eq_u32 s17, 44
	s_mov_b64 s[0:1], -1
	s_cbranch_scc0 .LBB31_1634
; %bb.1631:
	v_bfe_i32 v3, v1, 0, 8
	v_cvt_f32_i32_sdwa v3, sext(v3) dst_sel:DWORD dst_unused:UNUSED_PAD src0_sel:WORD_0
	s_movk_i32 s0, 0xff
	s_waitcnt vmcnt(0)
	v_mov_b32_e32 v10, 0xff
	v_bfe_u32 v8, v3, 23, 8
	v_cmp_ne_u32_e32 vcc, s0, v8
	s_and_saveexec_b64 s[6:7], vcc
; %bb.1632:
	s_mov_b32 s0, 0x3fffff
	v_lshrrev_b32_e32 v10, 23, v3
	v_and_b32_e32 v12, 0x400000, v3
	v_and_or_b32 v3, v3, s0, v8
	v_cmp_ne_u32_e32 vcc, 0, v12
	v_cmp_ne_u32_e64 s[0:1], 0, v3
	s_and_b64 s[0:1], vcc, s[0:1]
	v_cndmask_b32_e64 v3, 0, 1, s[0:1]
	v_add_u32_e32 v10, v10, v3
; %bb.1633:
	s_or_b64 exec, exec, s[6:7]
	s_mov_b64 s[0:1], 0
	s_mov_b64 s[6:7], -1
	global_store_byte v[5:6], v10, off
.LBB31_1634:
	s_mov_b64 s[10:11], 0
.LBB31_1635:
	s_and_b64 vcc, exec, s[10:11]
	s_cbranch_vccz .LBB31_1638
; %bb.1636:
	s_cmp_eq_u32 s17, 29
	s_mov_b64 s[0:1], -1
	s_cbranch_scc0 .LBB31_1638
; %bb.1637:
	s_waitcnt vmcnt(0)
	v_bfe_i32 v12, v1, 0, 8
	v_ashrrev_i32_e32 v13, 31, v12
	global_store_dwordx2 v[5:6], v[12:13], off
	s_mov_b64 s[0:1], 0
	s_mov_b64 s[6:7], -1
.LBB31_1638:
	s_mov_b64 s[10:11], 0
.LBB31_1639:
	s_and_b64 vcc, exec, s[10:11]
	s_cbranch_vccz .LBB31_1655
; %bb.1640:
	s_cmp_lt_i32 s17, 27
	s_mov_b64 s[6:7], -1
	s_cbranch_scc1 .LBB31_1646
; %bb.1641:
	s_cmp_gt_i32 s17, 27
	s_cbranch_scc0 .LBB31_1643
; %bb.1642:
	v_bfe_i32 v3, v1, 0, 8
	s_mov_b64 s[6:7], 0
	global_store_dword v[5:6], v3, off
.LBB31_1643:
	s_andn2_b64 vcc, exec, s[6:7]
	s_cbranch_vccnz .LBB31_1645
; %bb.1644:
	v_bfe_i32 v3, v1, 0, 8
	global_store_short v[5:6], v3, off
.LBB31_1645:
	s_mov_b64 s[6:7], 0
.LBB31_1646:
	s_andn2_b64 vcc, exec, s[6:7]
	s_cbranch_vccnz .LBB31_1654
; %bb.1647:
	v_bfe_i32 v3, v1, 0, 8
	v_cvt_f32_i32_sdwa v3, sext(v3) dst_sel:DWORD dst_unused:UNUSED_PAD src0_sel:WORD_0
	s_mov_b32 s6, 0x43800000
	s_waitcnt vmcnt(0)
	v_mov_b32_e32 v10, 0x80
	v_and_b32_e32 v8, 0x7fffffff, v3
	v_cmp_gt_u32_e32 vcc, s6, v8
	s_and_saveexec_b64 s[6:7], vcc
	s_cbranch_execz .LBB31_1653
; %bb.1648:
	s_mov_b32 s10, 0x3bffffff
	v_cmp_lt_u32_e32 vcc, s10, v8
	s_mov_b64 s[10:11], 0
                                        ; implicit-def: $vgpr8
	s_and_saveexec_b64 s[12:13], vcc
	s_xor_b64 s[12:13], exec, s[12:13]
	s_cbranch_execz .LBB31_2102
; %bb.1649:
	v_bfe_u32 v8, v3, 20, 1
	s_mov_b32 s18, 0x487ffff
	v_add3_u32 v8, v3, v8, s18
	s_mov_b64 s[10:11], exec
	v_lshrrev_b32_e32 v8, 20, v8
	s_andn2_saveexec_b64 s[12:13], s[12:13]
	s_cbranch_execnz .LBB31_2103
.LBB31_1650:
	s_or_b64 exec, exec, s[12:13]
	v_mov_b32_e32 v10, 0
	s_and_saveexec_b64 s[12:13], s[10:11]
.LBB31_1651:
	v_lshrrev_b32_e32 v3, 24, v3
	s_movk_i32 s10, 0x80
	v_and_or_b32 v10, v3, s10, v8
.LBB31_1652:
	s_or_b64 exec, exec, s[12:13]
.LBB31_1653:
	s_or_b64 exec, exec, s[6:7]
	global_store_byte v[5:6], v10, off
.LBB31_1654:
	s_mov_b64 s[6:7], -1
.LBB31_1655:
	s_mov_b64 s[10:11], 0
.LBB31_1656:
	s_and_b64 vcc, exec, s[10:11]
	s_cbranch_vccz .LBB31_1696
; %bb.1657:
	s_cmp_gt_i32 s17, 22
	s_mov_b64 s[4:5], -1
	s_cbranch_scc0 .LBB31_1689
; %bb.1658:
	s_cmp_lt_i32 s17, 24
	s_cbranch_scc1 .LBB31_1678
; %bb.1659:
	s_cmp_gt_i32 s17, 24
	s_cbranch_scc0 .LBB31_1667
; %bb.1660:
	v_bfe_i32 v3, v1, 0, 8
	v_cvt_f32_i32_sdwa v3, sext(v3) dst_sel:DWORD dst_unused:UNUSED_PAD src0_sel:WORD_0
	s_mov_b32 s4, 0x47800000
	s_waitcnt vmcnt(0)
	v_mov_b32_e32 v10, 0x80
	v_and_b32_e32 v8, 0x7fffffff, v3
	v_cmp_gt_u32_e32 vcc, s4, v8
	s_and_saveexec_b64 s[4:5], vcc
	s_cbranch_execz .LBB31_1666
; %bb.1661:
	s_mov_b32 s6, 0x37ffffff
	v_cmp_lt_u32_e32 vcc, s6, v8
	s_mov_b64 s[6:7], 0
                                        ; implicit-def: $vgpr8
	s_and_saveexec_b64 s[10:11], vcc
	s_xor_b64 s[10:11], exec, s[10:11]
	s_cbranch_execz .LBB31_2105
; %bb.1662:
	v_bfe_u32 v8, v3, 21, 1
	s_mov_b32 s12, 0x88fffff
	v_add3_u32 v8, v3, v8, s12
	s_mov_b64 s[6:7], exec
	v_lshrrev_b32_e32 v8, 21, v8
	s_andn2_saveexec_b64 s[10:11], s[10:11]
	s_cbranch_execnz .LBB31_2106
.LBB31_1663:
	s_or_b64 exec, exec, s[10:11]
	v_mov_b32_e32 v10, 0
	s_and_saveexec_b64 s[10:11], s[6:7]
.LBB31_1664:
	v_lshrrev_b32_e32 v3, 24, v3
	s_movk_i32 s6, 0x80
	v_and_or_b32 v10, v3, s6, v8
.LBB31_1665:
	s_or_b64 exec, exec, s[10:11]
.LBB31_1666:
	s_or_b64 exec, exec, s[4:5]
	s_mov_b64 s[4:5], 0
	global_store_byte v[5:6], v10, off
.LBB31_1667:
	s_and_b64 vcc, exec, s[4:5]
	s_cbranch_vccz .LBB31_1677
; %bb.1668:
	v_bfe_i32 v3, v1, 0, 8
	v_cvt_f32_i32_sdwa v3, sext(v3) dst_sel:DWORD dst_unused:UNUSED_PAD src0_sel:WORD_0
	s_mov_b32 s4, 0x43f00000
                                        ; implicit-def: $vgpr8
	s_waitcnt vmcnt(0)
	v_and_b32_e32 v10, 0x7fffffff, v3
	v_cmp_gt_u32_e32 vcc, s4, v10
	s_and_saveexec_b64 s[4:5], vcc
	s_xor_b64 s[4:5], exec, s[4:5]
	s_cbranch_execz .LBB31_1674
; %bb.1669:
	s_mov_b32 s6, 0x3c7fffff
	v_cmp_lt_u32_e32 vcc, s6, v10
                                        ; implicit-def: $vgpr8
	s_and_saveexec_b64 s[6:7], vcc
	s_xor_b64 s[6:7], exec, s[6:7]
; %bb.1670:
	v_bfe_u32 v8, v3, 20, 1
	s_mov_b32 s10, 0x407ffff
	v_add3_u32 v8, v3, v8, s10
	v_lshrrev_b32_e32 v10, 20, v8
	v_and_b32_e32 v8, 0xff00000, v8
	s_mov_b32 s10, 0x7f00000
	v_mov_b32_e32 v12, 0x7e
	v_cmp_ne_u32_e32 vcc, s10, v8
	v_cndmask_b32_e32 v8, v12, v10, vcc
; %bb.1671:
	s_andn2_saveexec_b64 s[6:7], s[6:7]
; %bb.1672:
	s_mov_b32 s10, 0x46800000
	v_add_f32_e64 v8, |v3|, s10
; %bb.1673:
	s_or_b64 exec, exec, s[6:7]
                                        ; implicit-def: $vgpr10
.LBB31_1674:
	s_andn2_saveexec_b64 s[4:5], s[4:5]
; %bb.1675:
	s_mov_b32 s6, 0x7f800000
	v_mov_b32_e32 v8, 0x7e
	v_mov_b32_e32 v12, 0x7f
	v_cmp_lt_u32_e32 vcc, s6, v10
	v_cndmask_b32_e32 v8, v8, v12, vcc
; %bb.1676:
	s_or_b64 exec, exec, s[4:5]
	v_lshrrev_b32_e32 v3, 24, v3
	s_movk_i32 s4, 0x80
	v_and_or_b32 v3, v3, s4, v8
	global_store_byte v[5:6], v3, off
.LBB31_1677:
	s_mov_b64 s[4:5], 0
.LBB31_1678:
	s_andn2_b64 vcc, exec, s[4:5]
	s_cbranch_vccnz .LBB31_1688
; %bb.1679:
	v_bfe_i32 v3, v1, 0, 8
	v_cvt_f32_i32_sdwa v3, sext(v3) dst_sel:DWORD dst_unused:UNUSED_PAD src0_sel:WORD_0
	s_mov_b32 s4, 0x47800000
                                        ; implicit-def: $vgpr8
	s_waitcnt vmcnt(0)
	v_and_b32_e32 v10, 0x7fffffff, v3
	v_cmp_gt_u32_e32 vcc, s4, v10
	s_and_saveexec_b64 s[4:5], vcc
	s_xor_b64 s[4:5], exec, s[4:5]
	s_cbranch_execz .LBB31_1685
; %bb.1680:
	s_mov_b32 s6, 0x387fffff
	v_cmp_lt_u32_e32 vcc, s6, v10
                                        ; implicit-def: $vgpr8
	s_and_saveexec_b64 s[6:7], vcc
	s_xor_b64 s[6:7], exec, s[6:7]
; %bb.1681:
	v_bfe_u32 v8, v3, 21, 1
	s_mov_b32 s10, 0x80fffff
	v_add3_u32 v8, v3, v8, s10
	v_lshrrev_b32_e32 v8, 21, v8
; %bb.1682:
	s_andn2_saveexec_b64 s[6:7], s[6:7]
; %bb.1683:
	s_mov_b32 s10, 0x43000000
	v_add_f32_e64 v8, |v3|, s10
; %bb.1684:
	s_or_b64 exec, exec, s[6:7]
                                        ; implicit-def: $vgpr10
.LBB31_1685:
	s_andn2_saveexec_b64 s[4:5], s[4:5]
; %bb.1686:
	s_mov_b32 s6, 0x7f800000
	v_mov_b32_e32 v8, 0x7c
	v_mov_b32_e32 v12, 0x7f
	v_cmp_lt_u32_e32 vcc, s6, v10
	v_cndmask_b32_e32 v8, v8, v12, vcc
; %bb.1687:
	s_or_b64 exec, exec, s[4:5]
	v_lshrrev_b32_e32 v3, 24, v3
	s_movk_i32 s4, 0x80
	v_and_or_b32 v3, v3, s4, v8
	global_store_byte v[5:6], v3, off
.LBB31_1688:
	s_mov_b64 s[4:5], 0
	s_mov_b64 s[6:7], -1
.LBB31_1689:
	s_andn2_b64 vcc, exec, s[4:5]
	s_mov_b64 s[4:5], 0
	s_cbranch_vccnz .LBB31_1696
; %bb.1690:
	s_cmp_gt_i32 s17, 14
	s_mov_b64 s[10:11], -1
	s_cbranch_scc0 .LBB31_1694
; %bb.1691:
	s_cmp_eq_u32 s17, 15
	s_mov_b64 s[0:1], -1
	s_cbranch_scc0 .LBB31_1693
; %bb.1692:
	v_bfe_i32 v3, v1, 0, 8
	v_cvt_f32_i32_sdwa v3, sext(v3) dst_sel:DWORD dst_unused:UNUSED_PAD src0_sel:WORD_0
	s_movk_i32 s4, 0x7fff
	s_mov_b64 s[0:1], 0
	s_mov_b64 s[6:7], -1
	s_waitcnt vmcnt(0)
	v_bfe_u32 v8, v3, 16, 1
	v_add3_u32 v3, v3, v8, s4
	global_store_short_d16_hi v[5:6], v3, off
.LBB31_1693:
	s_mov_b64 s[10:11], 0
.LBB31_1694:
	s_mov_b64 s[4:5], 0
	s_and_b64 vcc, exec, s[10:11]
	s_cbranch_vccz .LBB31_1696
; %bb.1695:
	s_cmp_lg_u32 s17, 11
	s_mov_b64 s[4:5], -1
	s_cselect_b64 s[0:1], -1, 0
.LBB31_1696:
	s_and_b64 vcc, exec, s[0:1]
	s_cbranch_vccnz .LBB31_2104
; %bb.1697:
	s_andn2_b64 vcc, exec, s[4:5]
	s_cbranch_vccnz .LBB31_1699
.LBB31_1698:
	v_mov_b32_e32 v3, 0
	v_cmp_ne_u16_sdwa s[0:1], v1, v3 src0_sel:BYTE_0 src1_sel:DWORD
	v_cndmask_b32_e64 v3, 0, 1, s[0:1]
	s_mov_b64 s[6:7], -1
	global_store_byte v[5:6], v3, off
.LBB31_1699:
	s_mov_b64 s[0:1], 0
	s_branch .LBB31_1701
.LBB31_1700:
	s_mov_b64 s[0:1], -1
	s_mov_b64 s[6:7], 0
.LBB31_1701:
	s_and_b64 vcc, exec, s[0:1]
	s_cbranch_vccz .LBB31_1740
; %bb.1702:
	s_and_b32 s4, 0xffff, s16
	s_cmp_lt_i32 s4, 5
	s_mov_b64 s[0:1], -1
	s_cbranch_scc1 .LBB31_1723
; %bb.1703:
	s_cmp_lt_i32 s4, 8
	s_cbranch_scc1 .LBB31_1713
; %bb.1704:
	s_cmp_lt_i32 s4, 9
	s_cbranch_scc1 .LBB31_1710
; %bb.1705:
	s_cmp_gt_i32 s4, 9
	s_cbranch_scc0 .LBB31_1707
; %bb.1706:
	v_bfe_i32 v3, v1, 0, 8
	v_bfe_i32 v3, v3, 0, 16
	s_waitcnt vmcnt(0)
	v_cvt_f64_i32_e32 v[12:13], v3
	v_mov_b32_e32 v14, 0
	v_mov_b32_e32 v15, v14
	s_mov_b64 s[0:1], 0
	global_store_dwordx4 v[5:6], v[12:15], off
.LBB31_1707:
	s_andn2_b64 vcc, exec, s[0:1]
	s_cbranch_vccnz .LBB31_1709
; %bb.1708:
	v_bfe_i32 v3, v1, 0, 8
	s_waitcnt vmcnt(0)
	v_cvt_f32_i32_sdwa v12, sext(v3) dst_sel:DWORD dst_unused:UNUSED_PAD src0_sel:WORD_0
	v_mov_b32_e32 v13, 0
	global_store_dwordx2 v[5:6], v[12:13], off
.LBB31_1709:
	s_mov_b64 s[0:1], 0
.LBB31_1710:
	s_andn2_b64 vcc, exec, s[0:1]
	s_cbranch_vccnz .LBB31_1712
; %bb.1711:
	v_cvt_f16_i16_sdwa v3, sext(v1) dst_sel:DWORD dst_unused:UNUSED_PAD src0_sel:BYTE_0
	global_store_dword v[5:6], v3, off
.LBB31_1712:
	s_mov_b64 s[0:1], 0
.LBB31_1713:
	s_andn2_b64 vcc, exec, s[0:1]
	s_cbranch_vccnz .LBB31_1722
; %bb.1714:
	s_cmp_lt_i32 s4, 6
	s_mov_b64 s[0:1], -1
	s_cbranch_scc1 .LBB31_1720
; %bb.1715:
	s_cmp_gt_i32 s4, 6
	s_cbranch_scc0 .LBB31_1717
; %bb.1716:
	v_bfe_i32 v3, v1, 0, 8
	v_bfe_i32 v3, v3, 0, 16
	s_waitcnt vmcnt(0)
	v_cvt_f64_i32_e32 v[12:13], v3
	s_mov_b64 s[0:1], 0
	global_store_dwordx2 v[5:6], v[12:13], off
.LBB31_1717:
	s_andn2_b64 vcc, exec, s[0:1]
	s_cbranch_vccnz .LBB31_1719
; %bb.1718:
	v_bfe_i32 v3, v1, 0, 8
	v_cvt_f32_i32_sdwa v3, sext(v3) dst_sel:DWORD dst_unused:UNUSED_PAD src0_sel:WORD_0
	global_store_dword v[5:6], v3, off
.LBB31_1719:
	s_mov_b64 s[0:1], 0
.LBB31_1720:
	s_andn2_b64 vcc, exec, s[0:1]
	s_cbranch_vccnz .LBB31_1722
; %bb.1721:
	v_cvt_f16_i16_sdwa v3, sext(v1) dst_sel:DWORD dst_unused:UNUSED_PAD src0_sel:BYTE_0
	global_store_short v[5:6], v3, off
.LBB31_1722:
	s_mov_b64 s[0:1], 0
.LBB31_1723:
	s_andn2_b64 vcc, exec, s[0:1]
	s_cbranch_vccnz .LBB31_1739
; %bb.1724:
	s_cmp_lt_i32 s4, 2
	s_mov_b64 s[0:1], -1
	s_cbranch_scc1 .LBB31_1734
; %bb.1725:
	s_cmp_lt_i32 s4, 3
	s_cbranch_scc1 .LBB31_1731
; %bb.1726:
	s_cmp_gt_i32 s4, 3
	s_cbranch_scc0 .LBB31_1728
; %bb.1727:
	s_waitcnt vmcnt(0)
	v_bfe_i32 v12, v1, 0, 8
	v_ashrrev_i32_e32 v13, 31, v12
	global_store_dwordx2 v[5:6], v[12:13], off
	s_mov_b64 s[0:1], 0
.LBB31_1728:
	s_andn2_b64 vcc, exec, s[0:1]
	s_cbranch_vccnz .LBB31_1730
; %bb.1729:
	v_bfe_i32 v3, v1, 0, 8
	global_store_dword v[5:6], v3, off
.LBB31_1730:
	s_mov_b64 s[0:1], 0
.LBB31_1731:
	s_andn2_b64 vcc, exec, s[0:1]
	s_cbranch_vccnz .LBB31_1733
; %bb.1732:
	v_bfe_i32 v3, v1, 0, 8
	global_store_short v[5:6], v3, off
.LBB31_1733:
	s_mov_b64 s[0:1], 0
.LBB31_1734:
	s_andn2_b64 vcc, exec, s[0:1]
	s_cbranch_vccnz .LBB31_1739
; %bb.1735:
	s_cmp_gt_i32 s4, 0
	s_mov_b64 s[0:1], -1
	s_cbranch_scc0 .LBB31_1737
; %bb.1736:
	global_store_byte v[5:6], v1, off
	s_mov_b64 s[0:1], 0
.LBB31_1737:
	s_andn2_b64 vcc, exec, s[0:1]
	s_cbranch_vccnz .LBB31_1739
; %bb.1738:
	global_store_byte v[5:6], v1, off
.LBB31_1739:
	s_mov_b64 s[6:7], -1
.LBB31_1740:
	s_andn2_b64 vcc, exec, s[6:7]
	s_cbranch_vccnz .LBB31_2055
; %bb.1741:
	v_mov_b32_e32 v3, 8
	s_lshr_b32 s0, s14, 16
	s_waitcnt vmcnt(0)
	v_lshlrev_b32_e64 v1, v11, s15
	v_cmp_lt_u16_sdwa vcc, v11, v3 src0_sel:BYTE_0 src1_sel:DWORD
	s_and_b32 s14, s0, 0xff
	v_cndmask_b32_e32 v1, 0, v1, vcc
	v_mov_b32_e32 v5, s9
	v_add_co_u32_e32 v3, vcc, s8, v4
	s_cmp_lt_i32 s14, 11
	v_addc_co_u32_e32 v4, vcc, 0, v5, vcc
	s_cbranch_scc1 .LBB31_1819
; %bb.1742:
	s_and_b32 s16, 0xffff, s14
	s_mov_b64 s[10:11], -1
	s_mov_b64 s[4:5], 0
	s_cmp_gt_i32 s16, 25
	s_mov_b64 s[6:7], 0
	s_mov_b64 s[0:1], 0
	s_cbranch_scc0 .LBB31_1775
; %bb.1743:
	s_cmp_gt_i32 s16, 28
	s_cbranch_scc0 .LBB31_1758
; %bb.1744:
	s_cmp_gt_i32 s16, 43
	;; [unrolled: 3-line block ×3, first 2 shown]
	s_cbranch_scc0 .LBB31_1748
; %bb.1746:
	s_mov_b64 s[0:1], -1
	s_mov_b64 s[10:11], 0
	s_cmp_eq_u32 s16, 46
	s_cbranch_scc0 .LBB31_1748
; %bb.1747:
	v_bfe_i32 v5, v1, 0, 8
	v_cvt_f32_i32_sdwa v5, sext(v5) dst_sel:DWORD dst_unused:UNUSED_PAD src0_sel:WORD_0
	s_movk_i32 s6, 0x7fff
	s_mov_b64 s[0:1], 0
	v_bfe_u32 v6, v5, 16, 1
	v_add3_u32 v5, v5, v6, s6
	v_lshrrev_b32_e32 v5, 16, v5
	global_store_dword v[3:4], v5, off
	s_mov_b64 s[6:7], -1
.LBB31_1748:
	s_and_b64 vcc, exec, s[10:11]
	s_cbranch_vccz .LBB31_1753
; %bb.1749:
	s_cmp_eq_u32 s16, 44
	s_mov_b64 s[0:1], -1
	s_cbranch_scc0 .LBB31_1753
; %bb.1750:
	v_bfe_i32 v5, v1, 0, 8
	v_cvt_f32_i32_sdwa v5, sext(v5) dst_sel:DWORD dst_unused:UNUSED_PAD src0_sel:WORD_0
	s_movk_i32 s0, 0xff
	v_mov_b32_e32 v8, 0xff
	v_bfe_u32 v6, v5, 23, 8
	v_cmp_ne_u32_e32 vcc, s0, v6
	s_and_saveexec_b64 s[6:7], vcc
; %bb.1751:
	s_mov_b32 s0, 0x3fffff
	v_lshrrev_b32_e32 v8, 23, v5
	v_and_b32_e32 v10, 0x400000, v5
	v_and_or_b32 v5, v5, s0, v6
	v_cmp_ne_u32_e32 vcc, 0, v10
	v_cmp_ne_u32_e64 s[0:1], 0, v5
	s_and_b64 s[0:1], vcc, s[0:1]
	v_cndmask_b32_e64 v5, 0, 1, s[0:1]
	v_add_u32_e32 v8, v8, v5
; %bb.1752:
	s_or_b64 exec, exec, s[6:7]
	s_mov_b64 s[0:1], 0
	s_mov_b64 s[6:7], -1
	global_store_byte v[3:4], v8, off
.LBB31_1753:
	s_mov_b64 s[10:11], 0
.LBB31_1754:
	s_and_b64 vcc, exec, s[10:11]
	s_cbranch_vccz .LBB31_1757
; %bb.1755:
	s_cmp_eq_u32 s16, 29
	s_mov_b64 s[0:1], -1
	s_cbranch_scc0 .LBB31_1757
; %bb.1756:
	v_bfe_i32 v5, v1, 0, 8
	v_ashrrev_i32_e32 v6, 31, v5
	global_store_dwordx2 v[3:4], v[5:6], off
	s_mov_b64 s[0:1], 0
	s_mov_b64 s[6:7], -1
.LBB31_1757:
	s_mov_b64 s[10:11], 0
.LBB31_1758:
	s_and_b64 vcc, exec, s[10:11]
	s_cbranch_vccz .LBB31_1774
; %bb.1759:
	s_cmp_lt_i32 s16, 27
	s_mov_b64 s[6:7], -1
	s_cbranch_scc1 .LBB31_1765
; %bb.1760:
	s_cmp_gt_i32 s16, 27
	s_cbranch_scc0 .LBB31_1762
; %bb.1761:
	v_bfe_i32 v5, v1, 0, 8
	s_mov_b64 s[6:7], 0
	global_store_dword v[3:4], v5, off
.LBB31_1762:
	s_andn2_b64 vcc, exec, s[6:7]
	s_cbranch_vccnz .LBB31_1764
; %bb.1763:
	v_bfe_i32 v5, v1, 0, 8
	global_store_short v[3:4], v5, off
.LBB31_1764:
	s_mov_b64 s[6:7], 0
.LBB31_1765:
	s_andn2_b64 vcc, exec, s[6:7]
	s_cbranch_vccnz .LBB31_1773
; %bb.1766:
	v_bfe_i32 v5, v1, 0, 8
	v_cvt_f32_i32_sdwa v5, sext(v5) dst_sel:DWORD dst_unused:UNUSED_PAD src0_sel:WORD_0
	s_mov_b32 s6, 0x43800000
	v_mov_b32_e32 v8, 0x80
	v_and_b32_e32 v6, 0x7fffffff, v5
	v_cmp_gt_u32_e32 vcc, s6, v6
	s_and_saveexec_b64 s[6:7], vcc
	s_cbranch_execz .LBB31_1772
; %bb.1767:
	s_mov_b32 s10, 0x3bffffff
	v_cmp_lt_u32_e32 vcc, s10, v6
	s_mov_b64 s[10:11], 0
                                        ; implicit-def: $vgpr6
	s_and_saveexec_b64 s[12:13], vcc
	s_xor_b64 s[12:13], exec, s[12:13]
	s_cbranch_execz .LBB31_2107
; %bb.1768:
	v_bfe_u32 v6, v5, 20, 1
	s_mov_b32 s17, 0x487ffff
	v_add3_u32 v6, v5, v6, s17
	s_mov_b64 s[10:11], exec
	v_lshrrev_b32_e32 v6, 20, v6
	s_andn2_saveexec_b64 s[12:13], s[12:13]
	s_cbranch_execnz .LBB31_2108
.LBB31_1769:
	s_or_b64 exec, exec, s[12:13]
	v_mov_b32_e32 v8, 0
	s_and_saveexec_b64 s[12:13], s[10:11]
.LBB31_1770:
	v_lshrrev_b32_e32 v5, 24, v5
	s_movk_i32 s10, 0x80
	v_and_or_b32 v8, v5, s10, v6
.LBB31_1771:
	s_or_b64 exec, exec, s[12:13]
.LBB31_1772:
	s_or_b64 exec, exec, s[6:7]
	global_store_byte v[3:4], v8, off
.LBB31_1773:
	s_mov_b64 s[6:7], -1
.LBB31_1774:
	s_mov_b64 s[10:11], 0
.LBB31_1775:
	s_and_b64 vcc, exec, s[10:11]
	s_cbranch_vccz .LBB31_1815
; %bb.1776:
	s_cmp_gt_i32 s16, 22
	s_mov_b64 s[4:5], -1
	s_cbranch_scc0 .LBB31_1808
; %bb.1777:
	s_cmp_lt_i32 s16, 24
	s_cbranch_scc1 .LBB31_1797
; %bb.1778:
	s_cmp_gt_i32 s16, 24
	s_cbranch_scc0 .LBB31_1786
; %bb.1779:
	v_bfe_i32 v5, v1, 0, 8
	v_cvt_f32_i32_sdwa v5, sext(v5) dst_sel:DWORD dst_unused:UNUSED_PAD src0_sel:WORD_0
	s_mov_b32 s4, 0x47800000
	v_mov_b32_e32 v8, 0x80
	v_and_b32_e32 v6, 0x7fffffff, v5
	v_cmp_gt_u32_e32 vcc, s4, v6
	s_and_saveexec_b64 s[4:5], vcc
	s_cbranch_execz .LBB31_1785
; %bb.1780:
	s_mov_b32 s6, 0x37ffffff
	v_cmp_lt_u32_e32 vcc, s6, v6
	s_mov_b64 s[6:7], 0
                                        ; implicit-def: $vgpr6
	s_and_saveexec_b64 s[10:11], vcc
	s_xor_b64 s[10:11], exec, s[10:11]
	s_cbranch_execz .LBB31_2110
; %bb.1781:
	v_bfe_u32 v6, v5, 21, 1
	s_mov_b32 s12, 0x88fffff
	v_add3_u32 v6, v5, v6, s12
	s_mov_b64 s[6:7], exec
	v_lshrrev_b32_e32 v6, 21, v6
	s_andn2_saveexec_b64 s[10:11], s[10:11]
	s_cbranch_execnz .LBB31_2111
.LBB31_1782:
	s_or_b64 exec, exec, s[10:11]
	v_mov_b32_e32 v8, 0
	s_and_saveexec_b64 s[10:11], s[6:7]
.LBB31_1783:
	v_lshrrev_b32_e32 v5, 24, v5
	s_movk_i32 s6, 0x80
	v_and_or_b32 v8, v5, s6, v6
.LBB31_1784:
	s_or_b64 exec, exec, s[10:11]
.LBB31_1785:
	s_or_b64 exec, exec, s[4:5]
	s_mov_b64 s[4:5], 0
	global_store_byte v[3:4], v8, off
.LBB31_1786:
	s_and_b64 vcc, exec, s[4:5]
	s_cbranch_vccz .LBB31_1796
; %bb.1787:
	v_bfe_i32 v5, v1, 0, 8
	v_cvt_f32_i32_sdwa v5, sext(v5) dst_sel:DWORD dst_unused:UNUSED_PAD src0_sel:WORD_0
	s_mov_b32 s4, 0x43f00000
                                        ; implicit-def: $vgpr6
	v_and_b32_e32 v8, 0x7fffffff, v5
	v_cmp_gt_u32_e32 vcc, s4, v8
	s_and_saveexec_b64 s[4:5], vcc
	s_xor_b64 s[4:5], exec, s[4:5]
	s_cbranch_execz .LBB31_1793
; %bb.1788:
	s_mov_b32 s6, 0x3c7fffff
	v_cmp_lt_u32_e32 vcc, s6, v8
                                        ; implicit-def: $vgpr6
	s_and_saveexec_b64 s[6:7], vcc
	s_xor_b64 s[6:7], exec, s[6:7]
; %bb.1789:
	v_bfe_u32 v6, v5, 20, 1
	s_mov_b32 s10, 0x407ffff
	v_add3_u32 v6, v5, v6, s10
	v_lshrrev_b32_e32 v8, 20, v6
	v_and_b32_e32 v6, 0xff00000, v6
	s_mov_b32 s10, 0x7f00000
	v_mov_b32_e32 v10, 0x7e
	v_cmp_ne_u32_e32 vcc, s10, v6
	v_cndmask_b32_e32 v6, v10, v8, vcc
; %bb.1790:
	s_andn2_saveexec_b64 s[6:7], s[6:7]
; %bb.1791:
	s_mov_b32 s10, 0x46800000
	v_add_f32_e64 v6, |v5|, s10
; %bb.1792:
	s_or_b64 exec, exec, s[6:7]
                                        ; implicit-def: $vgpr8
.LBB31_1793:
	s_andn2_saveexec_b64 s[4:5], s[4:5]
; %bb.1794:
	s_mov_b32 s6, 0x7f800000
	v_mov_b32_e32 v6, 0x7e
	v_mov_b32_e32 v10, 0x7f
	v_cmp_lt_u32_e32 vcc, s6, v8
	v_cndmask_b32_e32 v6, v6, v10, vcc
; %bb.1795:
	s_or_b64 exec, exec, s[4:5]
	v_lshrrev_b32_e32 v5, 24, v5
	s_movk_i32 s4, 0x80
	v_and_or_b32 v5, v5, s4, v6
	global_store_byte v[3:4], v5, off
.LBB31_1796:
	s_mov_b64 s[4:5], 0
.LBB31_1797:
	s_andn2_b64 vcc, exec, s[4:5]
	s_cbranch_vccnz .LBB31_1807
; %bb.1798:
	v_bfe_i32 v5, v1, 0, 8
	v_cvt_f32_i32_sdwa v5, sext(v5) dst_sel:DWORD dst_unused:UNUSED_PAD src0_sel:WORD_0
	s_mov_b32 s4, 0x47800000
                                        ; implicit-def: $vgpr6
	v_and_b32_e32 v8, 0x7fffffff, v5
	v_cmp_gt_u32_e32 vcc, s4, v8
	s_and_saveexec_b64 s[4:5], vcc
	s_xor_b64 s[4:5], exec, s[4:5]
	s_cbranch_execz .LBB31_1804
; %bb.1799:
	s_mov_b32 s6, 0x387fffff
	v_cmp_lt_u32_e32 vcc, s6, v8
                                        ; implicit-def: $vgpr6
	s_and_saveexec_b64 s[6:7], vcc
	s_xor_b64 s[6:7], exec, s[6:7]
; %bb.1800:
	v_bfe_u32 v6, v5, 21, 1
	s_mov_b32 s10, 0x80fffff
	v_add3_u32 v6, v5, v6, s10
	v_lshrrev_b32_e32 v6, 21, v6
; %bb.1801:
	s_andn2_saveexec_b64 s[6:7], s[6:7]
; %bb.1802:
	s_mov_b32 s10, 0x43000000
	v_add_f32_e64 v6, |v5|, s10
; %bb.1803:
	s_or_b64 exec, exec, s[6:7]
                                        ; implicit-def: $vgpr8
.LBB31_1804:
	s_andn2_saveexec_b64 s[4:5], s[4:5]
; %bb.1805:
	s_mov_b32 s6, 0x7f800000
	v_mov_b32_e32 v6, 0x7c
	v_mov_b32_e32 v10, 0x7f
	v_cmp_lt_u32_e32 vcc, s6, v8
	v_cndmask_b32_e32 v6, v6, v10, vcc
; %bb.1806:
	s_or_b64 exec, exec, s[4:5]
	v_lshrrev_b32_e32 v5, 24, v5
	s_movk_i32 s4, 0x80
	v_and_or_b32 v5, v5, s4, v6
	global_store_byte v[3:4], v5, off
.LBB31_1807:
	s_mov_b64 s[4:5], 0
	s_mov_b64 s[6:7], -1
.LBB31_1808:
	s_andn2_b64 vcc, exec, s[4:5]
	s_mov_b64 s[4:5], 0
	s_cbranch_vccnz .LBB31_1815
; %bb.1809:
	s_cmp_gt_i32 s16, 14
	s_mov_b64 s[10:11], -1
	s_cbranch_scc0 .LBB31_1813
; %bb.1810:
	s_cmp_eq_u32 s16, 15
	s_mov_b64 s[0:1], -1
	s_cbranch_scc0 .LBB31_1812
; %bb.1811:
	v_bfe_i32 v5, v1, 0, 8
	v_cvt_f32_i32_sdwa v5, sext(v5) dst_sel:DWORD dst_unused:UNUSED_PAD src0_sel:WORD_0
	s_movk_i32 s4, 0x7fff
	s_mov_b64 s[0:1], 0
	s_mov_b64 s[6:7], -1
	v_bfe_u32 v6, v5, 16, 1
	v_add3_u32 v5, v5, v6, s4
	global_store_short_d16_hi v[3:4], v5, off
.LBB31_1812:
	s_mov_b64 s[10:11], 0
.LBB31_1813:
	s_mov_b64 s[4:5], 0
	s_and_b64 vcc, exec, s[10:11]
	s_cbranch_vccz .LBB31_1815
; %bb.1814:
	s_cmp_lg_u32 s16, 11
	s_mov_b64 s[4:5], -1
	s_cselect_b64 s[0:1], -1, 0
.LBB31_1815:
	s_and_b64 vcc, exec, s[0:1]
	s_cbranch_vccnz .LBB31_2109
; %bb.1816:
	s_andn2_b64 vcc, exec, s[4:5]
	s_cbranch_vccnz .LBB31_1818
.LBB31_1817:
	v_mov_b32_e32 v5, 0
	v_cmp_ne_u16_sdwa s[0:1], v1, v5 src0_sel:BYTE_0 src1_sel:DWORD
	v_cndmask_b32_e64 v5, 0, 1, s[0:1]
	s_mov_b64 s[6:7], -1
	global_store_byte v[3:4], v5, off
.LBB31_1818:
	s_mov_b64 s[0:1], 0
	s_branch .LBB31_1820
.LBB31_1819:
	s_mov_b64 s[0:1], -1
	s_mov_b64 s[6:7], 0
.LBB31_1820:
	s_and_b64 vcc, exec, s[0:1]
	s_cbranch_vccz .LBB31_1859
; %bb.1821:
	s_and_b32 s4, 0xffff, s14
	s_cmp_lt_i32 s4, 5
	s_mov_b64 s[0:1], -1
	s_cbranch_scc1 .LBB31_1842
; %bb.1822:
	s_cmp_lt_i32 s4, 8
	s_cbranch_scc1 .LBB31_1832
; %bb.1823:
	s_cmp_lt_i32 s4, 9
	s_cbranch_scc1 .LBB31_1829
; %bb.1824:
	s_cmp_gt_i32 s4, 9
	s_cbranch_scc0 .LBB31_1826
; %bb.1825:
	v_bfe_i32 v5, v1, 0, 8
	v_bfe_i32 v5, v5, 0, 16
	v_cvt_f64_i32_e32 v[10:11], v5
	v_mov_b32_e32 v12, 0
	v_mov_b32_e32 v13, v12
	s_mov_b64 s[0:1], 0
	global_store_dwordx4 v[3:4], v[10:13], off
.LBB31_1826:
	s_andn2_b64 vcc, exec, s[0:1]
	s_cbranch_vccnz .LBB31_1828
; %bb.1827:
	v_bfe_i32 v5, v1, 0, 8
	v_cvt_f32_i32_sdwa v5, sext(v5) dst_sel:DWORD dst_unused:UNUSED_PAD src0_sel:WORD_0
	v_mov_b32_e32 v6, 0
	global_store_dwordx2 v[3:4], v[5:6], off
.LBB31_1828:
	s_mov_b64 s[0:1], 0
.LBB31_1829:
	s_andn2_b64 vcc, exec, s[0:1]
	s_cbranch_vccnz .LBB31_1831
; %bb.1830:
	v_cvt_f16_i16_sdwa v5, sext(v1) dst_sel:DWORD dst_unused:UNUSED_PAD src0_sel:BYTE_0
	global_store_dword v[3:4], v5, off
.LBB31_1831:
	s_mov_b64 s[0:1], 0
.LBB31_1832:
	s_andn2_b64 vcc, exec, s[0:1]
	s_cbranch_vccnz .LBB31_1841
; %bb.1833:
	s_cmp_lt_i32 s4, 6
	s_mov_b64 s[0:1], -1
	s_cbranch_scc1 .LBB31_1839
; %bb.1834:
	s_cmp_gt_i32 s4, 6
	s_cbranch_scc0 .LBB31_1836
; %bb.1835:
	v_bfe_i32 v5, v1, 0, 8
	v_bfe_i32 v5, v5, 0, 16
	v_cvt_f64_i32_e32 v[5:6], v5
	s_mov_b64 s[0:1], 0
	global_store_dwordx2 v[3:4], v[5:6], off
.LBB31_1836:
	s_andn2_b64 vcc, exec, s[0:1]
	s_cbranch_vccnz .LBB31_1838
; %bb.1837:
	v_bfe_i32 v5, v1, 0, 8
	v_cvt_f32_i32_sdwa v5, sext(v5) dst_sel:DWORD dst_unused:UNUSED_PAD src0_sel:WORD_0
	global_store_dword v[3:4], v5, off
.LBB31_1838:
	s_mov_b64 s[0:1], 0
.LBB31_1839:
	s_andn2_b64 vcc, exec, s[0:1]
	s_cbranch_vccnz .LBB31_1841
; %bb.1840:
	v_cvt_f16_i16_sdwa v5, sext(v1) dst_sel:DWORD dst_unused:UNUSED_PAD src0_sel:BYTE_0
	global_store_short v[3:4], v5, off
.LBB31_1841:
	s_mov_b64 s[0:1], 0
.LBB31_1842:
	s_andn2_b64 vcc, exec, s[0:1]
	s_cbranch_vccnz .LBB31_1858
; %bb.1843:
	s_cmp_lt_i32 s4, 2
	s_mov_b64 s[0:1], -1
	s_cbranch_scc1 .LBB31_1853
; %bb.1844:
	s_cmp_lt_i32 s4, 3
	s_cbranch_scc1 .LBB31_1850
; %bb.1845:
	s_cmp_gt_i32 s4, 3
	s_cbranch_scc0 .LBB31_1847
; %bb.1846:
	v_bfe_i32 v5, v1, 0, 8
	v_ashrrev_i32_e32 v6, 31, v5
	global_store_dwordx2 v[3:4], v[5:6], off
	s_mov_b64 s[0:1], 0
.LBB31_1847:
	s_andn2_b64 vcc, exec, s[0:1]
	s_cbranch_vccnz .LBB31_1849
; %bb.1848:
	v_bfe_i32 v5, v1, 0, 8
	global_store_dword v[3:4], v5, off
.LBB31_1849:
	s_mov_b64 s[0:1], 0
.LBB31_1850:
	s_andn2_b64 vcc, exec, s[0:1]
	s_cbranch_vccnz .LBB31_1852
; %bb.1851:
	v_bfe_i32 v5, v1, 0, 8
	global_store_short v[3:4], v5, off
.LBB31_1852:
	s_mov_b64 s[0:1], 0
.LBB31_1853:
	s_andn2_b64 vcc, exec, s[0:1]
	s_cbranch_vccnz .LBB31_1858
; %bb.1854:
	s_cmp_gt_i32 s4, 0
	s_mov_b64 s[0:1], -1
	s_cbranch_scc0 .LBB31_1856
; %bb.1855:
	global_store_byte v[3:4], v1, off
	s_mov_b64 s[0:1], 0
.LBB31_1856:
	s_andn2_b64 vcc, exec, s[0:1]
	s_cbranch_vccnz .LBB31_1858
; %bb.1857:
	global_store_byte v[3:4], v1, off
.LBB31_1858:
	s_mov_b64 s[6:7], -1
.LBB31_1859:
	s_andn2_b64 vcc, exec, s[6:7]
	s_cbranch_vccnz .LBB31_2055
; %bb.1860:
	v_mov_b32_e32 v3, 8
	v_lshlrev_b32_e64 v1, v9, s15
	v_cmp_lt_u16_sdwa vcc, v9, v3 src0_sel:BYTE_0 src1_sel:DWORD
	v_cndmask_b32_e32 v3, 0, v1, vcc
	v_mov_b32_e32 v4, s9
	v_add_co_u32_e32 v1, vcc, s8, v2
	s_cmp_lt_i32 s14, 11
	v_addc_co_u32_e32 v2, vcc, 0, v4, vcc
	s_cbranch_scc1 .LBB31_1938
; %bb.1861:
	s_and_b32 s16, 0xffff, s14
	s_mov_b64 s[10:11], -1
	s_mov_b64 s[4:5], 0
	s_cmp_gt_i32 s16, 25
	s_mov_b64 s[6:7], 0
	s_mov_b64 s[0:1], 0
	s_cbranch_scc0 .LBB31_1894
; %bb.1862:
	s_cmp_gt_i32 s16, 28
	s_cbranch_scc0 .LBB31_1877
; %bb.1863:
	s_cmp_gt_i32 s16, 43
	;; [unrolled: 3-line block ×3, first 2 shown]
	s_cbranch_scc0 .LBB31_1867
; %bb.1865:
	s_mov_b64 s[0:1], -1
	s_mov_b64 s[10:11], 0
	s_cmp_eq_u32 s16, 46
	s_cbranch_scc0 .LBB31_1867
; %bb.1866:
	v_bfe_i32 v4, v3, 0, 8
	v_cvt_f32_i32_sdwa v4, sext(v4) dst_sel:DWORD dst_unused:UNUSED_PAD src0_sel:WORD_0
	s_movk_i32 s6, 0x7fff
	s_mov_b64 s[0:1], 0
	v_bfe_u32 v5, v4, 16, 1
	v_add3_u32 v4, v4, v5, s6
	v_lshrrev_b32_e32 v4, 16, v4
	global_store_dword v[1:2], v4, off
	s_mov_b64 s[6:7], -1
.LBB31_1867:
	s_and_b64 vcc, exec, s[10:11]
	s_cbranch_vccz .LBB31_1872
; %bb.1868:
	s_cmp_eq_u32 s16, 44
	s_mov_b64 s[0:1], -1
	s_cbranch_scc0 .LBB31_1872
; %bb.1869:
	v_bfe_i32 v4, v3, 0, 8
	v_cvt_f32_i32_sdwa v4, sext(v4) dst_sel:DWORD dst_unused:UNUSED_PAD src0_sel:WORD_0
	s_movk_i32 s0, 0xff
	v_mov_b32_e32 v6, 0xff
	v_bfe_u32 v5, v4, 23, 8
	v_cmp_ne_u32_e32 vcc, s0, v5
	s_and_saveexec_b64 s[6:7], vcc
; %bb.1870:
	s_mov_b32 s0, 0x3fffff
	v_lshrrev_b32_e32 v6, 23, v4
	v_and_b32_e32 v8, 0x400000, v4
	v_and_or_b32 v4, v4, s0, v5
	v_cmp_ne_u32_e32 vcc, 0, v8
	v_cmp_ne_u32_e64 s[0:1], 0, v4
	s_and_b64 s[0:1], vcc, s[0:1]
	v_cndmask_b32_e64 v4, 0, 1, s[0:1]
	v_add_u32_e32 v6, v6, v4
; %bb.1871:
	s_or_b64 exec, exec, s[6:7]
	s_mov_b64 s[0:1], 0
	s_mov_b64 s[6:7], -1
	global_store_byte v[1:2], v6, off
.LBB31_1872:
	s_mov_b64 s[10:11], 0
.LBB31_1873:
	s_and_b64 vcc, exec, s[10:11]
	s_cbranch_vccz .LBB31_1876
; %bb.1874:
	s_cmp_eq_u32 s16, 29
	s_mov_b64 s[0:1], -1
	s_cbranch_scc0 .LBB31_1876
; %bb.1875:
	v_bfe_i32 v4, v3, 0, 8
	v_ashrrev_i32_e32 v5, 31, v4
	global_store_dwordx2 v[1:2], v[4:5], off
	s_mov_b64 s[0:1], 0
	s_mov_b64 s[6:7], -1
.LBB31_1876:
	s_mov_b64 s[10:11], 0
.LBB31_1877:
	s_and_b64 vcc, exec, s[10:11]
	s_cbranch_vccz .LBB31_1893
; %bb.1878:
	s_cmp_lt_i32 s16, 27
	s_mov_b64 s[6:7], -1
	s_cbranch_scc1 .LBB31_1884
; %bb.1879:
	s_cmp_gt_i32 s16, 27
	s_cbranch_scc0 .LBB31_1881
; %bb.1880:
	v_bfe_i32 v4, v3, 0, 8
	s_mov_b64 s[6:7], 0
	global_store_dword v[1:2], v4, off
.LBB31_1881:
	s_andn2_b64 vcc, exec, s[6:7]
	s_cbranch_vccnz .LBB31_1883
; %bb.1882:
	v_bfe_i32 v4, v3, 0, 8
	global_store_short v[1:2], v4, off
.LBB31_1883:
	s_mov_b64 s[6:7], 0
.LBB31_1884:
	s_andn2_b64 vcc, exec, s[6:7]
	s_cbranch_vccnz .LBB31_1892
; %bb.1885:
	v_bfe_i32 v4, v3, 0, 8
	v_cvt_f32_i32_sdwa v4, sext(v4) dst_sel:DWORD dst_unused:UNUSED_PAD src0_sel:WORD_0
	s_mov_b32 s6, 0x43800000
	v_mov_b32_e32 v6, 0x80
	v_and_b32_e32 v5, 0x7fffffff, v4
	v_cmp_gt_u32_e32 vcc, s6, v5
	s_and_saveexec_b64 s[6:7], vcc
	s_cbranch_execz .LBB31_1891
; %bb.1886:
	s_mov_b32 s10, 0x3bffffff
	v_cmp_lt_u32_e32 vcc, s10, v5
	s_mov_b64 s[10:11], 0
                                        ; implicit-def: $vgpr5
	s_and_saveexec_b64 s[12:13], vcc
	s_xor_b64 s[12:13], exec, s[12:13]
	s_cbranch_execz .LBB31_2112
; %bb.1887:
	v_bfe_u32 v5, v4, 20, 1
	s_mov_b32 s17, 0x487ffff
	v_add3_u32 v5, v4, v5, s17
	s_mov_b64 s[10:11], exec
	v_lshrrev_b32_e32 v5, 20, v5
	s_andn2_saveexec_b64 s[12:13], s[12:13]
	s_cbranch_execnz .LBB31_2113
.LBB31_1888:
	s_or_b64 exec, exec, s[12:13]
	v_mov_b32_e32 v6, 0
	s_and_saveexec_b64 s[12:13], s[10:11]
.LBB31_1889:
	v_lshrrev_b32_e32 v4, 24, v4
	s_movk_i32 s10, 0x80
	v_and_or_b32 v6, v4, s10, v5
.LBB31_1890:
	s_or_b64 exec, exec, s[12:13]
.LBB31_1891:
	s_or_b64 exec, exec, s[6:7]
	global_store_byte v[1:2], v6, off
.LBB31_1892:
	s_mov_b64 s[6:7], -1
.LBB31_1893:
	s_mov_b64 s[10:11], 0
.LBB31_1894:
	s_and_b64 vcc, exec, s[10:11]
	s_cbranch_vccz .LBB31_1934
; %bb.1895:
	s_cmp_gt_i32 s16, 22
	s_mov_b64 s[4:5], -1
	s_cbranch_scc0 .LBB31_1927
; %bb.1896:
	s_cmp_lt_i32 s16, 24
	s_cbranch_scc1 .LBB31_1916
; %bb.1897:
	s_cmp_gt_i32 s16, 24
	s_cbranch_scc0 .LBB31_1905
; %bb.1898:
	v_bfe_i32 v4, v3, 0, 8
	v_cvt_f32_i32_sdwa v4, sext(v4) dst_sel:DWORD dst_unused:UNUSED_PAD src0_sel:WORD_0
	s_mov_b32 s4, 0x47800000
	v_mov_b32_e32 v6, 0x80
	v_and_b32_e32 v5, 0x7fffffff, v4
	v_cmp_gt_u32_e32 vcc, s4, v5
	s_and_saveexec_b64 s[4:5], vcc
	s_cbranch_execz .LBB31_1904
; %bb.1899:
	s_mov_b32 s6, 0x37ffffff
	v_cmp_lt_u32_e32 vcc, s6, v5
	s_mov_b64 s[6:7], 0
                                        ; implicit-def: $vgpr5
	s_and_saveexec_b64 s[10:11], vcc
	s_xor_b64 s[10:11], exec, s[10:11]
	s_cbranch_execz .LBB31_2115
; %bb.1900:
	v_bfe_u32 v5, v4, 21, 1
	s_mov_b32 s12, 0x88fffff
	v_add3_u32 v5, v4, v5, s12
	s_mov_b64 s[6:7], exec
	v_lshrrev_b32_e32 v5, 21, v5
	s_andn2_saveexec_b64 s[10:11], s[10:11]
	s_cbranch_execnz .LBB31_2116
.LBB31_1901:
	s_or_b64 exec, exec, s[10:11]
	v_mov_b32_e32 v6, 0
	s_and_saveexec_b64 s[10:11], s[6:7]
.LBB31_1902:
	v_lshrrev_b32_e32 v4, 24, v4
	s_movk_i32 s6, 0x80
	v_and_or_b32 v6, v4, s6, v5
.LBB31_1903:
	s_or_b64 exec, exec, s[10:11]
.LBB31_1904:
	s_or_b64 exec, exec, s[4:5]
	s_mov_b64 s[4:5], 0
	global_store_byte v[1:2], v6, off
.LBB31_1905:
	s_and_b64 vcc, exec, s[4:5]
	s_cbranch_vccz .LBB31_1915
; %bb.1906:
	v_bfe_i32 v4, v3, 0, 8
	v_cvt_f32_i32_sdwa v4, sext(v4) dst_sel:DWORD dst_unused:UNUSED_PAD src0_sel:WORD_0
	s_mov_b32 s4, 0x43f00000
                                        ; implicit-def: $vgpr5
	v_and_b32_e32 v6, 0x7fffffff, v4
	v_cmp_gt_u32_e32 vcc, s4, v6
	s_and_saveexec_b64 s[4:5], vcc
	s_xor_b64 s[4:5], exec, s[4:5]
	s_cbranch_execz .LBB31_1912
; %bb.1907:
	s_mov_b32 s6, 0x3c7fffff
	v_cmp_lt_u32_e32 vcc, s6, v6
                                        ; implicit-def: $vgpr5
	s_and_saveexec_b64 s[6:7], vcc
	s_xor_b64 s[6:7], exec, s[6:7]
; %bb.1908:
	v_bfe_u32 v5, v4, 20, 1
	s_mov_b32 s10, 0x407ffff
	v_add3_u32 v5, v4, v5, s10
	v_lshrrev_b32_e32 v6, 20, v5
	v_and_b32_e32 v5, 0xff00000, v5
	s_mov_b32 s10, 0x7f00000
	v_mov_b32_e32 v8, 0x7e
	v_cmp_ne_u32_e32 vcc, s10, v5
	v_cndmask_b32_e32 v5, v8, v6, vcc
; %bb.1909:
	s_andn2_saveexec_b64 s[6:7], s[6:7]
; %bb.1910:
	s_mov_b32 s10, 0x46800000
	v_add_f32_e64 v5, |v4|, s10
; %bb.1911:
	s_or_b64 exec, exec, s[6:7]
                                        ; implicit-def: $vgpr6
.LBB31_1912:
	s_andn2_saveexec_b64 s[4:5], s[4:5]
; %bb.1913:
	s_mov_b32 s6, 0x7f800000
	v_mov_b32_e32 v5, 0x7e
	v_mov_b32_e32 v8, 0x7f
	v_cmp_lt_u32_e32 vcc, s6, v6
	v_cndmask_b32_e32 v5, v5, v8, vcc
; %bb.1914:
	s_or_b64 exec, exec, s[4:5]
	v_lshrrev_b32_e32 v4, 24, v4
	s_movk_i32 s4, 0x80
	v_and_or_b32 v4, v4, s4, v5
	global_store_byte v[1:2], v4, off
.LBB31_1915:
	s_mov_b64 s[4:5], 0
.LBB31_1916:
	s_andn2_b64 vcc, exec, s[4:5]
	s_cbranch_vccnz .LBB31_1926
; %bb.1917:
	v_bfe_i32 v4, v3, 0, 8
	v_cvt_f32_i32_sdwa v4, sext(v4) dst_sel:DWORD dst_unused:UNUSED_PAD src0_sel:WORD_0
	s_mov_b32 s4, 0x47800000
                                        ; implicit-def: $vgpr5
	v_and_b32_e32 v6, 0x7fffffff, v4
	v_cmp_gt_u32_e32 vcc, s4, v6
	s_and_saveexec_b64 s[4:5], vcc
	s_xor_b64 s[4:5], exec, s[4:5]
	s_cbranch_execz .LBB31_1923
; %bb.1918:
	s_mov_b32 s6, 0x387fffff
	v_cmp_lt_u32_e32 vcc, s6, v6
                                        ; implicit-def: $vgpr5
	s_and_saveexec_b64 s[6:7], vcc
	s_xor_b64 s[6:7], exec, s[6:7]
; %bb.1919:
	v_bfe_u32 v5, v4, 21, 1
	s_mov_b32 s10, 0x80fffff
	v_add3_u32 v5, v4, v5, s10
	v_lshrrev_b32_e32 v5, 21, v5
; %bb.1920:
	s_andn2_saveexec_b64 s[6:7], s[6:7]
; %bb.1921:
	s_mov_b32 s10, 0x43000000
	v_add_f32_e64 v5, |v4|, s10
; %bb.1922:
	s_or_b64 exec, exec, s[6:7]
                                        ; implicit-def: $vgpr6
.LBB31_1923:
	s_andn2_saveexec_b64 s[4:5], s[4:5]
; %bb.1924:
	s_mov_b32 s6, 0x7f800000
	v_mov_b32_e32 v5, 0x7c
	v_mov_b32_e32 v8, 0x7f
	v_cmp_lt_u32_e32 vcc, s6, v6
	v_cndmask_b32_e32 v5, v5, v8, vcc
; %bb.1925:
	s_or_b64 exec, exec, s[4:5]
	v_lshrrev_b32_e32 v4, 24, v4
	s_movk_i32 s4, 0x80
	v_and_or_b32 v4, v4, s4, v5
	global_store_byte v[1:2], v4, off
.LBB31_1926:
	s_mov_b64 s[4:5], 0
	s_mov_b64 s[6:7], -1
.LBB31_1927:
	s_andn2_b64 vcc, exec, s[4:5]
	s_mov_b64 s[4:5], 0
	s_cbranch_vccnz .LBB31_1934
; %bb.1928:
	s_cmp_gt_i32 s16, 14
	s_mov_b64 s[10:11], -1
	s_cbranch_scc0 .LBB31_1932
; %bb.1929:
	s_cmp_eq_u32 s16, 15
	s_mov_b64 s[0:1], -1
	s_cbranch_scc0 .LBB31_1931
; %bb.1930:
	v_bfe_i32 v4, v3, 0, 8
	v_cvt_f32_i32_sdwa v4, sext(v4) dst_sel:DWORD dst_unused:UNUSED_PAD src0_sel:WORD_0
	s_movk_i32 s4, 0x7fff
	s_mov_b64 s[0:1], 0
	s_mov_b64 s[6:7], -1
	v_bfe_u32 v5, v4, 16, 1
	v_add3_u32 v4, v4, v5, s4
	global_store_short_d16_hi v[1:2], v4, off
.LBB31_1931:
	s_mov_b64 s[10:11], 0
.LBB31_1932:
	s_mov_b64 s[4:5], 0
	s_and_b64 vcc, exec, s[10:11]
	s_cbranch_vccz .LBB31_1934
; %bb.1933:
	s_cmp_lg_u32 s16, 11
	s_mov_b64 s[4:5], -1
	s_cselect_b64 s[0:1], -1, 0
.LBB31_1934:
	s_and_b64 vcc, exec, s[0:1]
	s_cbranch_vccnz .LBB31_2114
; %bb.1935:
	s_andn2_b64 vcc, exec, s[4:5]
	s_cbranch_vccnz .LBB31_1937
.LBB31_1936:
	v_mov_b32_e32 v4, 0
	v_cmp_ne_u16_sdwa s[0:1], v3, v4 src0_sel:BYTE_0 src1_sel:DWORD
	v_cndmask_b32_e64 v4, 0, 1, s[0:1]
	s_mov_b64 s[6:7], -1
	global_store_byte v[1:2], v4, off
.LBB31_1937:
	s_mov_b64 s[0:1], 0
	s_branch .LBB31_1939
.LBB31_1938:
	s_mov_b64 s[0:1], -1
	s_mov_b64 s[6:7], 0
.LBB31_1939:
	s_and_b64 vcc, exec, s[0:1]
	s_cbranch_vccz .LBB31_1978
; %bb.1940:
	s_and_b32 s4, 0xffff, s14
	s_cmp_lt_i32 s4, 5
	s_mov_b64 s[0:1], -1
	s_cbranch_scc1 .LBB31_1961
; %bb.1941:
	s_cmp_lt_i32 s4, 8
	s_cbranch_scc1 .LBB31_1951
; %bb.1942:
	s_cmp_lt_i32 s4, 9
	s_cbranch_scc1 .LBB31_1948
; %bb.1943:
	s_cmp_gt_i32 s4, 9
	s_cbranch_scc0 .LBB31_1945
; %bb.1944:
	v_bfe_i32 v4, v3, 0, 8
	v_bfe_i32 v4, v4, 0, 16
	v_cvt_f64_i32_e32 v[8:9], v4
	v_mov_b32_e32 v10, 0
	v_mov_b32_e32 v11, v10
	s_mov_b64 s[0:1], 0
	global_store_dwordx4 v[1:2], v[8:11], off
.LBB31_1945:
	s_andn2_b64 vcc, exec, s[0:1]
	s_cbranch_vccnz .LBB31_1947
; %bb.1946:
	v_bfe_i32 v4, v3, 0, 8
	v_cvt_f32_i32_sdwa v4, sext(v4) dst_sel:DWORD dst_unused:UNUSED_PAD src0_sel:WORD_0
	v_mov_b32_e32 v5, 0
	global_store_dwordx2 v[1:2], v[4:5], off
.LBB31_1947:
	s_mov_b64 s[0:1], 0
.LBB31_1948:
	s_andn2_b64 vcc, exec, s[0:1]
	s_cbranch_vccnz .LBB31_1950
; %bb.1949:
	v_cvt_f16_i16_sdwa v4, sext(v3) dst_sel:DWORD dst_unused:UNUSED_PAD src0_sel:BYTE_0
	global_store_dword v[1:2], v4, off
.LBB31_1950:
	s_mov_b64 s[0:1], 0
.LBB31_1951:
	s_andn2_b64 vcc, exec, s[0:1]
	s_cbranch_vccnz .LBB31_1960
; %bb.1952:
	s_cmp_lt_i32 s4, 6
	s_mov_b64 s[0:1], -1
	s_cbranch_scc1 .LBB31_1958
; %bb.1953:
	s_cmp_gt_i32 s4, 6
	s_cbranch_scc0 .LBB31_1955
; %bb.1954:
	v_bfe_i32 v4, v3, 0, 8
	v_bfe_i32 v4, v4, 0, 16
	v_cvt_f64_i32_e32 v[4:5], v4
	s_mov_b64 s[0:1], 0
	global_store_dwordx2 v[1:2], v[4:5], off
.LBB31_1955:
	s_andn2_b64 vcc, exec, s[0:1]
	s_cbranch_vccnz .LBB31_1957
; %bb.1956:
	v_bfe_i32 v4, v3, 0, 8
	v_cvt_f32_i32_sdwa v4, sext(v4) dst_sel:DWORD dst_unused:UNUSED_PAD src0_sel:WORD_0
	global_store_dword v[1:2], v4, off
.LBB31_1957:
	s_mov_b64 s[0:1], 0
.LBB31_1958:
	s_andn2_b64 vcc, exec, s[0:1]
	s_cbranch_vccnz .LBB31_1960
; %bb.1959:
	v_cvt_f16_i16_sdwa v4, sext(v3) dst_sel:DWORD dst_unused:UNUSED_PAD src0_sel:BYTE_0
	global_store_short v[1:2], v4, off
.LBB31_1960:
	s_mov_b64 s[0:1], 0
.LBB31_1961:
	s_andn2_b64 vcc, exec, s[0:1]
	s_cbranch_vccnz .LBB31_1977
; %bb.1962:
	s_cmp_lt_i32 s4, 2
	s_mov_b64 s[0:1], -1
	s_cbranch_scc1 .LBB31_1972
; %bb.1963:
	s_cmp_lt_i32 s4, 3
	s_cbranch_scc1 .LBB31_1969
; %bb.1964:
	s_cmp_gt_i32 s4, 3
	s_cbranch_scc0 .LBB31_1966
; %bb.1965:
	v_bfe_i32 v4, v3, 0, 8
	v_ashrrev_i32_e32 v5, 31, v4
	global_store_dwordx2 v[1:2], v[4:5], off
	s_mov_b64 s[0:1], 0
.LBB31_1966:
	s_andn2_b64 vcc, exec, s[0:1]
	s_cbranch_vccnz .LBB31_1968
; %bb.1967:
	v_bfe_i32 v4, v3, 0, 8
	global_store_dword v[1:2], v4, off
.LBB31_1968:
	s_mov_b64 s[0:1], 0
.LBB31_1969:
	s_andn2_b64 vcc, exec, s[0:1]
	s_cbranch_vccnz .LBB31_1971
; %bb.1970:
	v_bfe_i32 v4, v3, 0, 8
	global_store_short v[1:2], v4, off
.LBB31_1971:
	s_mov_b64 s[0:1], 0
.LBB31_1972:
	s_andn2_b64 vcc, exec, s[0:1]
	s_cbranch_vccnz .LBB31_1977
; %bb.1973:
	s_cmp_gt_i32 s4, 0
	s_mov_b64 s[0:1], -1
	s_cbranch_scc0 .LBB31_1975
; %bb.1974:
	global_store_byte v[1:2], v3, off
	s_mov_b64 s[0:1], 0
.LBB31_1975:
	s_andn2_b64 vcc, exec, s[0:1]
	s_cbranch_vccnz .LBB31_1977
; %bb.1976:
	global_store_byte v[1:2], v3, off
.LBB31_1977:
	s_mov_b64 s[6:7], -1
.LBB31_1978:
	s_andn2_b64 vcc, exec, s[6:7]
	s_cbranch_vccnz .LBB31_2055
; %bb.1979:
	v_mov_b32_e32 v2, 8
	v_lshlrev_b32_e64 v1, v7, s15
	v_cmp_lt_u16_sdwa vcc, v7, v2 src0_sel:BYTE_0 src1_sel:DWORD
	v_cndmask_b32_e32 v2, 0, v1, vcc
	v_mov_b32_e32 v1, s9
	v_add_co_u32_e32 v0, vcc, s8, v0
	s_cmp_lt_i32 s14, 11
	v_addc_co_u32_e32 v1, vcc, 0, v1, vcc
	s_cbranch_scc1 .LBB31_2100
; %bb.1980:
	s_and_b32 s12, 0xffff, s14
	s_mov_b64 s[6:7], -1
	s_mov_b64 s[4:5], 0
	s_cmp_gt_i32 s12, 25
	s_mov_b64 s[0:1], 0
	s_cbranch_scc0 .LBB31_2013
; %bb.1981:
	s_cmp_gt_i32 s12, 28
	s_cbranch_scc0 .LBB31_1997
; %bb.1982:
	s_cmp_gt_i32 s12, 43
	;; [unrolled: 3-line block ×3, first 2 shown]
	s_cbranch_scc0 .LBB31_1987
; %bb.1984:
	s_cmp_eq_u32 s12, 46
	s_mov_b64 s[0:1], -1
	s_cbranch_scc0 .LBB31_1986
; %bb.1985:
	v_bfe_i32 v3, v2, 0, 8
	v_cvt_f32_i32_sdwa v3, sext(v3) dst_sel:DWORD dst_unused:UNUSED_PAD src0_sel:WORD_0
	s_movk_i32 s0, 0x7fff
	v_bfe_u32 v4, v3, 16, 1
	v_add3_u32 v3, v3, v4, s0
	v_lshrrev_b32_e32 v3, 16, v3
	global_store_dword v[0:1], v3, off
	s_mov_b64 s[0:1], 0
.LBB31_1986:
	s_mov_b64 s[6:7], 0
.LBB31_1987:
	s_and_b64 vcc, exec, s[6:7]
	s_cbranch_vccz .LBB31_1992
; %bb.1988:
	s_cmp_eq_u32 s12, 44
	s_mov_b64 s[0:1], -1
	s_cbranch_scc0 .LBB31_1992
; %bb.1989:
	v_bfe_i32 v3, v2, 0, 8
	v_cvt_f32_i32_sdwa v3, sext(v3) dst_sel:DWORD dst_unused:UNUSED_PAD src0_sel:WORD_0
	s_movk_i32 s0, 0xff
	v_mov_b32_e32 v5, 0xff
	v_bfe_u32 v4, v3, 23, 8
	v_cmp_ne_u32_e32 vcc, s0, v4
	s_and_saveexec_b64 s[6:7], vcc
; %bb.1990:
	s_mov_b32 s0, 0x3fffff
	v_lshrrev_b32_e32 v5, 23, v3
	v_and_b32_e32 v6, 0x400000, v3
	v_and_or_b32 v3, v3, s0, v4
	v_cmp_ne_u32_e32 vcc, 0, v6
	v_cmp_ne_u32_e64 s[0:1], 0, v3
	s_and_b64 s[0:1], vcc, s[0:1]
	v_cndmask_b32_e64 v3, 0, 1, s[0:1]
	v_add_u32_e32 v5, v5, v3
; %bb.1991:
	s_or_b64 exec, exec, s[6:7]
	s_mov_b64 s[0:1], 0
	global_store_byte v[0:1], v5, off
.LBB31_1992:
	s_mov_b64 s[6:7], 0
.LBB31_1993:
	s_and_b64 vcc, exec, s[6:7]
	s_cbranch_vccz .LBB31_1996
; %bb.1994:
	s_cmp_eq_u32 s12, 29
	s_mov_b64 s[0:1], -1
	s_cbranch_scc0 .LBB31_1996
; %bb.1995:
	v_bfe_i32 v3, v2, 0, 8
	v_ashrrev_i32_e32 v4, 31, v3
	global_store_dwordx2 v[0:1], v[3:4], off
	s_mov_b64 s[0:1], 0
.LBB31_1996:
	s_mov_b64 s[6:7], 0
.LBB31_1997:
	s_and_b64 vcc, exec, s[6:7]
	s_cbranch_vccz .LBB31_2012
; %bb.1998:
	s_cmp_lt_i32 s12, 27
	s_mov_b64 s[6:7], -1
	s_cbranch_scc1 .LBB31_2004
; %bb.1999:
	s_cmp_gt_i32 s12, 27
	s_cbranch_scc0 .LBB31_2001
; %bb.2000:
	v_bfe_i32 v3, v2, 0, 8
	global_store_dword v[0:1], v3, off
	s_mov_b64 s[6:7], 0
.LBB31_2001:
	s_andn2_b64 vcc, exec, s[6:7]
	s_cbranch_vccnz .LBB31_2003
; %bb.2002:
	v_bfe_i32 v3, v2, 0, 8
	global_store_short v[0:1], v3, off
.LBB31_2003:
	s_mov_b64 s[6:7], 0
.LBB31_2004:
	s_andn2_b64 vcc, exec, s[6:7]
	s_cbranch_vccnz .LBB31_2012
; %bb.2005:
	v_bfe_i32 v3, v2, 0, 8
	v_cvt_f32_i32_sdwa v3, sext(v3) dst_sel:DWORD dst_unused:UNUSED_PAD src0_sel:WORD_0
	s_mov_b32 s6, 0x43800000
	v_mov_b32_e32 v5, 0x80
	v_and_b32_e32 v4, 0x7fffffff, v3
	v_cmp_gt_u32_e32 vcc, s6, v4
	s_and_saveexec_b64 s[6:7], vcc
	s_cbranch_execz .LBB31_2011
; %bb.2006:
	s_mov_b32 s8, 0x3bffffff
	v_cmp_lt_u32_e32 vcc, s8, v4
	s_mov_b64 s[8:9], 0
                                        ; implicit-def: $vgpr4
	s_and_saveexec_b64 s[10:11], vcc
	s_xor_b64 s[10:11], exec, s[10:11]
	s_cbranch_execz .LBB31_2117
; %bb.2007:
	v_bfe_u32 v4, v3, 20, 1
	s_mov_b32 s13, 0x487ffff
	v_add3_u32 v4, v3, v4, s13
	s_mov_b64 s[8:9], exec
	v_lshrrev_b32_e32 v4, 20, v4
	s_andn2_saveexec_b64 s[10:11], s[10:11]
	s_cbranch_execnz .LBB31_2118
.LBB31_2008:
	s_or_b64 exec, exec, s[10:11]
	v_mov_b32_e32 v5, 0
	s_and_saveexec_b64 s[10:11], s[8:9]
.LBB31_2009:
	v_lshrrev_b32_e32 v3, 24, v3
	s_movk_i32 s8, 0x80
	v_and_or_b32 v5, v3, s8, v4
.LBB31_2010:
	s_or_b64 exec, exec, s[10:11]
.LBB31_2011:
	s_or_b64 exec, exec, s[6:7]
	global_store_byte v[0:1], v5, off
.LBB31_2012:
	s_mov_b64 s[6:7], 0
.LBB31_2013:
	s_and_b64 vcc, exec, s[6:7]
	s_cbranch_vccz .LBB31_2053
; %bb.2014:
	s_cmp_gt_i32 s12, 22
	s_mov_b64 s[4:5], -1
	s_cbranch_scc0 .LBB31_2046
; %bb.2015:
	s_cmp_lt_i32 s12, 24
	s_cbranch_scc1 .LBB31_2035
; %bb.2016:
	s_cmp_gt_i32 s12, 24
	s_cbranch_scc0 .LBB31_2024
; %bb.2017:
	v_bfe_i32 v3, v2, 0, 8
	v_cvt_f32_i32_sdwa v3, sext(v3) dst_sel:DWORD dst_unused:UNUSED_PAD src0_sel:WORD_0
	s_mov_b32 s4, 0x47800000
	v_mov_b32_e32 v5, 0x80
	v_and_b32_e32 v4, 0x7fffffff, v3
	v_cmp_gt_u32_e32 vcc, s4, v4
	s_and_saveexec_b64 s[4:5], vcc
	s_cbranch_execz .LBB31_2023
; %bb.2018:
	s_mov_b32 s6, 0x37ffffff
	v_cmp_lt_u32_e32 vcc, s6, v4
	s_mov_b64 s[6:7], 0
                                        ; implicit-def: $vgpr4
	s_and_saveexec_b64 s[8:9], vcc
	s_xor_b64 s[8:9], exec, s[8:9]
	s_cbranch_execz .LBB31_2120
; %bb.2019:
	v_bfe_u32 v4, v3, 21, 1
	s_mov_b32 s10, 0x88fffff
	v_add3_u32 v4, v3, v4, s10
	s_mov_b64 s[6:7], exec
	v_lshrrev_b32_e32 v4, 21, v4
	s_andn2_saveexec_b64 s[8:9], s[8:9]
	s_cbranch_execnz .LBB31_2121
.LBB31_2020:
	s_or_b64 exec, exec, s[8:9]
	v_mov_b32_e32 v5, 0
	s_and_saveexec_b64 s[8:9], s[6:7]
.LBB31_2021:
	v_lshrrev_b32_e32 v3, 24, v3
	s_movk_i32 s6, 0x80
	v_and_or_b32 v5, v3, s6, v4
.LBB31_2022:
	s_or_b64 exec, exec, s[8:9]
.LBB31_2023:
	s_or_b64 exec, exec, s[4:5]
	s_mov_b64 s[4:5], 0
	global_store_byte v[0:1], v5, off
.LBB31_2024:
	s_and_b64 vcc, exec, s[4:5]
	s_cbranch_vccz .LBB31_2034
; %bb.2025:
	v_bfe_i32 v3, v2, 0, 8
	v_cvt_f32_i32_sdwa v3, sext(v3) dst_sel:DWORD dst_unused:UNUSED_PAD src0_sel:WORD_0
	s_mov_b32 s4, 0x43f00000
                                        ; implicit-def: $vgpr4
	v_and_b32_e32 v5, 0x7fffffff, v3
	v_cmp_gt_u32_e32 vcc, s4, v5
	s_and_saveexec_b64 s[4:5], vcc
	s_xor_b64 s[4:5], exec, s[4:5]
	s_cbranch_execz .LBB31_2031
; %bb.2026:
	s_mov_b32 s6, 0x3c7fffff
	v_cmp_lt_u32_e32 vcc, s6, v5
                                        ; implicit-def: $vgpr4
	s_and_saveexec_b64 s[6:7], vcc
	s_xor_b64 s[6:7], exec, s[6:7]
; %bb.2027:
	v_bfe_u32 v4, v3, 20, 1
	s_mov_b32 s8, 0x407ffff
	v_add3_u32 v4, v3, v4, s8
	v_lshrrev_b32_e32 v5, 20, v4
	v_and_b32_e32 v4, 0xff00000, v4
	s_mov_b32 s8, 0x7f00000
	v_mov_b32_e32 v6, 0x7e
	v_cmp_ne_u32_e32 vcc, s8, v4
	v_cndmask_b32_e32 v4, v6, v5, vcc
; %bb.2028:
	s_andn2_saveexec_b64 s[6:7], s[6:7]
; %bb.2029:
	s_mov_b32 s8, 0x46800000
	v_add_f32_e64 v4, |v3|, s8
; %bb.2030:
	s_or_b64 exec, exec, s[6:7]
                                        ; implicit-def: $vgpr5
.LBB31_2031:
	s_andn2_saveexec_b64 s[4:5], s[4:5]
; %bb.2032:
	s_mov_b32 s6, 0x7f800000
	v_mov_b32_e32 v4, 0x7e
	v_mov_b32_e32 v6, 0x7f
	v_cmp_lt_u32_e32 vcc, s6, v5
	v_cndmask_b32_e32 v4, v4, v6, vcc
; %bb.2033:
	s_or_b64 exec, exec, s[4:5]
	v_lshrrev_b32_e32 v3, 24, v3
	s_movk_i32 s4, 0x80
	v_and_or_b32 v3, v3, s4, v4
	global_store_byte v[0:1], v3, off
.LBB31_2034:
	s_mov_b64 s[4:5], 0
.LBB31_2035:
	s_andn2_b64 vcc, exec, s[4:5]
	s_cbranch_vccnz .LBB31_2045
; %bb.2036:
	v_bfe_i32 v3, v2, 0, 8
	v_cvt_f32_i32_sdwa v3, sext(v3) dst_sel:DWORD dst_unused:UNUSED_PAD src0_sel:WORD_0
	s_mov_b32 s4, 0x47800000
                                        ; implicit-def: $vgpr4
	v_and_b32_e32 v5, 0x7fffffff, v3
	v_cmp_gt_u32_e32 vcc, s4, v5
	s_and_saveexec_b64 s[4:5], vcc
	s_xor_b64 s[4:5], exec, s[4:5]
	s_cbranch_execz .LBB31_2042
; %bb.2037:
	s_mov_b32 s6, 0x387fffff
	v_cmp_lt_u32_e32 vcc, s6, v5
                                        ; implicit-def: $vgpr4
	s_and_saveexec_b64 s[6:7], vcc
	s_xor_b64 s[6:7], exec, s[6:7]
; %bb.2038:
	v_bfe_u32 v4, v3, 21, 1
	s_mov_b32 s8, 0x80fffff
	v_add3_u32 v4, v3, v4, s8
	v_lshrrev_b32_e32 v4, 21, v4
; %bb.2039:
	s_andn2_saveexec_b64 s[6:7], s[6:7]
; %bb.2040:
	s_mov_b32 s8, 0x43000000
	v_add_f32_e64 v4, |v3|, s8
; %bb.2041:
	s_or_b64 exec, exec, s[6:7]
                                        ; implicit-def: $vgpr5
.LBB31_2042:
	s_andn2_saveexec_b64 s[4:5], s[4:5]
; %bb.2043:
	s_mov_b32 s6, 0x7f800000
	v_mov_b32_e32 v4, 0x7c
	v_mov_b32_e32 v6, 0x7f
	v_cmp_lt_u32_e32 vcc, s6, v5
	v_cndmask_b32_e32 v4, v4, v6, vcc
; %bb.2044:
	s_or_b64 exec, exec, s[4:5]
	v_lshrrev_b32_e32 v3, 24, v3
	s_movk_i32 s4, 0x80
	v_and_or_b32 v3, v3, s4, v4
	global_store_byte v[0:1], v3, off
.LBB31_2045:
	s_mov_b64 s[4:5], 0
.LBB31_2046:
	s_andn2_b64 vcc, exec, s[4:5]
	s_mov_b64 s[4:5], 0
	s_cbranch_vccnz .LBB31_2053
; %bb.2047:
	s_cmp_gt_i32 s12, 14
	s_mov_b64 s[6:7], -1
	s_cbranch_scc0 .LBB31_2051
; %bb.2048:
	s_cmp_eq_u32 s12, 15
	s_mov_b64 s[0:1], -1
	s_cbranch_scc0 .LBB31_2050
; %bb.2049:
	v_bfe_i32 v3, v2, 0, 8
	v_cvt_f32_i32_sdwa v3, sext(v3) dst_sel:DWORD dst_unused:UNUSED_PAD src0_sel:WORD_0
	s_movk_i32 s0, 0x7fff
	v_bfe_u32 v4, v3, 16, 1
	v_add3_u32 v3, v3, v4, s0
	global_store_short_d16_hi v[0:1], v3, off
	s_mov_b64 s[0:1], 0
.LBB31_2050:
	s_mov_b64 s[6:7], 0
.LBB31_2051:
	s_and_b64 vcc, exec, s[6:7]
	s_cbranch_vccz .LBB31_2053
; %bb.2052:
	s_cmp_lg_u32 s12, 11
	s_mov_b64 s[4:5], -1
	s_cselect_b64 s[0:1], -1, 0
.LBB31_2053:
	s_and_b64 vcc, exec, s[0:1]
	s_cbranch_vccnz .LBB31_2119
.LBB31_2054:
	s_mov_b64 s[0:1], 0
	s_branch .LBB31_2056
.LBB31_2055:
	s_mov_b64 s[0:1], 0
	s_mov_b64 s[4:5], 0
                                        ; implicit-def: $vgpr0_vgpr1
                                        ; implicit-def: $sgpr14
                                        ; implicit-def: $vgpr2
.LBB31_2056:
	s_and_b64 s[6:7], s[4:5], exec
	s_andn2_b64 s[4:5], s[28:29], exec
	s_and_b64 s[2:3], s[2:3], exec
	s_and_b64 s[0:1], s[0:1], exec
	s_or_b64 s[28:29], s[4:5], s[2:3]
.LBB31_2057:
	s_or_b64 exec, exec, s[30:31]
	s_and_saveexec_b64 s[2:3], s[28:29]
	s_cbranch_execz .LBB31_2060
; %bb.2058:
	; divergent unreachable
	s_or_b64 exec, exec, s[2:3]
	s_and_saveexec_b64 s[2:3], s[6:7]
	s_xor_b64 s[2:3], exec, s[2:3]
	s_cbranch_execnz .LBB31_2061
.LBB31_2059:
	s_or_b64 exec, exec, s[2:3]
	s_and_saveexec_b64 s[2:3], s[0:1]
	s_cbranch_execnz .LBB31_2062
	s_branch .LBB31_2099
.LBB31_2060:
	s_or_b64 exec, exec, s[2:3]
	s_and_saveexec_b64 s[2:3], s[6:7]
	s_xor_b64 s[2:3], exec, s[2:3]
	s_cbranch_execz .LBB31_2059
.LBB31_2061:
	s_waitcnt vmcnt(0)
	v_mov_b32_e32 v3, 0
	v_cmp_ne_u16_sdwa s[4:5], v2, v3 src0_sel:BYTE_0 src1_sel:DWORD
	v_cndmask_b32_e64 v3, 0, 1, s[4:5]
	global_store_byte v[0:1], v3, off
	s_or_b64 exec, exec, s[2:3]
	s_and_saveexec_b64 s[2:3], s[0:1]
	s_cbranch_execz .LBB31_2099
.LBB31_2062:
	s_sext_i32_i16 s2, s14
	s_cmp_lt_i32 s2, 5
	s_mov_b64 s[0:1], -1
	s_cbranch_scc1 .LBB31_2083
; %bb.2063:
	s_cmp_lt_i32 s2, 8
	s_cbranch_scc1 .LBB31_2073
; %bb.2064:
	s_cmp_lt_i32 s2, 9
	s_cbranch_scc1 .LBB31_2070
; %bb.2065:
	s_cmp_gt_i32 s2, 9
	s_cbranch_scc0 .LBB31_2067
; %bb.2066:
	s_waitcnt vmcnt(0)
	v_bfe_i32 v3, v2, 0, 8
	v_bfe_i32 v3, v3, 0, 16
	v_cvt_f64_i32_e32 v[3:4], v3
	v_mov_b32_e32 v5, 0
	v_mov_b32_e32 v6, v5
	s_mov_b64 s[0:1], 0
	global_store_dwordx4 v[0:1], v[3:6], off
.LBB31_2067:
	s_andn2_b64 vcc, exec, s[0:1]
	s_cbranch_vccnz .LBB31_2069
; %bb.2068:
	s_waitcnt vmcnt(0)
	v_bfe_i32 v3, v2, 0, 8
	v_cvt_f32_i32_sdwa v3, sext(v3) dst_sel:DWORD dst_unused:UNUSED_PAD src0_sel:WORD_0
	v_mov_b32_e32 v4, 0
	global_store_dwordx2 v[0:1], v[3:4], off
.LBB31_2069:
	s_mov_b64 s[0:1], 0
.LBB31_2070:
	s_andn2_b64 vcc, exec, s[0:1]
	s_cbranch_vccnz .LBB31_2072
; %bb.2071:
	s_waitcnt vmcnt(0)
	v_cvt_f16_i16_sdwa v3, sext(v2) dst_sel:DWORD dst_unused:UNUSED_PAD src0_sel:BYTE_0
	global_store_dword v[0:1], v3, off
.LBB31_2072:
	s_mov_b64 s[0:1], 0
.LBB31_2073:
	s_andn2_b64 vcc, exec, s[0:1]
	s_cbranch_vccnz .LBB31_2082
; %bb.2074:
	s_sext_i32_i16 s2, s14
	s_cmp_lt_i32 s2, 6
	s_mov_b64 s[0:1], -1
	s_cbranch_scc1 .LBB31_2080
; %bb.2075:
	s_cmp_gt_i32 s2, 6
	s_cbranch_scc0 .LBB31_2077
; %bb.2076:
	s_waitcnt vmcnt(0)
	v_bfe_i32 v3, v2, 0, 8
	v_bfe_i32 v3, v3, 0, 16
	v_cvt_f64_i32_e32 v[3:4], v3
	s_mov_b64 s[0:1], 0
	global_store_dwordx2 v[0:1], v[3:4], off
.LBB31_2077:
	s_andn2_b64 vcc, exec, s[0:1]
	s_cbranch_vccnz .LBB31_2079
; %bb.2078:
	s_waitcnt vmcnt(0)
	v_bfe_i32 v3, v2, 0, 8
	v_cvt_f32_i32_sdwa v3, sext(v3) dst_sel:DWORD dst_unused:UNUSED_PAD src0_sel:WORD_0
	global_store_dword v[0:1], v3, off
.LBB31_2079:
	s_mov_b64 s[0:1], 0
.LBB31_2080:
	s_andn2_b64 vcc, exec, s[0:1]
	s_cbranch_vccnz .LBB31_2082
; %bb.2081:
	s_waitcnt vmcnt(0)
	v_cvt_f16_i16_sdwa v3, sext(v2) dst_sel:DWORD dst_unused:UNUSED_PAD src0_sel:BYTE_0
	global_store_short v[0:1], v3, off
.LBB31_2082:
	s_mov_b64 s[0:1], 0
.LBB31_2083:
	s_andn2_b64 vcc, exec, s[0:1]
	s_cbranch_vccnz .LBB31_2099
; %bb.2084:
	s_sext_i32_i16 s2, s14
	s_cmp_lt_i32 s2, 2
	s_mov_b64 s[0:1], -1
	s_cbranch_scc1 .LBB31_2094
; %bb.2085:
	s_cmp_lt_i32 s2, 3
	s_cbranch_scc1 .LBB31_2091
; %bb.2086:
	s_cmp_gt_i32 s2, 3
	s_cbranch_scc0 .LBB31_2088
; %bb.2087:
	s_waitcnt vmcnt(0)
	v_bfe_i32 v3, v2, 0, 8
	v_ashrrev_i32_e32 v4, 31, v3
	global_store_dwordx2 v[0:1], v[3:4], off
	s_mov_b64 s[0:1], 0
.LBB31_2088:
	s_andn2_b64 vcc, exec, s[0:1]
	s_cbranch_vccnz .LBB31_2090
; %bb.2089:
	s_waitcnt vmcnt(0)
	v_bfe_i32 v3, v2, 0, 8
	global_store_dword v[0:1], v3, off
.LBB31_2090:
	s_mov_b64 s[0:1], 0
.LBB31_2091:
	s_andn2_b64 vcc, exec, s[0:1]
	s_cbranch_vccnz .LBB31_2093
; %bb.2092:
	s_waitcnt vmcnt(0)
	v_bfe_i32 v3, v2, 0, 8
	global_store_short v[0:1], v3, off
.LBB31_2093:
	s_mov_b64 s[0:1], 0
.LBB31_2094:
	s_andn2_b64 vcc, exec, s[0:1]
	s_cbranch_vccnz .LBB31_2099
; %bb.2095:
	s_sext_i32_i16 s0, s14
	s_cmp_gt_i32 s0, 0
	s_mov_b64 s[0:1], -1
	s_cbranch_scc0 .LBB31_2097
; %bb.2096:
	global_store_byte v[0:1], v2, off
	s_mov_b64 s[0:1], 0
.LBB31_2097:
	s_andn2_b64 vcc, exec, s[0:1]
	s_cbranch_vccnz .LBB31_2099
; %bb.2098:
	global_store_byte v[0:1], v2, off
	s_endpgm
.LBB31_2099:
	s_endpgm
.LBB31_2100:
	s_mov_b64 s[4:5], 0
	s_mov_b64 s[0:1], -1
	s_branch .LBB31_2056
.LBB31_2101:
	s_trap 2
	s_or_b64 s[2:3], s[2:3], exec
	s_cbranch_execz .LBB31_1570
	s_branch .LBB31_1571
.LBB31_2102:
	s_andn2_saveexec_b64 s[12:13], s[12:13]
	s_cbranch_execz .LBB31_1650
.LBB31_2103:
	s_mov_b32 s18, 0x46000000
	v_add_f32_e64 v8, |v3|, s18
	v_and_b32_e32 v8, 0xff, v8
	v_cmp_ne_u32_e32 vcc, 0, v8
	s_andn2_b64 s[10:11], s[10:11], exec
	s_and_b64 s[18:19], vcc, exec
	s_or_b64 s[10:11], s[10:11], s[18:19]
	s_or_b64 exec, exec, s[12:13]
	v_mov_b32_e32 v10, 0
	s_and_saveexec_b64 s[12:13], s[10:11]
	s_cbranch_execnz .LBB31_1651
	s_branch .LBB31_1652
.LBB31_2104:
	s_trap 2
	s_or_b64 s[2:3], s[2:3], exec
	s_cbranch_execz .LBB31_1698
	s_branch .LBB31_1699
.LBB31_2105:
	s_andn2_saveexec_b64 s[10:11], s[10:11]
	s_cbranch_execz .LBB31_1663
.LBB31_2106:
	s_mov_b32 s12, 0x42800000
	v_add_f32_e64 v8, |v3|, s12
	v_and_b32_e32 v8, 0xff, v8
	v_cmp_ne_u32_e32 vcc, 0, v8
	s_andn2_b64 s[6:7], s[6:7], exec
	s_and_b64 s[12:13], vcc, exec
	s_or_b64 s[6:7], s[6:7], s[12:13]
	s_or_b64 exec, exec, s[10:11]
	v_mov_b32_e32 v10, 0
	s_and_saveexec_b64 s[10:11], s[6:7]
	s_cbranch_execnz .LBB31_1664
	s_branch .LBB31_1665
.LBB31_2107:
	s_andn2_saveexec_b64 s[12:13], s[12:13]
	s_cbranch_execz .LBB31_1769
.LBB31_2108:
	s_mov_b32 s17, 0x46000000
	v_add_f32_e64 v6, |v5|, s17
	v_and_b32_e32 v6, 0xff, v6
	v_cmp_ne_u32_e32 vcc, 0, v6
	s_andn2_b64 s[10:11], s[10:11], exec
	s_and_b64 s[18:19], vcc, exec
	s_or_b64 s[10:11], s[10:11], s[18:19]
	s_or_b64 exec, exec, s[12:13]
	v_mov_b32_e32 v8, 0
	s_and_saveexec_b64 s[12:13], s[10:11]
	s_cbranch_execnz .LBB31_1770
	s_branch .LBB31_1771
.LBB31_2109:
	s_trap 2
	s_or_b64 s[2:3], s[2:3], exec
	s_cbranch_execz .LBB31_1817
	s_branch .LBB31_1818
.LBB31_2110:
	s_andn2_saveexec_b64 s[10:11], s[10:11]
	s_cbranch_execz .LBB31_1782
.LBB31_2111:
	s_mov_b32 s12, 0x42800000
	v_add_f32_e64 v6, |v5|, s12
	v_and_b32_e32 v6, 0xff, v6
	v_cmp_ne_u32_e32 vcc, 0, v6
	s_andn2_b64 s[6:7], s[6:7], exec
	s_and_b64 s[12:13], vcc, exec
	s_or_b64 s[6:7], s[6:7], s[12:13]
	s_or_b64 exec, exec, s[10:11]
	v_mov_b32_e32 v8, 0
	s_and_saveexec_b64 s[10:11], s[6:7]
	s_cbranch_execnz .LBB31_1783
	s_branch .LBB31_1784
.LBB31_2112:
	s_andn2_saveexec_b64 s[12:13], s[12:13]
	s_cbranch_execz .LBB31_1888
.LBB31_2113:
	s_mov_b32 s17, 0x46000000
	v_add_f32_e64 v5, |v4|, s17
	v_and_b32_e32 v5, 0xff, v5
	v_cmp_ne_u32_e32 vcc, 0, v5
	s_andn2_b64 s[10:11], s[10:11], exec
	s_and_b64 s[18:19], vcc, exec
	s_or_b64 s[10:11], s[10:11], s[18:19]
	s_or_b64 exec, exec, s[12:13]
	v_mov_b32_e32 v6, 0
	s_and_saveexec_b64 s[12:13], s[10:11]
	s_cbranch_execnz .LBB31_1889
	s_branch .LBB31_1890
.LBB31_2114:
	s_trap 2
	s_or_b64 s[2:3], s[2:3], exec
	s_cbranch_execz .LBB31_1936
	s_branch .LBB31_1937
.LBB31_2115:
	s_andn2_saveexec_b64 s[10:11], s[10:11]
	s_cbranch_execz .LBB31_1901
.LBB31_2116:
	s_mov_b32 s12, 0x42800000
	v_add_f32_e64 v5, |v4|, s12
	v_and_b32_e32 v5, 0xff, v5
	v_cmp_ne_u32_e32 vcc, 0, v5
	s_andn2_b64 s[6:7], s[6:7], exec
	s_and_b64 s[12:13], vcc, exec
	s_or_b64 s[6:7], s[6:7], s[12:13]
	s_or_b64 exec, exec, s[10:11]
	v_mov_b32_e32 v6, 0
	s_and_saveexec_b64 s[10:11], s[6:7]
	s_cbranch_execnz .LBB31_1902
	s_branch .LBB31_1903
.LBB31_2117:
	s_andn2_saveexec_b64 s[10:11], s[10:11]
	s_cbranch_execz .LBB31_2008
.LBB31_2118:
	s_mov_b32 s13, 0x46000000
	v_add_f32_e64 v4, |v3|, s13
	v_and_b32_e32 v4, 0xff, v4
	v_cmp_ne_u32_e32 vcc, 0, v4
	s_andn2_b64 s[8:9], s[8:9], exec
	s_and_b64 s[16:17], vcc, exec
	s_or_b64 s[8:9], s[8:9], s[16:17]
	s_or_b64 exec, exec, s[10:11]
	v_mov_b32_e32 v5, 0
	s_and_saveexec_b64 s[10:11], s[8:9]
	s_cbranch_execnz .LBB31_2009
	s_branch .LBB31_2010
.LBB31_2119:
	s_mov_b64 s[4:5], 0
	s_or_b64 s[2:3], s[2:3], exec
	s_trap 2
	s_branch .LBB31_2054
.LBB31_2120:
	s_andn2_saveexec_b64 s[8:9], s[8:9]
	s_cbranch_execz .LBB31_2020
.LBB31_2121:
	s_mov_b32 s10, 0x42800000
	v_add_f32_e64 v4, |v3|, s10
	v_and_b32_e32 v4, 0xff, v4
	v_cmp_ne_u32_e32 vcc, 0, v4
	s_andn2_b64 s[6:7], s[6:7], exec
	s_and_b64 s[10:11], vcc, exec
	s_or_b64 s[6:7], s[6:7], s[10:11]
	s_or_b64 exec, exec, s[8:9]
	v_mov_b32_e32 v5, 0
	s_and_saveexec_b64 s[8:9], s[6:7]
	s_cbranch_execnz .LBB31_2021
	s_branch .LBB31_2022
	.section	.rodata,"a",@progbits
	.p2align	6, 0x0
	.amdhsa_kernel _ZN2at6native32elementwise_kernel_manual_unrollILi128ELi4EZNS0_15gpu_kernel_implINS0_13AUnaryFunctorIaaaZZZNS0_18lshift_kernel_cudaERNS_18TensorIteratorBaseEENKUlvE_clEvENKUlvE0_clEvEUlaaE_EEEEvS5_RKT_EUlibE0_EEviT1_
		.amdhsa_group_segment_fixed_size 0
		.amdhsa_private_segment_fixed_size 0
		.amdhsa_kernarg_size 360
		.amdhsa_user_sgpr_count 6
		.amdhsa_user_sgpr_private_segment_buffer 1
		.amdhsa_user_sgpr_dispatch_ptr 0
		.amdhsa_user_sgpr_queue_ptr 0
		.amdhsa_user_sgpr_kernarg_segment_ptr 1
		.amdhsa_user_sgpr_dispatch_id 0
		.amdhsa_user_sgpr_flat_scratch_init 0
		.amdhsa_user_sgpr_private_segment_size 0
		.amdhsa_uses_dynamic_stack 0
		.amdhsa_system_sgpr_private_segment_wavefront_offset 0
		.amdhsa_system_sgpr_workgroup_id_x 1
		.amdhsa_system_sgpr_workgroup_id_y 0
		.amdhsa_system_sgpr_workgroup_id_z 0
		.amdhsa_system_sgpr_workgroup_info 0
		.amdhsa_system_vgpr_workitem_id 0
		.amdhsa_next_free_vgpr 18
		.amdhsa_next_free_sgpr 78
		.amdhsa_reserve_vcc 1
		.amdhsa_reserve_flat_scratch 0
		.amdhsa_float_round_mode_32 0
		.amdhsa_float_round_mode_16_64 0
		.amdhsa_float_denorm_mode_32 3
		.amdhsa_float_denorm_mode_16_64 3
		.amdhsa_dx10_clamp 1
		.amdhsa_ieee_mode 1
		.amdhsa_fp16_overflow 0
		.amdhsa_exception_fp_ieee_invalid_op 0
		.amdhsa_exception_fp_denorm_src 0
		.amdhsa_exception_fp_ieee_div_zero 0
		.amdhsa_exception_fp_ieee_overflow 0
		.amdhsa_exception_fp_ieee_underflow 0
		.amdhsa_exception_fp_ieee_inexact 0
		.amdhsa_exception_int_div_zero 0
	.end_amdhsa_kernel
	.section	.text._ZN2at6native32elementwise_kernel_manual_unrollILi128ELi4EZNS0_15gpu_kernel_implINS0_13AUnaryFunctorIaaaZZZNS0_18lshift_kernel_cudaERNS_18TensorIteratorBaseEENKUlvE_clEvENKUlvE0_clEvEUlaaE_EEEEvS5_RKT_EUlibE0_EEviT1_,"axG",@progbits,_ZN2at6native32elementwise_kernel_manual_unrollILi128ELi4EZNS0_15gpu_kernel_implINS0_13AUnaryFunctorIaaaZZZNS0_18lshift_kernel_cudaERNS_18TensorIteratorBaseEENKUlvE_clEvENKUlvE0_clEvEUlaaE_EEEEvS5_RKT_EUlibE0_EEviT1_,comdat
.Lfunc_end31:
	.size	_ZN2at6native32elementwise_kernel_manual_unrollILi128ELi4EZNS0_15gpu_kernel_implINS0_13AUnaryFunctorIaaaZZZNS0_18lshift_kernel_cudaERNS_18TensorIteratorBaseEENKUlvE_clEvENKUlvE0_clEvEUlaaE_EEEEvS5_RKT_EUlibE0_EEviT1_, .Lfunc_end31-_ZN2at6native32elementwise_kernel_manual_unrollILi128ELi4EZNS0_15gpu_kernel_implINS0_13AUnaryFunctorIaaaZZZNS0_18lshift_kernel_cudaERNS_18TensorIteratorBaseEENKUlvE_clEvENKUlvE0_clEvEUlaaE_EEEEvS5_RKT_EUlibE0_EEviT1_
                                        ; -- End function
	.set _ZN2at6native32elementwise_kernel_manual_unrollILi128ELi4EZNS0_15gpu_kernel_implINS0_13AUnaryFunctorIaaaZZZNS0_18lshift_kernel_cudaERNS_18TensorIteratorBaseEENKUlvE_clEvENKUlvE0_clEvEUlaaE_EEEEvS5_RKT_EUlibE0_EEviT1_.num_vgpr, 18
	.set _ZN2at6native32elementwise_kernel_manual_unrollILi128ELi4EZNS0_15gpu_kernel_implINS0_13AUnaryFunctorIaaaZZZNS0_18lshift_kernel_cudaERNS_18TensorIteratorBaseEENKUlvE_clEvENKUlvE0_clEvEUlaaE_EEEEvS5_RKT_EUlibE0_EEviT1_.num_agpr, 0
	.set _ZN2at6native32elementwise_kernel_manual_unrollILi128ELi4EZNS0_15gpu_kernel_implINS0_13AUnaryFunctorIaaaZZZNS0_18lshift_kernel_cudaERNS_18TensorIteratorBaseEENKUlvE_clEvENKUlvE0_clEvEUlaaE_EEEEvS5_RKT_EUlibE0_EEviT1_.numbered_sgpr, 78
	.set _ZN2at6native32elementwise_kernel_manual_unrollILi128ELi4EZNS0_15gpu_kernel_implINS0_13AUnaryFunctorIaaaZZZNS0_18lshift_kernel_cudaERNS_18TensorIteratorBaseEENKUlvE_clEvENKUlvE0_clEvEUlaaE_EEEEvS5_RKT_EUlibE0_EEviT1_.num_named_barrier, 0
	.set _ZN2at6native32elementwise_kernel_manual_unrollILi128ELi4EZNS0_15gpu_kernel_implINS0_13AUnaryFunctorIaaaZZZNS0_18lshift_kernel_cudaERNS_18TensorIteratorBaseEENKUlvE_clEvENKUlvE0_clEvEUlaaE_EEEEvS5_RKT_EUlibE0_EEviT1_.private_seg_size, 0
	.set _ZN2at6native32elementwise_kernel_manual_unrollILi128ELi4EZNS0_15gpu_kernel_implINS0_13AUnaryFunctorIaaaZZZNS0_18lshift_kernel_cudaERNS_18TensorIteratorBaseEENKUlvE_clEvENKUlvE0_clEvEUlaaE_EEEEvS5_RKT_EUlibE0_EEviT1_.uses_vcc, 1
	.set _ZN2at6native32elementwise_kernel_manual_unrollILi128ELi4EZNS0_15gpu_kernel_implINS0_13AUnaryFunctorIaaaZZZNS0_18lshift_kernel_cudaERNS_18TensorIteratorBaseEENKUlvE_clEvENKUlvE0_clEvEUlaaE_EEEEvS5_RKT_EUlibE0_EEviT1_.uses_flat_scratch, 0
	.set _ZN2at6native32elementwise_kernel_manual_unrollILi128ELi4EZNS0_15gpu_kernel_implINS0_13AUnaryFunctorIaaaZZZNS0_18lshift_kernel_cudaERNS_18TensorIteratorBaseEENKUlvE_clEvENKUlvE0_clEvEUlaaE_EEEEvS5_RKT_EUlibE0_EEviT1_.has_dyn_sized_stack, 0
	.set _ZN2at6native32elementwise_kernel_manual_unrollILi128ELi4EZNS0_15gpu_kernel_implINS0_13AUnaryFunctorIaaaZZZNS0_18lshift_kernel_cudaERNS_18TensorIteratorBaseEENKUlvE_clEvENKUlvE0_clEvEUlaaE_EEEEvS5_RKT_EUlibE0_EEviT1_.has_recursion, 0
	.set _ZN2at6native32elementwise_kernel_manual_unrollILi128ELi4EZNS0_15gpu_kernel_implINS0_13AUnaryFunctorIaaaZZZNS0_18lshift_kernel_cudaERNS_18TensorIteratorBaseEENKUlvE_clEvENKUlvE0_clEvEUlaaE_EEEEvS5_RKT_EUlibE0_EEviT1_.has_indirect_call, 0
	.section	.AMDGPU.csdata,"",@progbits
; Kernel info:
; codeLenInByte = 36328
; TotalNumSgprs: 82
; NumVgprs: 18
; ScratchSize: 0
; MemoryBound: 1
; FloatMode: 240
; IeeeMode: 1
; LDSByteSize: 0 bytes/workgroup (compile time only)
; SGPRBlocks: 10
; VGPRBlocks: 4
; NumSGPRsForWavesPerEU: 82
; NumVGPRsForWavesPerEU: 18
; Occupancy: 9
; WaveLimiterHint : 1
; COMPUTE_PGM_RSRC2:SCRATCH_EN: 0
; COMPUTE_PGM_RSRC2:USER_SGPR: 6
; COMPUTE_PGM_RSRC2:TRAP_HANDLER: 0
; COMPUTE_PGM_RSRC2:TGID_X_EN: 1
; COMPUTE_PGM_RSRC2:TGID_Y_EN: 0
; COMPUTE_PGM_RSRC2:TGID_Z_EN: 0
; COMPUTE_PGM_RSRC2:TIDIG_COMP_CNT: 0
	.section	.text._ZN2at6native29vectorized_elementwise_kernelILi16ENS0_13BUnaryFunctorIaaaZZZNS0_18lshift_kernel_cudaERNS_18TensorIteratorBaseEENKUlvE_clEvENKUlvE0_clEvEUlaaE_EESt5arrayIPcLm2EEEEviT0_T1_,"axG",@progbits,_ZN2at6native29vectorized_elementwise_kernelILi16ENS0_13BUnaryFunctorIaaaZZZNS0_18lshift_kernel_cudaERNS_18TensorIteratorBaseEENKUlvE_clEvENKUlvE0_clEvEUlaaE_EESt5arrayIPcLm2EEEEviT0_T1_,comdat
	.globl	_ZN2at6native29vectorized_elementwise_kernelILi16ENS0_13BUnaryFunctorIaaaZZZNS0_18lshift_kernel_cudaERNS_18TensorIteratorBaseEENKUlvE_clEvENKUlvE0_clEvEUlaaE_EESt5arrayIPcLm2EEEEviT0_T1_ ; -- Begin function _ZN2at6native29vectorized_elementwise_kernelILi16ENS0_13BUnaryFunctorIaaaZZZNS0_18lshift_kernel_cudaERNS_18TensorIteratorBaseEENKUlvE_clEvENKUlvE0_clEvEUlaaE_EESt5arrayIPcLm2EEEEviT0_T1_
	.p2align	8
	.type	_ZN2at6native29vectorized_elementwise_kernelILi16ENS0_13BUnaryFunctorIaaaZZZNS0_18lshift_kernel_cudaERNS_18TensorIteratorBaseEENKUlvE_clEvENKUlvE0_clEvEUlaaE_EESt5arrayIPcLm2EEEEviT0_T1_,@function
_ZN2at6native29vectorized_elementwise_kernelILi16ENS0_13BUnaryFunctorIaaaZZZNS0_18lshift_kernel_cudaERNS_18TensorIteratorBaseEENKUlvE_clEvENKUlvE0_clEvEUlaaE_EESt5arrayIPcLm2EEEEviT0_T1_: ; @_ZN2at6native29vectorized_elementwise_kernelILi16ENS0_13BUnaryFunctorIaaaZZZNS0_18lshift_kernel_cudaERNS_18TensorIteratorBaseEENKUlvE_clEvENKUlvE0_clEvEUlaaE_EESt5arrayIPcLm2EEEEviT0_T1_
; %bb.0:
	v_mov_b32_e32 v1, 0
	global_load_ushort v2, v1, s[4:5] offset:4
	s_load_dword s0, s[4:5], 0x0
	s_load_dwordx4 s[8:11], s[4:5], 0x8
	s_lshl_b32 s33, s6, 12
	s_waitcnt lgkmcnt(0)
	s_sub_i32 s38, s0, s33
	s_waitcnt vmcnt(0)
	v_readfirstlane_b32 s1, v2
	s_and_b32 s40, 0xffff, s1
	s_lshr_b32 s39, s40, 8
	s_cmpk_gt_i32 s38, 0xfff
	s_mov_b64 s[0:1], -1
	s_cbranch_scc0 .LBB32_2
; %bb.1:
	s_ashr_i32 s2, s33, 31
	s_add_u32 s0, s10, s33
	s_addc_u32 s1, s11, s2
	v_lshlrev_b32_e32 v6, 4, v0
	global_load_dwordx4 v[2:5], v6, s[0:1]
	s_cmpk_lt_u32 s40, 0x800
	s_cselect_b64 vcc, -1, 0
	s_and_b32 s0, 0xffff, s39
	s_waitcnt vmcnt(0)
	v_lshlrev_b32_sdwa v8, s0, v3 dst_sel:DWORD dst_unused:UNUSED_PAD src0_sel:DWORD src1_sel:BYTE_1
	v_lshlrev_b32_sdwa v9, s0, v3 dst_sel:DWORD dst_unused:UNUSED_PAD src0_sel:DWORD src1_sel:BYTE_3
	v_lshlrev_b32_e32 v7, s0, v3
	v_lshlrev_b32_sdwa v3, s0, v3 dst_sel:DWORD dst_unused:UNUSED_PAD src0_sel:DWORD src1_sel:WORD_1
	v_lshlrev_b32_sdwa v11, s0, v2 dst_sel:DWORD dst_unused:UNUSED_PAD src0_sel:DWORD src1_sel:BYTE_1
	v_cndmask_b32_e32 v8, 0, v8, vcc
	v_cndmask_b32_e32 v9, 0, v9, vcc
	v_lshlrev_b32_e32 v10, s0, v2
	v_lshlrev_b32_sdwa v12, s0, v2 dst_sel:DWORD dst_unused:UNUSED_PAD src0_sel:DWORD src1_sel:BYTE_3
	v_cndmask_b32_e32 v7, 0, v7, vcc
	v_cndmask_b32_e32 v3, 0, v3, vcc
	;; [unrolled: 1-line block ×3, first 2 shown]
	v_lshlrev_b16_e32 v8, 8, v8
	v_lshlrev_b16_e32 v9, 8, v9
	v_lshlrev_b32_sdwa v2, s0, v2 dst_sel:DWORD dst_unused:UNUSED_PAD src0_sel:DWORD src1_sel:WORD_1
	v_lshlrev_b32_e32 v13, s0, v5
	v_lshlrev_b32_sdwa v14, s0, v5 dst_sel:DWORD dst_unused:UNUSED_PAD src0_sel:DWORD src1_sel:BYTE_1
	v_lshlrev_b32_sdwa v15, s0, v5 dst_sel:DWORD dst_unused:UNUSED_PAD src0_sel:DWORD src1_sel:BYTE_3
	v_lshlrev_b32_sdwa v5, s0, v5 dst_sel:DWORD dst_unused:UNUSED_PAD src0_sel:DWORD src1_sel:WORD_1
	v_lshlrev_b32_e32 v16, s0, v4
	v_lshlrev_b32_sdwa v17, s0, v4 dst_sel:DWORD dst_unused:UNUSED_PAD src0_sel:DWORD src1_sel:BYTE_1
	v_lshlrev_b32_sdwa v18, s0, v4 dst_sel:DWORD dst_unused:UNUSED_PAD src0_sel:DWORD src1_sel:BYTE_3
	v_lshlrev_b32_sdwa v4, s0, v4 dst_sel:DWORD dst_unused:UNUSED_PAD src0_sel:DWORD src1_sel:WORD_1
	v_cndmask_b32_e32 v10, 0, v10, vcc
	v_cndmask_b32_e32 v12, 0, v12, vcc
	v_lshlrev_b16_e32 v11, 8, v11
	v_or_b32_sdwa v7, v7, v8 dst_sel:DWORD dst_unused:UNUSED_PAD src0_sel:BYTE_0 src1_sel:DWORD
	v_or_b32_sdwa v3, v3, v9 dst_sel:WORD_1 dst_unused:UNUSED_PAD src0_sel:BYTE_0 src1_sel:DWORD
	v_cndmask_b32_e32 v2, 0, v2, vcc
	v_cndmask_b32_e32 v13, 0, v13, vcc
	;; [unrolled: 1-line block ×5, first 2 shown]
	v_lshlrev_b16_e32 v12, 8, v12
	v_cndmask_b32_sdwa v14, v1, v14, vcc dst_sel:BYTE_1 dst_unused:UNUSED_PAD src0_sel:DWORD src1_sel:DWORD
	v_or_b32_sdwa v8, v10, v11 dst_sel:DWORD dst_unused:UNUSED_PAD src0_sel:BYTE_0 src1_sel:DWORD
	v_cndmask_b32_sdwa v10, v1, v15, vcc dst_sel:BYTE_1 dst_unused:UNUSED_PAD src0_sel:DWORD src1_sel:DWORD
	v_or_b32_sdwa v3, v7, v3 dst_sel:DWORD dst_unused:UNUSED_PAD src0_sel:WORD_0 src1_sel:DWORD
	v_cndmask_b32_sdwa v7, v1, v17, vcc dst_sel:BYTE_1 dst_unused:UNUSED_PAD src0_sel:DWORD src1_sel:DWORD
	v_cndmask_b32_sdwa v1, v1, v18, vcc dst_sel:BYTE_1 dst_unused:UNUSED_PAD src0_sel:DWORD src1_sel:DWORD
	s_add_u32 s0, s8, s33
	v_or_b32_sdwa v2, v2, v12 dst_sel:WORD_1 dst_unused:UNUSED_PAD src0_sel:BYTE_0 src1_sel:DWORD
	v_or_b32_sdwa v9, v13, v14 dst_sel:DWORD dst_unused:UNUSED_PAD src0_sel:BYTE_0 src1_sel:DWORD
	v_or_b32_sdwa v5, v5, v10 dst_sel:WORD_1 dst_unused:UNUSED_PAD src0_sel:BYTE_0 src1_sel:DWORD
	v_or_b32_sdwa v7, v16, v7 dst_sel:DWORD dst_unused:UNUSED_PAD src0_sel:BYTE_0 src1_sel:DWORD
	v_or_b32_sdwa v1, v4, v1 dst_sel:WORD_1 dst_unused:UNUSED_PAD src0_sel:BYTE_0 src1_sel:DWORD
	s_addc_u32 s1, s9, s2
	v_or_b32_sdwa v2, v8, v2 dst_sel:DWORD dst_unused:UNUSED_PAD src0_sel:WORD_0 src1_sel:DWORD
	v_or_b32_sdwa v5, v9, v5 dst_sel:DWORD dst_unused:UNUSED_PAD src0_sel:WORD_0 src1_sel:DWORD
	;; [unrolled: 1-line block ×3, first 2 shown]
	global_store_dwordx4 v6, v[2:5], s[0:1]
	s_mov_b64 s[0:1], 0
.LBB32_2:
	s_andn2_b64 vcc, exec, s[0:1]
	s_cbranch_vccnz .LBB32_52
; %bb.3:
	v_cmp_gt_i32_e64 s[0:1], s38, v0
	v_or_b32_e32 v3, 0x100, v0
	v_mov_b32_e32 v21, 0
	v_mov_b32_e32 v5, 0
	v_or_b32_e32 v4, s33, v0
	v_mov_b32_e32 v6, 0
	v_mov_b32_e32 v20, 0
	;; [unrolled: 1-line block ×15, first 2 shown]
	s_and_saveexec_b64 s[2:3], s[0:1]
	s_cbranch_execz .LBB32_35
; %bb.4:
	global_load_ubyte v7, v4, s[10:11]
	v_cmp_gt_u32_e32 vcc, s38, v3
	v_mov_b32_e32 v6, 0
	v_mov_b32_e32 v8, 0
	v_mov_b32_e32 v10, 0
	v_mov_b32_e32 v9, 0
	v_mov_b32_e32 v11, 0
	v_mov_b32_e32 v13, 0
	v_mov_b32_e32 v12, 0
	v_mov_b32_e32 v14, 0
	v_mov_b32_e32 v15, 0
	v_mov_b32_e32 v16, 0
	v_mov_b32_e32 v17, 0
	v_mov_b32_e32 v18, 0
	v_mov_b32_e32 v19, 0
	v_mov_b32_e32 v20, 0
	v_mov_b32_e32 v21, 0
	s_and_saveexec_b64 s[4:5], vcc
	s_cbranch_execz .LBB32_34
; %bb.5:
	v_add_u32_e32 v1, s33, v0
	global_load_ubyte v8, v1, s[10:11] offset:256
	v_or_b32_e32 v2, 0x200, v0
	v_mov_b32_e32 v10, 0
	v_cmp_gt_u32_e32 vcc, s38, v2
	v_mov_b32_e32 v9, 0
	v_mov_b32_e32 v11, 0
	;; [unrolled: 1-line block ×13, first 2 shown]
	s_and_saveexec_b64 s[6:7], vcc
	s_cbranch_execz .LBB32_33
; %bb.6:
	v_mov_b32_e32 v2, s11
	v_add_co_u32_e32 v1, vcc, s10, v1
	v_addc_co_u32_e32 v2, vcc, 0, v2, vcc
	global_load_ubyte v10, v[1:2], off offset:512
	v_or_b32_e32 v6, 0x300, v0
	v_cmp_gt_u32_e32 vcc, s38, v6
	v_mov_b32_e32 v6, 0
	v_mov_b32_e32 v9, 0
	;; [unrolled: 1-line block ×13, first 2 shown]
	s_and_saveexec_b64 s[10:11], vcc
	s_cbranch_execz .LBB32_32
; %bb.7:
	global_load_ubyte v9, v[1:2], off offset:768
	v_or_b32_e32 v6, 0x400, v0
	v_cmp_gt_u32_e32 vcc, s38, v6
	v_mov_b32_e32 v6, 0
	v_mov_b32_e32 v11, 0
	;; [unrolled: 1-line block ×12, first 2 shown]
	s_and_saveexec_b64 s[12:13], vcc
	s_cbranch_execz .LBB32_31
; %bb.8:
	global_load_ubyte v11, v[1:2], off offset:1024
	v_or_b32_e32 v6, 0x500, v0
	v_cmp_gt_u32_e32 vcc, s38, v6
	v_mov_b32_e32 v6, 0
	v_mov_b32_e32 v13, 0
	;; [unrolled: 1-line block ×11, first 2 shown]
	s_and_saveexec_b64 s[14:15], vcc
	s_cbranch_execz .LBB32_30
; %bb.9:
	global_load_ubyte v13, v[1:2], off offset:1280
	v_or_b32_e32 v6, 0x600, v0
	v_cmp_gt_u32_e32 vcc, s38, v6
	v_mov_b32_e32 v6, 0
	v_mov_b32_e32 v12, 0
	;; [unrolled: 1-line block ×10, first 2 shown]
	s_and_saveexec_b64 s[16:17], vcc
	s_cbranch_execz .LBB32_29
; %bb.10:
	global_load_ubyte v12, v[1:2], off offset:1536
	v_or_b32_e32 v6, 0x700, v0
	v_cmp_gt_u32_e32 vcc, s38, v6
	v_mov_b32_e32 v6, 0
	v_mov_b32_e32 v14, 0
	;; [unrolled: 1-line block ×9, first 2 shown]
	s_and_saveexec_b64 s[18:19], vcc
	s_cbranch_execz .LBB32_28
; %bb.11:
	global_load_ubyte v14, v[1:2], off offset:1792
	v_or_b32_e32 v6, 0x800, v0
	v_cmp_gt_u32_e32 vcc, s38, v6
	v_mov_b32_e32 v6, 0
	v_mov_b32_e32 v15, 0
	;; [unrolled: 1-line block ×8, first 2 shown]
	s_and_saveexec_b64 s[20:21], vcc
	s_cbranch_execz .LBB32_27
; %bb.12:
	global_load_ubyte v15, v[1:2], off offset:2048
	v_or_b32_e32 v6, 0x900, v0
	v_cmp_gt_u32_e32 vcc, s38, v6
	v_mov_b32_e32 v6, 0
	v_mov_b32_e32 v16, 0
	;; [unrolled: 1-line block ×7, first 2 shown]
	s_and_saveexec_b64 s[22:23], vcc
	s_cbranch_execz .LBB32_26
; %bb.13:
	global_load_ubyte v16, v[1:2], off offset:2304
	v_or_b32_e32 v6, 0xa00, v0
	v_cmp_gt_u32_e32 vcc, s38, v6
	v_mov_b32_e32 v6, 0
	v_mov_b32_e32 v17, 0
	;; [unrolled: 1-line block ×6, first 2 shown]
	s_and_saveexec_b64 s[24:25], vcc
	s_cbranch_execz .LBB32_25
; %bb.14:
	global_load_ubyte v17, v[1:2], off offset:2560
	v_or_b32_e32 v6, 0xb00, v0
	v_cmp_gt_u32_e32 vcc, s38, v6
	v_mov_b32_e32 v6, 0
	v_mov_b32_e32 v18, 0
	;; [unrolled: 1-line block ×5, first 2 shown]
	s_and_saveexec_b64 s[26:27], vcc
	s_cbranch_execz .LBB32_24
; %bb.15:
	global_load_ubyte v18, v[1:2], off offset:2816
	v_or_b32_e32 v6, 0xc00, v0
	v_cmp_gt_u32_e32 vcc, s38, v6
	v_mov_b32_e32 v6, 0
	v_mov_b32_e32 v19, 0
	;; [unrolled: 1-line block ×4, first 2 shown]
	s_and_saveexec_b64 s[28:29], vcc
	s_cbranch_execz .LBB32_23
; %bb.16:
	global_load_ubyte v19, v[1:2], off offset:3072
	v_or_b32_e32 v6, 0xd00, v0
	v_cmp_gt_u32_e32 vcc, s38, v6
	v_mov_b32_e32 v6, 0
	v_mov_b32_e32 v20, 0
	;; [unrolled: 1-line block ×3, first 2 shown]
	s_and_saveexec_b64 s[30:31], vcc
	s_cbranch_execz .LBB32_22
; %bb.17:
	global_load_ubyte v20, v[1:2], off offset:3328
	v_or_b32_e32 v6, 0xe00, v0
	v_cmp_gt_u32_e32 vcc, s38, v6
	v_mov_b32_e32 v6, 0
	v_mov_b32_e32 v21, 0
	s_and_saveexec_b64 s[34:35], vcc
	s_cbranch_execz .LBB32_21
; %bb.18:
	global_load_ubyte v21, v[1:2], off offset:3584
	v_or_b32_e32 v6, 0xf00, v0
	v_cmp_gt_u32_e32 vcc, s38, v6
	v_mov_b32_e32 v6, 0
	s_and_saveexec_b64 s[36:37], vcc
	s_cbranch_execz .LBB32_20
; %bb.19:
	global_load_ubyte v6, v[1:2], off offset:3840
.LBB32_20:
	s_or_b64 exec, exec, s[36:37]
.LBB32_21:
	s_or_b64 exec, exec, s[34:35]
.LBB32_22:
	s_or_b64 exec, exec, s[30:31]
.LBB32_23:
	s_or_b64 exec, exec, s[28:29]
.LBB32_24:
	s_or_b64 exec, exec, s[26:27]
.LBB32_25:
	s_or_b64 exec, exec, s[24:25]
.LBB32_26:
	s_or_b64 exec, exec, s[22:23]
.LBB32_27:
	s_or_b64 exec, exec, s[20:21]
.LBB32_28:
	s_or_b64 exec, exec, s[18:19]
.LBB32_29:
	s_or_b64 exec, exec, s[16:17]
.LBB32_30:
	s_or_b64 exec, exec, s[14:15]
.LBB32_31:
	s_or_b64 exec, exec, s[12:13]
.LBB32_32:
	s_or_b64 exec, exec, s[10:11]
.LBB32_33:
	s_or_b64 exec, exec, s[6:7]
.LBB32_34:
	s_or_b64 exec, exec, s[4:5]
.LBB32_35:
	s_or_b64 exec, exec, s[2:3]
	s_cmpk_lt_u32 s40, 0x800
	s_cselect_b64 vcc, -1, 0
	s_and_b32 s5, 0xffff, s39
	s_waitcnt vmcnt(0)
	v_lshlrev_b32_e32 v1, s5, v7
	s_mov_b32 s4, 0xffff
	v_cndmask_b32_e32 v1, 0, v1, vcc
	v_lshlrev_b32_e32 v2, s5, v8
	v_and_b32_sdwa v1, s4, v1 dst_sel:DWORD dst_unused:UNUSED_PAD src0_sel:DWORD src1_sel:BYTE_0
	v_cndmask_b32_e32 v2, 0, v2, vcc
	v_cndmask_b32_e64 v1, 0, v1, s[0:1]
	v_lshlrev_b16_e32 v2, 8, v2
	v_or_b32_e32 v2, v1, v2
	v_and_b32_e32 v2, 0xffff, v2
	v_cmp_gt_i32_e64 s[2:3], s38, v3
	v_lshlrev_b32_e32 v7, s5, v10
	v_cndmask_b32_e64 v1, v1, v2, s[2:3]
	v_cndmask_b32_e32 v7, 0, v7, vcc
	s_mov_b32 s7, 0xc0c0304
	v_or_b32_e32 v2, 0x200, v0
	v_perm_b32 v7, v7, v1, s7
	v_lshl_or_b32 v7, v7, 16, v1
	v_cmp_gt_i32_e64 s[2:3], s38, v2
	v_lshlrev_b32_e32 v8, s5, v9
	s_movk_i32 s6, 0xff
	v_cndmask_b32_e64 v1, v1, v7, s[2:3]
	v_cndmask_b32_e32 v8, 0, v8, vcc
	v_and_b32_sdwa v2, v1, s6 dst_sel:DWORD dst_unused:UNUSED_PAD src0_sel:WORD_1 src1_sel:DWORD
	v_lshlrev_b16_e32 v8, 8, v8
	v_or_b32_e32 v7, 0x300, v0
	v_or_b32_sdwa v2, v2, v8 dst_sel:WORD_1 dst_unused:UNUSED_PAD src0_sel:DWORD src1_sel:DWORD
	v_and_or_b32 v2, v1, s4, v2
	v_cmp_gt_i32_e64 s[2:3], s38, v7
	v_cndmask_b32_e64 v8, v1, v2, s[2:3]
	v_lshlrev_b32_e32 v1, s5, v11
	v_or_b32_e32 v2, 0x400, v0
	v_cndmask_b32_e32 v1, 0, v1, vcc
	s_mov_b32 s10, 0x3020104
	v_cmp_gt_i32_e64 s[2:3], s38, v2
	v_lshlrev_b32_e32 v2, s5, v13
	v_perm_b32 v1, v1, 0, s10
	v_cndmask_b32_e32 v2, 0, v2, vcc
	v_cndmask_b32_e64 v1, 0, v1, s[2:3]
	v_lshlrev_b16_e32 v2, 8, v2
	v_or_b32_sdwa v2, v1, v2 dst_sel:DWORD dst_unused:UNUSED_PAD src0_sel:BYTE_0 src1_sel:DWORD
	v_and_b32_e32 v2, 0xffff, v2
	s_mov_b32 s11, 0xffff0000
	v_or_b32_e32 v7, 0x500, v0
	v_and_or_b32 v2, v1, s11, v2
	v_cmp_gt_i32_e64 s[2:3], s38, v7
	v_lshlrev_b32_e32 v7, s5, v12
	v_cndmask_b32_e64 v1, v1, v2, s[2:3]
	v_or_b32_e32 v2, 0x600, v0
	v_cndmask_b32_e32 v7, 0, v7, vcc
	s_mov_b32 s12, 0x7000504
	v_perm_b32 v7, v1, v7, s12
	v_cmp_gt_i32_e64 s[2:3], s38, v2
	v_lshlrev_b32_e32 v9, s5, v14
	v_cndmask_b32_e64 v1, v1, v7, s[2:3]
	v_cndmask_b32_e32 v9, 0, v9, vcc
	v_and_b32_sdwa v2, v1, s6 dst_sel:DWORD dst_unused:UNUSED_PAD src0_sel:WORD_1 src1_sel:DWORD
	v_lshlrev_b16_e32 v9, 8, v9
	v_or_b32_e32 v7, 0x700, v0
	v_or_b32_sdwa v2, v2, v9 dst_sel:WORD_1 dst_unused:UNUSED_PAD src0_sel:DWORD src1_sel:DWORD
	v_and_or_b32 v2, v1, s4, v2
	v_cmp_gt_i32_e64 s[2:3], s38, v7
	v_cndmask_b32_e64 v7, v1, v2, s[2:3]
	v_lshlrev_b32_e32 v2, s5, v15
	v_or_b32_e32 v1, 0x800, v0
	v_cndmask_b32_e32 v2, 0, v2, vcc
	v_lshlrev_b32_e32 v9, s5, v16
	v_and_b32_sdwa v2, s4, v2 dst_sel:DWORD dst_unused:UNUSED_PAD src0_sel:DWORD src1_sel:BYTE_0
	v_cmp_gt_i32_e64 s[2:3], s38, v1
	v_cndmask_b32_e32 v9, 0, v9, vcc
	v_cndmask_b32_e64 v1, 0, v2, s[2:3]
	v_lshlrev_b16_e32 v9, 8, v9
	v_or_b32_e32 v2, 0x900, v0
	v_or_b32_e32 v9, v1, v9
	v_and_b32_e32 v9, 0xffff, v9
	v_cmp_gt_i32_e64 s[2:3], s38, v2
	v_cndmask_b32_e64 v1, v1, v9, s[2:3]
	v_lshlrev_b32_e32 v9, s5, v17
	v_cndmask_b32_e32 v9, 0, v9, vcc
	v_or_b32_e32 v2, 0xa00, v0
	v_perm_b32 v9, v9, v1, s7
	v_lshl_or_b32 v9, v9, 16, v1
	v_cmp_gt_i32_e64 s[2:3], s38, v2
	v_lshlrev_b32_e32 v10, s5, v18
	v_cndmask_b32_e64 v1, v1, v9, s[2:3]
	v_cndmask_b32_e32 v10, 0, v10, vcc
	v_and_b32_sdwa v2, v1, s6 dst_sel:DWORD dst_unused:UNUSED_PAD src0_sel:WORD_1 src1_sel:DWORD
	v_lshlrev_b16_e32 v10, 8, v10
	v_or_b32_e32 v9, 0xb00, v0
	v_or_b32_sdwa v2, v2, v10 dst_sel:WORD_1 dst_unused:UNUSED_PAD src0_sel:DWORD src1_sel:DWORD
	v_and_or_b32 v2, v1, s4, v2
	v_cmp_gt_i32_e64 s[2:3], s38, v9
	v_cndmask_b32_e64 v2, v1, v2, s[2:3]
	v_lshlrev_b32_e32 v1, s5, v19
	v_or_b32_e32 v9, 0xc00, v0
	v_cndmask_b32_e32 v1, 0, v1, vcc
	v_cmp_gt_i32_e64 s[2:3], s38, v9
	v_lshlrev_b32_e32 v9, s5, v20
	v_perm_b32 v1, v1, 0, s10
	v_cndmask_b32_e32 v9, 0, v9, vcc
	v_cndmask_b32_e64 v1, 0, v1, s[2:3]
	v_lshlrev_b16_e32 v9, 8, v9
	v_or_b32_sdwa v9, v1, v9 dst_sel:DWORD dst_unused:UNUSED_PAD src0_sel:BYTE_0 src1_sel:DWORD
	v_and_b32_e32 v9, 0xffff, v9
	v_or_b32_e32 v10, 0xd00, v0
	v_and_or_b32 v9, v1, s11, v9
	v_cmp_gt_i32_e64 s[2:3], s38, v10
	v_lshlrev_b32_e32 v10, s5, v21
	v_cndmask_b32_e64 v1, v1, v9, s[2:3]
	v_or_b32_e32 v9, 0xe00, v0
	v_cndmask_b32_e32 v10, 0, v10, vcc
	v_perm_b32 v10, v1, v10, s12
	v_cmp_gt_i32_e64 s[2:3], s38, v9
	v_cndmask_b32_e64 v1, v1, v10, s[2:3]
	v_lshlrev_b32_e32 v6, s5, v6
	v_and_b32_sdwa v9, v1, s6 dst_sel:DWORD dst_unused:UNUSED_PAD src0_sel:WORD_1 src1_sel:DWORD
	v_cndmask_b32_sdwa v5, v5, v6, vcc dst_sel:BYTE_1 dst_unused:UNUSED_PAD src0_sel:DWORD src1_sel:DWORD
	v_or_b32_e32 v10, 0xf00, v0
	v_or_b32_sdwa v5, v9, v5 dst_sel:WORD_1 dst_unused:UNUSED_PAD src0_sel:DWORD src1_sel:DWORD
	v_and_or_b32 v5, v1, s4, v5
	v_cmp_gt_i32_e32 vcc, s38, v10
	v_cndmask_b32_e32 v1, v1, v5, vcc
	s_and_saveexec_b64 s[2:3], s[0:1]
	s_cbranch_execnz .LBB32_53
; %bb.36:
	s_or_b64 exec, exec, s[2:3]
	v_cmp_gt_i32_e32 vcc, s38, v0
	s_and_saveexec_b64 s[0:1], vcc
	s_cbranch_execnz .LBB32_54
.LBB32_37:
	s_or_b64 exec, exec, s[0:1]
	v_cmp_gt_i32_e32 vcc, s38, v0
	s_and_saveexec_b64 s[0:1], vcc
	s_cbranch_execnz .LBB32_55
.LBB32_38:
	s_or_b64 exec, exec, s[0:1]
	v_cmp_gt_i32_e32 vcc, s38, v0
	s_and_saveexec_b64 s[0:1], vcc
	s_cbranch_execnz .LBB32_56
.LBB32_39:
	s_or_b64 exec, exec, s[0:1]
	v_cmp_gt_i32_e32 vcc, s38, v0
	s_and_saveexec_b64 s[0:1], vcc
	s_cbranch_execnz .LBB32_57
.LBB32_40:
	s_or_b64 exec, exec, s[0:1]
	v_cmp_gt_i32_e32 vcc, s38, v0
	s_and_saveexec_b64 s[0:1], vcc
	s_cbranch_execnz .LBB32_58
.LBB32_41:
	s_or_b64 exec, exec, s[0:1]
	v_cmp_gt_i32_e32 vcc, s38, v0
	s_and_saveexec_b64 s[0:1], vcc
	s_cbranch_execnz .LBB32_59
.LBB32_42:
	s_or_b64 exec, exec, s[0:1]
	v_cmp_gt_i32_e32 vcc, s38, v0
	s_and_saveexec_b64 s[0:1], vcc
	s_cbranch_execnz .LBB32_60
.LBB32_43:
	s_or_b64 exec, exec, s[0:1]
	v_cmp_gt_i32_e32 vcc, s38, v0
	s_and_saveexec_b64 s[0:1], vcc
	s_cbranch_execnz .LBB32_61
.LBB32_44:
	s_or_b64 exec, exec, s[0:1]
	v_cmp_gt_i32_e32 vcc, s38, v0
	s_and_saveexec_b64 s[0:1], vcc
	s_cbranch_execnz .LBB32_62
.LBB32_45:
	s_or_b64 exec, exec, s[0:1]
	v_cmp_gt_i32_e32 vcc, s38, v0
	s_and_saveexec_b64 s[0:1], vcc
	s_cbranch_execnz .LBB32_63
.LBB32_46:
	s_or_b64 exec, exec, s[0:1]
	v_cmp_gt_i32_e32 vcc, s38, v0
	s_and_saveexec_b64 s[0:1], vcc
	s_cbranch_execnz .LBB32_64
.LBB32_47:
	s_or_b64 exec, exec, s[0:1]
	v_cmp_gt_i32_e32 vcc, s38, v0
	s_and_saveexec_b64 s[0:1], vcc
	s_cbranch_execnz .LBB32_65
.LBB32_48:
	s_or_b64 exec, exec, s[0:1]
	v_cmp_gt_i32_e32 vcc, s38, v0
	s_and_saveexec_b64 s[0:1], vcc
	s_cbranch_execnz .LBB32_66
.LBB32_49:
	s_or_b64 exec, exec, s[0:1]
	v_cmp_gt_i32_e32 vcc, s38, v0
	s_and_saveexec_b64 s[0:1], vcc
	s_cbranch_execnz .LBB32_67
.LBB32_50:
	s_or_b64 exec, exec, s[0:1]
	v_cmp_gt_i32_e32 vcc, s38, v0
	s_and_saveexec_b64 s[0:1], vcc
	s_cbranch_execz .LBB32_52
.LBB32_51:
	v_lshrrev_b32_e32 v1, 24, v1
	v_add_u32_e32 v0, s33, v0
	global_store_byte v0, v1, s[8:9]
.LBB32_52:
	s_endpgm
.LBB32_53:
	v_mov_b32_e32 v0, v3
	global_store_byte v4, v8, s[8:9]
	s_or_b64 exec, exec, s[2:3]
	v_cmp_gt_i32_e32 vcc, s38, v0
	s_and_saveexec_b64 s[0:1], vcc
	s_cbranch_execz .LBB32_37
.LBB32_54:
	v_lshrrev_b32_e32 v3, 8, v8
	v_add_u32_e32 v4, s33, v0
	v_add_u32_e32 v0, 0x100, v0
	global_store_byte v4, v3, s[8:9]
	s_or_b64 exec, exec, s[0:1]
	v_cmp_gt_i32_e32 vcc, s38, v0
	s_and_saveexec_b64 s[0:1], vcc
	s_cbranch_execz .LBB32_38
.LBB32_55:
	v_add_u32_e32 v3, s33, v0
	v_add_u32_e32 v0, 0x100, v0
	global_store_byte_d16_hi v3, v8, s[8:9]
	s_or_b64 exec, exec, s[0:1]
	v_cmp_gt_i32_e32 vcc, s38, v0
	s_and_saveexec_b64 s[0:1], vcc
	s_cbranch_execz .LBB32_39
.LBB32_56:
	v_lshrrev_b32_e32 v3, 24, v8
	v_add_u32_e32 v4, s33, v0
	v_add_u32_e32 v0, 0x100, v0
	global_store_byte v4, v3, s[8:9]
	s_or_b64 exec, exec, s[0:1]
	v_cmp_gt_i32_e32 vcc, s38, v0
	s_and_saveexec_b64 s[0:1], vcc
	s_cbranch_execz .LBB32_40
.LBB32_57:
	v_add_u32_e32 v3, s33, v0
	v_add_u32_e32 v0, 0x100, v0
	global_store_byte v3, v7, s[8:9]
	s_or_b64 exec, exec, s[0:1]
	v_cmp_gt_i32_e32 vcc, s38, v0
	s_and_saveexec_b64 s[0:1], vcc
	s_cbranch_execz .LBB32_41
.LBB32_58:
	v_lshrrev_b32_e32 v3, 8, v7
	v_add_u32_e32 v4, s33, v0
	v_add_u32_e32 v0, 0x100, v0
	global_store_byte v4, v3, s[8:9]
	s_or_b64 exec, exec, s[0:1]
	v_cmp_gt_i32_e32 vcc, s38, v0
	s_and_saveexec_b64 s[0:1], vcc
	s_cbranch_execz .LBB32_42
.LBB32_59:
	v_add_u32_e32 v3, s33, v0
	v_add_u32_e32 v0, 0x100, v0
	global_store_byte_d16_hi v3, v7, s[8:9]
	s_or_b64 exec, exec, s[0:1]
	v_cmp_gt_i32_e32 vcc, s38, v0
	s_and_saveexec_b64 s[0:1], vcc
	s_cbranch_execz .LBB32_43
.LBB32_60:
	v_lshrrev_b32_e32 v3, 24, v7
	v_add_u32_e32 v4, s33, v0
	v_add_u32_e32 v0, 0x100, v0
	global_store_byte v4, v3, s[8:9]
	s_or_b64 exec, exec, s[0:1]
	v_cmp_gt_i32_e32 vcc, s38, v0
	s_and_saveexec_b64 s[0:1], vcc
	s_cbranch_execz .LBB32_44
.LBB32_61:
	v_add_u32_e32 v3, s33, v0
	v_add_u32_e32 v0, 0x100, v0
	global_store_byte v3, v2, s[8:9]
	s_or_b64 exec, exec, s[0:1]
	v_cmp_gt_i32_e32 vcc, s38, v0
	s_and_saveexec_b64 s[0:1], vcc
	s_cbranch_execz .LBB32_45
.LBB32_62:
	v_lshrrev_b32_e32 v3, 8, v2
	v_add_u32_e32 v4, s33, v0
	v_add_u32_e32 v0, 0x100, v0
	global_store_byte v4, v3, s[8:9]
	s_or_b64 exec, exec, s[0:1]
	v_cmp_gt_i32_e32 vcc, s38, v0
	s_and_saveexec_b64 s[0:1], vcc
	s_cbranch_execz .LBB32_46
.LBB32_63:
	v_add_u32_e32 v3, s33, v0
	v_add_u32_e32 v0, 0x100, v0
	global_store_byte_d16_hi v3, v2, s[8:9]
	s_or_b64 exec, exec, s[0:1]
	v_cmp_gt_i32_e32 vcc, s38, v0
	s_and_saveexec_b64 s[0:1], vcc
	s_cbranch_execz .LBB32_47
.LBB32_64:
	v_lshrrev_b32_e32 v2, 24, v2
	v_add_u32_e32 v3, s33, v0
	v_add_u32_e32 v0, 0x100, v0
	global_store_byte v3, v2, s[8:9]
	s_or_b64 exec, exec, s[0:1]
	v_cmp_gt_i32_e32 vcc, s38, v0
	s_and_saveexec_b64 s[0:1], vcc
	s_cbranch_execz .LBB32_48
.LBB32_65:
	v_add_u32_e32 v2, s33, v0
	v_add_u32_e32 v0, 0x100, v0
	global_store_byte v2, v1, s[8:9]
	s_or_b64 exec, exec, s[0:1]
	v_cmp_gt_i32_e32 vcc, s38, v0
	s_and_saveexec_b64 s[0:1], vcc
	s_cbranch_execz .LBB32_49
.LBB32_66:
	v_lshrrev_b32_e32 v2, 8, v1
	v_add_u32_e32 v3, s33, v0
	v_add_u32_e32 v0, 0x100, v0
	global_store_byte v3, v2, s[8:9]
	s_or_b64 exec, exec, s[0:1]
	v_cmp_gt_i32_e32 vcc, s38, v0
	s_and_saveexec_b64 s[0:1], vcc
	s_cbranch_execz .LBB32_50
.LBB32_67:
	v_add_u32_e32 v2, s33, v0
	v_add_u32_e32 v0, 0x100, v0
	global_store_byte_d16_hi v2, v1, s[8:9]
	s_or_b64 exec, exec, s[0:1]
	v_cmp_gt_i32_e32 vcc, s38, v0
	s_and_saveexec_b64 s[0:1], vcc
	s_cbranch_execnz .LBB32_51
	s_branch .LBB32_52
	.section	.rodata,"a",@progbits
	.p2align	6, 0x0
	.amdhsa_kernel _ZN2at6native29vectorized_elementwise_kernelILi16ENS0_13BUnaryFunctorIaaaZZZNS0_18lshift_kernel_cudaERNS_18TensorIteratorBaseEENKUlvE_clEvENKUlvE0_clEvEUlaaE_EESt5arrayIPcLm2EEEEviT0_T1_
		.amdhsa_group_segment_fixed_size 0
		.amdhsa_private_segment_fixed_size 0
		.amdhsa_kernarg_size 24
		.amdhsa_user_sgpr_count 6
		.amdhsa_user_sgpr_private_segment_buffer 1
		.amdhsa_user_sgpr_dispatch_ptr 0
		.amdhsa_user_sgpr_queue_ptr 0
		.amdhsa_user_sgpr_kernarg_segment_ptr 1
		.amdhsa_user_sgpr_dispatch_id 0
		.amdhsa_user_sgpr_flat_scratch_init 0
		.amdhsa_user_sgpr_private_segment_size 0
		.amdhsa_uses_dynamic_stack 0
		.amdhsa_system_sgpr_private_segment_wavefront_offset 0
		.amdhsa_system_sgpr_workgroup_id_x 1
		.amdhsa_system_sgpr_workgroup_id_y 0
		.amdhsa_system_sgpr_workgroup_id_z 0
		.amdhsa_system_sgpr_workgroup_info 0
		.amdhsa_system_vgpr_workitem_id 0
		.amdhsa_next_free_vgpr 22
		.amdhsa_next_free_sgpr 41
		.amdhsa_reserve_vcc 1
		.amdhsa_reserve_flat_scratch 0
		.amdhsa_float_round_mode_32 0
		.amdhsa_float_round_mode_16_64 0
		.amdhsa_float_denorm_mode_32 3
		.amdhsa_float_denorm_mode_16_64 3
		.amdhsa_dx10_clamp 1
		.amdhsa_ieee_mode 1
		.amdhsa_fp16_overflow 0
		.amdhsa_exception_fp_ieee_invalid_op 0
		.amdhsa_exception_fp_denorm_src 0
		.amdhsa_exception_fp_ieee_div_zero 0
		.amdhsa_exception_fp_ieee_overflow 0
		.amdhsa_exception_fp_ieee_underflow 0
		.amdhsa_exception_fp_ieee_inexact 0
		.amdhsa_exception_int_div_zero 0
	.end_amdhsa_kernel
	.section	.text._ZN2at6native29vectorized_elementwise_kernelILi16ENS0_13BUnaryFunctorIaaaZZZNS0_18lshift_kernel_cudaERNS_18TensorIteratorBaseEENKUlvE_clEvENKUlvE0_clEvEUlaaE_EESt5arrayIPcLm2EEEEviT0_T1_,"axG",@progbits,_ZN2at6native29vectorized_elementwise_kernelILi16ENS0_13BUnaryFunctorIaaaZZZNS0_18lshift_kernel_cudaERNS_18TensorIteratorBaseEENKUlvE_clEvENKUlvE0_clEvEUlaaE_EESt5arrayIPcLm2EEEEviT0_T1_,comdat
.Lfunc_end32:
	.size	_ZN2at6native29vectorized_elementwise_kernelILi16ENS0_13BUnaryFunctorIaaaZZZNS0_18lshift_kernel_cudaERNS_18TensorIteratorBaseEENKUlvE_clEvENKUlvE0_clEvEUlaaE_EESt5arrayIPcLm2EEEEviT0_T1_, .Lfunc_end32-_ZN2at6native29vectorized_elementwise_kernelILi16ENS0_13BUnaryFunctorIaaaZZZNS0_18lshift_kernel_cudaERNS_18TensorIteratorBaseEENKUlvE_clEvENKUlvE0_clEvEUlaaE_EESt5arrayIPcLm2EEEEviT0_T1_
                                        ; -- End function
	.set _ZN2at6native29vectorized_elementwise_kernelILi16ENS0_13BUnaryFunctorIaaaZZZNS0_18lshift_kernel_cudaERNS_18TensorIteratorBaseEENKUlvE_clEvENKUlvE0_clEvEUlaaE_EESt5arrayIPcLm2EEEEviT0_T1_.num_vgpr, 22
	.set _ZN2at6native29vectorized_elementwise_kernelILi16ENS0_13BUnaryFunctorIaaaZZZNS0_18lshift_kernel_cudaERNS_18TensorIteratorBaseEENKUlvE_clEvENKUlvE0_clEvEUlaaE_EESt5arrayIPcLm2EEEEviT0_T1_.num_agpr, 0
	.set _ZN2at6native29vectorized_elementwise_kernelILi16ENS0_13BUnaryFunctorIaaaZZZNS0_18lshift_kernel_cudaERNS_18TensorIteratorBaseEENKUlvE_clEvENKUlvE0_clEvEUlaaE_EESt5arrayIPcLm2EEEEviT0_T1_.numbered_sgpr, 41
	.set _ZN2at6native29vectorized_elementwise_kernelILi16ENS0_13BUnaryFunctorIaaaZZZNS0_18lshift_kernel_cudaERNS_18TensorIteratorBaseEENKUlvE_clEvENKUlvE0_clEvEUlaaE_EESt5arrayIPcLm2EEEEviT0_T1_.num_named_barrier, 0
	.set _ZN2at6native29vectorized_elementwise_kernelILi16ENS0_13BUnaryFunctorIaaaZZZNS0_18lshift_kernel_cudaERNS_18TensorIteratorBaseEENKUlvE_clEvENKUlvE0_clEvEUlaaE_EESt5arrayIPcLm2EEEEviT0_T1_.private_seg_size, 0
	.set _ZN2at6native29vectorized_elementwise_kernelILi16ENS0_13BUnaryFunctorIaaaZZZNS0_18lshift_kernel_cudaERNS_18TensorIteratorBaseEENKUlvE_clEvENKUlvE0_clEvEUlaaE_EESt5arrayIPcLm2EEEEviT0_T1_.uses_vcc, 1
	.set _ZN2at6native29vectorized_elementwise_kernelILi16ENS0_13BUnaryFunctorIaaaZZZNS0_18lshift_kernel_cudaERNS_18TensorIteratorBaseEENKUlvE_clEvENKUlvE0_clEvEUlaaE_EESt5arrayIPcLm2EEEEviT0_T1_.uses_flat_scratch, 0
	.set _ZN2at6native29vectorized_elementwise_kernelILi16ENS0_13BUnaryFunctorIaaaZZZNS0_18lshift_kernel_cudaERNS_18TensorIteratorBaseEENKUlvE_clEvENKUlvE0_clEvEUlaaE_EESt5arrayIPcLm2EEEEviT0_T1_.has_dyn_sized_stack, 0
	.set _ZN2at6native29vectorized_elementwise_kernelILi16ENS0_13BUnaryFunctorIaaaZZZNS0_18lshift_kernel_cudaERNS_18TensorIteratorBaseEENKUlvE_clEvENKUlvE0_clEvEUlaaE_EESt5arrayIPcLm2EEEEviT0_T1_.has_recursion, 0
	.set _ZN2at6native29vectorized_elementwise_kernelILi16ENS0_13BUnaryFunctorIaaaZZZNS0_18lshift_kernel_cudaERNS_18TensorIteratorBaseEENKUlvE_clEvENKUlvE0_clEvEUlaaE_EESt5arrayIPcLm2EEEEviT0_T1_.has_indirect_call, 0
	.section	.AMDGPU.csdata,"",@progbits
; Kernel info:
; codeLenInByte = 3180
; TotalNumSgprs: 45
; NumVgprs: 22
; ScratchSize: 0
; MemoryBound: 0
; FloatMode: 240
; IeeeMode: 1
; LDSByteSize: 0 bytes/workgroup (compile time only)
; SGPRBlocks: 5
; VGPRBlocks: 5
; NumSGPRsForWavesPerEU: 45
; NumVGPRsForWavesPerEU: 22
; Occupancy: 10
; WaveLimiterHint : 0
; COMPUTE_PGM_RSRC2:SCRATCH_EN: 0
; COMPUTE_PGM_RSRC2:USER_SGPR: 6
; COMPUTE_PGM_RSRC2:TRAP_HANDLER: 0
; COMPUTE_PGM_RSRC2:TGID_X_EN: 1
; COMPUTE_PGM_RSRC2:TGID_Y_EN: 0
; COMPUTE_PGM_RSRC2:TGID_Z_EN: 0
; COMPUTE_PGM_RSRC2:TIDIG_COMP_CNT: 0
	.section	.text._ZN2at6native29vectorized_elementwise_kernelILi8ENS0_13BUnaryFunctorIaaaZZZNS0_18lshift_kernel_cudaERNS_18TensorIteratorBaseEENKUlvE_clEvENKUlvE0_clEvEUlaaE_EESt5arrayIPcLm2EEEEviT0_T1_,"axG",@progbits,_ZN2at6native29vectorized_elementwise_kernelILi8ENS0_13BUnaryFunctorIaaaZZZNS0_18lshift_kernel_cudaERNS_18TensorIteratorBaseEENKUlvE_clEvENKUlvE0_clEvEUlaaE_EESt5arrayIPcLm2EEEEviT0_T1_,comdat
	.globl	_ZN2at6native29vectorized_elementwise_kernelILi8ENS0_13BUnaryFunctorIaaaZZZNS0_18lshift_kernel_cudaERNS_18TensorIteratorBaseEENKUlvE_clEvENKUlvE0_clEvEUlaaE_EESt5arrayIPcLm2EEEEviT0_T1_ ; -- Begin function _ZN2at6native29vectorized_elementwise_kernelILi8ENS0_13BUnaryFunctorIaaaZZZNS0_18lshift_kernel_cudaERNS_18TensorIteratorBaseEENKUlvE_clEvENKUlvE0_clEvEUlaaE_EESt5arrayIPcLm2EEEEviT0_T1_
	.p2align	8
	.type	_ZN2at6native29vectorized_elementwise_kernelILi8ENS0_13BUnaryFunctorIaaaZZZNS0_18lshift_kernel_cudaERNS_18TensorIteratorBaseEENKUlvE_clEvENKUlvE0_clEvEUlaaE_EESt5arrayIPcLm2EEEEviT0_T1_,@function
_ZN2at6native29vectorized_elementwise_kernelILi8ENS0_13BUnaryFunctorIaaaZZZNS0_18lshift_kernel_cudaERNS_18TensorIteratorBaseEENKUlvE_clEvENKUlvE0_clEvEUlaaE_EESt5arrayIPcLm2EEEEviT0_T1_: ; @_ZN2at6native29vectorized_elementwise_kernelILi8ENS0_13BUnaryFunctorIaaaZZZNS0_18lshift_kernel_cudaERNS_18TensorIteratorBaseEENKUlvE_clEvENKUlvE0_clEvEUlaaE_EESt5arrayIPcLm2EEEEviT0_T1_
; %bb.0:
	v_mov_b32_e32 v1, 0
	global_load_ushort v1, v1, s[4:5] offset:4
	s_load_dword s0, s[4:5], 0x0
	s_load_dwordx4 s[8:11], s[4:5], 0x8
	s_lshl_b32 s33, s6, 12
	s_waitcnt lgkmcnt(0)
	s_sub_i32 s38, s0, s33
	s_waitcnt vmcnt(0)
	v_readfirstlane_b32 s1, v1
	s_and_b32 s40, 0xffff, s1
	s_lshr_b32 s39, s40, 8
	s_cmpk_gt_i32 s38, 0xfff
	s_mov_b64 s[0:1], -1
	s_cbranch_scc0 .LBB33_2
; %bb.1:
	s_ashr_i32 s2, s33, 31
	s_add_u32 s0, s10, s33
	s_addc_u32 s1, s11, s2
	v_lshlrev_b32_e32 v5, 3, v0
	global_load_dwordx2 v[1:2], v5, s[0:1]
	global_load_dwordx2 v[3:4], v5, s[0:1] offset:2048
	s_cmpk_lt_u32 s40, 0x800
	s_cselect_b64 vcc, -1, 0
	s_and_b32 s3, 0xffff, s39
	s_add_u32 s0, s8, s33
	s_addc_u32 s1, s9, s2
	s_waitcnt vmcnt(1)
	v_lshrrev_b32_e32 v7, 8, v1
	v_lshlrev_b32_e32 v9, s3, v2
	v_lshrrev_b32_e32 v10, 8, v2
	v_lshlrev_b32_sdwa v11, s3, v2 dst_sel:DWORD dst_unused:UNUSED_PAD src0_sel:DWORD src1_sel:WORD_1
	v_lshlrev_b32_sdwa v2, s3, v2 dst_sel:DWORD dst_unused:UNUSED_PAD src0_sel:DWORD src1_sel:BYTE_3
	s_waitcnt vmcnt(0)
	v_lshrrev_b32_e32 v13, 8, v3
	v_lshrrev_b32_e32 v16, 8, v4
	v_lshlrev_b32_e32 v6, s3, v1
	v_lshlrev_b32_sdwa v8, s3, v1 dst_sel:DWORD dst_unused:UNUSED_PAD src0_sel:DWORD src1_sel:WORD_1
	v_lshlrev_b32_sdwa v1, s3, v1 dst_sel:DWORD dst_unused:UNUSED_PAD src0_sel:DWORD src1_sel:BYTE_3
	v_lshlrev_b32_e32 v12, s3, v3
	v_lshlrev_b32_sdwa v14, s3, v3 dst_sel:DWORD dst_unused:UNUSED_PAD src0_sel:DWORD src1_sel:WORD_1
	v_lshlrev_b32_sdwa v3, s3, v3 dst_sel:DWORD dst_unused:UNUSED_PAD src0_sel:DWORD src1_sel:BYTE_3
	;; [unrolled: 3-line block ×3, first 2 shown]
	v_lshlrev_b32_e32 v7, s3, v7
	v_lshlrev_b32_e32 v10, s3, v10
	v_cndmask_b32_e32 v2, 0, v2, vcc
	v_lshlrev_b32_e32 v13, s3, v13
	v_lshlrev_b32_e32 v16, s3, v16
	v_cndmask_b32_e32 v1, 0, v1, vcc
	v_cndmask_b32_e32 v11, 0, v11, vcc
	;; [unrolled: 1-line block ×8, first 2 shown]
	v_lshlrev_b16_e32 v2, 8, v2
	v_cndmask_b32_e32 v6, 0, v6, vcc
	v_cndmask_b32_e32 v8, 0, v8, vcc
	;; [unrolled: 1-line block ×7, first 2 shown]
	v_lshlrev_b16_e32 v4, 8, v4
	v_lshlrev_b16_e32 v3, 8, v3
	;; [unrolled: 1-line block ×6, first 2 shown]
	v_or_b32_sdwa v11, v11, v2 dst_sel:WORD_1 dst_unused:UNUSED_PAD src0_sel:BYTE_0 src1_sel:DWORD
	v_lshlrev_b16_e32 v2, 8, v7
	v_or_b32_sdwa v4, v17, v4 dst_sel:WORD_1 dst_unused:UNUSED_PAD src0_sel:BYTE_0 src1_sel:DWORD
	v_or_b32_sdwa v3, v14, v3 dst_sel:WORD_1 dst_unused:UNUSED_PAD src0_sel:BYTE_0 src1_sel:DWORD
	;; [unrolled: 1-line block ×3, first 2 shown]
	v_or_b32_sdwa v1, v15, v16 dst_sel:DWORD dst_unused:UNUSED_PAD src0_sel:BYTE_0 src1_sel:DWORD
	v_or_b32_sdwa v8, v12, v13 dst_sel:DWORD dst_unused:UNUSED_PAD src0_sel:BYTE_0 src1_sel:DWORD
	;; [unrolled: 1-line block ×4, first 2 shown]
	v_or_b32_sdwa v2, v1, v4 dst_sel:DWORD dst_unused:UNUSED_PAD src0_sel:WORD_0 src1_sel:DWORD
	v_or_b32_sdwa v1, v8, v3 dst_sel:DWORD dst_unused:UNUSED_PAD src0_sel:WORD_0 src1_sel:DWORD
	;; [unrolled: 1-line block ×4, first 2 shown]
	global_store_dwordx2 v5, v[3:4], s[0:1]
	global_store_dwordx2 v5, v[1:2], s[0:1] offset:2048
	s_mov_b64 s[0:1], 0
.LBB33_2:
	s_andn2_b64 vcc, exec, s[0:1]
	s_cbranch_vccnz .LBB33_52
; %bb.3:
	v_cmp_gt_i32_e64 s[0:1], s38, v0
	v_or_b32_e32 v3, 0x100, v0
	v_mov_b32_e32 v21, 0
	v_mov_b32_e32 v5, 0
	v_or_b32_e32 v4, s33, v0
	v_mov_b32_e32 v6, 0
	v_mov_b32_e32 v20, 0
	;; [unrolled: 1-line block ×15, first 2 shown]
	s_and_saveexec_b64 s[2:3], s[0:1]
	s_cbranch_execz .LBB33_35
; %bb.4:
	global_load_ubyte v7, v4, s[10:11]
	v_cmp_gt_u32_e32 vcc, s38, v3
	v_mov_b32_e32 v6, 0
	v_mov_b32_e32 v8, 0
	;; [unrolled: 1-line block ×15, first 2 shown]
	s_and_saveexec_b64 s[4:5], vcc
	s_cbranch_execz .LBB33_34
; %bb.5:
	v_add_u32_e32 v1, s33, v0
	global_load_ubyte v8, v1, s[10:11] offset:256
	v_or_b32_e32 v2, 0x200, v0
	v_mov_b32_e32 v10, 0
	v_cmp_gt_u32_e32 vcc, s38, v2
	v_mov_b32_e32 v9, 0
	v_mov_b32_e32 v11, 0
	v_mov_b32_e32 v13, 0
	v_mov_b32_e32 v12, 0
	v_mov_b32_e32 v14, 0
	v_mov_b32_e32 v15, 0
	v_mov_b32_e32 v16, 0
	v_mov_b32_e32 v17, 0
	v_mov_b32_e32 v18, 0
	v_mov_b32_e32 v19, 0
	v_mov_b32_e32 v20, 0
	v_mov_b32_e32 v21, 0
	v_mov_b32_e32 v6, 0
	s_and_saveexec_b64 s[6:7], vcc
	s_cbranch_execz .LBB33_33
; %bb.6:
	v_mov_b32_e32 v2, s11
	v_add_co_u32_e32 v1, vcc, s10, v1
	v_addc_co_u32_e32 v2, vcc, 0, v2, vcc
	global_load_ubyte v10, v[1:2], off offset:512
	v_or_b32_e32 v6, 0x300, v0
	v_cmp_gt_u32_e32 vcc, s38, v6
	v_mov_b32_e32 v6, 0
	v_mov_b32_e32 v9, 0
	;; [unrolled: 1-line block ×13, first 2 shown]
	s_and_saveexec_b64 s[10:11], vcc
	s_cbranch_execz .LBB33_32
; %bb.7:
	global_load_ubyte v9, v[1:2], off offset:768
	v_or_b32_e32 v6, 0x400, v0
	v_cmp_gt_u32_e32 vcc, s38, v6
	v_mov_b32_e32 v6, 0
	v_mov_b32_e32 v11, 0
	;; [unrolled: 1-line block ×12, first 2 shown]
	s_and_saveexec_b64 s[12:13], vcc
	s_cbranch_execz .LBB33_31
; %bb.8:
	global_load_ubyte v11, v[1:2], off offset:1024
	v_or_b32_e32 v6, 0x500, v0
	v_cmp_gt_u32_e32 vcc, s38, v6
	v_mov_b32_e32 v6, 0
	v_mov_b32_e32 v13, 0
	;; [unrolled: 1-line block ×11, first 2 shown]
	s_and_saveexec_b64 s[14:15], vcc
	s_cbranch_execz .LBB33_30
; %bb.9:
	global_load_ubyte v13, v[1:2], off offset:1280
	v_or_b32_e32 v6, 0x600, v0
	v_cmp_gt_u32_e32 vcc, s38, v6
	v_mov_b32_e32 v6, 0
	v_mov_b32_e32 v12, 0
	;; [unrolled: 1-line block ×10, first 2 shown]
	s_and_saveexec_b64 s[16:17], vcc
	s_cbranch_execz .LBB33_29
; %bb.10:
	global_load_ubyte v12, v[1:2], off offset:1536
	v_or_b32_e32 v6, 0x700, v0
	v_cmp_gt_u32_e32 vcc, s38, v6
	v_mov_b32_e32 v6, 0
	v_mov_b32_e32 v14, 0
	;; [unrolled: 1-line block ×9, first 2 shown]
	s_and_saveexec_b64 s[18:19], vcc
	s_cbranch_execz .LBB33_28
; %bb.11:
	global_load_ubyte v14, v[1:2], off offset:1792
	v_or_b32_e32 v6, 0x800, v0
	v_cmp_gt_u32_e32 vcc, s38, v6
	v_mov_b32_e32 v6, 0
	v_mov_b32_e32 v15, 0
	;; [unrolled: 1-line block ×8, first 2 shown]
	s_and_saveexec_b64 s[20:21], vcc
	s_cbranch_execz .LBB33_27
; %bb.12:
	global_load_ubyte v15, v[1:2], off offset:2048
	v_or_b32_e32 v6, 0x900, v0
	v_cmp_gt_u32_e32 vcc, s38, v6
	v_mov_b32_e32 v6, 0
	v_mov_b32_e32 v16, 0
	;; [unrolled: 1-line block ×7, first 2 shown]
	s_and_saveexec_b64 s[22:23], vcc
	s_cbranch_execz .LBB33_26
; %bb.13:
	global_load_ubyte v16, v[1:2], off offset:2304
	v_or_b32_e32 v6, 0xa00, v0
	v_cmp_gt_u32_e32 vcc, s38, v6
	v_mov_b32_e32 v6, 0
	v_mov_b32_e32 v17, 0
	;; [unrolled: 1-line block ×6, first 2 shown]
	s_and_saveexec_b64 s[24:25], vcc
	s_cbranch_execz .LBB33_25
; %bb.14:
	global_load_ubyte v17, v[1:2], off offset:2560
	v_or_b32_e32 v6, 0xb00, v0
	v_cmp_gt_u32_e32 vcc, s38, v6
	v_mov_b32_e32 v6, 0
	v_mov_b32_e32 v18, 0
	v_mov_b32_e32 v19, 0
	v_mov_b32_e32 v20, 0
	v_mov_b32_e32 v21, 0
	s_and_saveexec_b64 s[26:27], vcc
	s_cbranch_execz .LBB33_24
; %bb.15:
	global_load_ubyte v18, v[1:2], off offset:2816
	v_or_b32_e32 v6, 0xc00, v0
	v_cmp_gt_u32_e32 vcc, s38, v6
	v_mov_b32_e32 v6, 0
	v_mov_b32_e32 v19, 0
	;; [unrolled: 1-line block ×4, first 2 shown]
	s_and_saveexec_b64 s[28:29], vcc
	s_cbranch_execz .LBB33_23
; %bb.16:
	global_load_ubyte v19, v[1:2], off offset:3072
	v_or_b32_e32 v6, 0xd00, v0
	v_cmp_gt_u32_e32 vcc, s38, v6
	v_mov_b32_e32 v6, 0
	v_mov_b32_e32 v20, 0
	;; [unrolled: 1-line block ×3, first 2 shown]
	s_and_saveexec_b64 s[30:31], vcc
	s_cbranch_execz .LBB33_22
; %bb.17:
	global_load_ubyte v20, v[1:2], off offset:3328
	v_or_b32_e32 v6, 0xe00, v0
	v_cmp_gt_u32_e32 vcc, s38, v6
	v_mov_b32_e32 v6, 0
	v_mov_b32_e32 v21, 0
	s_and_saveexec_b64 s[34:35], vcc
	s_cbranch_execz .LBB33_21
; %bb.18:
	global_load_ubyte v21, v[1:2], off offset:3584
	v_or_b32_e32 v6, 0xf00, v0
	v_cmp_gt_u32_e32 vcc, s38, v6
	v_mov_b32_e32 v6, 0
	s_and_saveexec_b64 s[36:37], vcc
	s_cbranch_execz .LBB33_20
; %bb.19:
	global_load_ubyte v6, v[1:2], off offset:3840
.LBB33_20:
	s_or_b64 exec, exec, s[36:37]
.LBB33_21:
	s_or_b64 exec, exec, s[34:35]
.LBB33_22:
	s_or_b64 exec, exec, s[30:31]
.LBB33_23:
	s_or_b64 exec, exec, s[28:29]
.LBB33_24:
	s_or_b64 exec, exec, s[26:27]
.LBB33_25:
	s_or_b64 exec, exec, s[24:25]
.LBB33_26:
	s_or_b64 exec, exec, s[22:23]
.LBB33_27:
	s_or_b64 exec, exec, s[20:21]
.LBB33_28:
	s_or_b64 exec, exec, s[18:19]
.LBB33_29:
	s_or_b64 exec, exec, s[16:17]
.LBB33_30:
	s_or_b64 exec, exec, s[14:15]
.LBB33_31:
	s_or_b64 exec, exec, s[12:13]
.LBB33_32:
	s_or_b64 exec, exec, s[10:11]
.LBB33_33:
	s_or_b64 exec, exec, s[6:7]
.LBB33_34:
	s_or_b64 exec, exec, s[4:5]
.LBB33_35:
	s_or_b64 exec, exec, s[2:3]
	s_cmpk_lt_u32 s40, 0x800
	s_cselect_b64 vcc, -1, 0
	s_and_b32 s5, 0xffff, s39
	s_waitcnt vmcnt(0)
	v_lshlrev_b32_e32 v1, s5, v7
	s_mov_b32 s4, 0xffff
	v_cndmask_b32_e32 v1, 0, v1, vcc
	v_lshlrev_b32_e32 v2, s5, v8
	v_and_b32_sdwa v1, s4, v1 dst_sel:DWORD dst_unused:UNUSED_PAD src0_sel:DWORD src1_sel:BYTE_0
	v_cndmask_b32_e32 v2, 0, v2, vcc
	v_cndmask_b32_e64 v1, 0, v1, s[0:1]
	v_lshlrev_b16_e32 v2, 8, v2
	v_or_b32_e32 v2, v1, v2
	v_and_b32_e32 v2, 0xffff, v2
	v_cmp_gt_i32_e64 s[2:3], s38, v3
	v_lshlrev_b32_e32 v7, s5, v10
	v_cndmask_b32_e64 v1, v1, v2, s[2:3]
	v_cndmask_b32_e32 v7, 0, v7, vcc
	s_mov_b32 s7, 0xc0c0304
	v_or_b32_e32 v2, 0x200, v0
	v_perm_b32 v7, v7, v1, s7
	v_lshl_or_b32 v7, v7, 16, v1
	v_cmp_gt_i32_e64 s[2:3], s38, v2
	v_lshlrev_b32_e32 v8, s5, v9
	s_movk_i32 s6, 0xff
	v_cndmask_b32_e64 v1, v1, v7, s[2:3]
	v_cndmask_b32_e32 v8, 0, v8, vcc
	v_and_b32_sdwa v2, v1, s6 dst_sel:DWORD dst_unused:UNUSED_PAD src0_sel:WORD_1 src1_sel:DWORD
	v_lshlrev_b16_e32 v8, 8, v8
	v_or_b32_e32 v7, 0x300, v0
	v_or_b32_sdwa v2, v2, v8 dst_sel:WORD_1 dst_unused:UNUSED_PAD src0_sel:DWORD src1_sel:DWORD
	v_and_or_b32 v2, v1, s4, v2
	v_cmp_gt_i32_e64 s[2:3], s38, v7
	v_cndmask_b32_e64 v8, v1, v2, s[2:3]
	v_lshlrev_b32_e32 v1, s5, v11
	v_or_b32_e32 v2, 0x400, v0
	v_cndmask_b32_e32 v1, 0, v1, vcc
	s_mov_b32 s10, 0x3020104
	v_cmp_gt_i32_e64 s[2:3], s38, v2
	v_lshlrev_b32_e32 v2, s5, v13
	v_perm_b32 v1, v1, 0, s10
	v_cndmask_b32_e32 v2, 0, v2, vcc
	v_cndmask_b32_e64 v1, 0, v1, s[2:3]
	v_lshlrev_b16_e32 v2, 8, v2
	v_or_b32_sdwa v2, v1, v2 dst_sel:DWORD dst_unused:UNUSED_PAD src0_sel:BYTE_0 src1_sel:DWORD
	v_and_b32_e32 v2, 0xffff, v2
	s_mov_b32 s11, 0xffff0000
	v_or_b32_e32 v7, 0x500, v0
	v_and_or_b32 v2, v1, s11, v2
	v_cmp_gt_i32_e64 s[2:3], s38, v7
	v_lshlrev_b32_e32 v7, s5, v12
	v_cndmask_b32_e64 v1, v1, v2, s[2:3]
	v_or_b32_e32 v2, 0x600, v0
	v_cndmask_b32_e32 v7, 0, v7, vcc
	s_mov_b32 s12, 0x7000504
	v_perm_b32 v7, v1, v7, s12
	v_cmp_gt_i32_e64 s[2:3], s38, v2
	v_lshlrev_b32_e32 v9, s5, v14
	v_cndmask_b32_e64 v1, v1, v7, s[2:3]
	v_cndmask_b32_e32 v9, 0, v9, vcc
	v_and_b32_sdwa v2, v1, s6 dst_sel:DWORD dst_unused:UNUSED_PAD src0_sel:WORD_1 src1_sel:DWORD
	v_lshlrev_b16_e32 v9, 8, v9
	v_or_b32_e32 v7, 0x700, v0
	v_or_b32_sdwa v2, v2, v9 dst_sel:WORD_1 dst_unused:UNUSED_PAD src0_sel:DWORD src1_sel:DWORD
	v_and_or_b32 v2, v1, s4, v2
	v_cmp_gt_i32_e64 s[2:3], s38, v7
	v_cndmask_b32_e64 v7, v1, v2, s[2:3]
	v_lshlrev_b32_e32 v2, s5, v15
	v_or_b32_e32 v1, 0x800, v0
	v_cndmask_b32_e32 v2, 0, v2, vcc
	v_lshlrev_b32_e32 v9, s5, v16
	v_and_b32_sdwa v2, s4, v2 dst_sel:DWORD dst_unused:UNUSED_PAD src0_sel:DWORD src1_sel:BYTE_0
	v_cmp_gt_i32_e64 s[2:3], s38, v1
	v_cndmask_b32_e32 v9, 0, v9, vcc
	v_cndmask_b32_e64 v1, 0, v2, s[2:3]
	v_lshlrev_b16_e32 v9, 8, v9
	v_or_b32_e32 v2, 0x900, v0
	v_or_b32_e32 v9, v1, v9
	v_and_b32_e32 v9, 0xffff, v9
	v_cmp_gt_i32_e64 s[2:3], s38, v2
	v_cndmask_b32_e64 v1, v1, v9, s[2:3]
	v_lshlrev_b32_e32 v9, s5, v17
	v_cndmask_b32_e32 v9, 0, v9, vcc
	v_or_b32_e32 v2, 0xa00, v0
	v_perm_b32 v9, v9, v1, s7
	v_lshl_or_b32 v9, v9, 16, v1
	v_cmp_gt_i32_e64 s[2:3], s38, v2
	v_lshlrev_b32_e32 v10, s5, v18
	v_cndmask_b32_e64 v1, v1, v9, s[2:3]
	v_cndmask_b32_e32 v10, 0, v10, vcc
	v_and_b32_sdwa v2, v1, s6 dst_sel:DWORD dst_unused:UNUSED_PAD src0_sel:WORD_1 src1_sel:DWORD
	v_lshlrev_b16_e32 v10, 8, v10
	v_or_b32_e32 v9, 0xb00, v0
	v_or_b32_sdwa v2, v2, v10 dst_sel:WORD_1 dst_unused:UNUSED_PAD src0_sel:DWORD src1_sel:DWORD
	v_and_or_b32 v2, v1, s4, v2
	v_cmp_gt_i32_e64 s[2:3], s38, v9
	v_cndmask_b32_e64 v2, v1, v2, s[2:3]
	v_lshlrev_b32_e32 v1, s5, v19
	v_or_b32_e32 v9, 0xc00, v0
	v_cndmask_b32_e32 v1, 0, v1, vcc
	v_cmp_gt_i32_e64 s[2:3], s38, v9
	v_lshlrev_b32_e32 v9, s5, v20
	v_perm_b32 v1, v1, 0, s10
	v_cndmask_b32_e32 v9, 0, v9, vcc
	v_cndmask_b32_e64 v1, 0, v1, s[2:3]
	v_lshlrev_b16_e32 v9, 8, v9
	v_or_b32_sdwa v9, v1, v9 dst_sel:DWORD dst_unused:UNUSED_PAD src0_sel:BYTE_0 src1_sel:DWORD
	v_and_b32_e32 v9, 0xffff, v9
	v_or_b32_e32 v10, 0xd00, v0
	v_and_or_b32 v9, v1, s11, v9
	v_cmp_gt_i32_e64 s[2:3], s38, v10
	v_lshlrev_b32_e32 v10, s5, v21
	v_cndmask_b32_e64 v1, v1, v9, s[2:3]
	v_or_b32_e32 v9, 0xe00, v0
	v_cndmask_b32_e32 v10, 0, v10, vcc
	v_perm_b32 v10, v1, v10, s12
	v_cmp_gt_i32_e64 s[2:3], s38, v9
	v_cndmask_b32_e64 v1, v1, v10, s[2:3]
	v_lshlrev_b32_e32 v6, s5, v6
	v_and_b32_sdwa v9, v1, s6 dst_sel:DWORD dst_unused:UNUSED_PAD src0_sel:WORD_1 src1_sel:DWORD
	v_cndmask_b32_sdwa v5, v5, v6, vcc dst_sel:BYTE_1 dst_unused:UNUSED_PAD src0_sel:DWORD src1_sel:DWORD
	v_or_b32_e32 v10, 0xf00, v0
	v_or_b32_sdwa v5, v9, v5 dst_sel:WORD_1 dst_unused:UNUSED_PAD src0_sel:DWORD src1_sel:DWORD
	v_and_or_b32 v5, v1, s4, v5
	v_cmp_gt_i32_e32 vcc, s38, v10
	v_cndmask_b32_e32 v1, v1, v5, vcc
	s_and_saveexec_b64 s[2:3], s[0:1]
	s_cbranch_execnz .LBB33_53
; %bb.36:
	s_or_b64 exec, exec, s[2:3]
	v_cmp_gt_i32_e32 vcc, s38, v0
	s_and_saveexec_b64 s[0:1], vcc
	s_cbranch_execnz .LBB33_54
.LBB33_37:
	s_or_b64 exec, exec, s[0:1]
	v_cmp_gt_i32_e32 vcc, s38, v0
	s_and_saveexec_b64 s[0:1], vcc
	s_cbranch_execnz .LBB33_55
.LBB33_38:
	s_or_b64 exec, exec, s[0:1]
	v_cmp_gt_i32_e32 vcc, s38, v0
	s_and_saveexec_b64 s[0:1], vcc
	s_cbranch_execnz .LBB33_56
.LBB33_39:
	s_or_b64 exec, exec, s[0:1]
	v_cmp_gt_i32_e32 vcc, s38, v0
	s_and_saveexec_b64 s[0:1], vcc
	s_cbranch_execnz .LBB33_57
.LBB33_40:
	s_or_b64 exec, exec, s[0:1]
	v_cmp_gt_i32_e32 vcc, s38, v0
	s_and_saveexec_b64 s[0:1], vcc
	s_cbranch_execnz .LBB33_58
.LBB33_41:
	s_or_b64 exec, exec, s[0:1]
	v_cmp_gt_i32_e32 vcc, s38, v0
	s_and_saveexec_b64 s[0:1], vcc
	s_cbranch_execnz .LBB33_59
.LBB33_42:
	s_or_b64 exec, exec, s[0:1]
	v_cmp_gt_i32_e32 vcc, s38, v0
	s_and_saveexec_b64 s[0:1], vcc
	s_cbranch_execnz .LBB33_60
.LBB33_43:
	s_or_b64 exec, exec, s[0:1]
	v_cmp_gt_i32_e32 vcc, s38, v0
	s_and_saveexec_b64 s[0:1], vcc
	s_cbranch_execnz .LBB33_61
.LBB33_44:
	s_or_b64 exec, exec, s[0:1]
	v_cmp_gt_i32_e32 vcc, s38, v0
	s_and_saveexec_b64 s[0:1], vcc
	s_cbranch_execnz .LBB33_62
.LBB33_45:
	s_or_b64 exec, exec, s[0:1]
	v_cmp_gt_i32_e32 vcc, s38, v0
	s_and_saveexec_b64 s[0:1], vcc
	s_cbranch_execnz .LBB33_63
.LBB33_46:
	s_or_b64 exec, exec, s[0:1]
	v_cmp_gt_i32_e32 vcc, s38, v0
	s_and_saveexec_b64 s[0:1], vcc
	s_cbranch_execnz .LBB33_64
.LBB33_47:
	s_or_b64 exec, exec, s[0:1]
	v_cmp_gt_i32_e32 vcc, s38, v0
	s_and_saveexec_b64 s[0:1], vcc
	s_cbranch_execnz .LBB33_65
.LBB33_48:
	s_or_b64 exec, exec, s[0:1]
	v_cmp_gt_i32_e32 vcc, s38, v0
	s_and_saveexec_b64 s[0:1], vcc
	s_cbranch_execnz .LBB33_66
.LBB33_49:
	s_or_b64 exec, exec, s[0:1]
	v_cmp_gt_i32_e32 vcc, s38, v0
	s_and_saveexec_b64 s[0:1], vcc
	s_cbranch_execnz .LBB33_67
.LBB33_50:
	s_or_b64 exec, exec, s[0:1]
	v_cmp_gt_i32_e32 vcc, s38, v0
	s_and_saveexec_b64 s[0:1], vcc
	s_cbranch_execz .LBB33_52
.LBB33_51:
	v_lshrrev_b32_e32 v1, 24, v1
	v_add_u32_e32 v0, s33, v0
	global_store_byte v0, v1, s[8:9]
.LBB33_52:
	s_endpgm
.LBB33_53:
	v_mov_b32_e32 v0, v3
	global_store_byte v4, v8, s[8:9]
	s_or_b64 exec, exec, s[2:3]
	v_cmp_gt_i32_e32 vcc, s38, v0
	s_and_saveexec_b64 s[0:1], vcc
	s_cbranch_execz .LBB33_37
.LBB33_54:
	v_lshrrev_b32_e32 v3, 8, v8
	v_add_u32_e32 v4, s33, v0
	v_add_u32_e32 v0, 0x100, v0
	global_store_byte v4, v3, s[8:9]
	s_or_b64 exec, exec, s[0:1]
	v_cmp_gt_i32_e32 vcc, s38, v0
	s_and_saveexec_b64 s[0:1], vcc
	s_cbranch_execz .LBB33_38
.LBB33_55:
	v_add_u32_e32 v3, s33, v0
	v_add_u32_e32 v0, 0x100, v0
	global_store_byte_d16_hi v3, v8, s[8:9]
	s_or_b64 exec, exec, s[0:1]
	v_cmp_gt_i32_e32 vcc, s38, v0
	s_and_saveexec_b64 s[0:1], vcc
	s_cbranch_execz .LBB33_39
.LBB33_56:
	v_lshrrev_b32_e32 v3, 24, v8
	v_add_u32_e32 v4, s33, v0
	v_add_u32_e32 v0, 0x100, v0
	global_store_byte v4, v3, s[8:9]
	s_or_b64 exec, exec, s[0:1]
	v_cmp_gt_i32_e32 vcc, s38, v0
	s_and_saveexec_b64 s[0:1], vcc
	s_cbranch_execz .LBB33_40
.LBB33_57:
	v_add_u32_e32 v3, s33, v0
	v_add_u32_e32 v0, 0x100, v0
	global_store_byte v3, v7, s[8:9]
	s_or_b64 exec, exec, s[0:1]
	v_cmp_gt_i32_e32 vcc, s38, v0
	s_and_saveexec_b64 s[0:1], vcc
	s_cbranch_execz .LBB33_41
.LBB33_58:
	v_lshrrev_b32_e32 v3, 8, v7
	v_add_u32_e32 v4, s33, v0
	v_add_u32_e32 v0, 0x100, v0
	global_store_byte v4, v3, s[8:9]
	s_or_b64 exec, exec, s[0:1]
	v_cmp_gt_i32_e32 vcc, s38, v0
	s_and_saveexec_b64 s[0:1], vcc
	s_cbranch_execz .LBB33_42
.LBB33_59:
	v_add_u32_e32 v3, s33, v0
	v_add_u32_e32 v0, 0x100, v0
	global_store_byte_d16_hi v3, v7, s[8:9]
	s_or_b64 exec, exec, s[0:1]
	v_cmp_gt_i32_e32 vcc, s38, v0
	s_and_saveexec_b64 s[0:1], vcc
	s_cbranch_execz .LBB33_43
.LBB33_60:
	v_lshrrev_b32_e32 v3, 24, v7
	v_add_u32_e32 v4, s33, v0
	v_add_u32_e32 v0, 0x100, v0
	global_store_byte v4, v3, s[8:9]
	s_or_b64 exec, exec, s[0:1]
	v_cmp_gt_i32_e32 vcc, s38, v0
	s_and_saveexec_b64 s[0:1], vcc
	s_cbranch_execz .LBB33_44
.LBB33_61:
	v_add_u32_e32 v3, s33, v0
	v_add_u32_e32 v0, 0x100, v0
	global_store_byte v3, v2, s[8:9]
	s_or_b64 exec, exec, s[0:1]
	v_cmp_gt_i32_e32 vcc, s38, v0
	s_and_saveexec_b64 s[0:1], vcc
	s_cbranch_execz .LBB33_45
.LBB33_62:
	v_lshrrev_b32_e32 v3, 8, v2
	v_add_u32_e32 v4, s33, v0
	v_add_u32_e32 v0, 0x100, v0
	global_store_byte v4, v3, s[8:9]
	s_or_b64 exec, exec, s[0:1]
	v_cmp_gt_i32_e32 vcc, s38, v0
	s_and_saveexec_b64 s[0:1], vcc
	s_cbranch_execz .LBB33_46
.LBB33_63:
	v_add_u32_e32 v3, s33, v0
	v_add_u32_e32 v0, 0x100, v0
	global_store_byte_d16_hi v3, v2, s[8:9]
	s_or_b64 exec, exec, s[0:1]
	v_cmp_gt_i32_e32 vcc, s38, v0
	s_and_saveexec_b64 s[0:1], vcc
	s_cbranch_execz .LBB33_47
.LBB33_64:
	v_lshrrev_b32_e32 v2, 24, v2
	v_add_u32_e32 v3, s33, v0
	v_add_u32_e32 v0, 0x100, v0
	global_store_byte v3, v2, s[8:9]
	s_or_b64 exec, exec, s[0:1]
	v_cmp_gt_i32_e32 vcc, s38, v0
	s_and_saveexec_b64 s[0:1], vcc
	s_cbranch_execz .LBB33_48
.LBB33_65:
	v_add_u32_e32 v2, s33, v0
	v_add_u32_e32 v0, 0x100, v0
	global_store_byte v2, v1, s[8:9]
	s_or_b64 exec, exec, s[0:1]
	v_cmp_gt_i32_e32 vcc, s38, v0
	s_and_saveexec_b64 s[0:1], vcc
	s_cbranch_execz .LBB33_49
.LBB33_66:
	v_lshrrev_b32_e32 v2, 8, v1
	v_add_u32_e32 v3, s33, v0
	v_add_u32_e32 v0, 0x100, v0
	global_store_byte v3, v2, s[8:9]
	s_or_b64 exec, exec, s[0:1]
	v_cmp_gt_i32_e32 vcc, s38, v0
	s_and_saveexec_b64 s[0:1], vcc
	s_cbranch_execz .LBB33_50
.LBB33_67:
	v_add_u32_e32 v2, s33, v0
	v_add_u32_e32 v0, 0x100, v0
	global_store_byte_d16_hi v2, v1, s[8:9]
	s_or_b64 exec, exec, s[0:1]
	v_cmp_gt_i32_e32 vcc, s38, v0
	s_and_saveexec_b64 s[0:1], vcc
	s_cbranch_execnz .LBB33_51
	s_branch .LBB33_52
	.section	.rodata,"a",@progbits
	.p2align	6, 0x0
	.amdhsa_kernel _ZN2at6native29vectorized_elementwise_kernelILi8ENS0_13BUnaryFunctorIaaaZZZNS0_18lshift_kernel_cudaERNS_18TensorIteratorBaseEENKUlvE_clEvENKUlvE0_clEvEUlaaE_EESt5arrayIPcLm2EEEEviT0_T1_
		.amdhsa_group_segment_fixed_size 0
		.amdhsa_private_segment_fixed_size 0
		.amdhsa_kernarg_size 24
		.amdhsa_user_sgpr_count 6
		.amdhsa_user_sgpr_private_segment_buffer 1
		.amdhsa_user_sgpr_dispatch_ptr 0
		.amdhsa_user_sgpr_queue_ptr 0
		.amdhsa_user_sgpr_kernarg_segment_ptr 1
		.amdhsa_user_sgpr_dispatch_id 0
		.amdhsa_user_sgpr_flat_scratch_init 0
		.amdhsa_user_sgpr_private_segment_size 0
		.amdhsa_uses_dynamic_stack 0
		.amdhsa_system_sgpr_private_segment_wavefront_offset 0
		.amdhsa_system_sgpr_workgroup_id_x 1
		.amdhsa_system_sgpr_workgroup_id_y 0
		.amdhsa_system_sgpr_workgroup_id_z 0
		.amdhsa_system_sgpr_workgroup_info 0
		.amdhsa_system_vgpr_workitem_id 0
		.amdhsa_next_free_vgpr 22
		.amdhsa_next_free_sgpr 41
		.amdhsa_reserve_vcc 1
		.amdhsa_reserve_flat_scratch 0
		.amdhsa_float_round_mode_32 0
		.amdhsa_float_round_mode_16_64 0
		.amdhsa_float_denorm_mode_32 3
		.amdhsa_float_denorm_mode_16_64 3
		.amdhsa_dx10_clamp 1
		.amdhsa_ieee_mode 1
		.amdhsa_fp16_overflow 0
		.amdhsa_exception_fp_ieee_invalid_op 0
		.amdhsa_exception_fp_denorm_src 0
		.amdhsa_exception_fp_ieee_div_zero 0
		.amdhsa_exception_fp_ieee_overflow 0
		.amdhsa_exception_fp_ieee_underflow 0
		.amdhsa_exception_fp_ieee_inexact 0
		.amdhsa_exception_int_div_zero 0
	.end_amdhsa_kernel
	.section	.text._ZN2at6native29vectorized_elementwise_kernelILi8ENS0_13BUnaryFunctorIaaaZZZNS0_18lshift_kernel_cudaERNS_18TensorIteratorBaseEENKUlvE_clEvENKUlvE0_clEvEUlaaE_EESt5arrayIPcLm2EEEEviT0_T1_,"axG",@progbits,_ZN2at6native29vectorized_elementwise_kernelILi8ENS0_13BUnaryFunctorIaaaZZZNS0_18lshift_kernel_cudaERNS_18TensorIteratorBaseEENKUlvE_clEvENKUlvE0_clEvEUlaaE_EESt5arrayIPcLm2EEEEviT0_T1_,comdat
.Lfunc_end33:
	.size	_ZN2at6native29vectorized_elementwise_kernelILi8ENS0_13BUnaryFunctorIaaaZZZNS0_18lshift_kernel_cudaERNS_18TensorIteratorBaseEENKUlvE_clEvENKUlvE0_clEvEUlaaE_EESt5arrayIPcLm2EEEEviT0_T1_, .Lfunc_end33-_ZN2at6native29vectorized_elementwise_kernelILi8ENS0_13BUnaryFunctorIaaaZZZNS0_18lshift_kernel_cudaERNS_18TensorIteratorBaseEENKUlvE_clEvENKUlvE0_clEvEUlaaE_EESt5arrayIPcLm2EEEEviT0_T1_
                                        ; -- End function
	.set _ZN2at6native29vectorized_elementwise_kernelILi8ENS0_13BUnaryFunctorIaaaZZZNS0_18lshift_kernel_cudaERNS_18TensorIteratorBaseEENKUlvE_clEvENKUlvE0_clEvEUlaaE_EESt5arrayIPcLm2EEEEviT0_T1_.num_vgpr, 22
	.set _ZN2at6native29vectorized_elementwise_kernelILi8ENS0_13BUnaryFunctorIaaaZZZNS0_18lshift_kernel_cudaERNS_18TensorIteratorBaseEENKUlvE_clEvENKUlvE0_clEvEUlaaE_EESt5arrayIPcLm2EEEEviT0_T1_.num_agpr, 0
	.set _ZN2at6native29vectorized_elementwise_kernelILi8ENS0_13BUnaryFunctorIaaaZZZNS0_18lshift_kernel_cudaERNS_18TensorIteratorBaseEENKUlvE_clEvENKUlvE0_clEvEUlaaE_EESt5arrayIPcLm2EEEEviT0_T1_.numbered_sgpr, 41
	.set _ZN2at6native29vectorized_elementwise_kernelILi8ENS0_13BUnaryFunctorIaaaZZZNS0_18lshift_kernel_cudaERNS_18TensorIteratorBaseEENKUlvE_clEvENKUlvE0_clEvEUlaaE_EESt5arrayIPcLm2EEEEviT0_T1_.num_named_barrier, 0
	.set _ZN2at6native29vectorized_elementwise_kernelILi8ENS0_13BUnaryFunctorIaaaZZZNS0_18lshift_kernel_cudaERNS_18TensorIteratorBaseEENKUlvE_clEvENKUlvE0_clEvEUlaaE_EESt5arrayIPcLm2EEEEviT0_T1_.private_seg_size, 0
	.set _ZN2at6native29vectorized_elementwise_kernelILi8ENS0_13BUnaryFunctorIaaaZZZNS0_18lshift_kernel_cudaERNS_18TensorIteratorBaseEENKUlvE_clEvENKUlvE0_clEvEUlaaE_EESt5arrayIPcLm2EEEEviT0_T1_.uses_vcc, 1
	.set _ZN2at6native29vectorized_elementwise_kernelILi8ENS0_13BUnaryFunctorIaaaZZZNS0_18lshift_kernel_cudaERNS_18TensorIteratorBaseEENKUlvE_clEvENKUlvE0_clEvEUlaaE_EESt5arrayIPcLm2EEEEviT0_T1_.uses_flat_scratch, 0
	.set _ZN2at6native29vectorized_elementwise_kernelILi8ENS0_13BUnaryFunctorIaaaZZZNS0_18lshift_kernel_cudaERNS_18TensorIteratorBaseEENKUlvE_clEvENKUlvE0_clEvEUlaaE_EESt5arrayIPcLm2EEEEviT0_T1_.has_dyn_sized_stack, 0
	.set _ZN2at6native29vectorized_elementwise_kernelILi8ENS0_13BUnaryFunctorIaaaZZZNS0_18lshift_kernel_cudaERNS_18TensorIteratorBaseEENKUlvE_clEvENKUlvE0_clEvEUlaaE_EESt5arrayIPcLm2EEEEviT0_T1_.has_recursion, 0
	.set _ZN2at6native29vectorized_elementwise_kernelILi8ENS0_13BUnaryFunctorIaaaZZZNS0_18lshift_kernel_cudaERNS_18TensorIteratorBaseEENKUlvE_clEvENKUlvE0_clEvEUlaaE_EESt5arrayIPcLm2EEEEviT0_T1_.has_indirect_call, 0
	.section	.AMDGPU.csdata,"",@progbits
; Kernel info:
; codeLenInByte = 3200
; TotalNumSgprs: 45
; NumVgprs: 22
; ScratchSize: 0
; MemoryBound: 0
; FloatMode: 240
; IeeeMode: 1
; LDSByteSize: 0 bytes/workgroup (compile time only)
; SGPRBlocks: 5
; VGPRBlocks: 5
; NumSGPRsForWavesPerEU: 45
; NumVGPRsForWavesPerEU: 22
; Occupancy: 10
; WaveLimiterHint : 1
; COMPUTE_PGM_RSRC2:SCRATCH_EN: 0
; COMPUTE_PGM_RSRC2:USER_SGPR: 6
; COMPUTE_PGM_RSRC2:TRAP_HANDLER: 0
; COMPUTE_PGM_RSRC2:TGID_X_EN: 1
; COMPUTE_PGM_RSRC2:TGID_Y_EN: 0
; COMPUTE_PGM_RSRC2:TGID_Z_EN: 0
; COMPUTE_PGM_RSRC2:TIDIG_COMP_CNT: 0
	.section	.text._ZN2at6native29vectorized_elementwise_kernelILi4ENS0_13BUnaryFunctorIaaaZZZNS0_18lshift_kernel_cudaERNS_18TensorIteratorBaseEENKUlvE_clEvENKUlvE0_clEvEUlaaE_EESt5arrayIPcLm2EEEEviT0_T1_,"axG",@progbits,_ZN2at6native29vectorized_elementwise_kernelILi4ENS0_13BUnaryFunctorIaaaZZZNS0_18lshift_kernel_cudaERNS_18TensorIteratorBaseEENKUlvE_clEvENKUlvE0_clEvEUlaaE_EESt5arrayIPcLm2EEEEviT0_T1_,comdat
	.globl	_ZN2at6native29vectorized_elementwise_kernelILi4ENS0_13BUnaryFunctorIaaaZZZNS0_18lshift_kernel_cudaERNS_18TensorIteratorBaseEENKUlvE_clEvENKUlvE0_clEvEUlaaE_EESt5arrayIPcLm2EEEEviT0_T1_ ; -- Begin function _ZN2at6native29vectorized_elementwise_kernelILi4ENS0_13BUnaryFunctorIaaaZZZNS0_18lshift_kernel_cudaERNS_18TensorIteratorBaseEENKUlvE_clEvENKUlvE0_clEvEUlaaE_EESt5arrayIPcLm2EEEEviT0_T1_
	.p2align	8
	.type	_ZN2at6native29vectorized_elementwise_kernelILi4ENS0_13BUnaryFunctorIaaaZZZNS0_18lshift_kernel_cudaERNS_18TensorIteratorBaseEENKUlvE_clEvENKUlvE0_clEvEUlaaE_EESt5arrayIPcLm2EEEEviT0_T1_,@function
_ZN2at6native29vectorized_elementwise_kernelILi4ENS0_13BUnaryFunctorIaaaZZZNS0_18lshift_kernel_cudaERNS_18TensorIteratorBaseEENKUlvE_clEvENKUlvE0_clEvEUlaaE_EESt5arrayIPcLm2EEEEviT0_T1_: ; @_ZN2at6native29vectorized_elementwise_kernelILi4ENS0_13BUnaryFunctorIaaaZZZNS0_18lshift_kernel_cudaERNS_18TensorIteratorBaseEENKUlvE_clEvENKUlvE0_clEvEUlaaE_EESt5arrayIPcLm2EEEEviT0_T1_
; %bb.0:
	v_mov_b32_e32 v1, 0
	global_load_ushort v1, v1, s[4:5] offset:4
	s_load_dword s0, s[4:5], 0x0
	s_load_dwordx4 s[8:11], s[4:5], 0x8
	s_lshl_b32 s33, s6, 12
	s_waitcnt lgkmcnt(0)
	s_sub_i32 s38, s0, s33
	s_waitcnt vmcnt(0)
	v_readfirstlane_b32 s1, v1
	s_and_b32 s40, 0xffff, s1
	s_lshr_b32 s39, s40, 8
	s_cmpk_gt_i32 s38, 0xfff
	s_mov_b64 s[0:1], -1
	s_cbranch_scc0 .LBB34_2
; %bb.1:
	s_ashr_i32 s2, s33, 31
	s_add_u32 s0, s10, s33
	s_addc_u32 s1, s11, s2
	v_lshlrev_b32_e32 v1, 2, v0
	global_load_dword v2, v1, s[0:1]
	global_load_dword v3, v1, s[0:1] offset:1024
	global_load_dword v4, v1, s[0:1] offset:2048
	;; [unrolled: 1-line block ×3, first 2 shown]
	s_cmpk_lt_u32 s40, 0x800
	s_cselect_b64 vcc, -1, 0
	s_and_b32 s3, 0xffff, s39
	s_add_u32 s0, s8, s33
	s_addc_u32 s1, s9, s2
	s_waitcnt vmcnt(3)
	v_lshrrev_b32_e32 v7, 8, v2
	v_lshlrev_b32_e32 v6, s3, v2
	v_lshlrev_b32_sdwa v8, s3, v2 dst_sel:DWORD dst_unused:UNUSED_PAD src0_sel:DWORD src1_sel:WORD_1
	v_lshlrev_b32_sdwa v2, s3, v2 dst_sel:DWORD dst_unused:UNUSED_PAD src0_sel:DWORD src1_sel:BYTE_3
	s_waitcnt vmcnt(2)
	v_lshrrev_b32_e32 v10, 8, v3
	s_waitcnt vmcnt(1)
	v_lshrrev_b32_e32 v13, 8, v4
	;; [unrolled: 2-line block ×3, first 2 shown]
	v_lshlrev_b32_e32 v7, s3, v7
	v_lshlrev_b32_e32 v9, s3, v3
	v_lshlrev_b32_sdwa v11, s3, v3 dst_sel:DWORD dst_unused:UNUSED_PAD src0_sel:DWORD src1_sel:WORD_1
	v_lshlrev_b32_sdwa v3, s3, v3 dst_sel:DWORD dst_unused:UNUSED_PAD src0_sel:DWORD src1_sel:BYTE_3
	v_lshlrev_b32_e32 v12, s3, v4
	v_lshlrev_b32_sdwa v14, s3, v4 dst_sel:DWORD dst_unused:UNUSED_PAD src0_sel:DWORD src1_sel:WORD_1
	v_lshlrev_b32_sdwa v4, s3, v4 dst_sel:DWORD dst_unused:UNUSED_PAD src0_sel:DWORD src1_sel:BYTE_3
	;; [unrolled: 3-line block ×3, first 2 shown]
	v_cndmask_b32_e32 v2, 0, v2, vcc
	v_lshlrev_b32_e32 v10, s3, v10
	v_lshlrev_b32_e32 v13, s3, v13
	;; [unrolled: 1-line block ×3, first 2 shown]
	v_cndmask_b32_e32 v7, 0, v7, vcc
	v_cndmask_b32_e32 v6, 0, v6, vcc
	;; [unrolled: 1-line block ×9, first 2 shown]
	v_lshlrev_b16_e32 v2, 8, v2
	v_lshlrev_b16_e32 v7, 8, v7
	v_cndmask_b32_e32 v9, 0, v9, vcc
	v_cndmask_b32_e32 v11, 0, v11, vcc
	;; [unrolled: 1-line block ×6, first 2 shown]
	v_lshlrev_b16_e32 v5, 8, v5
	v_lshlrev_b16_e32 v4, 8, v4
	;; [unrolled: 1-line block ×6, first 2 shown]
	v_or_b32_sdwa v2, v8, v2 dst_sel:WORD_1 dst_unused:UNUSED_PAD src0_sel:BYTE_0 src1_sel:DWORD
	v_or_b32_sdwa v6, v6, v7 dst_sel:DWORD dst_unused:UNUSED_PAD src0_sel:BYTE_0 src1_sel:DWORD
	v_or_b32_sdwa v5, v17, v5 dst_sel:WORD_1 dst_unused:UNUSED_PAD src0_sel:BYTE_0 src1_sel:DWORD
	v_or_b32_sdwa v4, v14, v4 dst_sel:WORD_1 dst_unused:UNUSED_PAD src0_sel:BYTE_0 src1_sel:DWORD
	;; [unrolled: 1-line block ×3, first 2 shown]
	v_or_b32_sdwa v8, v15, v16 dst_sel:DWORD dst_unused:UNUSED_PAD src0_sel:BYTE_0 src1_sel:DWORD
	v_or_b32_sdwa v11, v12, v13 dst_sel:DWORD dst_unused:UNUSED_PAD src0_sel:BYTE_0 src1_sel:DWORD
	;; [unrolled: 1-line block ×3, first 2 shown]
	v_or_b32_sdwa v2, v6, v2 dst_sel:DWORD dst_unused:UNUSED_PAD src0_sel:WORD_0 src1_sel:DWORD
	v_or_b32_sdwa v5, v8, v5 dst_sel:DWORD dst_unused:UNUSED_PAD src0_sel:WORD_0 src1_sel:DWORD
	;; [unrolled: 1-line block ×4, first 2 shown]
	global_store_dword v1, v2, s[0:1]
	global_store_dword v1, v3, s[0:1] offset:1024
	global_store_dword v1, v4, s[0:1] offset:2048
	;; [unrolled: 1-line block ×3, first 2 shown]
	s_mov_b64 s[0:1], 0
.LBB34_2:
	s_andn2_b64 vcc, exec, s[0:1]
	s_cbranch_vccnz .LBB34_52
; %bb.3:
	v_cmp_gt_i32_e64 s[0:1], s38, v0
	v_or_b32_e32 v3, 0x100, v0
	v_mov_b32_e32 v21, 0
	v_mov_b32_e32 v5, 0
	v_or_b32_e32 v4, s33, v0
	v_mov_b32_e32 v6, 0
	v_mov_b32_e32 v20, 0
	;; [unrolled: 1-line block ×15, first 2 shown]
	s_and_saveexec_b64 s[2:3], s[0:1]
	s_cbranch_execz .LBB34_35
; %bb.4:
	global_load_ubyte v7, v4, s[10:11]
	v_cmp_gt_u32_e32 vcc, s38, v3
	v_mov_b32_e32 v6, 0
	v_mov_b32_e32 v8, 0
	v_mov_b32_e32 v10, 0
	v_mov_b32_e32 v9, 0
	v_mov_b32_e32 v11, 0
	v_mov_b32_e32 v13, 0
	v_mov_b32_e32 v12, 0
	v_mov_b32_e32 v14, 0
	v_mov_b32_e32 v15, 0
	v_mov_b32_e32 v16, 0
	v_mov_b32_e32 v17, 0
	v_mov_b32_e32 v18, 0
	v_mov_b32_e32 v19, 0
	v_mov_b32_e32 v20, 0
	v_mov_b32_e32 v21, 0
	s_and_saveexec_b64 s[4:5], vcc
	s_cbranch_execz .LBB34_34
; %bb.5:
	v_add_u32_e32 v1, s33, v0
	global_load_ubyte v8, v1, s[10:11] offset:256
	v_or_b32_e32 v2, 0x200, v0
	v_mov_b32_e32 v10, 0
	v_cmp_gt_u32_e32 vcc, s38, v2
	v_mov_b32_e32 v9, 0
	v_mov_b32_e32 v11, 0
	v_mov_b32_e32 v13, 0
	v_mov_b32_e32 v12, 0
	v_mov_b32_e32 v14, 0
	v_mov_b32_e32 v15, 0
	v_mov_b32_e32 v16, 0
	v_mov_b32_e32 v17, 0
	v_mov_b32_e32 v18, 0
	v_mov_b32_e32 v19, 0
	v_mov_b32_e32 v20, 0
	v_mov_b32_e32 v21, 0
	v_mov_b32_e32 v6, 0
	s_and_saveexec_b64 s[6:7], vcc
	s_cbranch_execz .LBB34_33
; %bb.6:
	v_mov_b32_e32 v2, s11
	v_add_co_u32_e32 v1, vcc, s10, v1
	v_addc_co_u32_e32 v2, vcc, 0, v2, vcc
	global_load_ubyte v10, v[1:2], off offset:512
	v_or_b32_e32 v6, 0x300, v0
	v_cmp_gt_u32_e32 vcc, s38, v6
	v_mov_b32_e32 v6, 0
	v_mov_b32_e32 v9, 0
	;; [unrolled: 1-line block ×13, first 2 shown]
	s_and_saveexec_b64 s[10:11], vcc
	s_cbranch_execz .LBB34_32
; %bb.7:
	global_load_ubyte v9, v[1:2], off offset:768
	v_or_b32_e32 v6, 0x400, v0
	v_cmp_gt_u32_e32 vcc, s38, v6
	v_mov_b32_e32 v6, 0
	v_mov_b32_e32 v11, 0
	;; [unrolled: 1-line block ×12, first 2 shown]
	s_and_saveexec_b64 s[12:13], vcc
	s_cbranch_execz .LBB34_31
; %bb.8:
	global_load_ubyte v11, v[1:2], off offset:1024
	v_or_b32_e32 v6, 0x500, v0
	v_cmp_gt_u32_e32 vcc, s38, v6
	v_mov_b32_e32 v6, 0
	v_mov_b32_e32 v13, 0
	;; [unrolled: 1-line block ×11, first 2 shown]
	s_and_saveexec_b64 s[14:15], vcc
	s_cbranch_execz .LBB34_30
; %bb.9:
	global_load_ubyte v13, v[1:2], off offset:1280
	v_or_b32_e32 v6, 0x600, v0
	v_cmp_gt_u32_e32 vcc, s38, v6
	v_mov_b32_e32 v6, 0
	v_mov_b32_e32 v12, 0
	;; [unrolled: 1-line block ×10, first 2 shown]
	s_and_saveexec_b64 s[16:17], vcc
	s_cbranch_execz .LBB34_29
; %bb.10:
	global_load_ubyte v12, v[1:2], off offset:1536
	v_or_b32_e32 v6, 0x700, v0
	v_cmp_gt_u32_e32 vcc, s38, v6
	v_mov_b32_e32 v6, 0
	v_mov_b32_e32 v14, 0
	;; [unrolled: 1-line block ×9, first 2 shown]
	s_and_saveexec_b64 s[18:19], vcc
	s_cbranch_execz .LBB34_28
; %bb.11:
	global_load_ubyte v14, v[1:2], off offset:1792
	v_or_b32_e32 v6, 0x800, v0
	v_cmp_gt_u32_e32 vcc, s38, v6
	v_mov_b32_e32 v6, 0
	v_mov_b32_e32 v15, 0
	;; [unrolled: 1-line block ×8, first 2 shown]
	s_and_saveexec_b64 s[20:21], vcc
	s_cbranch_execz .LBB34_27
; %bb.12:
	global_load_ubyte v15, v[1:2], off offset:2048
	v_or_b32_e32 v6, 0x900, v0
	v_cmp_gt_u32_e32 vcc, s38, v6
	v_mov_b32_e32 v6, 0
	v_mov_b32_e32 v16, 0
	v_mov_b32_e32 v17, 0
	v_mov_b32_e32 v18, 0
	v_mov_b32_e32 v19, 0
	v_mov_b32_e32 v20, 0
	v_mov_b32_e32 v21, 0
	s_and_saveexec_b64 s[22:23], vcc
	s_cbranch_execz .LBB34_26
; %bb.13:
	global_load_ubyte v16, v[1:2], off offset:2304
	v_or_b32_e32 v6, 0xa00, v0
	v_cmp_gt_u32_e32 vcc, s38, v6
	v_mov_b32_e32 v6, 0
	v_mov_b32_e32 v17, 0
	;; [unrolled: 1-line block ×6, first 2 shown]
	s_and_saveexec_b64 s[24:25], vcc
	s_cbranch_execz .LBB34_25
; %bb.14:
	global_load_ubyte v17, v[1:2], off offset:2560
	v_or_b32_e32 v6, 0xb00, v0
	v_cmp_gt_u32_e32 vcc, s38, v6
	v_mov_b32_e32 v6, 0
	v_mov_b32_e32 v18, 0
	;; [unrolled: 1-line block ×5, first 2 shown]
	s_and_saveexec_b64 s[26:27], vcc
	s_cbranch_execz .LBB34_24
; %bb.15:
	global_load_ubyte v18, v[1:2], off offset:2816
	v_or_b32_e32 v6, 0xc00, v0
	v_cmp_gt_u32_e32 vcc, s38, v6
	v_mov_b32_e32 v6, 0
	v_mov_b32_e32 v19, 0
	v_mov_b32_e32 v20, 0
	v_mov_b32_e32 v21, 0
	s_and_saveexec_b64 s[28:29], vcc
	s_cbranch_execz .LBB34_23
; %bb.16:
	global_load_ubyte v19, v[1:2], off offset:3072
	v_or_b32_e32 v6, 0xd00, v0
	v_cmp_gt_u32_e32 vcc, s38, v6
	v_mov_b32_e32 v6, 0
	v_mov_b32_e32 v20, 0
	;; [unrolled: 1-line block ×3, first 2 shown]
	s_and_saveexec_b64 s[30:31], vcc
	s_cbranch_execz .LBB34_22
; %bb.17:
	global_load_ubyte v20, v[1:2], off offset:3328
	v_or_b32_e32 v6, 0xe00, v0
	v_cmp_gt_u32_e32 vcc, s38, v6
	v_mov_b32_e32 v6, 0
	v_mov_b32_e32 v21, 0
	s_and_saveexec_b64 s[34:35], vcc
	s_cbranch_execz .LBB34_21
; %bb.18:
	global_load_ubyte v21, v[1:2], off offset:3584
	v_or_b32_e32 v6, 0xf00, v0
	v_cmp_gt_u32_e32 vcc, s38, v6
	v_mov_b32_e32 v6, 0
	s_and_saveexec_b64 s[36:37], vcc
	s_cbranch_execz .LBB34_20
; %bb.19:
	global_load_ubyte v6, v[1:2], off offset:3840
.LBB34_20:
	s_or_b64 exec, exec, s[36:37]
.LBB34_21:
	s_or_b64 exec, exec, s[34:35]
.LBB34_22:
	s_or_b64 exec, exec, s[30:31]
.LBB34_23:
	s_or_b64 exec, exec, s[28:29]
.LBB34_24:
	s_or_b64 exec, exec, s[26:27]
.LBB34_25:
	s_or_b64 exec, exec, s[24:25]
.LBB34_26:
	s_or_b64 exec, exec, s[22:23]
.LBB34_27:
	s_or_b64 exec, exec, s[20:21]
.LBB34_28:
	s_or_b64 exec, exec, s[18:19]
.LBB34_29:
	s_or_b64 exec, exec, s[16:17]
.LBB34_30:
	s_or_b64 exec, exec, s[14:15]
.LBB34_31:
	s_or_b64 exec, exec, s[12:13]
.LBB34_32:
	s_or_b64 exec, exec, s[10:11]
.LBB34_33:
	s_or_b64 exec, exec, s[6:7]
.LBB34_34:
	s_or_b64 exec, exec, s[4:5]
.LBB34_35:
	s_or_b64 exec, exec, s[2:3]
	s_cmpk_lt_u32 s40, 0x800
	s_cselect_b64 vcc, -1, 0
	s_and_b32 s5, 0xffff, s39
	s_waitcnt vmcnt(0)
	v_lshlrev_b32_e32 v1, s5, v7
	s_mov_b32 s4, 0xffff
	v_cndmask_b32_e32 v1, 0, v1, vcc
	v_lshlrev_b32_e32 v2, s5, v8
	v_and_b32_sdwa v1, s4, v1 dst_sel:DWORD dst_unused:UNUSED_PAD src0_sel:DWORD src1_sel:BYTE_0
	v_cndmask_b32_e32 v2, 0, v2, vcc
	v_cndmask_b32_e64 v1, 0, v1, s[0:1]
	v_lshlrev_b16_e32 v2, 8, v2
	v_or_b32_e32 v2, v1, v2
	v_and_b32_e32 v2, 0xffff, v2
	v_cmp_gt_i32_e64 s[2:3], s38, v3
	v_lshlrev_b32_e32 v7, s5, v10
	v_cndmask_b32_e64 v1, v1, v2, s[2:3]
	v_cndmask_b32_e32 v7, 0, v7, vcc
	s_mov_b32 s7, 0xc0c0304
	v_or_b32_e32 v2, 0x200, v0
	v_perm_b32 v7, v7, v1, s7
	v_lshl_or_b32 v7, v7, 16, v1
	v_cmp_gt_i32_e64 s[2:3], s38, v2
	v_lshlrev_b32_e32 v8, s5, v9
	s_movk_i32 s6, 0xff
	v_cndmask_b32_e64 v1, v1, v7, s[2:3]
	v_cndmask_b32_e32 v8, 0, v8, vcc
	v_and_b32_sdwa v2, v1, s6 dst_sel:DWORD dst_unused:UNUSED_PAD src0_sel:WORD_1 src1_sel:DWORD
	v_lshlrev_b16_e32 v8, 8, v8
	v_or_b32_e32 v7, 0x300, v0
	v_or_b32_sdwa v2, v2, v8 dst_sel:WORD_1 dst_unused:UNUSED_PAD src0_sel:DWORD src1_sel:DWORD
	v_and_or_b32 v2, v1, s4, v2
	v_cmp_gt_i32_e64 s[2:3], s38, v7
	v_cndmask_b32_e64 v8, v1, v2, s[2:3]
	v_lshlrev_b32_e32 v1, s5, v11
	v_or_b32_e32 v2, 0x400, v0
	v_cndmask_b32_e32 v1, 0, v1, vcc
	s_mov_b32 s10, 0x3020104
	v_cmp_gt_i32_e64 s[2:3], s38, v2
	v_lshlrev_b32_e32 v2, s5, v13
	v_perm_b32 v1, v1, 0, s10
	v_cndmask_b32_e32 v2, 0, v2, vcc
	v_cndmask_b32_e64 v1, 0, v1, s[2:3]
	v_lshlrev_b16_e32 v2, 8, v2
	v_or_b32_sdwa v2, v1, v2 dst_sel:DWORD dst_unused:UNUSED_PAD src0_sel:BYTE_0 src1_sel:DWORD
	v_and_b32_e32 v2, 0xffff, v2
	s_mov_b32 s11, 0xffff0000
	v_or_b32_e32 v7, 0x500, v0
	v_and_or_b32 v2, v1, s11, v2
	v_cmp_gt_i32_e64 s[2:3], s38, v7
	v_lshlrev_b32_e32 v7, s5, v12
	v_cndmask_b32_e64 v1, v1, v2, s[2:3]
	v_or_b32_e32 v2, 0x600, v0
	v_cndmask_b32_e32 v7, 0, v7, vcc
	s_mov_b32 s12, 0x7000504
	v_perm_b32 v7, v1, v7, s12
	v_cmp_gt_i32_e64 s[2:3], s38, v2
	v_lshlrev_b32_e32 v9, s5, v14
	v_cndmask_b32_e64 v1, v1, v7, s[2:3]
	v_cndmask_b32_e32 v9, 0, v9, vcc
	v_and_b32_sdwa v2, v1, s6 dst_sel:DWORD dst_unused:UNUSED_PAD src0_sel:WORD_1 src1_sel:DWORD
	v_lshlrev_b16_e32 v9, 8, v9
	v_or_b32_e32 v7, 0x700, v0
	v_or_b32_sdwa v2, v2, v9 dst_sel:WORD_1 dst_unused:UNUSED_PAD src0_sel:DWORD src1_sel:DWORD
	v_and_or_b32 v2, v1, s4, v2
	v_cmp_gt_i32_e64 s[2:3], s38, v7
	v_cndmask_b32_e64 v7, v1, v2, s[2:3]
	v_lshlrev_b32_e32 v2, s5, v15
	v_or_b32_e32 v1, 0x800, v0
	v_cndmask_b32_e32 v2, 0, v2, vcc
	v_lshlrev_b32_e32 v9, s5, v16
	v_and_b32_sdwa v2, s4, v2 dst_sel:DWORD dst_unused:UNUSED_PAD src0_sel:DWORD src1_sel:BYTE_0
	v_cmp_gt_i32_e64 s[2:3], s38, v1
	v_cndmask_b32_e32 v9, 0, v9, vcc
	v_cndmask_b32_e64 v1, 0, v2, s[2:3]
	v_lshlrev_b16_e32 v9, 8, v9
	v_or_b32_e32 v2, 0x900, v0
	v_or_b32_e32 v9, v1, v9
	v_and_b32_e32 v9, 0xffff, v9
	v_cmp_gt_i32_e64 s[2:3], s38, v2
	v_cndmask_b32_e64 v1, v1, v9, s[2:3]
	v_lshlrev_b32_e32 v9, s5, v17
	v_cndmask_b32_e32 v9, 0, v9, vcc
	v_or_b32_e32 v2, 0xa00, v0
	v_perm_b32 v9, v9, v1, s7
	v_lshl_or_b32 v9, v9, 16, v1
	v_cmp_gt_i32_e64 s[2:3], s38, v2
	v_lshlrev_b32_e32 v10, s5, v18
	v_cndmask_b32_e64 v1, v1, v9, s[2:3]
	v_cndmask_b32_e32 v10, 0, v10, vcc
	v_and_b32_sdwa v2, v1, s6 dst_sel:DWORD dst_unused:UNUSED_PAD src0_sel:WORD_1 src1_sel:DWORD
	v_lshlrev_b16_e32 v10, 8, v10
	v_or_b32_e32 v9, 0xb00, v0
	v_or_b32_sdwa v2, v2, v10 dst_sel:WORD_1 dst_unused:UNUSED_PAD src0_sel:DWORD src1_sel:DWORD
	v_and_or_b32 v2, v1, s4, v2
	v_cmp_gt_i32_e64 s[2:3], s38, v9
	v_cndmask_b32_e64 v2, v1, v2, s[2:3]
	v_lshlrev_b32_e32 v1, s5, v19
	v_or_b32_e32 v9, 0xc00, v0
	v_cndmask_b32_e32 v1, 0, v1, vcc
	v_cmp_gt_i32_e64 s[2:3], s38, v9
	v_lshlrev_b32_e32 v9, s5, v20
	v_perm_b32 v1, v1, 0, s10
	v_cndmask_b32_e32 v9, 0, v9, vcc
	v_cndmask_b32_e64 v1, 0, v1, s[2:3]
	v_lshlrev_b16_e32 v9, 8, v9
	v_or_b32_sdwa v9, v1, v9 dst_sel:DWORD dst_unused:UNUSED_PAD src0_sel:BYTE_0 src1_sel:DWORD
	v_and_b32_e32 v9, 0xffff, v9
	v_or_b32_e32 v10, 0xd00, v0
	v_and_or_b32 v9, v1, s11, v9
	v_cmp_gt_i32_e64 s[2:3], s38, v10
	v_lshlrev_b32_e32 v10, s5, v21
	v_cndmask_b32_e64 v1, v1, v9, s[2:3]
	v_or_b32_e32 v9, 0xe00, v0
	v_cndmask_b32_e32 v10, 0, v10, vcc
	v_perm_b32 v10, v1, v10, s12
	v_cmp_gt_i32_e64 s[2:3], s38, v9
	v_cndmask_b32_e64 v1, v1, v10, s[2:3]
	v_lshlrev_b32_e32 v6, s5, v6
	v_and_b32_sdwa v9, v1, s6 dst_sel:DWORD dst_unused:UNUSED_PAD src0_sel:WORD_1 src1_sel:DWORD
	v_cndmask_b32_sdwa v5, v5, v6, vcc dst_sel:BYTE_1 dst_unused:UNUSED_PAD src0_sel:DWORD src1_sel:DWORD
	v_or_b32_e32 v10, 0xf00, v0
	v_or_b32_sdwa v5, v9, v5 dst_sel:WORD_1 dst_unused:UNUSED_PAD src0_sel:DWORD src1_sel:DWORD
	v_and_or_b32 v5, v1, s4, v5
	v_cmp_gt_i32_e32 vcc, s38, v10
	v_cndmask_b32_e32 v1, v1, v5, vcc
	s_and_saveexec_b64 s[2:3], s[0:1]
	s_cbranch_execnz .LBB34_53
; %bb.36:
	s_or_b64 exec, exec, s[2:3]
	v_cmp_gt_i32_e32 vcc, s38, v0
	s_and_saveexec_b64 s[0:1], vcc
	s_cbranch_execnz .LBB34_54
.LBB34_37:
	s_or_b64 exec, exec, s[0:1]
	v_cmp_gt_i32_e32 vcc, s38, v0
	s_and_saveexec_b64 s[0:1], vcc
	s_cbranch_execnz .LBB34_55
.LBB34_38:
	s_or_b64 exec, exec, s[0:1]
	v_cmp_gt_i32_e32 vcc, s38, v0
	s_and_saveexec_b64 s[0:1], vcc
	s_cbranch_execnz .LBB34_56
.LBB34_39:
	s_or_b64 exec, exec, s[0:1]
	v_cmp_gt_i32_e32 vcc, s38, v0
	s_and_saveexec_b64 s[0:1], vcc
	s_cbranch_execnz .LBB34_57
.LBB34_40:
	s_or_b64 exec, exec, s[0:1]
	v_cmp_gt_i32_e32 vcc, s38, v0
	s_and_saveexec_b64 s[0:1], vcc
	s_cbranch_execnz .LBB34_58
.LBB34_41:
	s_or_b64 exec, exec, s[0:1]
	v_cmp_gt_i32_e32 vcc, s38, v0
	s_and_saveexec_b64 s[0:1], vcc
	s_cbranch_execnz .LBB34_59
.LBB34_42:
	s_or_b64 exec, exec, s[0:1]
	v_cmp_gt_i32_e32 vcc, s38, v0
	s_and_saveexec_b64 s[0:1], vcc
	s_cbranch_execnz .LBB34_60
.LBB34_43:
	s_or_b64 exec, exec, s[0:1]
	v_cmp_gt_i32_e32 vcc, s38, v0
	s_and_saveexec_b64 s[0:1], vcc
	s_cbranch_execnz .LBB34_61
.LBB34_44:
	s_or_b64 exec, exec, s[0:1]
	v_cmp_gt_i32_e32 vcc, s38, v0
	s_and_saveexec_b64 s[0:1], vcc
	s_cbranch_execnz .LBB34_62
.LBB34_45:
	s_or_b64 exec, exec, s[0:1]
	v_cmp_gt_i32_e32 vcc, s38, v0
	s_and_saveexec_b64 s[0:1], vcc
	s_cbranch_execnz .LBB34_63
.LBB34_46:
	s_or_b64 exec, exec, s[0:1]
	v_cmp_gt_i32_e32 vcc, s38, v0
	s_and_saveexec_b64 s[0:1], vcc
	s_cbranch_execnz .LBB34_64
.LBB34_47:
	s_or_b64 exec, exec, s[0:1]
	v_cmp_gt_i32_e32 vcc, s38, v0
	s_and_saveexec_b64 s[0:1], vcc
	s_cbranch_execnz .LBB34_65
.LBB34_48:
	s_or_b64 exec, exec, s[0:1]
	v_cmp_gt_i32_e32 vcc, s38, v0
	s_and_saveexec_b64 s[0:1], vcc
	s_cbranch_execnz .LBB34_66
.LBB34_49:
	s_or_b64 exec, exec, s[0:1]
	v_cmp_gt_i32_e32 vcc, s38, v0
	s_and_saveexec_b64 s[0:1], vcc
	s_cbranch_execnz .LBB34_67
.LBB34_50:
	s_or_b64 exec, exec, s[0:1]
	v_cmp_gt_i32_e32 vcc, s38, v0
	s_and_saveexec_b64 s[0:1], vcc
	s_cbranch_execz .LBB34_52
.LBB34_51:
	v_lshrrev_b32_e32 v1, 24, v1
	v_add_u32_e32 v0, s33, v0
	global_store_byte v0, v1, s[8:9]
.LBB34_52:
	s_endpgm
.LBB34_53:
	v_mov_b32_e32 v0, v3
	global_store_byte v4, v8, s[8:9]
	s_or_b64 exec, exec, s[2:3]
	v_cmp_gt_i32_e32 vcc, s38, v0
	s_and_saveexec_b64 s[0:1], vcc
	s_cbranch_execz .LBB34_37
.LBB34_54:
	v_lshrrev_b32_e32 v3, 8, v8
	v_add_u32_e32 v4, s33, v0
	v_add_u32_e32 v0, 0x100, v0
	global_store_byte v4, v3, s[8:9]
	s_or_b64 exec, exec, s[0:1]
	v_cmp_gt_i32_e32 vcc, s38, v0
	s_and_saveexec_b64 s[0:1], vcc
	s_cbranch_execz .LBB34_38
.LBB34_55:
	v_add_u32_e32 v3, s33, v0
	v_add_u32_e32 v0, 0x100, v0
	global_store_byte_d16_hi v3, v8, s[8:9]
	s_or_b64 exec, exec, s[0:1]
	v_cmp_gt_i32_e32 vcc, s38, v0
	s_and_saveexec_b64 s[0:1], vcc
	s_cbranch_execz .LBB34_39
.LBB34_56:
	v_lshrrev_b32_e32 v3, 24, v8
	v_add_u32_e32 v4, s33, v0
	v_add_u32_e32 v0, 0x100, v0
	global_store_byte v4, v3, s[8:9]
	s_or_b64 exec, exec, s[0:1]
	v_cmp_gt_i32_e32 vcc, s38, v0
	s_and_saveexec_b64 s[0:1], vcc
	s_cbranch_execz .LBB34_40
.LBB34_57:
	v_add_u32_e32 v3, s33, v0
	v_add_u32_e32 v0, 0x100, v0
	global_store_byte v3, v7, s[8:9]
	s_or_b64 exec, exec, s[0:1]
	v_cmp_gt_i32_e32 vcc, s38, v0
	s_and_saveexec_b64 s[0:1], vcc
	s_cbranch_execz .LBB34_41
.LBB34_58:
	v_lshrrev_b32_e32 v3, 8, v7
	v_add_u32_e32 v4, s33, v0
	v_add_u32_e32 v0, 0x100, v0
	global_store_byte v4, v3, s[8:9]
	s_or_b64 exec, exec, s[0:1]
	v_cmp_gt_i32_e32 vcc, s38, v0
	s_and_saveexec_b64 s[0:1], vcc
	s_cbranch_execz .LBB34_42
.LBB34_59:
	v_add_u32_e32 v3, s33, v0
	v_add_u32_e32 v0, 0x100, v0
	global_store_byte_d16_hi v3, v7, s[8:9]
	s_or_b64 exec, exec, s[0:1]
	v_cmp_gt_i32_e32 vcc, s38, v0
	s_and_saveexec_b64 s[0:1], vcc
	s_cbranch_execz .LBB34_43
.LBB34_60:
	v_lshrrev_b32_e32 v3, 24, v7
	v_add_u32_e32 v4, s33, v0
	v_add_u32_e32 v0, 0x100, v0
	global_store_byte v4, v3, s[8:9]
	s_or_b64 exec, exec, s[0:1]
	v_cmp_gt_i32_e32 vcc, s38, v0
	s_and_saveexec_b64 s[0:1], vcc
	s_cbranch_execz .LBB34_44
.LBB34_61:
	v_add_u32_e32 v3, s33, v0
	v_add_u32_e32 v0, 0x100, v0
	global_store_byte v3, v2, s[8:9]
	s_or_b64 exec, exec, s[0:1]
	v_cmp_gt_i32_e32 vcc, s38, v0
	s_and_saveexec_b64 s[0:1], vcc
	s_cbranch_execz .LBB34_45
.LBB34_62:
	v_lshrrev_b32_e32 v3, 8, v2
	v_add_u32_e32 v4, s33, v0
	v_add_u32_e32 v0, 0x100, v0
	global_store_byte v4, v3, s[8:9]
	s_or_b64 exec, exec, s[0:1]
	v_cmp_gt_i32_e32 vcc, s38, v0
	s_and_saveexec_b64 s[0:1], vcc
	s_cbranch_execz .LBB34_46
.LBB34_63:
	v_add_u32_e32 v3, s33, v0
	v_add_u32_e32 v0, 0x100, v0
	global_store_byte_d16_hi v3, v2, s[8:9]
	s_or_b64 exec, exec, s[0:1]
	v_cmp_gt_i32_e32 vcc, s38, v0
	s_and_saveexec_b64 s[0:1], vcc
	s_cbranch_execz .LBB34_47
.LBB34_64:
	v_lshrrev_b32_e32 v2, 24, v2
	v_add_u32_e32 v3, s33, v0
	v_add_u32_e32 v0, 0x100, v0
	global_store_byte v3, v2, s[8:9]
	s_or_b64 exec, exec, s[0:1]
	v_cmp_gt_i32_e32 vcc, s38, v0
	s_and_saveexec_b64 s[0:1], vcc
	s_cbranch_execz .LBB34_48
.LBB34_65:
	v_add_u32_e32 v2, s33, v0
	v_add_u32_e32 v0, 0x100, v0
	global_store_byte v2, v1, s[8:9]
	s_or_b64 exec, exec, s[0:1]
	v_cmp_gt_i32_e32 vcc, s38, v0
	s_and_saveexec_b64 s[0:1], vcc
	s_cbranch_execz .LBB34_49
.LBB34_66:
	v_lshrrev_b32_e32 v2, 8, v1
	v_add_u32_e32 v3, s33, v0
	v_add_u32_e32 v0, 0x100, v0
	global_store_byte v3, v2, s[8:9]
	s_or_b64 exec, exec, s[0:1]
	v_cmp_gt_i32_e32 vcc, s38, v0
	s_and_saveexec_b64 s[0:1], vcc
	s_cbranch_execz .LBB34_50
.LBB34_67:
	v_add_u32_e32 v2, s33, v0
	v_add_u32_e32 v0, 0x100, v0
	global_store_byte_d16_hi v2, v1, s[8:9]
	s_or_b64 exec, exec, s[0:1]
	v_cmp_gt_i32_e32 vcc, s38, v0
	s_and_saveexec_b64 s[0:1], vcc
	s_cbranch_execnz .LBB34_51
	s_branch .LBB34_52
	.section	.rodata,"a",@progbits
	.p2align	6, 0x0
	.amdhsa_kernel _ZN2at6native29vectorized_elementwise_kernelILi4ENS0_13BUnaryFunctorIaaaZZZNS0_18lshift_kernel_cudaERNS_18TensorIteratorBaseEENKUlvE_clEvENKUlvE0_clEvEUlaaE_EESt5arrayIPcLm2EEEEviT0_T1_
		.amdhsa_group_segment_fixed_size 0
		.amdhsa_private_segment_fixed_size 0
		.amdhsa_kernarg_size 24
		.amdhsa_user_sgpr_count 6
		.amdhsa_user_sgpr_private_segment_buffer 1
		.amdhsa_user_sgpr_dispatch_ptr 0
		.amdhsa_user_sgpr_queue_ptr 0
		.amdhsa_user_sgpr_kernarg_segment_ptr 1
		.amdhsa_user_sgpr_dispatch_id 0
		.amdhsa_user_sgpr_flat_scratch_init 0
		.amdhsa_user_sgpr_private_segment_size 0
		.amdhsa_uses_dynamic_stack 0
		.amdhsa_system_sgpr_private_segment_wavefront_offset 0
		.amdhsa_system_sgpr_workgroup_id_x 1
		.amdhsa_system_sgpr_workgroup_id_y 0
		.amdhsa_system_sgpr_workgroup_id_z 0
		.amdhsa_system_sgpr_workgroup_info 0
		.amdhsa_system_vgpr_workitem_id 0
		.amdhsa_next_free_vgpr 22
		.amdhsa_next_free_sgpr 41
		.amdhsa_reserve_vcc 1
		.amdhsa_reserve_flat_scratch 0
		.amdhsa_float_round_mode_32 0
		.amdhsa_float_round_mode_16_64 0
		.amdhsa_float_denorm_mode_32 3
		.amdhsa_float_denorm_mode_16_64 3
		.amdhsa_dx10_clamp 1
		.amdhsa_ieee_mode 1
		.amdhsa_fp16_overflow 0
		.amdhsa_exception_fp_ieee_invalid_op 0
		.amdhsa_exception_fp_denorm_src 0
		.amdhsa_exception_fp_ieee_div_zero 0
		.amdhsa_exception_fp_ieee_overflow 0
		.amdhsa_exception_fp_ieee_underflow 0
		.amdhsa_exception_fp_ieee_inexact 0
		.amdhsa_exception_int_div_zero 0
	.end_amdhsa_kernel
	.section	.text._ZN2at6native29vectorized_elementwise_kernelILi4ENS0_13BUnaryFunctorIaaaZZZNS0_18lshift_kernel_cudaERNS_18TensorIteratorBaseEENKUlvE_clEvENKUlvE0_clEvEUlaaE_EESt5arrayIPcLm2EEEEviT0_T1_,"axG",@progbits,_ZN2at6native29vectorized_elementwise_kernelILi4ENS0_13BUnaryFunctorIaaaZZZNS0_18lshift_kernel_cudaERNS_18TensorIteratorBaseEENKUlvE_clEvENKUlvE0_clEvEUlaaE_EESt5arrayIPcLm2EEEEviT0_T1_,comdat
.Lfunc_end34:
	.size	_ZN2at6native29vectorized_elementwise_kernelILi4ENS0_13BUnaryFunctorIaaaZZZNS0_18lshift_kernel_cudaERNS_18TensorIteratorBaseEENKUlvE_clEvENKUlvE0_clEvEUlaaE_EESt5arrayIPcLm2EEEEviT0_T1_, .Lfunc_end34-_ZN2at6native29vectorized_elementwise_kernelILi4ENS0_13BUnaryFunctorIaaaZZZNS0_18lshift_kernel_cudaERNS_18TensorIteratorBaseEENKUlvE_clEvENKUlvE0_clEvEUlaaE_EESt5arrayIPcLm2EEEEviT0_T1_
                                        ; -- End function
	.set _ZN2at6native29vectorized_elementwise_kernelILi4ENS0_13BUnaryFunctorIaaaZZZNS0_18lshift_kernel_cudaERNS_18TensorIteratorBaseEENKUlvE_clEvENKUlvE0_clEvEUlaaE_EESt5arrayIPcLm2EEEEviT0_T1_.num_vgpr, 22
	.set _ZN2at6native29vectorized_elementwise_kernelILi4ENS0_13BUnaryFunctorIaaaZZZNS0_18lshift_kernel_cudaERNS_18TensorIteratorBaseEENKUlvE_clEvENKUlvE0_clEvEUlaaE_EESt5arrayIPcLm2EEEEviT0_T1_.num_agpr, 0
	.set _ZN2at6native29vectorized_elementwise_kernelILi4ENS0_13BUnaryFunctorIaaaZZZNS0_18lshift_kernel_cudaERNS_18TensorIteratorBaseEENKUlvE_clEvENKUlvE0_clEvEUlaaE_EESt5arrayIPcLm2EEEEviT0_T1_.numbered_sgpr, 41
	.set _ZN2at6native29vectorized_elementwise_kernelILi4ENS0_13BUnaryFunctorIaaaZZZNS0_18lshift_kernel_cudaERNS_18TensorIteratorBaseEENKUlvE_clEvENKUlvE0_clEvEUlaaE_EESt5arrayIPcLm2EEEEviT0_T1_.num_named_barrier, 0
	.set _ZN2at6native29vectorized_elementwise_kernelILi4ENS0_13BUnaryFunctorIaaaZZZNS0_18lshift_kernel_cudaERNS_18TensorIteratorBaseEENKUlvE_clEvENKUlvE0_clEvEUlaaE_EESt5arrayIPcLm2EEEEviT0_T1_.private_seg_size, 0
	.set _ZN2at6native29vectorized_elementwise_kernelILi4ENS0_13BUnaryFunctorIaaaZZZNS0_18lshift_kernel_cudaERNS_18TensorIteratorBaseEENKUlvE_clEvENKUlvE0_clEvEUlaaE_EESt5arrayIPcLm2EEEEviT0_T1_.uses_vcc, 1
	.set _ZN2at6native29vectorized_elementwise_kernelILi4ENS0_13BUnaryFunctorIaaaZZZNS0_18lshift_kernel_cudaERNS_18TensorIteratorBaseEENKUlvE_clEvENKUlvE0_clEvEUlaaE_EESt5arrayIPcLm2EEEEviT0_T1_.uses_flat_scratch, 0
	.set _ZN2at6native29vectorized_elementwise_kernelILi4ENS0_13BUnaryFunctorIaaaZZZNS0_18lshift_kernel_cudaERNS_18TensorIteratorBaseEENKUlvE_clEvENKUlvE0_clEvEUlaaE_EESt5arrayIPcLm2EEEEviT0_T1_.has_dyn_sized_stack, 0
	.set _ZN2at6native29vectorized_elementwise_kernelILi4ENS0_13BUnaryFunctorIaaaZZZNS0_18lshift_kernel_cudaERNS_18TensorIteratorBaseEENKUlvE_clEvENKUlvE0_clEvEUlaaE_EESt5arrayIPcLm2EEEEviT0_T1_.has_recursion, 0
	.set _ZN2at6native29vectorized_elementwise_kernelILi4ENS0_13BUnaryFunctorIaaaZZZNS0_18lshift_kernel_cudaERNS_18TensorIteratorBaseEENKUlvE_clEvENKUlvE0_clEvEUlaaE_EESt5arrayIPcLm2EEEEviT0_T1_.has_indirect_call, 0
	.section	.AMDGPU.csdata,"",@progbits
; Kernel info:
; codeLenInByte = 3240
; TotalNumSgprs: 45
; NumVgprs: 22
; ScratchSize: 0
; MemoryBound: 0
; FloatMode: 240
; IeeeMode: 1
; LDSByteSize: 0 bytes/workgroup (compile time only)
; SGPRBlocks: 5
; VGPRBlocks: 5
; NumSGPRsForWavesPerEU: 45
; NumVGPRsForWavesPerEU: 22
; Occupancy: 10
; WaveLimiterHint : 1
; COMPUTE_PGM_RSRC2:SCRATCH_EN: 0
; COMPUTE_PGM_RSRC2:USER_SGPR: 6
; COMPUTE_PGM_RSRC2:TRAP_HANDLER: 0
; COMPUTE_PGM_RSRC2:TGID_X_EN: 1
; COMPUTE_PGM_RSRC2:TGID_Y_EN: 0
; COMPUTE_PGM_RSRC2:TGID_Z_EN: 0
; COMPUTE_PGM_RSRC2:TIDIG_COMP_CNT: 0
	.section	.text._ZN2at6native29vectorized_elementwise_kernelILi2ENS0_13BUnaryFunctorIaaaZZZNS0_18lshift_kernel_cudaERNS_18TensorIteratorBaseEENKUlvE_clEvENKUlvE0_clEvEUlaaE_EESt5arrayIPcLm2EEEEviT0_T1_,"axG",@progbits,_ZN2at6native29vectorized_elementwise_kernelILi2ENS0_13BUnaryFunctorIaaaZZZNS0_18lshift_kernel_cudaERNS_18TensorIteratorBaseEENKUlvE_clEvENKUlvE0_clEvEUlaaE_EESt5arrayIPcLm2EEEEviT0_T1_,comdat
	.globl	_ZN2at6native29vectorized_elementwise_kernelILi2ENS0_13BUnaryFunctorIaaaZZZNS0_18lshift_kernel_cudaERNS_18TensorIteratorBaseEENKUlvE_clEvENKUlvE0_clEvEUlaaE_EESt5arrayIPcLm2EEEEviT0_T1_ ; -- Begin function _ZN2at6native29vectorized_elementwise_kernelILi2ENS0_13BUnaryFunctorIaaaZZZNS0_18lshift_kernel_cudaERNS_18TensorIteratorBaseEENKUlvE_clEvENKUlvE0_clEvEUlaaE_EESt5arrayIPcLm2EEEEviT0_T1_
	.p2align	8
	.type	_ZN2at6native29vectorized_elementwise_kernelILi2ENS0_13BUnaryFunctorIaaaZZZNS0_18lshift_kernel_cudaERNS_18TensorIteratorBaseEENKUlvE_clEvENKUlvE0_clEvEUlaaE_EESt5arrayIPcLm2EEEEviT0_T1_,@function
_ZN2at6native29vectorized_elementwise_kernelILi2ENS0_13BUnaryFunctorIaaaZZZNS0_18lshift_kernel_cudaERNS_18TensorIteratorBaseEENKUlvE_clEvENKUlvE0_clEvEUlaaE_EESt5arrayIPcLm2EEEEviT0_T1_: ; @_ZN2at6native29vectorized_elementwise_kernelILi2ENS0_13BUnaryFunctorIaaaZZZNS0_18lshift_kernel_cudaERNS_18TensorIteratorBaseEENKUlvE_clEvENKUlvE0_clEvEUlaaE_EESt5arrayIPcLm2EEEEviT0_T1_
; %bb.0:
	v_mov_b32_e32 v1, 0
	global_load_ushort v1, v1, s[4:5] offset:4
	s_load_dword s0, s[4:5], 0x0
	s_load_dwordx4 s[8:11], s[4:5], 0x8
	s_lshl_b32 s33, s6, 12
	s_waitcnt lgkmcnt(0)
	s_sub_i32 s38, s0, s33
	s_waitcnt vmcnt(0)
	v_readfirstlane_b32 s1, v1
	s_and_b32 s40, 0xffff, s1
	s_lshr_b32 s39, s40, 8
	s_cmpk_gt_i32 s38, 0xfff
	s_mov_b64 s[0:1], -1
	s_cbranch_scc0 .LBB35_2
; %bb.1:
	s_ashr_i32 s2, s33, 31
	s_add_u32 s0, s10, s33
	s_addc_u32 s1, s11, s2
	v_lshlrev_b32_e32 v1, 1, v0
	global_load_ushort v2, v1, s[0:1]
	global_load_ushort v3, v1, s[0:1] offset:512
	global_load_ushort v4, v1, s[0:1] offset:1024
	global_load_ushort v5, v1, s[0:1] offset:1536
	global_load_ushort v6, v1, s[0:1] offset:2048
	global_load_ushort v7, v1, s[0:1] offset:2560
	global_load_ushort v8, v1, s[0:1] offset:3072
	global_load_ushort v9, v1, s[0:1] offset:3584
	s_cmpk_lt_u32 s40, 0x800
	s_cselect_b64 vcc, -1, 0
	s_and_b32 s3, 0xffff, s39
	s_add_u32 s0, s8, s33
	s_addc_u32 s1, s9, s2
	s_waitcnt vmcnt(7)
	v_lshlrev_b32_e32 v10, s3, v2
	v_lshlrev_b32_sdwa v2, s3, v2 dst_sel:DWORD dst_unused:UNUSED_PAD src0_sel:DWORD src1_sel:BYTE_1
	s_waitcnt vmcnt(6)
	v_lshlrev_b32_e32 v11, s3, v3
	v_lshlrev_b32_sdwa v3, s3, v3 dst_sel:DWORD dst_unused:UNUSED_PAD src0_sel:DWORD src1_sel:BYTE_1
	;; [unrolled: 3-line block ×8, first 2 shown]
	v_cndmask_b32_e32 v2, 0, v2, vcc
	v_cndmask_b32_e32 v10, 0, v10, vcc
	;; [unrolled: 1-line block ×9, first 2 shown]
	v_lshlrev_b16_e32 v2, 8, v2
	v_cndmask_b32_e32 v11, 0, v11, vcc
	v_cndmask_b32_e32 v12, 0, v12, vcc
	;; [unrolled: 1-line block ×7, first 2 shown]
	v_lshlrev_b16_e32 v9, 8, v9
	v_lshlrev_b16_e32 v8, 8, v8
	v_lshlrev_b16_e32 v7, 8, v7
	v_lshlrev_b16_e32 v6, 8, v6
	v_lshlrev_b16_e32 v5, 8, v5
	v_lshlrev_b16_e32 v4, 8, v4
	v_lshlrev_b16_e32 v3, 8, v3
	v_or_b32_sdwa v2, v10, v2 dst_sel:DWORD dst_unused:UNUSED_PAD src0_sel:BYTE_0 src1_sel:DWORD
	v_or_b32_sdwa v9, v17, v9 dst_sel:DWORD dst_unused:UNUSED_PAD src0_sel:BYTE_0 src1_sel:DWORD
	v_or_b32_sdwa v8, v16, v8 dst_sel:DWORD dst_unused:UNUSED_PAD src0_sel:BYTE_0 src1_sel:DWORD
	v_or_b32_sdwa v7, v15, v7 dst_sel:DWORD dst_unused:UNUSED_PAD src0_sel:BYTE_0 src1_sel:DWORD
	v_or_b32_sdwa v6, v14, v6 dst_sel:DWORD dst_unused:UNUSED_PAD src0_sel:BYTE_0 src1_sel:DWORD
	v_or_b32_sdwa v5, v13, v5 dst_sel:DWORD dst_unused:UNUSED_PAD src0_sel:BYTE_0 src1_sel:DWORD
	v_or_b32_sdwa v4, v12, v4 dst_sel:DWORD dst_unused:UNUSED_PAD src0_sel:BYTE_0 src1_sel:DWORD
	v_or_b32_sdwa v3, v11, v3 dst_sel:DWORD dst_unused:UNUSED_PAD src0_sel:BYTE_0 src1_sel:DWORD
	global_store_short v1, v2, s[0:1]
	global_store_short v1, v3, s[0:1] offset:512
	global_store_short v1, v4, s[0:1] offset:1024
	;; [unrolled: 1-line block ×7, first 2 shown]
	s_mov_b64 s[0:1], 0
.LBB35_2:
	s_andn2_b64 vcc, exec, s[0:1]
	s_cbranch_vccnz .LBB35_52
; %bb.3:
	v_cmp_gt_i32_e64 s[0:1], s38, v0
	v_or_b32_e32 v3, 0x100, v0
	v_mov_b32_e32 v21, 0
	v_mov_b32_e32 v5, 0
	v_or_b32_e32 v4, s33, v0
	v_mov_b32_e32 v6, 0
	v_mov_b32_e32 v20, 0
	v_mov_b32_e32 v19, 0
	v_mov_b32_e32 v18, 0
	v_mov_b32_e32 v17, 0
	v_mov_b32_e32 v16, 0
	v_mov_b32_e32 v15, 0
	v_mov_b32_e32 v14, 0
	v_mov_b32_e32 v12, 0
	v_mov_b32_e32 v13, 0
	v_mov_b32_e32 v11, 0
	v_mov_b32_e32 v9, 0
	v_mov_b32_e32 v10, 0
	v_mov_b32_e32 v8, 0
	v_mov_b32_e32 v7, 0
	s_and_saveexec_b64 s[2:3], s[0:1]
	s_cbranch_execz .LBB35_35
; %bb.4:
	global_load_ubyte v7, v4, s[10:11]
	v_cmp_gt_u32_e32 vcc, s38, v3
	v_mov_b32_e32 v6, 0
	v_mov_b32_e32 v8, 0
	;; [unrolled: 1-line block ×15, first 2 shown]
	s_and_saveexec_b64 s[4:5], vcc
	s_cbranch_execz .LBB35_34
; %bb.5:
	v_add_u32_e32 v1, s33, v0
	global_load_ubyte v8, v1, s[10:11] offset:256
	v_or_b32_e32 v2, 0x200, v0
	v_mov_b32_e32 v10, 0
	v_cmp_gt_u32_e32 vcc, s38, v2
	v_mov_b32_e32 v9, 0
	v_mov_b32_e32 v11, 0
	;; [unrolled: 1-line block ×13, first 2 shown]
	s_and_saveexec_b64 s[6:7], vcc
	s_cbranch_execz .LBB35_33
; %bb.6:
	v_mov_b32_e32 v2, s11
	v_add_co_u32_e32 v1, vcc, s10, v1
	v_addc_co_u32_e32 v2, vcc, 0, v2, vcc
	global_load_ubyte v10, v[1:2], off offset:512
	v_or_b32_e32 v6, 0x300, v0
	v_cmp_gt_u32_e32 vcc, s38, v6
	v_mov_b32_e32 v6, 0
	v_mov_b32_e32 v9, 0
	;; [unrolled: 1-line block ×13, first 2 shown]
	s_and_saveexec_b64 s[10:11], vcc
	s_cbranch_execz .LBB35_32
; %bb.7:
	global_load_ubyte v9, v[1:2], off offset:768
	v_or_b32_e32 v6, 0x400, v0
	v_cmp_gt_u32_e32 vcc, s38, v6
	v_mov_b32_e32 v6, 0
	v_mov_b32_e32 v11, 0
	;; [unrolled: 1-line block ×12, first 2 shown]
	s_and_saveexec_b64 s[12:13], vcc
	s_cbranch_execz .LBB35_31
; %bb.8:
	global_load_ubyte v11, v[1:2], off offset:1024
	v_or_b32_e32 v6, 0x500, v0
	v_cmp_gt_u32_e32 vcc, s38, v6
	v_mov_b32_e32 v6, 0
	v_mov_b32_e32 v13, 0
	;; [unrolled: 1-line block ×11, first 2 shown]
	s_and_saveexec_b64 s[14:15], vcc
	s_cbranch_execz .LBB35_30
; %bb.9:
	global_load_ubyte v13, v[1:2], off offset:1280
	v_or_b32_e32 v6, 0x600, v0
	v_cmp_gt_u32_e32 vcc, s38, v6
	v_mov_b32_e32 v6, 0
	v_mov_b32_e32 v12, 0
	v_mov_b32_e32 v14, 0
	v_mov_b32_e32 v15, 0
	v_mov_b32_e32 v16, 0
	v_mov_b32_e32 v17, 0
	v_mov_b32_e32 v18, 0
	v_mov_b32_e32 v19, 0
	v_mov_b32_e32 v20, 0
	v_mov_b32_e32 v21, 0
	s_and_saveexec_b64 s[16:17], vcc
	s_cbranch_execz .LBB35_29
; %bb.10:
	global_load_ubyte v12, v[1:2], off offset:1536
	v_or_b32_e32 v6, 0x700, v0
	v_cmp_gt_u32_e32 vcc, s38, v6
	v_mov_b32_e32 v6, 0
	v_mov_b32_e32 v14, 0
	;; [unrolled: 1-line block ×9, first 2 shown]
	s_and_saveexec_b64 s[18:19], vcc
	s_cbranch_execz .LBB35_28
; %bb.11:
	global_load_ubyte v14, v[1:2], off offset:1792
	v_or_b32_e32 v6, 0x800, v0
	v_cmp_gt_u32_e32 vcc, s38, v6
	v_mov_b32_e32 v6, 0
	v_mov_b32_e32 v15, 0
	;; [unrolled: 1-line block ×8, first 2 shown]
	s_and_saveexec_b64 s[20:21], vcc
	s_cbranch_execz .LBB35_27
; %bb.12:
	global_load_ubyte v15, v[1:2], off offset:2048
	v_or_b32_e32 v6, 0x900, v0
	v_cmp_gt_u32_e32 vcc, s38, v6
	v_mov_b32_e32 v6, 0
	v_mov_b32_e32 v16, 0
	;; [unrolled: 1-line block ×7, first 2 shown]
	s_and_saveexec_b64 s[22:23], vcc
	s_cbranch_execz .LBB35_26
; %bb.13:
	global_load_ubyte v16, v[1:2], off offset:2304
	v_or_b32_e32 v6, 0xa00, v0
	v_cmp_gt_u32_e32 vcc, s38, v6
	v_mov_b32_e32 v6, 0
	v_mov_b32_e32 v17, 0
	v_mov_b32_e32 v18, 0
	v_mov_b32_e32 v19, 0
	v_mov_b32_e32 v20, 0
	v_mov_b32_e32 v21, 0
	s_and_saveexec_b64 s[24:25], vcc
	s_cbranch_execz .LBB35_25
; %bb.14:
	global_load_ubyte v17, v[1:2], off offset:2560
	v_or_b32_e32 v6, 0xb00, v0
	v_cmp_gt_u32_e32 vcc, s38, v6
	v_mov_b32_e32 v6, 0
	v_mov_b32_e32 v18, 0
	;; [unrolled: 1-line block ×5, first 2 shown]
	s_and_saveexec_b64 s[26:27], vcc
	s_cbranch_execz .LBB35_24
; %bb.15:
	global_load_ubyte v18, v[1:2], off offset:2816
	v_or_b32_e32 v6, 0xc00, v0
	v_cmp_gt_u32_e32 vcc, s38, v6
	v_mov_b32_e32 v6, 0
	v_mov_b32_e32 v19, 0
	;; [unrolled: 1-line block ×4, first 2 shown]
	s_and_saveexec_b64 s[28:29], vcc
	s_cbranch_execz .LBB35_23
; %bb.16:
	global_load_ubyte v19, v[1:2], off offset:3072
	v_or_b32_e32 v6, 0xd00, v0
	v_cmp_gt_u32_e32 vcc, s38, v6
	v_mov_b32_e32 v6, 0
	v_mov_b32_e32 v20, 0
	;; [unrolled: 1-line block ×3, first 2 shown]
	s_and_saveexec_b64 s[30:31], vcc
	s_cbranch_execz .LBB35_22
; %bb.17:
	global_load_ubyte v20, v[1:2], off offset:3328
	v_or_b32_e32 v6, 0xe00, v0
	v_cmp_gt_u32_e32 vcc, s38, v6
	v_mov_b32_e32 v6, 0
	v_mov_b32_e32 v21, 0
	s_and_saveexec_b64 s[34:35], vcc
	s_cbranch_execz .LBB35_21
; %bb.18:
	global_load_ubyte v21, v[1:2], off offset:3584
	v_or_b32_e32 v6, 0xf00, v0
	v_cmp_gt_u32_e32 vcc, s38, v6
	v_mov_b32_e32 v6, 0
	s_and_saveexec_b64 s[36:37], vcc
	s_cbranch_execz .LBB35_20
; %bb.19:
	global_load_ubyte v6, v[1:2], off offset:3840
.LBB35_20:
	s_or_b64 exec, exec, s[36:37]
.LBB35_21:
	s_or_b64 exec, exec, s[34:35]
.LBB35_22:
	s_or_b64 exec, exec, s[30:31]
.LBB35_23:
	s_or_b64 exec, exec, s[28:29]
.LBB35_24:
	s_or_b64 exec, exec, s[26:27]
.LBB35_25:
	s_or_b64 exec, exec, s[24:25]
.LBB35_26:
	s_or_b64 exec, exec, s[22:23]
.LBB35_27:
	s_or_b64 exec, exec, s[20:21]
.LBB35_28:
	s_or_b64 exec, exec, s[18:19]
.LBB35_29:
	s_or_b64 exec, exec, s[16:17]
.LBB35_30:
	s_or_b64 exec, exec, s[14:15]
.LBB35_31:
	s_or_b64 exec, exec, s[12:13]
.LBB35_32:
	s_or_b64 exec, exec, s[10:11]
.LBB35_33:
	s_or_b64 exec, exec, s[6:7]
.LBB35_34:
	s_or_b64 exec, exec, s[4:5]
.LBB35_35:
	s_or_b64 exec, exec, s[2:3]
	s_cmpk_lt_u32 s40, 0x800
	s_cselect_b64 vcc, -1, 0
	s_and_b32 s5, 0xffff, s39
	s_waitcnt vmcnt(0)
	v_lshlrev_b32_e32 v1, s5, v7
	s_mov_b32 s4, 0xffff
	v_cndmask_b32_e32 v1, 0, v1, vcc
	v_lshlrev_b32_e32 v2, s5, v8
	v_and_b32_sdwa v1, s4, v1 dst_sel:DWORD dst_unused:UNUSED_PAD src0_sel:DWORD src1_sel:BYTE_0
	v_cndmask_b32_e32 v2, 0, v2, vcc
	v_cndmask_b32_e64 v1, 0, v1, s[0:1]
	v_lshlrev_b16_e32 v2, 8, v2
	v_or_b32_e32 v2, v1, v2
	v_and_b32_e32 v2, 0xffff, v2
	v_cmp_gt_i32_e64 s[2:3], s38, v3
	v_lshlrev_b32_e32 v7, s5, v10
	v_cndmask_b32_e64 v1, v1, v2, s[2:3]
	v_cndmask_b32_e32 v7, 0, v7, vcc
	s_mov_b32 s7, 0xc0c0304
	v_or_b32_e32 v2, 0x200, v0
	v_perm_b32 v7, v7, v1, s7
	v_lshl_or_b32 v7, v7, 16, v1
	v_cmp_gt_i32_e64 s[2:3], s38, v2
	v_lshlrev_b32_e32 v8, s5, v9
	s_movk_i32 s6, 0xff
	v_cndmask_b32_e64 v1, v1, v7, s[2:3]
	v_cndmask_b32_e32 v8, 0, v8, vcc
	v_and_b32_sdwa v2, v1, s6 dst_sel:DWORD dst_unused:UNUSED_PAD src0_sel:WORD_1 src1_sel:DWORD
	v_lshlrev_b16_e32 v8, 8, v8
	v_or_b32_e32 v7, 0x300, v0
	v_or_b32_sdwa v2, v2, v8 dst_sel:WORD_1 dst_unused:UNUSED_PAD src0_sel:DWORD src1_sel:DWORD
	v_and_or_b32 v2, v1, s4, v2
	v_cmp_gt_i32_e64 s[2:3], s38, v7
	v_cndmask_b32_e64 v8, v1, v2, s[2:3]
	v_lshlrev_b32_e32 v1, s5, v11
	v_or_b32_e32 v2, 0x400, v0
	v_cndmask_b32_e32 v1, 0, v1, vcc
	s_mov_b32 s10, 0x3020104
	v_cmp_gt_i32_e64 s[2:3], s38, v2
	v_lshlrev_b32_e32 v2, s5, v13
	v_perm_b32 v1, v1, 0, s10
	v_cndmask_b32_e32 v2, 0, v2, vcc
	v_cndmask_b32_e64 v1, 0, v1, s[2:3]
	v_lshlrev_b16_e32 v2, 8, v2
	v_or_b32_sdwa v2, v1, v2 dst_sel:DWORD dst_unused:UNUSED_PAD src0_sel:BYTE_0 src1_sel:DWORD
	v_and_b32_e32 v2, 0xffff, v2
	s_mov_b32 s11, 0xffff0000
	v_or_b32_e32 v7, 0x500, v0
	v_and_or_b32 v2, v1, s11, v2
	v_cmp_gt_i32_e64 s[2:3], s38, v7
	v_lshlrev_b32_e32 v7, s5, v12
	v_cndmask_b32_e64 v1, v1, v2, s[2:3]
	v_or_b32_e32 v2, 0x600, v0
	v_cndmask_b32_e32 v7, 0, v7, vcc
	s_mov_b32 s12, 0x7000504
	v_perm_b32 v7, v1, v7, s12
	v_cmp_gt_i32_e64 s[2:3], s38, v2
	v_lshlrev_b32_e32 v9, s5, v14
	v_cndmask_b32_e64 v1, v1, v7, s[2:3]
	v_cndmask_b32_e32 v9, 0, v9, vcc
	v_and_b32_sdwa v2, v1, s6 dst_sel:DWORD dst_unused:UNUSED_PAD src0_sel:WORD_1 src1_sel:DWORD
	v_lshlrev_b16_e32 v9, 8, v9
	v_or_b32_e32 v7, 0x700, v0
	v_or_b32_sdwa v2, v2, v9 dst_sel:WORD_1 dst_unused:UNUSED_PAD src0_sel:DWORD src1_sel:DWORD
	v_and_or_b32 v2, v1, s4, v2
	v_cmp_gt_i32_e64 s[2:3], s38, v7
	v_cndmask_b32_e64 v7, v1, v2, s[2:3]
	v_lshlrev_b32_e32 v2, s5, v15
	v_or_b32_e32 v1, 0x800, v0
	v_cndmask_b32_e32 v2, 0, v2, vcc
	v_lshlrev_b32_e32 v9, s5, v16
	v_and_b32_sdwa v2, s4, v2 dst_sel:DWORD dst_unused:UNUSED_PAD src0_sel:DWORD src1_sel:BYTE_0
	v_cmp_gt_i32_e64 s[2:3], s38, v1
	v_cndmask_b32_e32 v9, 0, v9, vcc
	v_cndmask_b32_e64 v1, 0, v2, s[2:3]
	v_lshlrev_b16_e32 v9, 8, v9
	v_or_b32_e32 v2, 0x900, v0
	v_or_b32_e32 v9, v1, v9
	v_and_b32_e32 v9, 0xffff, v9
	v_cmp_gt_i32_e64 s[2:3], s38, v2
	v_cndmask_b32_e64 v1, v1, v9, s[2:3]
	v_lshlrev_b32_e32 v9, s5, v17
	v_cndmask_b32_e32 v9, 0, v9, vcc
	v_or_b32_e32 v2, 0xa00, v0
	v_perm_b32 v9, v9, v1, s7
	v_lshl_or_b32 v9, v9, 16, v1
	v_cmp_gt_i32_e64 s[2:3], s38, v2
	v_lshlrev_b32_e32 v10, s5, v18
	v_cndmask_b32_e64 v1, v1, v9, s[2:3]
	v_cndmask_b32_e32 v10, 0, v10, vcc
	v_and_b32_sdwa v2, v1, s6 dst_sel:DWORD dst_unused:UNUSED_PAD src0_sel:WORD_1 src1_sel:DWORD
	v_lshlrev_b16_e32 v10, 8, v10
	v_or_b32_e32 v9, 0xb00, v0
	v_or_b32_sdwa v2, v2, v10 dst_sel:WORD_1 dst_unused:UNUSED_PAD src0_sel:DWORD src1_sel:DWORD
	v_and_or_b32 v2, v1, s4, v2
	v_cmp_gt_i32_e64 s[2:3], s38, v9
	v_cndmask_b32_e64 v2, v1, v2, s[2:3]
	v_lshlrev_b32_e32 v1, s5, v19
	v_or_b32_e32 v9, 0xc00, v0
	v_cndmask_b32_e32 v1, 0, v1, vcc
	v_cmp_gt_i32_e64 s[2:3], s38, v9
	v_lshlrev_b32_e32 v9, s5, v20
	v_perm_b32 v1, v1, 0, s10
	v_cndmask_b32_e32 v9, 0, v9, vcc
	v_cndmask_b32_e64 v1, 0, v1, s[2:3]
	v_lshlrev_b16_e32 v9, 8, v9
	v_or_b32_sdwa v9, v1, v9 dst_sel:DWORD dst_unused:UNUSED_PAD src0_sel:BYTE_0 src1_sel:DWORD
	v_and_b32_e32 v9, 0xffff, v9
	v_or_b32_e32 v10, 0xd00, v0
	v_and_or_b32 v9, v1, s11, v9
	v_cmp_gt_i32_e64 s[2:3], s38, v10
	v_lshlrev_b32_e32 v10, s5, v21
	v_cndmask_b32_e64 v1, v1, v9, s[2:3]
	v_or_b32_e32 v9, 0xe00, v0
	v_cndmask_b32_e32 v10, 0, v10, vcc
	v_perm_b32 v10, v1, v10, s12
	v_cmp_gt_i32_e64 s[2:3], s38, v9
	v_cndmask_b32_e64 v1, v1, v10, s[2:3]
	v_lshlrev_b32_e32 v6, s5, v6
	v_and_b32_sdwa v9, v1, s6 dst_sel:DWORD dst_unused:UNUSED_PAD src0_sel:WORD_1 src1_sel:DWORD
	v_cndmask_b32_sdwa v5, v5, v6, vcc dst_sel:BYTE_1 dst_unused:UNUSED_PAD src0_sel:DWORD src1_sel:DWORD
	v_or_b32_e32 v10, 0xf00, v0
	v_or_b32_sdwa v5, v9, v5 dst_sel:WORD_1 dst_unused:UNUSED_PAD src0_sel:DWORD src1_sel:DWORD
	v_and_or_b32 v5, v1, s4, v5
	v_cmp_gt_i32_e32 vcc, s38, v10
	v_cndmask_b32_e32 v1, v1, v5, vcc
	s_and_saveexec_b64 s[2:3], s[0:1]
	s_cbranch_execnz .LBB35_53
; %bb.36:
	s_or_b64 exec, exec, s[2:3]
	v_cmp_gt_i32_e32 vcc, s38, v0
	s_and_saveexec_b64 s[0:1], vcc
	s_cbranch_execnz .LBB35_54
.LBB35_37:
	s_or_b64 exec, exec, s[0:1]
	v_cmp_gt_i32_e32 vcc, s38, v0
	s_and_saveexec_b64 s[0:1], vcc
	s_cbranch_execnz .LBB35_55
.LBB35_38:
	s_or_b64 exec, exec, s[0:1]
	v_cmp_gt_i32_e32 vcc, s38, v0
	s_and_saveexec_b64 s[0:1], vcc
	s_cbranch_execnz .LBB35_56
.LBB35_39:
	s_or_b64 exec, exec, s[0:1]
	v_cmp_gt_i32_e32 vcc, s38, v0
	s_and_saveexec_b64 s[0:1], vcc
	s_cbranch_execnz .LBB35_57
.LBB35_40:
	s_or_b64 exec, exec, s[0:1]
	v_cmp_gt_i32_e32 vcc, s38, v0
	s_and_saveexec_b64 s[0:1], vcc
	s_cbranch_execnz .LBB35_58
.LBB35_41:
	s_or_b64 exec, exec, s[0:1]
	v_cmp_gt_i32_e32 vcc, s38, v0
	s_and_saveexec_b64 s[0:1], vcc
	s_cbranch_execnz .LBB35_59
.LBB35_42:
	s_or_b64 exec, exec, s[0:1]
	v_cmp_gt_i32_e32 vcc, s38, v0
	s_and_saveexec_b64 s[0:1], vcc
	s_cbranch_execnz .LBB35_60
.LBB35_43:
	s_or_b64 exec, exec, s[0:1]
	v_cmp_gt_i32_e32 vcc, s38, v0
	s_and_saveexec_b64 s[0:1], vcc
	s_cbranch_execnz .LBB35_61
.LBB35_44:
	s_or_b64 exec, exec, s[0:1]
	v_cmp_gt_i32_e32 vcc, s38, v0
	s_and_saveexec_b64 s[0:1], vcc
	s_cbranch_execnz .LBB35_62
.LBB35_45:
	s_or_b64 exec, exec, s[0:1]
	v_cmp_gt_i32_e32 vcc, s38, v0
	s_and_saveexec_b64 s[0:1], vcc
	s_cbranch_execnz .LBB35_63
.LBB35_46:
	s_or_b64 exec, exec, s[0:1]
	v_cmp_gt_i32_e32 vcc, s38, v0
	s_and_saveexec_b64 s[0:1], vcc
	s_cbranch_execnz .LBB35_64
.LBB35_47:
	s_or_b64 exec, exec, s[0:1]
	v_cmp_gt_i32_e32 vcc, s38, v0
	s_and_saveexec_b64 s[0:1], vcc
	s_cbranch_execnz .LBB35_65
.LBB35_48:
	s_or_b64 exec, exec, s[0:1]
	v_cmp_gt_i32_e32 vcc, s38, v0
	s_and_saveexec_b64 s[0:1], vcc
	s_cbranch_execnz .LBB35_66
.LBB35_49:
	s_or_b64 exec, exec, s[0:1]
	v_cmp_gt_i32_e32 vcc, s38, v0
	s_and_saveexec_b64 s[0:1], vcc
	s_cbranch_execnz .LBB35_67
.LBB35_50:
	s_or_b64 exec, exec, s[0:1]
	v_cmp_gt_i32_e32 vcc, s38, v0
	s_and_saveexec_b64 s[0:1], vcc
	s_cbranch_execz .LBB35_52
.LBB35_51:
	v_lshrrev_b32_e32 v1, 24, v1
	v_add_u32_e32 v0, s33, v0
	global_store_byte v0, v1, s[8:9]
.LBB35_52:
	s_endpgm
.LBB35_53:
	v_mov_b32_e32 v0, v3
	global_store_byte v4, v8, s[8:9]
	s_or_b64 exec, exec, s[2:3]
	v_cmp_gt_i32_e32 vcc, s38, v0
	s_and_saveexec_b64 s[0:1], vcc
	s_cbranch_execz .LBB35_37
.LBB35_54:
	v_lshrrev_b32_e32 v3, 8, v8
	v_add_u32_e32 v4, s33, v0
	v_add_u32_e32 v0, 0x100, v0
	global_store_byte v4, v3, s[8:9]
	s_or_b64 exec, exec, s[0:1]
	v_cmp_gt_i32_e32 vcc, s38, v0
	s_and_saveexec_b64 s[0:1], vcc
	s_cbranch_execz .LBB35_38
.LBB35_55:
	v_add_u32_e32 v3, s33, v0
	v_add_u32_e32 v0, 0x100, v0
	global_store_byte_d16_hi v3, v8, s[8:9]
	s_or_b64 exec, exec, s[0:1]
	v_cmp_gt_i32_e32 vcc, s38, v0
	s_and_saveexec_b64 s[0:1], vcc
	s_cbranch_execz .LBB35_39
.LBB35_56:
	v_lshrrev_b32_e32 v3, 24, v8
	v_add_u32_e32 v4, s33, v0
	v_add_u32_e32 v0, 0x100, v0
	global_store_byte v4, v3, s[8:9]
	s_or_b64 exec, exec, s[0:1]
	v_cmp_gt_i32_e32 vcc, s38, v0
	s_and_saveexec_b64 s[0:1], vcc
	s_cbranch_execz .LBB35_40
.LBB35_57:
	v_add_u32_e32 v3, s33, v0
	v_add_u32_e32 v0, 0x100, v0
	global_store_byte v3, v7, s[8:9]
	s_or_b64 exec, exec, s[0:1]
	v_cmp_gt_i32_e32 vcc, s38, v0
	s_and_saveexec_b64 s[0:1], vcc
	s_cbranch_execz .LBB35_41
.LBB35_58:
	v_lshrrev_b32_e32 v3, 8, v7
	v_add_u32_e32 v4, s33, v0
	v_add_u32_e32 v0, 0x100, v0
	global_store_byte v4, v3, s[8:9]
	s_or_b64 exec, exec, s[0:1]
	v_cmp_gt_i32_e32 vcc, s38, v0
	s_and_saveexec_b64 s[0:1], vcc
	s_cbranch_execz .LBB35_42
.LBB35_59:
	v_add_u32_e32 v3, s33, v0
	v_add_u32_e32 v0, 0x100, v0
	global_store_byte_d16_hi v3, v7, s[8:9]
	s_or_b64 exec, exec, s[0:1]
	v_cmp_gt_i32_e32 vcc, s38, v0
	s_and_saveexec_b64 s[0:1], vcc
	s_cbranch_execz .LBB35_43
.LBB35_60:
	v_lshrrev_b32_e32 v3, 24, v7
	v_add_u32_e32 v4, s33, v0
	v_add_u32_e32 v0, 0x100, v0
	global_store_byte v4, v3, s[8:9]
	s_or_b64 exec, exec, s[0:1]
	v_cmp_gt_i32_e32 vcc, s38, v0
	s_and_saveexec_b64 s[0:1], vcc
	s_cbranch_execz .LBB35_44
.LBB35_61:
	v_add_u32_e32 v3, s33, v0
	v_add_u32_e32 v0, 0x100, v0
	global_store_byte v3, v2, s[8:9]
	s_or_b64 exec, exec, s[0:1]
	v_cmp_gt_i32_e32 vcc, s38, v0
	s_and_saveexec_b64 s[0:1], vcc
	s_cbranch_execz .LBB35_45
.LBB35_62:
	v_lshrrev_b32_e32 v3, 8, v2
	v_add_u32_e32 v4, s33, v0
	v_add_u32_e32 v0, 0x100, v0
	global_store_byte v4, v3, s[8:9]
	s_or_b64 exec, exec, s[0:1]
	v_cmp_gt_i32_e32 vcc, s38, v0
	s_and_saveexec_b64 s[0:1], vcc
	s_cbranch_execz .LBB35_46
.LBB35_63:
	v_add_u32_e32 v3, s33, v0
	v_add_u32_e32 v0, 0x100, v0
	global_store_byte_d16_hi v3, v2, s[8:9]
	s_or_b64 exec, exec, s[0:1]
	v_cmp_gt_i32_e32 vcc, s38, v0
	s_and_saveexec_b64 s[0:1], vcc
	s_cbranch_execz .LBB35_47
.LBB35_64:
	v_lshrrev_b32_e32 v2, 24, v2
	v_add_u32_e32 v3, s33, v0
	v_add_u32_e32 v0, 0x100, v0
	global_store_byte v3, v2, s[8:9]
	s_or_b64 exec, exec, s[0:1]
	v_cmp_gt_i32_e32 vcc, s38, v0
	s_and_saveexec_b64 s[0:1], vcc
	s_cbranch_execz .LBB35_48
.LBB35_65:
	v_add_u32_e32 v2, s33, v0
	v_add_u32_e32 v0, 0x100, v0
	global_store_byte v2, v1, s[8:9]
	s_or_b64 exec, exec, s[0:1]
	v_cmp_gt_i32_e32 vcc, s38, v0
	s_and_saveexec_b64 s[0:1], vcc
	s_cbranch_execz .LBB35_49
.LBB35_66:
	v_lshrrev_b32_e32 v2, 8, v1
	v_add_u32_e32 v3, s33, v0
	v_add_u32_e32 v0, 0x100, v0
	global_store_byte v3, v2, s[8:9]
	s_or_b64 exec, exec, s[0:1]
	v_cmp_gt_i32_e32 vcc, s38, v0
	s_and_saveexec_b64 s[0:1], vcc
	s_cbranch_execz .LBB35_50
.LBB35_67:
	v_add_u32_e32 v2, s33, v0
	v_add_u32_e32 v0, 0x100, v0
	global_store_byte_d16_hi v2, v1, s[8:9]
	s_or_b64 exec, exec, s[0:1]
	v_cmp_gt_i32_e32 vcc, s38, v0
	s_and_saveexec_b64 s[0:1], vcc
	s_cbranch_execnz .LBB35_51
	s_branch .LBB35_52
	.section	.rodata,"a",@progbits
	.p2align	6, 0x0
	.amdhsa_kernel _ZN2at6native29vectorized_elementwise_kernelILi2ENS0_13BUnaryFunctorIaaaZZZNS0_18lshift_kernel_cudaERNS_18TensorIteratorBaseEENKUlvE_clEvENKUlvE0_clEvEUlaaE_EESt5arrayIPcLm2EEEEviT0_T1_
		.amdhsa_group_segment_fixed_size 0
		.amdhsa_private_segment_fixed_size 0
		.amdhsa_kernarg_size 24
		.amdhsa_user_sgpr_count 6
		.amdhsa_user_sgpr_private_segment_buffer 1
		.amdhsa_user_sgpr_dispatch_ptr 0
		.amdhsa_user_sgpr_queue_ptr 0
		.amdhsa_user_sgpr_kernarg_segment_ptr 1
		.amdhsa_user_sgpr_dispatch_id 0
		.amdhsa_user_sgpr_flat_scratch_init 0
		.amdhsa_user_sgpr_private_segment_size 0
		.amdhsa_uses_dynamic_stack 0
		.amdhsa_system_sgpr_private_segment_wavefront_offset 0
		.amdhsa_system_sgpr_workgroup_id_x 1
		.amdhsa_system_sgpr_workgroup_id_y 0
		.amdhsa_system_sgpr_workgroup_id_z 0
		.amdhsa_system_sgpr_workgroup_info 0
		.amdhsa_system_vgpr_workitem_id 0
		.amdhsa_next_free_vgpr 22
		.amdhsa_next_free_sgpr 41
		.amdhsa_reserve_vcc 1
		.amdhsa_reserve_flat_scratch 0
		.amdhsa_float_round_mode_32 0
		.amdhsa_float_round_mode_16_64 0
		.amdhsa_float_denorm_mode_32 3
		.amdhsa_float_denorm_mode_16_64 3
		.amdhsa_dx10_clamp 1
		.amdhsa_ieee_mode 1
		.amdhsa_fp16_overflow 0
		.amdhsa_exception_fp_ieee_invalid_op 0
		.amdhsa_exception_fp_denorm_src 0
		.amdhsa_exception_fp_ieee_div_zero 0
		.amdhsa_exception_fp_ieee_overflow 0
		.amdhsa_exception_fp_ieee_underflow 0
		.amdhsa_exception_fp_ieee_inexact 0
		.amdhsa_exception_int_div_zero 0
	.end_amdhsa_kernel
	.section	.text._ZN2at6native29vectorized_elementwise_kernelILi2ENS0_13BUnaryFunctorIaaaZZZNS0_18lshift_kernel_cudaERNS_18TensorIteratorBaseEENKUlvE_clEvENKUlvE0_clEvEUlaaE_EESt5arrayIPcLm2EEEEviT0_T1_,"axG",@progbits,_ZN2at6native29vectorized_elementwise_kernelILi2ENS0_13BUnaryFunctorIaaaZZZNS0_18lshift_kernel_cudaERNS_18TensorIteratorBaseEENKUlvE_clEvENKUlvE0_clEvEUlaaE_EESt5arrayIPcLm2EEEEviT0_T1_,comdat
.Lfunc_end35:
	.size	_ZN2at6native29vectorized_elementwise_kernelILi2ENS0_13BUnaryFunctorIaaaZZZNS0_18lshift_kernel_cudaERNS_18TensorIteratorBaseEENKUlvE_clEvENKUlvE0_clEvEUlaaE_EESt5arrayIPcLm2EEEEviT0_T1_, .Lfunc_end35-_ZN2at6native29vectorized_elementwise_kernelILi2ENS0_13BUnaryFunctorIaaaZZZNS0_18lshift_kernel_cudaERNS_18TensorIteratorBaseEENKUlvE_clEvENKUlvE0_clEvEUlaaE_EESt5arrayIPcLm2EEEEviT0_T1_
                                        ; -- End function
	.set _ZN2at6native29vectorized_elementwise_kernelILi2ENS0_13BUnaryFunctorIaaaZZZNS0_18lshift_kernel_cudaERNS_18TensorIteratorBaseEENKUlvE_clEvENKUlvE0_clEvEUlaaE_EESt5arrayIPcLm2EEEEviT0_T1_.num_vgpr, 22
	.set _ZN2at6native29vectorized_elementwise_kernelILi2ENS0_13BUnaryFunctorIaaaZZZNS0_18lshift_kernel_cudaERNS_18TensorIteratorBaseEENKUlvE_clEvENKUlvE0_clEvEUlaaE_EESt5arrayIPcLm2EEEEviT0_T1_.num_agpr, 0
	.set _ZN2at6native29vectorized_elementwise_kernelILi2ENS0_13BUnaryFunctorIaaaZZZNS0_18lshift_kernel_cudaERNS_18TensorIteratorBaseEENKUlvE_clEvENKUlvE0_clEvEUlaaE_EESt5arrayIPcLm2EEEEviT0_T1_.numbered_sgpr, 41
	.set _ZN2at6native29vectorized_elementwise_kernelILi2ENS0_13BUnaryFunctorIaaaZZZNS0_18lshift_kernel_cudaERNS_18TensorIteratorBaseEENKUlvE_clEvENKUlvE0_clEvEUlaaE_EESt5arrayIPcLm2EEEEviT0_T1_.num_named_barrier, 0
	.set _ZN2at6native29vectorized_elementwise_kernelILi2ENS0_13BUnaryFunctorIaaaZZZNS0_18lshift_kernel_cudaERNS_18TensorIteratorBaseEENKUlvE_clEvENKUlvE0_clEvEUlaaE_EESt5arrayIPcLm2EEEEviT0_T1_.private_seg_size, 0
	.set _ZN2at6native29vectorized_elementwise_kernelILi2ENS0_13BUnaryFunctorIaaaZZZNS0_18lshift_kernel_cudaERNS_18TensorIteratorBaseEENKUlvE_clEvENKUlvE0_clEvEUlaaE_EESt5arrayIPcLm2EEEEviT0_T1_.uses_vcc, 1
	.set _ZN2at6native29vectorized_elementwise_kernelILi2ENS0_13BUnaryFunctorIaaaZZZNS0_18lshift_kernel_cudaERNS_18TensorIteratorBaseEENKUlvE_clEvENKUlvE0_clEvEUlaaE_EESt5arrayIPcLm2EEEEviT0_T1_.uses_flat_scratch, 0
	.set _ZN2at6native29vectorized_elementwise_kernelILi2ENS0_13BUnaryFunctorIaaaZZZNS0_18lshift_kernel_cudaERNS_18TensorIteratorBaseEENKUlvE_clEvENKUlvE0_clEvEUlaaE_EESt5arrayIPcLm2EEEEviT0_T1_.has_dyn_sized_stack, 0
	.set _ZN2at6native29vectorized_elementwise_kernelILi2ENS0_13BUnaryFunctorIaaaZZZNS0_18lshift_kernel_cudaERNS_18TensorIteratorBaseEENKUlvE_clEvENKUlvE0_clEvEUlaaE_EESt5arrayIPcLm2EEEEviT0_T1_.has_recursion, 0
	.set _ZN2at6native29vectorized_elementwise_kernelILi2ENS0_13BUnaryFunctorIaaaZZZNS0_18lshift_kernel_cudaERNS_18TensorIteratorBaseEENKUlvE_clEvENKUlvE0_clEvEUlaaE_EESt5arrayIPcLm2EEEEviT0_T1_.has_indirect_call, 0
	.section	.AMDGPU.csdata,"",@progbits
; Kernel info:
; codeLenInByte = 3272
; TotalNumSgprs: 45
; NumVgprs: 22
; ScratchSize: 0
; MemoryBound: 0
; FloatMode: 240
; IeeeMode: 1
; LDSByteSize: 0 bytes/workgroup (compile time only)
; SGPRBlocks: 5
; VGPRBlocks: 5
; NumSGPRsForWavesPerEU: 45
; NumVGPRsForWavesPerEU: 22
; Occupancy: 10
; WaveLimiterHint : 1
; COMPUTE_PGM_RSRC2:SCRATCH_EN: 0
; COMPUTE_PGM_RSRC2:USER_SGPR: 6
; COMPUTE_PGM_RSRC2:TRAP_HANDLER: 0
; COMPUTE_PGM_RSRC2:TGID_X_EN: 1
; COMPUTE_PGM_RSRC2:TGID_Y_EN: 0
; COMPUTE_PGM_RSRC2:TGID_Z_EN: 0
; COMPUTE_PGM_RSRC2:TIDIG_COMP_CNT: 0
	.section	.text._ZN2at6native27unrolled_elementwise_kernelINS0_13BUnaryFunctorIaaaZZZNS0_18lshift_kernel_cudaERNS_18TensorIteratorBaseEENKUlvE_clEvENKUlvE0_clEvEUlaaE_EESt5arrayIPcLm2EELi4E23TrivialOffsetCalculatorILi1EjESD_NS0_6memory15LoadWithoutCastENSE_16StoreWithoutCastEEEviT_T0_T2_T3_T4_T5_,"axG",@progbits,_ZN2at6native27unrolled_elementwise_kernelINS0_13BUnaryFunctorIaaaZZZNS0_18lshift_kernel_cudaERNS_18TensorIteratorBaseEENKUlvE_clEvENKUlvE0_clEvEUlaaE_EESt5arrayIPcLm2EELi4E23TrivialOffsetCalculatorILi1EjESD_NS0_6memory15LoadWithoutCastENSE_16StoreWithoutCastEEEviT_T0_T2_T3_T4_T5_,comdat
	.globl	_ZN2at6native27unrolled_elementwise_kernelINS0_13BUnaryFunctorIaaaZZZNS0_18lshift_kernel_cudaERNS_18TensorIteratorBaseEENKUlvE_clEvENKUlvE0_clEvEUlaaE_EESt5arrayIPcLm2EELi4E23TrivialOffsetCalculatorILi1EjESD_NS0_6memory15LoadWithoutCastENSE_16StoreWithoutCastEEEviT_T0_T2_T3_T4_T5_ ; -- Begin function _ZN2at6native27unrolled_elementwise_kernelINS0_13BUnaryFunctorIaaaZZZNS0_18lshift_kernel_cudaERNS_18TensorIteratorBaseEENKUlvE_clEvENKUlvE0_clEvEUlaaE_EESt5arrayIPcLm2EELi4E23TrivialOffsetCalculatorILi1EjESD_NS0_6memory15LoadWithoutCastENSE_16StoreWithoutCastEEEviT_T0_T2_T3_T4_T5_
	.p2align	8
	.type	_ZN2at6native27unrolled_elementwise_kernelINS0_13BUnaryFunctorIaaaZZZNS0_18lshift_kernel_cudaERNS_18TensorIteratorBaseEENKUlvE_clEvENKUlvE0_clEvEUlaaE_EESt5arrayIPcLm2EELi4E23TrivialOffsetCalculatorILi1EjESD_NS0_6memory15LoadWithoutCastENSE_16StoreWithoutCastEEEviT_T0_T2_T3_T4_T5_,@function
_ZN2at6native27unrolled_elementwise_kernelINS0_13BUnaryFunctorIaaaZZZNS0_18lshift_kernel_cudaERNS_18TensorIteratorBaseEENKUlvE_clEvENKUlvE0_clEvEUlaaE_EESt5arrayIPcLm2EELi4E23TrivialOffsetCalculatorILi1EjESD_NS0_6memory15LoadWithoutCastENSE_16StoreWithoutCastEEEviT_T0_T2_T3_T4_T5_: ; @_ZN2at6native27unrolled_elementwise_kernelINS0_13BUnaryFunctorIaaaZZZNS0_18lshift_kernel_cudaERNS_18TensorIteratorBaseEENKUlvE_clEvENKUlvE0_clEvEUlaaE_EESt5arrayIPcLm2EELi4E23TrivialOffsetCalculatorILi1EjESD_NS0_6memory15LoadWithoutCastENSE_16StoreWithoutCastEEEviT_T0_T2_T3_T4_T5_
; %bb.0:
	v_mov_b32_e32 v3, 0
	global_load_ushort v4, v3, s[4:5] offset:4
	s_load_dword s0, s[4:5], 0x0
	s_load_dwordx4 s[8:11], s[4:5], 0x8
	s_lshl_b32 s14, s6, 10
	v_or_b32_e32 v1, 0x100, v0
	v_or_b32_e32 v2, s14, v0
	s_waitcnt lgkmcnt(0)
	s_sub_i32 s15, s0, s14
	v_cmp_gt_i32_e64 s[0:1], s15, v0
	v_mov_b32_e32 v5, 0
	v_mov_b32_e32 v6, 0
	;; [unrolled: 1-line block ×4, first 2 shown]
	s_and_saveexec_b64 s[2:3], s[0:1]
	s_cbranch_execz .LBB36_8
; %bb.1:
	global_load_ubyte v8, v2, s[10:11]
	v_cmp_gt_u32_e32 vcc, s15, v1
	v_mov_b32_e32 v5, 0
	v_mov_b32_e32 v7, 0
	;; [unrolled: 1-line block ×3, first 2 shown]
	s_and_saveexec_b64 s[4:5], vcc
	s_cbranch_execz .LBB36_7
; %bb.2:
	v_add_u32_e32 v5, s14, v1
	global_load_ubyte v7, v5, s[10:11]
	v_or_b32_e32 v9, 0x200, v0
	v_cmp_gt_u32_e32 vcc, s15, v9
	v_mov_b32_e32 v5, 0
	v_mov_b32_e32 v6, 0
	s_and_saveexec_b64 s[6:7], vcc
	s_cbranch_execz .LBB36_6
; %bb.3:
	v_add_u32_e32 v5, s14, v9
	global_load_ubyte v6, v5, s[10:11]
	v_or_b32_e32 v9, 0x300, v0
	v_cmp_gt_u32_e32 vcc, s15, v9
	v_mov_b32_e32 v5, 0
	s_and_saveexec_b64 s[12:13], vcc
	s_cbranch_execz .LBB36_5
; %bb.4:
	v_add_u32_e32 v5, s14, v9
	global_load_ubyte v5, v5, s[10:11]
.LBB36_5:
	s_or_b64 exec, exec, s[12:13]
.LBB36_6:
	s_or_b64 exec, exec, s[6:7]
.LBB36_7:
	s_or_b64 exec, exec, s[4:5]
.LBB36_8:
	s_or_b64 exec, exec, s[2:3]
	v_mov_b32_e32 v9, 8
	s_waitcnt vmcnt(0)
	v_lshrrev_b32_sdwa v9, v9, v4 dst_sel:DWORD dst_unused:UNUSED_PAD src0_sel:DWORD src1_sel:WORD_0
	s_movk_i32 s2, 0x800
	v_lshlrev_b32_e32 v8, v9, v8
	v_cmp_lt_u32_sdwa vcc, v4, s2 src0_sel:WORD_0 src1_sel:DWORD
	s_mov_b32 s4, 0xffff
	v_cndmask_b32_e32 v4, 0, v8, vcc
	v_lshlrev_b32_e32 v7, v9, v7
	v_and_b32_sdwa v4, s4, v4 dst_sel:DWORD dst_unused:UNUSED_PAD src0_sel:DWORD src1_sel:BYTE_0
	v_cndmask_b32_e32 v7, 0, v7, vcc
	v_cndmask_b32_e64 v4, 0, v4, s[0:1]
	v_lshlrev_b16_e32 v7, 8, v7
	v_or_b32_e32 v7, v4, v7
	v_and_b32_e32 v7, 0xffff, v7
	v_cmp_gt_i32_e64 s[2:3], s15, v1
	v_lshlrev_b32_e32 v6, v9, v6
	v_cndmask_b32_e64 v4, v4, v7, s[2:3]
	v_cndmask_b32_e32 v6, 0, v6, vcc
	s_mov_b32 s2, 0xc0c0304
	v_or_b32_e32 v7, 0x200, v0
	v_perm_b32 v6, v6, v4, s2
	v_lshl_or_b32 v6, v6, 16, v4
	v_cmp_gt_i32_e64 s[2:3], s15, v7
	s_movk_i32 s5, 0xff
	v_cndmask_b32_e64 v4, v4, v6, s[2:3]
	v_lshlrev_b32_e32 v5, v9, v5
	v_and_b32_sdwa v6, v4, s5 dst_sel:DWORD dst_unused:UNUSED_PAD src0_sel:WORD_1 src1_sel:DWORD
	v_cndmask_b32_sdwa v3, v3, v5, vcc dst_sel:BYTE_1 dst_unused:UNUSED_PAD src0_sel:DWORD src1_sel:DWORD
	v_or_b32_e32 v7, 0x300, v0
	v_or_b32_sdwa v3, v6, v3 dst_sel:WORD_1 dst_unused:UNUSED_PAD src0_sel:DWORD src1_sel:DWORD
	v_and_or_b32 v3, v4, s4, v3
	v_cmp_gt_i32_e32 vcc, s15, v7
	v_cndmask_b32_e32 v3, v4, v3, vcc
	s_and_saveexec_b64 s[2:3], s[0:1]
	s_cbranch_execnz .LBB36_13
; %bb.9:
	s_or_b64 exec, exec, s[2:3]
	v_cmp_gt_i32_e32 vcc, s15, v0
	s_and_saveexec_b64 s[0:1], vcc
	s_cbranch_execnz .LBB36_14
.LBB36_10:
	s_or_b64 exec, exec, s[0:1]
	v_cmp_gt_i32_e32 vcc, s15, v0
	s_and_saveexec_b64 s[0:1], vcc
	s_cbranch_execnz .LBB36_15
.LBB36_11:
	s_or_b64 exec, exec, s[0:1]
	v_cmp_gt_i32_e32 vcc, s15, v0
	s_and_saveexec_b64 s[0:1], vcc
	s_cbranch_execnz .LBB36_16
.LBB36_12:
	s_endpgm
.LBB36_13:
	v_mov_b32_e32 v0, v1
	global_store_byte v2, v3, s[8:9]
	s_or_b64 exec, exec, s[2:3]
	v_cmp_gt_i32_e32 vcc, s15, v0
	s_and_saveexec_b64 s[0:1], vcc
	s_cbranch_execz .LBB36_10
.LBB36_14:
	v_add_u32_e32 v1, 0x100, v0
	v_add_u32_e32 v0, s14, v0
	v_lshrrev_b32_e32 v2, 8, v3
	global_store_byte v0, v2, s[8:9]
	v_mov_b32_e32 v0, v1
	s_or_b64 exec, exec, s[0:1]
	v_cmp_gt_i32_e32 vcc, s15, v0
	s_and_saveexec_b64 s[0:1], vcc
	s_cbranch_execz .LBB36_11
.LBB36_15:
	v_add_u32_e32 v1, 0x100, v0
	v_add_u32_e32 v0, s14, v0
	global_store_byte_d16_hi v0, v3, s[8:9]
	v_mov_b32_e32 v0, v1
	s_or_b64 exec, exec, s[0:1]
	v_cmp_gt_i32_e32 vcc, s15, v0
	s_and_saveexec_b64 s[0:1], vcc
	s_cbranch_execz .LBB36_12
.LBB36_16:
	v_add_u32_e32 v0, s14, v0
	v_lshrrev_b32_e32 v1, 24, v3
	global_store_byte v0, v1, s[8:9]
	s_endpgm
	.section	.rodata,"a",@progbits
	.p2align	6, 0x0
	.amdhsa_kernel _ZN2at6native27unrolled_elementwise_kernelINS0_13BUnaryFunctorIaaaZZZNS0_18lshift_kernel_cudaERNS_18TensorIteratorBaseEENKUlvE_clEvENKUlvE0_clEvEUlaaE_EESt5arrayIPcLm2EELi4E23TrivialOffsetCalculatorILi1EjESD_NS0_6memory15LoadWithoutCastENSE_16StoreWithoutCastEEEviT_T0_T2_T3_T4_T5_
		.amdhsa_group_segment_fixed_size 0
		.amdhsa_private_segment_fixed_size 0
		.amdhsa_kernarg_size 28
		.amdhsa_user_sgpr_count 6
		.amdhsa_user_sgpr_private_segment_buffer 1
		.amdhsa_user_sgpr_dispatch_ptr 0
		.amdhsa_user_sgpr_queue_ptr 0
		.amdhsa_user_sgpr_kernarg_segment_ptr 1
		.amdhsa_user_sgpr_dispatch_id 0
		.amdhsa_user_sgpr_flat_scratch_init 0
		.amdhsa_user_sgpr_private_segment_size 0
		.amdhsa_uses_dynamic_stack 0
		.amdhsa_system_sgpr_private_segment_wavefront_offset 0
		.amdhsa_system_sgpr_workgroup_id_x 1
		.amdhsa_system_sgpr_workgroup_id_y 0
		.amdhsa_system_sgpr_workgroup_id_z 0
		.amdhsa_system_sgpr_workgroup_info 0
		.amdhsa_system_vgpr_workitem_id 0
		.amdhsa_next_free_vgpr 10
		.amdhsa_next_free_sgpr 16
		.amdhsa_reserve_vcc 1
		.amdhsa_reserve_flat_scratch 0
		.amdhsa_float_round_mode_32 0
		.amdhsa_float_round_mode_16_64 0
		.amdhsa_float_denorm_mode_32 3
		.amdhsa_float_denorm_mode_16_64 3
		.amdhsa_dx10_clamp 1
		.amdhsa_ieee_mode 1
		.amdhsa_fp16_overflow 0
		.amdhsa_exception_fp_ieee_invalid_op 0
		.amdhsa_exception_fp_denorm_src 0
		.amdhsa_exception_fp_ieee_div_zero 0
		.amdhsa_exception_fp_ieee_overflow 0
		.amdhsa_exception_fp_ieee_underflow 0
		.amdhsa_exception_fp_ieee_inexact 0
		.amdhsa_exception_int_div_zero 0
	.end_amdhsa_kernel
	.section	.text._ZN2at6native27unrolled_elementwise_kernelINS0_13BUnaryFunctorIaaaZZZNS0_18lshift_kernel_cudaERNS_18TensorIteratorBaseEENKUlvE_clEvENKUlvE0_clEvEUlaaE_EESt5arrayIPcLm2EELi4E23TrivialOffsetCalculatorILi1EjESD_NS0_6memory15LoadWithoutCastENSE_16StoreWithoutCastEEEviT_T0_T2_T3_T4_T5_,"axG",@progbits,_ZN2at6native27unrolled_elementwise_kernelINS0_13BUnaryFunctorIaaaZZZNS0_18lshift_kernel_cudaERNS_18TensorIteratorBaseEENKUlvE_clEvENKUlvE0_clEvEUlaaE_EESt5arrayIPcLm2EELi4E23TrivialOffsetCalculatorILi1EjESD_NS0_6memory15LoadWithoutCastENSE_16StoreWithoutCastEEEviT_T0_T2_T3_T4_T5_,comdat
.Lfunc_end36:
	.size	_ZN2at6native27unrolled_elementwise_kernelINS0_13BUnaryFunctorIaaaZZZNS0_18lshift_kernel_cudaERNS_18TensorIteratorBaseEENKUlvE_clEvENKUlvE0_clEvEUlaaE_EESt5arrayIPcLm2EELi4E23TrivialOffsetCalculatorILi1EjESD_NS0_6memory15LoadWithoutCastENSE_16StoreWithoutCastEEEviT_T0_T2_T3_T4_T5_, .Lfunc_end36-_ZN2at6native27unrolled_elementwise_kernelINS0_13BUnaryFunctorIaaaZZZNS0_18lshift_kernel_cudaERNS_18TensorIteratorBaseEENKUlvE_clEvENKUlvE0_clEvEUlaaE_EESt5arrayIPcLm2EELi4E23TrivialOffsetCalculatorILi1EjESD_NS0_6memory15LoadWithoutCastENSE_16StoreWithoutCastEEEviT_T0_T2_T3_T4_T5_
                                        ; -- End function
	.set _ZN2at6native27unrolled_elementwise_kernelINS0_13BUnaryFunctorIaaaZZZNS0_18lshift_kernel_cudaERNS_18TensorIteratorBaseEENKUlvE_clEvENKUlvE0_clEvEUlaaE_EESt5arrayIPcLm2EELi4E23TrivialOffsetCalculatorILi1EjESD_NS0_6memory15LoadWithoutCastENSE_16StoreWithoutCastEEEviT_T0_T2_T3_T4_T5_.num_vgpr, 10
	.set _ZN2at6native27unrolled_elementwise_kernelINS0_13BUnaryFunctorIaaaZZZNS0_18lshift_kernel_cudaERNS_18TensorIteratorBaseEENKUlvE_clEvENKUlvE0_clEvEUlaaE_EESt5arrayIPcLm2EELi4E23TrivialOffsetCalculatorILi1EjESD_NS0_6memory15LoadWithoutCastENSE_16StoreWithoutCastEEEviT_T0_T2_T3_T4_T5_.num_agpr, 0
	.set _ZN2at6native27unrolled_elementwise_kernelINS0_13BUnaryFunctorIaaaZZZNS0_18lshift_kernel_cudaERNS_18TensorIteratorBaseEENKUlvE_clEvENKUlvE0_clEvEUlaaE_EESt5arrayIPcLm2EELi4E23TrivialOffsetCalculatorILi1EjESD_NS0_6memory15LoadWithoutCastENSE_16StoreWithoutCastEEEviT_T0_T2_T3_T4_T5_.numbered_sgpr, 16
	.set _ZN2at6native27unrolled_elementwise_kernelINS0_13BUnaryFunctorIaaaZZZNS0_18lshift_kernel_cudaERNS_18TensorIteratorBaseEENKUlvE_clEvENKUlvE0_clEvEUlaaE_EESt5arrayIPcLm2EELi4E23TrivialOffsetCalculatorILi1EjESD_NS0_6memory15LoadWithoutCastENSE_16StoreWithoutCastEEEviT_T0_T2_T3_T4_T5_.num_named_barrier, 0
	.set _ZN2at6native27unrolled_elementwise_kernelINS0_13BUnaryFunctorIaaaZZZNS0_18lshift_kernel_cudaERNS_18TensorIteratorBaseEENKUlvE_clEvENKUlvE0_clEvEUlaaE_EESt5arrayIPcLm2EELi4E23TrivialOffsetCalculatorILi1EjESD_NS0_6memory15LoadWithoutCastENSE_16StoreWithoutCastEEEviT_T0_T2_T3_T4_T5_.private_seg_size, 0
	.set _ZN2at6native27unrolled_elementwise_kernelINS0_13BUnaryFunctorIaaaZZZNS0_18lshift_kernel_cudaERNS_18TensorIteratorBaseEENKUlvE_clEvENKUlvE0_clEvEUlaaE_EESt5arrayIPcLm2EELi4E23TrivialOffsetCalculatorILi1EjESD_NS0_6memory15LoadWithoutCastENSE_16StoreWithoutCastEEEviT_T0_T2_T3_T4_T5_.uses_vcc, 1
	.set _ZN2at6native27unrolled_elementwise_kernelINS0_13BUnaryFunctorIaaaZZZNS0_18lshift_kernel_cudaERNS_18TensorIteratorBaseEENKUlvE_clEvENKUlvE0_clEvEUlaaE_EESt5arrayIPcLm2EELi4E23TrivialOffsetCalculatorILi1EjESD_NS0_6memory15LoadWithoutCastENSE_16StoreWithoutCastEEEviT_T0_T2_T3_T4_T5_.uses_flat_scratch, 0
	.set _ZN2at6native27unrolled_elementwise_kernelINS0_13BUnaryFunctorIaaaZZZNS0_18lshift_kernel_cudaERNS_18TensorIteratorBaseEENKUlvE_clEvENKUlvE0_clEvEUlaaE_EESt5arrayIPcLm2EELi4E23TrivialOffsetCalculatorILi1EjESD_NS0_6memory15LoadWithoutCastENSE_16StoreWithoutCastEEEviT_T0_T2_T3_T4_T5_.has_dyn_sized_stack, 0
	.set _ZN2at6native27unrolled_elementwise_kernelINS0_13BUnaryFunctorIaaaZZZNS0_18lshift_kernel_cudaERNS_18TensorIteratorBaseEENKUlvE_clEvENKUlvE0_clEvEUlaaE_EESt5arrayIPcLm2EELi4E23TrivialOffsetCalculatorILi1EjESD_NS0_6memory15LoadWithoutCastENSE_16StoreWithoutCastEEEviT_T0_T2_T3_T4_T5_.has_recursion, 0
	.set _ZN2at6native27unrolled_elementwise_kernelINS0_13BUnaryFunctorIaaaZZZNS0_18lshift_kernel_cudaERNS_18TensorIteratorBaseEENKUlvE_clEvENKUlvE0_clEvEUlaaE_EESt5arrayIPcLm2EELi4E23TrivialOffsetCalculatorILi1EjESD_NS0_6memory15LoadWithoutCastENSE_16StoreWithoutCastEEEviT_T0_T2_T3_T4_T5_.has_indirect_call, 0
	.section	.AMDGPU.csdata,"",@progbits
; Kernel info:
; codeLenInByte = 624
; TotalNumSgprs: 20
; NumVgprs: 10
; ScratchSize: 0
; MemoryBound: 0
; FloatMode: 240
; IeeeMode: 1
; LDSByteSize: 0 bytes/workgroup (compile time only)
; SGPRBlocks: 2
; VGPRBlocks: 2
; NumSGPRsForWavesPerEU: 20
; NumVGPRsForWavesPerEU: 10
; Occupancy: 10
; WaveLimiterHint : 0
; COMPUTE_PGM_RSRC2:SCRATCH_EN: 0
; COMPUTE_PGM_RSRC2:USER_SGPR: 6
; COMPUTE_PGM_RSRC2:TRAP_HANDLER: 0
; COMPUTE_PGM_RSRC2:TGID_X_EN: 1
; COMPUTE_PGM_RSRC2:TGID_Y_EN: 0
; COMPUTE_PGM_RSRC2:TGID_Z_EN: 0
; COMPUTE_PGM_RSRC2:TIDIG_COMP_CNT: 0
	.section	.text._ZN2at6native32elementwise_kernel_manual_unrollILi128ELi8EZNS0_22gpu_kernel_impl_nocastINS0_13BUnaryFunctorIaaaZZZNS0_18lshift_kernel_cudaERNS_18TensorIteratorBaseEENKUlvE_clEvENKUlvE0_clEvEUlaaE_EEEEvS5_RKT_EUlibE_EEviT1_,"axG",@progbits,_ZN2at6native32elementwise_kernel_manual_unrollILi128ELi8EZNS0_22gpu_kernel_impl_nocastINS0_13BUnaryFunctorIaaaZZZNS0_18lshift_kernel_cudaERNS_18TensorIteratorBaseEENKUlvE_clEvENKUlvE0_clEvEUlaaE_EEEEvS5_RKT_EUlibE_EEviT1_,comdat
	.globl	_ZN2at6native32elementwise_kernel_manual_unrollILi128ELi8EZNS0_22gpu_kernel_impl_nocastINS0_13BUnaryFunctorIaaaZZZNS0_18lshift_kernel_cudaERNS_18TensorIteratorBaseEENKUlvE_clEvENKUlvE0_clEvEUlaaE_EEEEvS5_RKT_EUlibE_EEviT1_ ; -- Begin function _ZN2at6native32elementwise_kernel_manual_unrollILi128ELi8EZNS0_22gpu_kernel_impl_nocastINS0_13BUnaryFunctorIaaaZZZNS0_18lshift_kernel_cudaERNS_18TensorIteratorBaseEENKUlvE_clEvENKUlvE0_clEvEUlaaE_EEEEvS5_RKT_EUlibE_EEviT1_
	.p2align	8
	.type	_ZN2at6native32elementwise_kernel_manual_unrollILi128ELi8EZNS0_22gpu_kernel_impl_nocastINS0_13BUnaryFunctorIaaaZZZNS0_18lshift_kernel_cudaERNS_18TensorIteratorBaseEENKUlvE_clEvENKUlvE0_clEvEUlaaE_EEEEvS5_RKT_EUlibE_EEviT1_,@function
_ZN2at6native32elementwise_kernel_manual_unrollILi128ELi8EZNS0_22gpu_kernel_impl_nocastINS0_13BUnaryFunctorIaaaZZZNS0_18lshift_kernel_cudaERNS_18TensorIteratorBaseEENKUlvE_clEvENKUlvE0_clEvEUlaaE_EEEEvS5_RKT_EUlibE_EEviT1_: ; @_ZN2at6native32elementwise_kernel_manual_unrollILi128ELi8EZNS0_22gpu_kernel_impl_nocastINS0_13BUnaryFunctorIaaaZZZNS0_18lshift_kernel_cudaERNS_18TensorIteratorBaseEENKUlvE_clEvENKUlvE0_clEvEUlaaE_EEEEvS5_RKT_EUlibE_EEviT1_
; %bb.0:
	s_load_dword s60, s[4:5], 0x0
	s_load_dword s33, s[4:5], 0x8
	s_add_u32 s34, s4, 8
	s_addc_u32 s35, s5, 0
	v_lshl_or_b32 v19, s6, 10, v0
	v_or_b32_e32 v25, 0x380, v19
	s_waitcnt lgkmcnt(0)
	s_add_i32 s58, s33, -1
	s_cmp_gt_u32 s58, 1
	v_cmp_le_i32_e32 vcc, s60, v25
	s_cselect_b64 s[6:7], -1, 0
	s_and_saveexec_b64 s[0:1], vcc
	s_xor_b64 s[40:41], exec, s[0:1]
	s_cbranch_execz .LBB37_7
; %bb.1:
	s_load_dwordx4 s[24:27], s[34:35], 0x4
	s_load_dwordx2 s[44:45], s[34:35], 0x14
	s_load_dword s8, s[4:5], 0x160
	s_cmp_lg_u32 s33, 0
	s_cselect_b64 s[50:51], -1, 0
	s_add_u32 s48, s34, 0xc4
	s_addc_u32 s49, s35, 0
	s_min_u32 s61, s58, 15
	s_load_dwordx4 s[28:31], s[34:35], 0xc4
	s_load_dwordx4 s[0:3], s[34:35], 0x148
	s_cmp_gt_u32 s33, 1
	s_cselect_b64 s[46:47], -1, 0
	s_waitcnt lgkmcnt(0)
	s_bfe_u32 s59, s8, 0x80008
	s_cmp_gt_u32 s59, 7
	s_cselect_b64 s[42:43], -1, 0
	v_cmp_gt_i32_e32 vcc, s60, v19
	s_and_saveexec_b64 s[52:53], vcc
	s_cbranch_execz .LBB37_14
; %bb.2:
	s_andn2_b64 vcc, exec, s[6:7]
	s_cbranch_vccnz .LBB37_21
; %bb.3:
	s_andn2_b64 vcc, exec, s[50:51]
	s_cbranch_vccnz .LBB37_129
; %bb.4:
	s_add_i32 s63, s61, 1
	s_cmp_eq_u32 s58, 2
	s_cbranch_scc1 .LBB37_131
; %bb.5:
	s_and_b32 s62, s63, 28
	v_mov_b32_e32 v2, 0
	s_mov_b32 s64, 0
	s_mov_b64 s[54:55], s[34:35]
	s_mov_b64 s[56:57], s[48:49]
	v_mov_b32_e32 v0, 0
	v_mov_b32_e32 v1, v19
.LBB37_6:                               ; =>This Inner Loop Header: Depth=1
	s_load_dwordx8 s[16:23], s[54:55], 0x4
	s_load_dwordx4 s[36:39], s[54:55], 0x24
	s_load_dwordx8 s[8:15], s[56:57], 0x0
	s_add_u32 s54, s54, 48
	s_addc_u32 s55, s55, 0
	s_waitcnt lgkmcnt(0)
	v_mul_hi_u32 v3, s17, v1
	s_add_i32 s64, s64, 4
	s_add_u32 s56, s56, 32
	s_addc_u32 s57, s57, 0
	v_add_u32_e32 v3, v1, v3
	v_lshrrev_b32_e32 v3, s18, v3
	v_mul_lo_u32 v4, v3, s16
	v_mul_hi_u32 v5, s20, v3
	s_cmp_lg_u32 s62, s64
	v_sub_u32_e32 v1, v1, v4
	v_add_u32_e32 v4, v3, v5
	v_mul_lo_u32 v5, v1, s8
	v_mul_lo_u32 v6, v1, s9
	v_lshrrev_b32_e32 v1, s21, v4
	v_mul_lo_u32 v4, v1, s19
	v_mul_hi_u32 v7, s23, v1
	v_sub_u32_e32 v3, v3, v4
	v_add_u32_e32 v4, v1, v7
	v_lshrrev_b32_e32 v4, s36, v4
	v_mul_hi_u32 v8, s38, v4
	v_mul_lo_u32 v9, v4, s22
	v_mul_lo_u32 v7, v3, s10
	;; [unrolled: 1-line block ×3, first 2 shown]
	v_sub_u32_e32 v9, v1, v9
	v_add_u32_e32 v1, v4, v8
	v_lshrrev_b32_e32 v1, s39, v1
	v_mul_lo_u32 v8, v1, s37
	v_mul_lo_u32 v10, v9, s12
	;; [unrolled: 1-line block ×3, first 2 shown]
	v_add3_u32 v0, v5, v0, v7
	v_sub_u32_e32 v4, v4, v8
	v_mul_lo_u32 v8, v4, s14
	v_mul_lo_u32 v4, v4, s15
	v_add3_u32 v2, v6, v2, v3
	v_add3_u32 v0, v10, v0, v8
	;; [unrolled: 1-line block ×3, first 2 shown]
	s_cbranch_scc1 .LBB37_6
	s_branch .LBB37_132
.LBB37_7:
	s_andn2_saveexec_b64 s[0:1], s[40:41]
	s_cbranch_execz .LBB37_221
.LBB37_8:
	v_cndmask_b32_e64 v0, 0, 1, s[6:7]
	v_cmp_ne_u32_e64 s[0:1], 1, v0
	s_andn2_b64 vcc, exec, s[6:7]
	s_cbranch_vccnz .LBB37_20
; %bb.9:
	s_cmp_lg_u32 s33, 0
	s_mov_b32 s28, 0
	s_cbranch_scc0 .LBB37_23
; %bb.10:
	s_min_u32 s29, s58, 15
	s_add_i32 s29, s29, 1
	s_cmp_eq_u32 s58, 2
	s_cbranch_scc1 .LBB37_24
; %bb.11:
	s_and_b32 s28, s29, 28
	s_add_u32 s2, s34, 0xc4
	s_addc_u32 s3, s35, 0
	v_mov_b32_e32 v2, 0
	s_mov_b32 s30, 0
	s_mov_b64 s[6:7], s[34:35]
	v_mov_b32_e32 v0, 0
	v_mov_b32_e32 v1, v19
.LBB37_12:                              ; =>This Inner Loop Header: Depth=1
	s_load_dwordx8 s[16:23], s[6:7], 0x4
	s_load_dwordx4 s[24:27], s[6:7], 0x24
	s_load_dwordx8 s[8:15], s[2:3], 0x0
	s_add_u32 s6, s6, 48
	s_addc_u32 s7, s7, 0
	s_waitcnt lgkmcnt(0)
	v_mul_hi_u32 v3, s17, v1
	s_add_i32 s30, s30, 4
	s_add_u32 s2, s2, 32
	s_addc_u32 s3, s3, 0
	v_add_u32_e32 v3, v1, v3
	v_lshrrev_b32_e32 v3, s18, v3
	v_mul_lo_u32 v4, v3, s16
	v_mul_hi_u32 v5, s20, v3
	s_cmp_lg_u32 s28, s30
	v_sub_u32_e32 v1, v1, v4
	v_add_u32_e32 v4, v3, v5
	v_mul_lo_u32 v5, v1, s8
	v_mul_lo_u32 v6, v1, s9
	v_lshrrev_b32_e32 v1, s21, v4
	v_mul_lo_u32 v4, v1, s19
	v_mul_hi_u32 v7, s23, v1
	v_sub_u32_e32 v3, v3, v4
	v_add_u32_e32 v4, v1, v7
	v_lshrrev_b32_e32 v4, s24, v4
	v_mul_hi_u32 v8, s26, v4
	v_mul_lo_u32 v9, v4, s22
	v_mul_lo_u32 v7, v3, s10
	;; [unrolled: 1-line block ×3, first 2 shown]
	v_sub_u32_e32 v9, v1, v9
	v_add_u32_e32 v1, v4, v8
	v_lshrrev_b32_e32 v1, s27, v1
	v_mul_lo_u32 v8, v1, s25
	v_mul_lo_u32 v10, v9, s12
	;; [unrolled: 1-line block ×3, first 2 shown]
	v_add3_u32 v0, v5, v0, v7
	v_sub_u32_e32 v4, v4, v8
	v_mul_lo_u32 v8, v4, s14
	v_mul_lo_u32 v4, v4, s15
	v_add3_u32 v2, v6, v2, v3
	v_add3_u32 v0, v10, v0, v8
	;; [unrolled: 1-line block ×3, first 2 shown]
	s_cbranch_scc1 .LBB37_12
; %bb.13:
	s_and_b32 s8, s29, 3
	s_cmp_eq_u32 s8, 0
	s_cbranch_scc0 .LBB37_25
	s_branch .LBB37_27
.LBB37_14:
	s_or_b64 exec, exec, s[52:53]
	v_cmp_gt_i32_e32 vcc, s60, v19
	s_and_saveexec_b64 s[52:53], vcc
	s_cbranch_execz .LBB37_139
.LBB37_15:
	s_andn2_b64 vcc, exec, s[6:7]
	s_cbranch_vccnz .LBB37_22
; %bb.16:
	s_andn2_b64 vcc, exec, s[50:51]
	s_cbranch_vccnz .LBB37_130
; %bb.17:
	s_add_i32 s63, s61, 1
	s_cmp_eq_u32 s58, 2
	s_cbranch_scc1 .LBB37_147
; %bb.18:
	s_and_b32 s62, s63, 28
	v_mov_b32_e32 v2, 0
	s_mov_b32 s64, 0
	s_mov_b64 s[54:55], s[34:35]
	s_mov_b64 s[56:57], s[48:49]
	v_mov_b32_e32 v0, 0
	v_mov_b32_e32 v1, v19
.LBB37_19:                              ; =>This Inner Loop Header: Depth=1
	s_load_dwordx8 s[16:23], s[54:55], 0x4
	s_load_dwordx4 s[36:39], s[54:55], 0x24
	s_load_dwordx8 s[8:15], s[56:57], 0x0
	s_add_u32 s54, s54, 48
	s_addc_u32 s55, s55, 0
	s_waitcnt lgkmcnt(0)
	v_mul_hi_u32 v3, s17, v1
	s_add_i32 s64, s64, 4
	s_add_u32 s56, s56, 32
	s_addc_u32 s57, s57, 0
	v_add_u32_e32 v3, v1, v3
	v_lshrrev_b32_e32 v3, s18, v3
	v_mul_lo_u32 v4, v3, s16
	v_mul_hi_u32 v5, s20, v3
	s_cmp_eq_u32 s62, s64
	v_sub_u32_e32 v1, v1, v4
	v_add_u32_e32 v4, v3, v5
	v_mul_lo_u32 v5, v1, s8
	v_mul_lo_u32 v6, v1, s9
	v_lshrrev_b32_e32 v1, s21, v4
	v_mul_lo_u32 v4, v1, s19
	v_mul_hi_u32 v7, s23, v1
	v_sub_u32_e32 v3, v3, v4
	v_add_u32_e32 v4, v1, v7
	v_lshrrev_b32_e32 v4, s36, v4
	v_mul_hi_u32 v8, s38, v4
	v_mul_lo_u32 v9, v4, s22
	v_mul_lo_u32 v7, v3, s10
	;; [unrolled: 1-line block ×3, first 2 shown]
	v_sub_u32_e32 v9, v1, v9
	v_add_u32_e32 v1, v4, v8
	v_lshrrev_b32_e32 v1, s39, v1
	v_mul_lo_u32 v8, v1, s37
	v_mul_lo_u32 v10, v9, s12
	;; [unrolled: 1-line block ×3, first 2 shown]
	v_add3_u32 v0, v5, v0, v7
	v_sub_u32_e32 v4, v4, v8
	v_mul_lo_u32 v8, v4, s14
	v_mul_lo_u32 v4, v4, s15
	v_add3_u32 v2, v6, v2, v3
	v_add3_u32 v0, v10, v0, v8
	;; [unrolled: 1-line block ×3, first 2 shown]
	s_cbranch_scc0 .LBB37_19
	s_branch .LBB37_148
.LBB37_20:
                                        ; implicit-def: $vgpr0
                                        ; implicit-def: $vgpr2
	s_branch .LBB37_28
.LBB37_21:
                                        ; implicit-def: $vgpr0
                                        ; implicit-def: $vgpr2
	s_branch .LBB37_136
.LBB37_22:
                                        ; implicit-def: $vgpr0
                                        ; implicit-def: $vgpr2
	s_branch .LBB37_152
.LBB37_23:
	v_mov_b32_e32 v0, 0
	v_mov_b32_e32 v2, 0
	s_branch .LBB37_27
.LBB37_24:
	v_mov_b32_e32 v0, 0
	v_mov_b32_e32 v2, 0
	;; [unrolled: 1-line block ×3, first 2 shown]
	s_and_b32 s8, s29, 3
	s_cmp_eq_u32 s8, 0
	s_cbranch_scc1 .LBB37_27
.LBB37_25:
	s_lshl_b32 s2, s28, 3
	s_add_u32 s2, s34, s2
	s_addc_u32 s3, s35, 0
	s_add_u32 s2, s2, 0xc4
	s_addc_u32 s3, s3, 0
	s_mul_i32 s6, s28, 12
	s_add_u32 s6, s34, s6
	s_addc_u32 s7, s35, 0
.LBB37_26:                              ; =>This Inner Loop Header: Depth=1
	s_load_dwordx2 s[10:11], s[6:7], 0x4
	s_load_dword s9, s[6:7], 0xc
	s_load_dwordx2 s[12:13], s[2:3], 0x0
	s_add_u32 s6, s6, 12
	s_addc_u32 s7, s7, 0
	s_waitcnt lgkmcnt(0)
	v_mul_hi_u32 v4, s11, v1
	s_add_u32 s2, s2, 8
	s_addc_u32 s3, s3, 0
	s_add_i32 s8, s8, -1
	v_add_u32_e32 v4, v1, v4
	v_lshrrev_b32_e32 v4, s9, v4
	v_mul_lo_u32 v5, v4, s10
	s_cmp_lg_u32 s8, 0
	v_sub_u32_e32 v5, v1, v5
	v_mad_u64_u32 v[0:1], s[10:11], v5, s12, v[0:1]
	v_mad_u64_u32 v[2:3], s[10:11], v5, s13, v[2:3]
	v_mov_b32_e32 v1, v4
	s_cbranch_scc1 .LBB37_26
.LBB37_27:
	s_cbranch_execnz .LBB37_30
.LBB37_28:
	s_load_dwordx4 s[8:11], s[34:35], 0x4
	s_load_dwordx2 s[2:3], s[34:35], 0xc4
	s_cmp_lt_u32 s33, 2
	s_waitcnt lgkmcnt(0)
	v_mul_hi_u32 v0, s9, v19
	v_add_u32_e32 v0, v19, v0
	v_lshrrev_b32_e32 v1, s10, v0
	v_mul_lo_u32 v0, v1, s8
	v_sub_u32_e32 v2, v19, v0
	v_mul_lo_u32 v0, v2, s2
	v_mul_lo_u32 v2, v2, s3
	s_cbranch_scc1 .LBB37_30
; %bb.29:
	s_load_dwordx4 s[8:11], s[34:35], 0x10
	s_load_dwordx2 s[2:3], s[34:35], 0xcc
	s_waitcnt lgkmcnt(0)
	v_mul_hi_u32 v3, s9, v1
	v_add_u32_e32 v3, v1, v3
	v_lshrrev_b32_e32 v3, s10, v3
	v_mul_lo_u32 v3, v3, s8
	v_sub_u32_e32 v3, v1, v3
	v_mad_u64_u32 v[0:1], s[6:7], v3, s2, v[0:1]
	v_mad_u64_u32 v[2:3], s[2:3], v3, s3, v[2:3]
.LBB37_30:
	s_and_b64 vcc, exec, s[0:1]
	v_add_u32_e32 v1, 0x80, v19
	s_cbranch_vccnz .LBB37_36
; %bb.31:
	s_cmp_lg_u32 s33, 0
	s_mov_b32 s28, 0
	s_cbranch_scc0 .LBB37_37
; %bb.32:
	s_min_u32 s29, s58, 15
	s_add_i32 s29, s29, 1
	s_cmp_eq_u32 s58, 2
	s_cbranch_scc1 .LBB37_38
; %bb.33:
	s_and_b32 s28, s29, 28
	s_add_u32 s2, s34, 0xc4
	s_addc_u32 s3, s35, 0
	v_mov_b32_e32 v5, 0
	s_mov_b32 s30, 0
	s_mov_b64 s[6:7], s[34:35]
	v_mov_b32_e32 v3, 0
	v_mov_b32_e32 v4, v1
.LBB37_34:                              ; =>This Inner Loop Header: Depth=1
	s_load_dwordx8 s[16:23], s[6:7], 0x4
	s_load_dwordx4 s[24:27], s[6:7], 0x24
	s_load_dwordx8 s[8:15], s[2:3], 0x0
	s_add_u32 s6, s6, 48
	s_addc_u32 s7, s7, 0
	s_waitcnt lgkmcnt(0)
	v_mul_hi_u32 v6, s17, v4
	s_add_i32 s30, s30, 4
	s_add_u32 s2, s2, 32
	s_addc_u32 s3, s3, 0
	v_add_u32_e32 v6, v4, v6
	v_lshrrev_b32_e32 v6, s18, v6
	v_mul_lo_u32 v7, v6, s16
	v_mul_hi_u32 v8, s20, v6
	s_cmp_lg_u32 s28, s30
	v_sub_u32_e32 v4, v4, v7
	v_add_u32_e32 v7, v6, v8
	v_mul_lo_u32 v8, v4, s8
	v_mul_lo_u32 v9, v4, s9
	v_lshrrev_b32_e32 v4, s21, v7
	v_mul_lo_u32 v7, v4, s19
	v_mul_hi_u32 v10, s23, v4
	v_sub_u32_e32 v6, v6, v7
	v_add_u32_e32 v7, v4, v10
	v_lshrrev_b32_e32 v7, s24, v7
	v_mul_hi_u32 v11, s26, v7
	v_mul_lo_u32 v12, v7, s22
	v_mul_lo_u32 v10, v6, s10
	;; [unrolled: 1-line block ×3, first 2 shown]
	v_sub_u32_e32 v12, v4, v12
	v_add_u32_e32 v4, v7, v11
	v_lshrrev_b32_e32 v4, s27, v4
	v_mul_lo_u32 v11, v4, s25
	v_mul_lo_u32 v13, v12, s12
	;; [unrolled: 1-line block ×3, first 2 shown]
	v_add3_u32 v3, v8, v3, v10
	v_sub_u32_e32 v7, v7, v11
	v_mul_lo_u32 v11, v7, s14
	v_mul_lo_u32 v7, v7, s15
	v_add3_u32 v5, v9, v5, v6
	v_add3_u32 v3, v13, v3, v11
	;; [unrolled: 1-line block ×3, first 2 shown]
	s_cbranch_scc1 .LBB37_34
; %bb.35:
	s_and_b32 s8, s29, 3
	s_cmp_eq_u32 s8, 0
	s_cbranch_scc0 .LBB37_39
	s_branch .LBB37_41
.LBB37_36:
                                        ; implicit-def: $vgpr3
                                        ; implicit-def: $vgpr5
	s_branch .LBB37_42
.LBB37_37:
	v_mov_b32_e32 v3, 0
	v_mov_b32_e32 v5, 0
	s_branch .LBB37_41
.LBB37_38:
	v_mov_b32_e32 v3, 0
	v_mov_b32_e32 v5, 0
	;; [unrolled: 1-line block ×3, first 2 shown]
	s_and_b32 s8, s29, 3
	s_cmp_eq_u32 s8, 0
	s_cbranch_scc1 .LBB37_41
.LBB37_39:
	s_lshl_b32 s2, s28, 3
	s_add_u32 s2, s34, s2
	s_addc_u32 s3, s35, 0
	s_add_u32 s2, s2, 0xc4
	s_addc_u32 s3, s3, 0
	s_mul_i32 s6, s28, 12
	s_add_u32 s6, s34, s6
	s_addc_u32 s7, s35, 0
.LBB37_40:                              ; =>This Inner Loop Header: Depth=1
	s_load_dwordx2 s[10:11], s[6:7], 0x4
	s_load_dword s9, s[6:7], 0xc
	s_load_dwordx2 s[12:13], s[2:3], 0x0
	s_add_u32 s6, s6, 12
	s_addc_u32 s7, s7, 0
	s_waitcnt lgkmcnt(0)
	v_mul_hi_u32 v7, s11, v4
	s_add_u32 s2, s2, 8
	s_addc_u32 s3, s3, 0
	s_add_i32 s8, s8, -1
	v_add_u32_e32 v7, v4, v7
	v_lshrrev_b32_e32 v7, s9, v7
	v_mul_lo_u32 v8, v7, s10
	s_cmp_lg_u32 s8, 0
	v_sub_u32_e32 v8, v4, v8
	v_mad_u64_u32 v[3:4], s[10:11], v8, s12, v[3:4]
	v_mad_u64_u32 v[5:6], s[10:11], v8, s13, v[5:6]
	v_mov_b32_e32 v4, v7
	s_cbranch_scc1 .LBB37_40
.LBB37_41:
	s_cbranch_execnz .LBB37_44
.LBB37_42:
	s_load_dwordx4 s[8:11], s[34:35], 0x4
	s_load_dwordx2 s[2:3], s[34:35], 0xc4
	s_cmp_lt_u32 s33, 2
	s_waitcnt lgkmcnt(0)
	v_mul_hi_u32 v3, s9, v1
	v_add_u32_e32 v3, v1, v3
	v_lshrrev_b32_e32 v4, s10, v3
	v_mul_lo_u32 v3, v4, s8
	v_sub_u32_e32 v1, v1, v3
	v_mul_lo_u32 v3, v1, s2
	v_mul_lo_u32 v5, v1, s3
	s_cbranch_scc1 .LBB37_44
; %bb.43:
	s_load_dwordx4 s[8:11], s[34:35], 0x10
	s_load_dwordx2 s[2:3], s[34:35], 0xcc
	s_waitcnt lgkmcnt(0)
	v_mul_hi_u32 v1, s9, v4
	v_add_u32_e32 v1, v4, v1
	v_lshrrev_b32_e32 v1, s10, v1
	v_mul_lo_u32 v1, v1, s8
	v_sub_u32_e32 v1, v4, v1
	v_mad_u64_u32 v[3:4], s[6:7], v1, s2, v[3:4]
	v_mad_u64_u32 v[5:6], s[2:3], v1, s3, v[5:6]
.LBB37_44:
	s_and_b64 vcc, exec, s[0:1]
	v_add_u32_e32 v1, 0x100, v19
	s_cbranch_vccnz .LBB37_50
; %bb.45:
	s_cmp_lg_u32 s33, 0
	s_mov_b32 s28, 0
	s_cbranch_scc0 .LBB37_51
; %bb.46:
	s_min_u32 s29, s58, 15
	s_add_i32 s29, s29, 1
	s_cmp_eq_u32 s58, 2
	s_cbranch_scc1 .LBB37_52
; %bb.47:
	s_and_b32 s28, s29, 28
	s_add_u32 s2, s34, 0xc4
	s_addc_u32 s3, s35, 0
	v_mov_b32_e32 v8, 0
	s_mov_b32 s30, 0
	s_mov_b64 s[6:7], s[34:35]
	v_mov_b32_e32 v6, 0
	v_mov_b32_e32 v4, v1
.LBB37_48:                              ; =>This Inner Loop Header: Depth=1
	s_load_dwordx8 s[16:23], s[6:7], 0x4
	s_load_dwordx4 s[24:27], s[6:7], 0x24
	s_load_dwordx8 s[8:15], s[2:3], 0x0
	s_add_u32 s6, s6, 48
	s_addc_u32 s7, s7, 0
	s_waitcnt lgkmcnt(0)
	v_mul_hi_u32 v7, s17, v4
	s_add_i32 s30, s30, 4
	s_add_u32 s2, s2, 32
	s_addc_u32 s3, s3, 0
	v_add_u32_e32 v7, v4, v7
	v_lshrrev_b32_e32 v7, s18, v7
	v_mul_lo_u32 v9, v7, s16
	v_mul_hi_u32 v10, s20, v7
	s_cmp_lg_u32 s28, s30
	v_sub_u32_e32 v4, v4, v9
	v_add_u32_e32 v9, v7, v10
	v_mul_lo_u32 v10, v4, s8
	v_mul_lo_u32 v11, v4, s9
	v_lshrrev_b32_e32 v4, s21, v9
	v_mul_lo_u32 v9, v4, s19
	v_mul_hi_u32 v12, s23, v4
	v_sub_u32_e32 v7, v7, v9
	v_add_u32_e32 v9, v4, v12
	v_lshrrev_b32_e32 v9, s24, v9
	v_mul_hi_u32 v13, s26, v9
	v_mul_lo_u32 v14, v9, s22
	v_mul_lo_u32 v12, v7, s10
	;; [unrolled: 1-line block ×3, first 2 shown]
	v_sub_u32_e32 v14, v4, v14
	v_add_u32_e32 v4, v9, v13
	v_lshrrev_b32_e32 v4, s27, v4
	v_mul_lo_u32 v13, v4, s25
	v_mul_lo_u32 v15, v14, s12
	;; [unrolled: 1-line block ×3, first 2 shown]
	v_add3_u32 v6, v10, v6, v12
	v_sub_u32_e32 v9, v9, v13
	v_mul_lo_u32 v13, v9, s14
	v_mul_lo_u32 v9, v9, s15
	v_add3_u32 v7, v11, v8, v7
	v_add3_u32 v6, v15, v6, v13
	;; [unrolled: 1-line block ×3, first 2 shown]
	s_cbranch_scc1 .LBB37_48
; %bb.49:
	s_and_b32 s8, s29, 3
	s_cmp_eq_u32 s8, 0
	s_cbranch_scc0 .LBB37_53
	s_branch .LBB37_55
.LBB37_50:
                                        ; implicit-def: $vgpr6
                                        ; implicit-def: $vgpr8
	s_branch .LBB37_56
.LBB37_51:
	v_mov_b32_e32 v6, 0
	v_mov_b32_e32 v8, 0
	s_branch .LBB37_55
.LBB37_52:
	v_mov_b32_e32 v6, 0
	v_mov_b32_e32 v8, 0
	;; [unrolled: 1-line block ×3, first 2 shown]
	s_and_b32 s8, s29, 3
	s_cmp_eq_u32 s8, 0
	s_cbranch_scc1 .LBB37_55
.LBB37_53:
	s_lshl_b32 s2, s28, 3
	s_add_u32 s2, s34, s2
	s_addc_u32 s3, s35, 0
	s_add_u32 s2, s2, 0xc4
	s_addc_u32 s3, s3, 0
	s_mul_i32 s6, s28, 12
	s_add_u32 s6, s34, s6
	s_addc_u32 s7, s35, 0
.LBB37_54:                              ; =>This Inner Loop Header: Depth=1
	s_load_dwordx2 s[10:11], s[6:7], 0x4
	s_load_dword s9, s[6:7], 0xc
	s_load_dwordx2 s[12:13], s[2:3], 0x0
	s_add_u32 s6, s6, 12
	s_addc_u32 s7, s7, 0
	s_waitcnt lgkmcnt(0)
	v_mul_hi_u32 v7, s11, v4
	s_add_u32 s2, s2, 8
	s_addc_u32 s3, s3, 0
	s_add_i32 s8, s8, -1
	v_add_u32_e32 v7, v4, v7
	v_lshrrev_b32_e32 v10, s9, v7
	v_mul_lo_u32 v7, v10, s10
	s_cmp_lg_u32 s8, 0
	v_sub_u32_e32 v4, v4, v7
	v_mad_u64_u32 v[6:7], s[10:11], v4, s12, v[6:7]
	v_mad_u64_u32 v[8:9], s[10:11], v4, s13, v[8:9]
	v_mov_b32_e32 v4, v10
	s_cbranch_scc1 .LBB37_54
.LBB37_55:
	s_cbranch_execnz .LBB37_58
.LBB37_56:
	s_load_dwordx4 s[8:11], s[34:35], 0x4
	s_load_dwordx2 s[2:3], s[34:35], 0xc4
	s_cmp_lt_u32 s33, 2
	s_waitcnt lgkmcnt(0)
	v_mul_hi_u32 v4, s9, v1
	v_add_u32_e32 v4, v1, v4
	v_lshrrev_b32_e32 v4, s10, v4
	v_mul_lo_u32 v6, v4, s8
	v_sub_u32_e32 v1, v1, v6
	v_mul_lo_u32 v6, v1, s2
	v_mul_lo_u32 v8, v1, s3
	s_cbranch_scc1 .LBB37_58
; %bb.57:
	s_load_dwordx4 s[8:11], s[34:35], 0x10
	s_load_dwordx2 s[2:3], s[34:35], 0xcc
	s_waitcnt lgkmcnt(0)
	v_mul_hi_u32 v1, s9, v4
	v_add_u32_e32 v1, v4, v1
	v_lshrrev_b32_e32 v1, s10, v1
	v_mul_lo_u32 v1, v1, s8
	v_sub_u32_e32 v1, v4, v1
	v_mad_u64_u32 v[6:7], s[6:7], v1, s2, v[6:7]
	v_mad_u64_u32 v[8:9], s[2:3], v1, s3, v[8:9]
.LBB37_58:
	s_and_b64 vcc, exec, s[0:1]
	v_add_u32_e32 v1, 0x180, v19
	s_cbranch_vccnz .LBB37_64
; %bb.59:
	s_cmp_lg_u32 s33, 0
	s_mov_b32 s28, 0
	s_cbranch_scc0 .LBB37_65
; %bb.60:
	s_min_u32 s29, s58, 15
	s_add_i32 s29, s29, 1
	s_cmp_eq_u32 s58, 2
	s_cbranch_scc1 .LBB37_66
; %bb.61:
	s_and_b32 s28, s29, 28
	s_add_u32 s2, s34, 0xc4
	s_addc_u32 s3, s35, 0
	v_mov_b32_e32 v11, 0
	s_mov_b32 s30, 0
	s_mov_b64 s[6:7], s[34:35]
	v_mov_b32_e32 v9, 0
	v_mov_b32_e32 v4, v1
.LBB37_62:                              ; =>This Inner Loop Header: Depth=1
	s_load_dwordx8 s[16:23], s[6:7], 0x4
	s_load_dwordx4 s[24:27], s[6:7], 0x24
	s_load_dwordx8 s[8:15], s[2:3], 0x0
	s_add_u32 s6, s6, 48
	s_addc_u32 s7, s7, 0
	s_waitcnt lgkmcnt(0)
	v_mul_hi_u32 v7, s17, v4
	s_add_i32 s30, s30, 4
	s_add_u32 s2, s2, 32
	s_addc_u32 s3, s3, 0
	v_add_u32_e32 v7, v4, v7
	v_lshrrev_b32_e32 v7, s18, v7
	v_mul_lo_u32 v10, v7, s16
	v_mul_hi_u32 v12, s20, v7
	s_cmp_lg_u32 s28, s30
	v_sub_u32_e32 v4, v4, v10
	v_add_u32_e32 v10, v7, v12
	v_mul_lo_u32 v12, v4, s8
	v_mul_lo_u32 v13, v4, s9
	v_lshrrev_b32_e32 v4, s21, v10
	v_mul_lo_u32 v10, v4, s19
	v_mul_hi_u32 v14, s23, v4
	v_sub_u32_e32 v7, v7, v10
	v_add_u32_e32 v10, v4, v14
	v_lshrrev_b32_e32 v10, s24, v10
	v_mul_hi_u32 v15, s26, v10
	v_mul_lo_u32 v16, v10, s22
	v_mul_lo_u32 v14, v7, s10
	;; [unrolled: 1-line block ×3, first 2 shown]
	v_sub_u32_e32 v16, v4, v16
	v_add_u32_e32 v4, v10, v15
	v_lshrrev_b32_e32 v4, s27, v4
	v_mul_lo_u32 v15, v4, s25
	v_mul_lo_u32 v17, v16, s12
	;; [unrolled: 1-line block ×3, first 2 shown]
	v_add3_u32 v9, v12, v9, v14
	v_sub_u32_e32 v10, v10, v15
	v_mul_lo_u32 v15, v10, s14
	v_mul_lo_u32 v10, v10, s15
	v_add3_u32 v7, v13, v11, v7
	v_add3_u32 v9, v17, v9, v15
	;; [unrolled: 1-line block ×3, first 2 shown]
	s_cbranch_scc1 .LBB37_62
; %bb.63:
	s_and_b32 s8, s29, 3
	s_cmp_eq_u32 s8, 0
	s_cbranch_scc0 .LBB37_67
	s_branch .LBB37_69
.LBB37_64:
                                        ; implicit-def: $vgpr9
                                        ; implicit-def: $vgpr11
	s_branch .LBB37_70
.LBB37_65:
	v_mov_b32_e32 v9, 0
	v_mov_b32_e32 v11, 0
	s_branch .LBB37_69
.LBB37_66:
	v_mov_b32_e32 v9, 0
	v_mov_b32_e32 v11, 0
	;; [unrolled: 1-line block ×3, first 2 shown]
	s_and_b32 s8, s29, 3
	s_cmp_eq_u32 s8, 0
	s_cbranch_scc1 .LBB37_69
.LBB37_67:
	s_lshl_b32 s2, s28, 3
	s_add_u32 s2, s34, s2
	s_addc_u32 s3, s35, 0
	s_add_u32 s2, s2, 0xc4
	s_addc_u32 s3, s3, 0
	s_mul_i32 s6, s28, 12
	s_add_u32 s6, s34, s6
	s_addc_u32 s7, s35, 0
.LBB37_68:                              ; =>This Inner Loop Header: Depth=1
	s_load_dwordx2 s[10:11], s[6:7], 0x4
	s_load_dword s9, s[6:7], 0xc
	s_load_dwordx2 s[12:13], s[2:3], 0x0
	s_add_u32 s6, s6, 12
	s_addc_u32 s7, s7, 0
	s_waitcnt lgkmcnt(0)
	v_mul_hi_u32 v7, s11, v4
	s_add_u32 s2, s2, 8
	s_addc_u32 s3, s3, 0
	s_add_i32 s8, s8, -1
	v_add_u32_e32 v7, v4, v7
	v_lshrrev_b32_e32 v7, s9, v7
	v_mul_lo_u32 v10, v7, s10
	s_cmp_lg_u32 s8, 0
	v_sub_u32_e32 v4, v4, v10
	v_mad_u64_u32 v[9:10], s[10:11], v4, s12, v[9:10]
	v_mad_u64_u32 v[11:12], s[10:11], v4, s13, v[11:12]
	v_mov_b32_e32 v4, v7
	s_cbranch_scc1 .LBB37_68
.LBB37_69:
	s_cbranch_execnz .LBB37_72
.LBB37_70:
	s_load_dwordx4 s[8:11], s[34:35], 0x4
	s_load_dwordx2 s[2:3], s[34:35], 0xc4
	s_cmp_lt_u32 s33, 2
	s_waitcnt lgkmcnt(0)
	v_mul_hi_u32 v4, s9, v1
	v_add_u32_e32 v4, v1, v4
	v_lshrrev_b32_e32 v4, s10, v4
	v_mul_lo_u32 v7, v4, s8
	v_sub_u32_e32 v1, v1, v7
	v_mul_lo_u32 v9, v1, s2
	v_mul_lo_u32 v11, v1, s3
	s_cbranch_scc1 .LBB37_72
; %bb.71:
	s_load_dwordx4 s[8:11], s[34:35], 0x10
	s_load_dwordx2 s[2:3], s[34:35], 0xcc
	s_waitcnt lgkmcnt(0)
	v_mul_hi_u32 v1, s9, v4
	v_add_u32_e32 v1, v4, v1
	v_lshrrev_b32_e32 v1, s10, v1
	v_mul_lo_u32 v1, v1, s8
	v_sub_u32_e32 v1, v4, v1
	v_mad_u64_u32 v[9:10], s[6:7], v1, s2, v[9:10]
	v_mad_u64_u32 v[11:12], s[2:3], v1, s3, v[11:12]
.LBB37_72:
	s_and_b64 vcc, exec, s[0:1]
	v_add_u32_e32 v1, 0x200, v19
	s_cbranch_vccnz .LBB37_78
; %bb.73:
	s_cmp_lg_u32 s33, 0
	s_mov_b32 s28, 0
	s_cbranch_scc0 .LBB37_79
; %bb.74:
	s_min_u32 s29, s58, 15
	s_add_i32 s29, s29, 1
	s_cmp_eq_u32 s58, 2
	s_cbranch_scc1 .LBB37_80
; %bb.75:
	s_and_b32 s28, s29, 28
	s_add_u32 s2, s34, 0xc4
	s_addc_u32 s3, s35, 0
	v_mov_b32_e32 v14, 0
	s_mov_b32 s30, 0
	s_mov_b64 s[6:7], s[34:35]
	v_mov_b32_e32 v12, 0
	v_mov_b32_e32 v4, v1
.LBB37_76:                              ; =>This Inner Loop Header: Depth=1
	s_load_dwordx8 s[16:23], s[6:7], 0x4
	s_load_dwordx4 s[24:27], s[6:7], 0x24
	s_load_dwordx8 s[8:15], s[2:3], 0x0
	s_add_u32 s6, s6, 48
	s_addc_u32 s7, s7, 0
	s_waitcnt lgkmcnt(0)
	v_mul_hi_u32 v7, s17, v4
	s_add_i32 s30, s30, 4
	s_add_u32 s2, s2, 32
	s_addc_u32 s3, s3, 0
	v_add_u32_e32 v7, v4, v7
	v_lshrrev_b32_e32 v7, s18, v7
	v_mul_lo_u32 v10, v7, s16
	v_mul_hi_u32 v13, s20, v7
	s_cmp_lg_u32 s28, s30
	v_sub_u32_e32 v4, v4, v10
	v_add_u32_e32 v10, v7, v13
	v_mul_lo_u32 v13, v4, s8
	v_mul_lo_u32 v15, v4, s9
	v_lshrrev_b32_e32 v4, s21, v10
	v_mul_lo_u32 v10, v4, s19
	v_mul_hi_u32 v16, s23, v4
	v_sub_u32_e32 v7, v7, v10
	v_add_u32_e32 v10, v4, v16
	v_lshrrev_b32_e32 v10, s24, v10
	v_mul_hi_u32 v17, s26, v10
	v_mul_lo_u32 v18, v10, s22
	v_mul_lo_u32 v16, v7, s10
	;; [unrolled: 1-line block ×3, first 2 shown]
	v_sub_u32_e32 v18, v4, v18
	v_add_u32_e32 v4, v10, v17
	v_lshrrev_b32_e32 v4, s27, v4
	v_mul_lo_u32 v17, v4, s25
	v_mul_lo_u32 v20, v18, s12
	;; [unrolled: 1-line block ×3, first 2 shown]
	v_add3_u32 v12, v13, v12, v16
	v_sub_u32_e32 v10, v10, v17
	v_mul_lo_u32 v17, v10, s14
	v_mul_lo_u32 v10, v10, s15
	v_add3_u32 v7, v15, v14, v7
	v_add3_u32 v12, v20, v12, v17
	;; [unrolled: 1-line block ×3, first 2 shown]
	s_cbranch_scc1 .LBB37_76
; %bb.77:
	s_and_b32 s8, s29, 3
	s_cmp_eq_u32 s8, 0
	s_cbranch_scc0 .LBB37_81
	s_branch .LBB37_83
.LBB37_78:
                                        ; implicit-def: $vgpr12
                                        ; implicit-def: $vgpr14
	s_branch .LBB37_84
.LBB37_79:
	v_mov_b32_e32 v12, 0
	v_mov_b32_e32 v14, 0
	s_branch .LBB37_83
.LBB37_80:
	v_mov_b32_e32 v12, 0
	v_mov_b32_e32 v14, 0
	;; [unrolled: 1-line block ×3, first 2 shown]
	s_and_b32 s8, s29, 3
	s_cmp_eq_u32 s8, 0
	s_cbranch_scc1 .LBB37_83
.LBB37_81:
	s_lshl_b32 s2, s28, 3
	s_add_u32 s2, s34, s2
	s_addc_u32 s3, s35, 0
	s_add_u32 s2, s2, 0xc4
	s_addc_u32 s3, s3, 0
	s_mul_i32 s6, s28, 12
	s_add_u32 s6, s34, s6
	s_addc_u32 s7, s35, 0
.LBB37_82:                              ; =>This Inner Loop Header: Depth=1
	s_load_dwordx2 s[10:11], s[6:7], 0x4
	s_load_dword s9, s[6:7], 0xc
	s_load_dwordx2 s[12:13], s[2:3], 0x0
	s_add_u32 s6, s6, 12
	s_addc_u32 s7, s7, 0
	s_waitcnt lgkmcnt(0)
	v_mul_hi_u32 v7, s11, v4
	s_add_u32 s2, s2, 8
	s_addc_u32 s3, s3, 0
	s_add_i32 s8, s8, -1
	v_add_u32_e32 v7, v4, v7
	v_lshrrev_b32_e32 v7, s9, v7
	v_mul_lo_u32 v10, v7, s10
	s_cmp_lg_u32 s8, 0
	v_sub_u32_e32 v4, v4, v10
	v_mad_u64_u32 v[12:13], s[10:11], v4, s12, v[12:13]
	v_mad_u64_u32 v[14:15], s[10:11], v4, s13, v[14:15]
	v_mov_b32_e32 v4, v7
	s_cbranch_scc1 .LBB37_82
.LBB37_83:
	s_cbranch_execnz .LBB37_86
.LBB37_84:
	s_load_dwordx4 s[8:11], s[34:35], 0x4
	s_load_dwordx2 s[2:3], s[34:35], 0xc4
	s_cmp_lt_u32 s33, 2
	s_waitcnt lgkmcnt(0)
	v_mul_hi_u32 v4, s9, v1
	v_add_u32_e32 v4, v1, v4
	v_lshrrev_b32_e32 v4, s10, v4
	v_mul_lo_u32 v7, v4, s8
	v_sub_u32_e32 v1, v1, v7
	v_mul_lo_u32 v12, v1, s2
	v_mul_lo_u32 v14, v1, s3
	s_cbranch_scc1 .LBB37_86
; %bb.85:
	s_load_dwordx4 s[8:11], s[34:35], 0x10
	s_load_dwordx2 s[2:3], s[34:35], 0xcc
	s_waitcnt lgkmcnt(0)
	v_mul_hi_u32 v1, s9, v4
	v_add_u32_e32 v1, v4, v1
	v_lshrrev_b32_e32 v1, s10, v1
	v_mul_lo_u32 v1, v1, s8
	v_sub_u32_e32 v1, v4, v1
	v_mad_u64_u32 v[12:13], s[6:7], v1, s2, v[12:13]
	v_mad_u64_u32 v[14:15], s[2:3], v1, s3, v[14:15]
.LBB37_86:
	s_and_b64 vcc, exec, s[0:1]
	v_add_u32_e32 v1, 0x280, v19
	s_cbranch_vccnz .LBB37_92
; %bb.87:
	s_cmp_lg_u32 s33, 0
	s_mov_b32 s28, 0
	s_cbranch_scc0 .LBB37_93
; %bb.88:
	s_min_u32 s29, s58, 15
	s_add_i32 s29, s29, 1
	s_cmp_eq_u32 s58, 2
	s_cbranch_scc1 .LBB37_94
; %bb.89:
	s_and_b32 s28, s29, 28
	s_add_u32 s2, s34, 0xc4
	s_addc_u32 s3, s35, 0
	v_mov_b32_e32 v17, 0
	s_mov_b32 s30, 0
	s_mov_b64 s[6:7], s[34:35]
	v_mov_b32_e32 v15, 0
	v_mov_b32_e32 v4, v1
.LBB37_90:                              ; =>This Inner Loop Header: Depth=1
	s_load_dwordx8 s[16:23], s[6:7], 0x4
	s_load_dwordx4 s[24:27], s[6:7], 0x24
	s_load_dwordx8 s[8:15], s[2:3], 0x0
	s_add_u32 s6, s6, 48
	s_addc_u32 s7, s7, 0
	s_waitcnt lgkmcnt(0)
	v_mul_hi_u32 v7, s17, v4
	s_add_i32 s30, s30, 4
	s_add_u32 s2, s2, 32
	s_addc_u32 s3, s3, 0
	v_add_u32_e32 v7, v4, v7
	v_lshrrev_b32_e32 v7, s18, v7
	v_mul_lo_u32 v10, v7, s16
	v_mul_hi_u32 v13, s20, v7
	s_cmp_lg_u32 s28, s30
	v_sub_u32_e32 v4, v4, v10
	v_add_u32_e32 v10, v7, v13
	v_mul_lo_u32 v13, v4, s8
	v_mul_lo_u32 v16, v4, s9
	v_lshrrev_b32_e32 v4, s21, v10
	v_mul_lo_u32 v10, v4, s19
	v_mul_hi_u32 v18, s23, v4
	v_sub_u32_e32 v7, v7, v10
	v_add_u32_e32 v10, v4, v18
	v_lshrrev_b32_e32 v10, s24, v10
	v_mul_hi_u32 v20, s26, v10
	v_mul_lo_u32 v21, v10, s22
	v_mul_lo_u32 v18, v7, s10
	;; [unrolled: 1-line block ×3, first 2 shown]
	v_sub_u32_e32 v21, v4, v21
	v_add_u32_e32 v4, v10, v20
	v_lshrrev_b32_e32 v4, s27, v4
	v_mul_lo_u32 v20, v4, s25
	v_mul_lo_u32 v22, v21, s12
	;; [unrolled: 1-line block ×3, first 2 shown]
	v_add3_u32 v13, v13, v15, v18
	v_sub_u32_e32 v10, v10, v20
	v_mul_lo_u32 v20, v10, s14
	v_mul_lo_u32 v10, v10, s15
	v_add3_u32 v7, v16, v17, v7
	v_add3_u32 v15, v22, v13, v20
	;; [unrolled: 1-line block ×3, first 2 shown]
	s_cbranch_scc1 .LBB37_90
; %bb.91:
	s_and_b32 s8, s29, 3
	s_cmp_eq_u32 s8, 0
	s_cbranch_scc0 .LBB37_95
	s_branch .LBB37_97
.LBB37_92:
                                        ; implicit-def: $vgpr15
                                        ; implicit-def: $vgpr17
	s_branch .LBB37_98
.LBB37_93:
	v_mov_b32_e32 v15, 0
	v_mov_b32_e32 v17, 0
	s_branch .LBB37_97
.LBB37_94:
	v_mov_b32_e32 v15, 0
	v_mov_b32_e32 v17, 0
	;; [unrolled: 1-line block ×3, first 2 shown]
	s_and_b32 s8, s29, 3
	s_cmp_eq_u32 s8, 0
	s_cbranch_scc1 .LBB37_97
.LBB37_95:
	s_lshl_b32 s2, s28, 3
	s_add_u32 s2, s34, s2
	s_addc_u32 s3, s35, 0
	s_add_u32 s2, s2, 0xc4
	s_addc_u32 s3, s3, 0
	s_mul_i32 s6, s28, 12
	s_add_u32 s6, s34, s6
	s_addc_u32 s7, s35, 0
.LBB37_96:                              ; =>This Inner Loop Header: Depth=1
	s_load_dwordx2 s[10:11], s[6:7], 0x4
	s_load_dword s9, s[6:7], 0xc
	s_load_dwordx2 s[12:13], s[2:3], 0x0
	s_add_u32 s6, s6, 12
	s_addc_u32 s7, s7, 0
	s_waitcnt lgkmcnt(0)
	v_mul_hi_u32 v7, s11, v4
	s_add_u32 s2, s2, 8
	s_addc_u32 s3, s3, 0
	s_add_i32 s8, s8, -1
	v_add_u32_e32 v7, v4, v7
	v_lshrrev_b32_e32 v7, s9, v7
	v_mul_lo_u32 v10, v7, s10
	s_cmp_lg_u32 s8, 0
	v_sub_u32_e32 v4, v4, v10
	v_mad_u64_u32 v[15:16], s[10:11], v4, s12, v[15:16]
	v_mad_u64_u32 v[17:18], s[10:11], v4, s13, v[17:18]
	v_mov_b32_e32 v4, v7
	s_cbranch_scc1 .LBB37_96
.LBB37_97:
	s_cbranch_execnz .LBB37_100
.LBB37_98:
	s_load_dwordx4 s[8:11], s[34:35], 0x4
	s_load_dwordx2 s[2:3], s[34:35], 0xc4
	s_cmp_lt_u32 s33, 2
	s_waitcnt lgkmcnt(0)
	v_mul_hi_u32 v4, s9, v1
	v_add_u32_e32 v4, v1, v4
	v_lshrrev_b32_e32 v4, s10, v4
	v_mul_lo_u32 v7, v4, s8
	v_sub_u32_e32 v1, v1, v7
	v_mul_lo_u32 v15, v1, s2
	v_mul_lo_u32 v17, v1, s3
	s_cbranch_scc1 .LBB37_100
; %bb.99:
	s_load_dwordx4 s[8:11], s[34:35], 0x10
	s_load_dwordx2 s[2:3], s[34:35], 0xcc
	s_waitcnt lgkmcnt(0)
	v_mul_hi_u32 v1, s9, v4
	v_add_u32_e32 v1, v4, v1
	v_lshrrev_b32_e32 v1, s10, v1
	v_mul_lo_u32 v1, v1, s8
	v_sub_u32_e32 v1, v4, v1
	v_mad_u64_u32 v[15:16], s[6:7], v1, s2, v[15:16]
	v_mad_u64_u32 v[17:18], s[2:3], v1, s3, v[17:18]
.LBB37_100:
	s_and_b64 vcc, exec, s[0:1]
	v_add_u32_e32 v1, 0x300, v19
	s_cbranch_vccnz .LBB37_106
; %bb.101:
	s_cmp_lg_u32 s33, 0
	s_mov_b32 s28, 0
	s_cbranch_scc0 .LBB37_107
; %bb.102:
	s_min_u32 s29, s58, 15
	s_add_i32 s29, s29, 1
	s_cmp_eq_u32 s58, 2
	s_cbranch_scc1 .LBB37_108
; %bb.103:
	s_and_b32 s28, s29, 28
	s_add_u32 s2, s34, 0xc4
	s_addc_u32 s3, s35, 0
	v_mov_b32_e32 v20, 0
	s_mov_b32 s30, 0
	s_mov_b64 s[6:7], s[34:35]
	v_mov_b32_e32 v18, 0
	v_mov_b32_e32 v4, v1
.LBB37_104:                             ; =>This Inner Loop Header: Depth=1
	s_load_dwordx8 s[16:23], s[6:7], 0x4
	s_load_dwordx4 s[24:27], s[6:7], 0x24
	s_load_dwordx8 s[8:15], s[2:3], 0x0
	s_add_u32 s6, s6, 48
	s_addc_u32 s7, s7, 0
	s_waitcnt lgkmcnt(0)
	v_mul_hi_u32 v7, s17, v4
	s_add_i32 s30, s30, 4
	s_add_u32 s2, s2, 32
	s_addc_u32 s3, s3, 0
	v_add_u32_e32 v7, v4, v7
	v_lshrrev_b32_e32 v7, s18, v7
	v_mul_lo_u32 v10, v7, s16
	v_mul_hi_u32 v13, s20, v7
	s_cmp_lg_u32 s28, s30
	v_sub_u32_e32 v4, v4, v10
	v_add_u32_e32 v10, v7, v13
	v_mul_lo_u32 v13, v4, s8
	v_mul_lo_u32 v16, v4, s9
	v_lshrrev_b32_e32 v4, s21, v10
	v_mul_lo_u32 v10, v4, s19
	v_mul_hi_u32 v19, s23, v4
	v_sub_u32_e32 v7, v7, v10
	v_add_u32_e32 v10, v4, v19
	v_lshrrev_b32_e32 v10, s24, v10
	v_mul_hi_u32 v21, s26, v10
	v_mul_lo_u32 v22, v10, s22
	v_mul_lo_u32 v19, v7, s10
	;; [unrolled: 1-line block ×3, first 2 shown]
	v_sub_u32_e32 v22, v4, v22
	v_add_u32_e32 v4, v10, v21
	v_lshrrev_b32_e32 v4, s27, v4
	v_mul_lo_u32 v21, v4, s25
	v_mul_lo_u32 v23, v22, s12
	v_mul_lo_u32 v22, v22, s13
	v_add3_u32 v13, v13, v18, v19
	v_sub_u32_e32 v10, v10, v21
	v_mul_lo_u32 v21, v10, s14
	v_mul_lo_u32 v10, v10, s15
	v_add3_u32 v7, v16, v20, v7
	v_add3_u32 v18, v23, v13, v21
	;; [unrolled: 1-line block ×3, first 2 shown]
	s_cbranch_scc1 .LBB37_104
; %bb.105:
	s_and_b32 s8, s29, 3
	s_cmp_eq_u32 s8, 0
	s_cbranch_scc0 .LBB37_109
	s_branch .LBB37_111
.LBB37_106:
                                        ; implicit-def: $vgpr18
                                        ; implicit-def: $vgpr20
	s_branch .LBB37_112
.LBB37_107:
	v_mov_b32_e32 v18, 0
	v_mov_b32_e32 v20, 0
	s_branch .LBB37_111
.LBB37_108:
	v_mov_b32_e32 v18, 0
	v_mov_b32_e32 v20, 0
	;; [unrolled: 1-line block ×3, first 2 shown]
	s_and_b32 s8, s29, 3
	s_cmp_eq_u32 s8, 0
	s_cbranch_scc1 .LBB37_111
.LBB37_109:
	s_lshl_b32 s2, s28, 3
	s_add_u32 s2, s34, s2
	s_addc_u32 s3, s35, 0
	s_add_u32 s2, s2, 0xc4
	s_addc_u32 s3, s3, 0
	s_mul_i32 s6, s28, 12
	s_add_u32 s6, s34, s6
	s_addc_u32 s7, s35, 0
.LBB37_110:                             ; =>This Inner Loop Header: Depth=1
	s_load_dwordx2 s[10:11], s[6:7], 0x4
	s_load_dword s9, s[6:7], 0xc
	s_load_dwordx2 s[12:13], s[2:3], 0x0
	s_add_u32 s6, s6, 12
	s_addc_u32 s7, s7, 0
	s_waitcnt lgkmcnt(0)
	v_mul_hi_u32 v7, s11, v4
	s_add_u32 s2, s2, 8
	s_addc_u32 s3, s3, 0
	s_add_i32 s8, s8, -1
	v_add_u32_e32 v7, v4, v7
	v_lshrrev_b32_e32 v7, s9, v7
	v_mul_lo_u32 v10, v7, s10
	s_cmp_lg_u32 s8, 0
	v_sub_u32_e32 v4, v4, v10
	v_mad_u64_u32 v[18:19], s[10:11], v4, s12, v[18:19]
	v_mad_u64_u32 v[20:21], s[10:11], v4, s13, v[20:21]
	v_mov_b32_e32 v4, v7
	s_cbranch_scc1 .LBB37_110
.LBB37_111:
	s_cbranch_execnz .LBB37_114
.LBB37_112:
	s_load_dwordx4 s[8:11], s[34:35], 0x4
	s_load_dwordx2 s[2:3], s[34:35], 0xc4
	s_cmp_lt_u32 s33, 2
	s_waitcnt lgkmcnt(0)
	v_mul_hi_u32 v4, s9, v1
	v_add_u32_e32 v4, v1, v4
	v_lshrrev_b32_e32 v4, s10, v4
	v_mul_lo_u32 v7, v4, s8
	v_sub_u32_e32 v1, v1, v7
	v_mul_lo_u32 v18, v1, s2
	v_mul_lo_u32 v20, v1, s3
	s_cbranch_scc1 .LBB37_114
; %bb.113:
	s_load_dwordx4 s[8:11], s[34:35], 0x10
	s_load_dwordx2 s[2:3], s[34:35], 0xcc
	s_waitcnt lgkmcnt(0)
	v_mul_hi_u32 v1, s9, v4
	v_add_u32_e32 v1, v4, v1
	v_lshrrev_b32_e32 v1, s10, v1
	v_mul_lo_u32 v1, v1, s8
	v_sub_u32_e32 v1, v4, v1
	v_mad_u64_u32 v[18:19], s[6:7], v1, s2, v[18:19]
	v_mad_u64_u32 v[20:21], s[2:3], v1, s3, v[20:21]
.LBB37_114:
	s_and_b64 vcc, exec, s[0:1]
	s_cbranch_vccnz .LBB37_120
; %bb.115:
	s_cmp_lg_u32 s33, 0
	s_mov_b32 s26, 0
	s_cbranch_scc0 .LBB37_121
; %bb.116:
	s_min_u32 s27, s58, 15
	s_add_i32 s27, s27, 1
	s_cmp_eq_u32 s58, 2
	s_cbranch_scc1 .LBB37_122
; %bb.117:
	s_and_b32 s26, s27, 28
	s_add_u32 s6, s34, 0xc4
	s_addc_u32 s7, s35, 0
	v_mov_b32_e32 v23, 0
	s_mov_b32 s28, 0
	s_mov_b64 s[24:25], s[34:35]
	v_mov_b32_e32 v21, 0
	v_mov_b32_e32 v1, v25
.LBB37_118:                             ; =>This Inner Loop Header: Depth=1
	s_load_dwordx8 s[16:23], s[24:25], 0x4
	s_load_dwordx4 s[0:3], s[24:25], 0x24
	s_load_dwordx8 s[8:15], s[6:7], 0x0
	s_add_u32 s24, s24, 48
	s_addc_u32 s25, s25, 0
	s_waitcnt lgkmcnt(0)
	v_mul_hi_u32 v4, s17, v1
	s_add_i32 s28, s28, 4
	s_add_u32 s6, s6, 32
	s_addc_u32 s7, s7, 0
	v_add_u32_e32 v4, v1, v4
	v_lshrrev_b32_e32 v4, s18, v4
	v_mul_lo_u32 v7, v4, s16
	v_mul_hi_u32 v10, s20, v4
	s_cmp_lg_u32 s26, s28
	v_sub_u32_e32 v1, v1, v7
	v_add_u32_e32 v7, v4, v10
	v_mul_lo_u32 v10, v1, s8
	v_mul_lo_u32 v13, v1, s9
	v_lshrrev_b32_e32 v1, s21, v7
	v_mul_lo_u32 v7, v1, s19
	v_mul_hi_u32 v16, s23, v1
	v_sub_u32_e32 v4, v4, v7
	v_add_u32_e32 v7, v1, v16
	v_lshrrev_b32_e32 v7, s0, v7
	v_mul_hi_u32 v19, s2, v7
	v_mul_lo_u32 v22, v7, s22
	v_mul_lo_u32 v16, v4, s10
	;; [unrolled: 1-line block ×3, first 2 shown]
	v_sub_u32_e32 v22, v1, v22
	v_add_u32_e32 v1, v7, v19
	v_lshrrev_b32_e32 v1, s3, v1
	v_mul_lo_u32 v19, v1, s1
	v_mul_lo_u32 v24, v22, s12
	;; [unrolled: 1-line block ×3, first 2 shown]
	v_add3_u32 v10, v10, v21, v16
	v_sub_u32_e32 v7, v7, v19
	v_mul_lo_u32 v19, v7, s14
	v_mul_lo_u32 v7, v7, s15
	v_add3_u32 v4, v13, v23, v4
	v_add3_u32 v21, v24, v10, v19
	v_add3_u32 v23, v22, v4, v7
	s_cbranch_scc1 .LBB37_118
; %bb.119:
	s_and_b32 s6, s27, 3
	s_cmp_eq_u32 s6, 0
	s_cbranch_scc0 .LBB37_123
	s_branch .LBB37_125
.LBB37_120:
                                        ; implicit-def: $vgpr21
                                        ; implicit-def: $vgpr23
	s_branch .LBB37_126
.LBB37_121:
	v_mov_b32_e32 v21, 0
	v_mov_b32_e32 v23, 0
	s_branch .LBB37_125
.LBB37_122:
	v_mov_b32_e32 v21, 0
	v_mov_b32_e32 v23, 0
	;; [unrolled: 1-line block ×3, first 2 shown]
	s_and_b32 s6, s27, 3
	s_cmp_eq_u32 s6, 0
	s_cbranch_scc1 .LBB37_125
.LBB37_123:
	s_lshl_b32 s0, s26, 3
	s_add_u32 s0, s34, s0
	s_addc_u32 s1, s35, 0
	s_add_u32 s0, s0, 0xc4
	s_addc_u32 s1, s1, 0
	s_mul_i32 s2, s26, 12
	s_add_u32 s2, s34, s2
	s_addc_u32 s3, s35, 0
.LBB37_124:                             ; =>This Inner Loop Header: Depth=1
	s_load_dwordx2 s[8:9], s[2:3], 0x4
	s_load_dword s7, s[2:3], 0xc
	s_load_dwordx2 s[10:11], s[0:1], 0x0
	s_add_u32 s2, s2, 12
	s_addc_u32 s3, s3, 0
	s_waitcnt lgkmcnt(0)
	v_mul_hi_u32 v4, s9, v1
	s_add_u32 s0, s0, 8
	s_addc_u32 s1, s1, 0
	s_add_i32 s6, s6, -1
	v_add_u32_e32 v4, v1, v4
	v_lshrrev_b32_e32 v4, s7, v4
	v_mul_lo_u32 v7, v4, s8
	s_cmp_lg_u32 s6, 0
	v_sub_u32_e32 v1, v1, v7
	v_mad_u64_u32 v[21:22], s[8:9], v1, s10, v[21:22]
	v_mad_u64_u32 v[23:24], s[8:9], v1, s11, v[23:24]
	v_mov_b32_e32 v1, v4
	s_cbranch_scc1 .LBB37_124
.LBB37_125:
	s_cbranch_execnz .LBB37_128
.LBB37_126:
	s_load_dwordx4 s[0:3], s[34:35], 0x4
	s_load_dwordx2 s[6:7], s[34:35], 0xc4
	s_cmp_lt_u32 s33, 2
	s_waitcnt lgkmcnt(0)
	v_mul_hi_u32 v1, s1, v25
	v_add_u32_e32 v1, v25, v1
	v_lshrrev_b32_e32 v1, s2, v1
	v_mul_lo_u32 v4, v1, s0
	v_sub_u32_e32 v4, v25, v4
	v_mul_lo_u32 v21, v4, s6
	v_mul_lo_u32 v23, v4, s7
	s_cbranch_scc1 .LBB37_128
; %bb.127:
	s_load_dwordx4 s[0:3], s[34:35], 0x10
	s_load_dwordx2 s[6:7], s[34:35], 0xcc
	s_waitcnt lgkmcnt(0)
	v_mul_hi_u32 v4, s1, v1
	v_add_u32_e32 v4, v1, v4
	v_lshrrev_b32_e32 v4, s2, v4
	v_mul_lo_u32 v4, v4, s0
	v_sub_u32_e32 v1, v1, v4
	v_mad_u64_u32 v[21:22], s[0:1], v1, s6, v[21:22]
	v_mad_u64_u32 v[23:24], s[0:1], v1, s7, v[23:24]
.LBB37_128:
	s_load_dwordx4 s[0:3], s[34:35], 0x148
	s_load_dword s6, s[4:5], 0x160
	s_waitcnt lgkmcnt(0)
	global_load_ubyte v1, v2, s[2:3]
	global_load_ubyte v4, v5, s[2:3]
	;; [unrolled: 1-line block ×8, first 2 shown]
	s_lshr_b32 s2, s6, 8
	s_bfe_u32 s3, s6, 0x80008
	s_cmp_gt_u32 s3, 7
	s_waitcnt vmcnt(7)
	v_lshlrev_b32_e32 v1, s2, v1
	s_waitcnt vmcnt(6)
	v_lshlrev_b32_e32 v2, s2, v4
	;; [unrolled: 2-line block ×8, first 2 shown]
	s_cselect_b64 s[2:3], -1, 0
	v_cndmask_b32_e64 v1, v1, 0, s[2:3]
	v_cndmask_b32_e64 v2, v2, 0, s[2:3]
	;; [unrolled: 1-line block ×8, first 2 shown]
	global_store_byte v0, v1, s[0:1]
	global_store_byte v3, v2, s[0:1]
	;; [unrolled: 1-line block ×8, first 2 shown]
	s_endpgm
.LBB37_129:
	v_mov_b32_e32 v0, 0
	v_mov_b32_e32 v2, 0
	s_branch .LBB37_135
.LBB37_130:
	v_mov_b32_e32 v0, 0
	v_mov_b32_e32 v2, 0
	s_branch .LBB37_151
.LBB37_131:
	s_mov_b32 s62, 0
	v_mov_b32_e32 v0, 0
	v_mov_b32_e32 v2, 0
	;; [unrolled: 1-line block ×3, first 2 shown]
.LBB37_132:
	s_and_b32 s12, s63, 3
	s_cmp_eq_u32 s12, 0
	s_cbranch_scc1 .LBB37_135
; %bb.133:
	s_lshl_b32 s8, s62, 3
	s_add_u32 s8, s34, s8
	s_addc_u32 s9, s35, 0
	s_add_u32 s8, s8, 0xc4
	s_addc_u32 s9, s9, 0
	s_mul_i32 s10, s62, 12
	s_add_u32 s10, s34, s10
	s_addc_u32 s11, s35, 0
.LBB37_134:                             ; =>This Inner Loop Header: Depth=1
	s_load_dwordx2 s[14:15], s[10:11], 0x4
	s_load_dword s13, s[10:11], 0xc
	s_load_dwordx2 s[16:17], s[8:9], 0x0
	s_add_u32 s10, s10, 12
	s_addc_u32 s11, s11, 0
	s_waitcnt lgkmcnt(0)
	v_mul_hi_u32 v3, s15, v1
	s_add_u32 s8, s8, 8
	s_addc_u32 s9, s9, 0
	s_add_i32 s12, s12, -1
	v_add_u32_e32 v3, v1, v3
	v_lshrrev_b32_e32 v4, s13, v3
	v_mul_lo_u32 v3, v4, s14
	s_cmp_lg_u32 s12, 0
	v_sub_u32_e32 v3, v1, v3
	v_mad_u64_u32 v[0:1], s[14:15], v3, s16, v[0:1]
	v_mad_u64_u32 v[2:3], s[14:15], v3, s17, v[2:3]
	v_mov_b32_e32 v1, v4
	s_cbranch_scc1 .LBB37_134
.LBB37_135:
	s_cbranch_execnz .LBB37_138
.LBB37_136:
	v_mul_hi_u32 v0, s25, v19
	s_andn2_b64 vcc, exec, s[46:47]
	v_add_u32_e32 v0, v19, v0
	v_lshrrev_b32_e32 v1, s26, v0
	v_mul_lo_u32 v0, v1, s24
	v_sub_u32_e32 v2, v19, v0
	v_mul_lo_u32 v0, v2, s28
	v_mul_lo_u32 v2, v2, s29
	s_cbranch_vccnz .LBB37_138
; %bb.137:
	v_mul_hi_u32 v3, s44, v1
	v_add_u32_e32 v3, v1, v3
	v_lshrrev_b32_e32 v3, s45, v3
	v_mul_lo_u32 v3, v3, s27
	v_sub_u32_e32 v3, v1, v3
	v_mad_u64_u32 v[0:1], s[8:9], v3, s30, v[0:1]
	v_mad_u64_u32 v[2:3], s[8:9], v3, s31, v[2:3]
.LBB37_138:
	global_load_ubyte v1, v2, s[2:3]
	v_add_u32_e32 v19, 0x80, v19
	s_waitcnt vmcnt(0)
	v_lshlrev_b32_e32 v1, s59, v1
	v_cndmask_b32_e64 v1, v1, 0, s[42:43]
	global_store_byte v0, v1, s[0:1]
	s_or_b64 exec, exec, s[52:53]
	v_cmp_gt_i32_e32 vcc, s60, v19
	s_and_saveexec_b64 s[52:53], vcc
	s_cbranch_execnz .LBB37_15
.LBB37_139:
	s_or_b64 exec, exec, s[52:53]
	v_cmp_gt_i32_e32 vcc, s60, v19
	s_and_saveexec_b64 s[52:53], vcc
	s_cbranch_execz .LBB37_155
.LBB37_140:
	s_andn2_b64 vcc, exec, s[6:7]
	s_cbranch_vccnz .LBB37_145
; %bb.141:
	s_andn2_b64 vcc, exec, s[50:51]
	s_cbranch_vccnz .LBB37_146
; %bb.142:
	s_add_i32 s63, s61, 1
	s_cmp_eq_u32 s58, 2
	s_cbranch_scc1 .LBB37_163
; %bb.143:
	s_and_b32 s62, s63, 28
	v_mov_b32_e32 v2, 0
	s_mov_b32 s64, 0
	s_mov_b64 s[54:55], s[34:35]
	s_mov_b64 s[56:57], s[48:49]
	v_mov_b32_e32 v0, 0
	v_mov_b32_e32 v1, v19
.LBB37_144:                             ; =>This Inner Loop Header: Depth=1
	s_load_dwordx8 s[16:23], s[54:55], 0x4
	s_load_dwordx4 s[36:39], s[54:55], 0x24
	s_load_dwordx8 s[8:15], s[56:57], 0x0
	s_add_u32 s54, s54, 48
	s_addc_u32 s55, s55, 0
	s_waitcnt lgkmcnt(0)
	v_mul_hi_u32 v3, s17, v1
	s_add_i32 s64, s64, 4
	s_add_u32 s56, s56, 32
	s_addc_u32 s57, s57, 0
	v_add_u32_e32 v3, v1, v3
	v_lshrrev_b32_e32 v3, s18, v3
	v_mul_lo_u32 v4, v3, s16
	v_mul_hi_u32 v5, s20, v3
	s_cmp_eq_u32 s62, s64
	v_sub_u32_e32 v1, v1, v4
	v_add_u32_e32 v4, v3, v5
	v_mul_lo_u32 v5, v1, s8
	v_mul_lo_u32 v6, v1, s9
	v_lshrrev_b32_e32 v1, s21, v4
	v_mul_lo_u32 v4, v1, s19
	v_mul_hi_u32 v7, s23, v1
	v_sub_u32_e32 v3, v3, v4
	v_add_u32_e32 v4, v1, v7
	v_lshrrev_b32_e32 v4, s36, v4
	v_mul_hi_u32 v8, s38, v4
	v_mul_lo_u32 v9, v4, s22
	v_mul_lo_u32 v7, v3, s10
	;; [unrolled: 1-line block ×3, first 2 shown]
	v_sub_u32_e32 v9, v1, v9
	v_add_u32_e32 v1, v4, v8
	v_lshrrev_b32_e32 v1, s39, v1
	v_mul_lo_u32 v8, v1, s37
	v_mul_lo_u32 v10, v9, s12
	;; [unrolled: 1-line block ×3, first 2 shown]
	v_add3_u32 v0, v5, v0, v7
	v_sub_u32_e32 v4, v4, v8
	v_mul_lo_u32 v8, v4, s14
	v_mul_lo_u32 v4, v4, s15
	v_add3_u32 v2, v6, v2, v3
	v_add3_u32 v0, v10, v0, v8
	;; [unrolled: 1-line block ×3, first 2 shown]
	s_cbranch_scc0 .LBB37_144
	s_branch .LBB37_164
.LBB37_145:
                                        ; implicit-def: $vgpr0
                                        ; implicit-def: $vgpr2
	s_branch .LBB37_168
.LBB37_146:
	v_mov_b32_e32 v0, 0
	v_mov_b32_e32 v2, 0
	s_branch .LBB37_167
.LBB37_147:
	s_mov_b32 s62, 0
	v_mov_b32_e32 v0, 0
	v_mov_b32_e32 v2, 0
	;; [unrolled: 1-line block ×3, first 2 shown]
.LBB37_148:
	s_and_b32 s12, s63, 3
	s_cmp_eq_u32 s12, 0
	s_cbranch_scc1 .LBB37_151
; %bb.149:
	s_lshl_b32 s8, s62, 3
	s_add_u32 s8, s34, s8
	s_addc_u32 s9, s35, 0
	s_add_u32 s8, s8, 0xc4
	s_addc_u32 s9, s9, 0
	s_mul_i32 s10, s62, 12
	s_add_u32 s10, s34, s10
	s_addc_u32 s11, s35, 0
.LBB37_150:                             ; =>This Inner Loop Header: Depth=1
	s_load_dwordx2 s[14:15], s[10:11], 0x4
	s_load_dword s13, s[10:11], 0xc
	s_load_dwordx2 s[16:17], s[8:9], 0x0
	s_add_u32 s10, s10, 12
	s_addc_u32 s11, s11, 0
	s_waitcnt lgkmcnt(0)
	v_mul_hi_u32 v3, s15, v1
	s_add_u32 s8, s8, 8
	s_addc_u32 s9, s9, 0
	s_add_i32 s12, s12, -1
	v_add_u32_e32 v3, v1, v3
	v_lshrrev_b32_e32 v4, s13, v3
	v_mul_lo_u32 v3, v4, s14
	s_cmp_lg_u32 s12, 0
	v_sub_u32_e32 v3, v1, v3
	v_mad_u64_u32 v[0:1], s[14:15], v3, s16, v[0:1]
	v_mad_u64_u32 v[2:3], s[14:15], v3, s17, v[2:3]
	v_mov_b32_e32 v1, v4
	s_cbranch_scc1 .LBB37_150
.LBB37_151:
	s_cbranch_execnz .LBB37_154
.LBB37_152:
	v_mul_hi_u32 v0, s25, v19
	s_andn2_b64 vcc, exec, s[46:47]
	v_add_u32_e32 v0, v19, v0
	v_lshrrev_b32_e32 v1, s26, v0
	v_mul_lo_u32 v0, v1, s24
	v_sub_u32_e32 v2, v19, v0
	v_mul_lo_u32 v0, v2, s28
	v_mul_lo_u32 v2, v2, s29
	s_cbranch_vccnz .LBB37_154
; %bb.153:
	v_mul_hi_u32 v3, s44, v1
	v_add_u32_e32 v3, v1, v3
	v_lshrrev_b32_e32 v3, s45, v3
	v_mul_lo_u32 v3, v3, s27
	v_sub_u32_e32 v3, v1, v3
	v_mad_u64_u32 v[0:1], s[8:9], v3, s30, v[0:1]
	v_mad_u64_u32 v[2:3], s[8:9], v3, s31, v[2:3]
.LBB37_154:
	global_load_ubyte v1, v2, s[2:3]
	v_add_u32_e32 v19, 0x80, v19
	s_waitcnt vmcnt(0)
	v_lshlrev_b32_e32 v1, s59, v1
	v_cndmask_b32_e64 v1, v1, 0, s[42:43]
	global_store_byte v0, v1, s[0:1]
	s_or_b64 exec, exec, s[52:53]
	v_cmp_gt_i32_e32 vcc, s60, v19
	s_and_saveexec_b64 s[52:53], vcc
	s_cbranch_execnz .LBB37_140
.LBB37_155:
	s_or_b64 exec, exec, s[52:53]
	v_cmp_gt_i32_e32 vcc, s60, v19
	s_and_saveexec_b64 s[52:53], vcc
	s_cbranch_execz .LBB37_171
.LBB37_156:
	s_andn2_b64 vcc, exec, s[6:7]
	s_cbranch_vccnz .LBB37_161
; %bb.157:
	s_andn2_b64 vcc, exec, s[50:51]
	s_cbranch_vccnz .LBB37_162
; %bb.158:
	s_add_i32 s63, s61, 1
	s_cmp_eq_u32 s58, 2
	s_cbranch_scc1 .LBB37_179
; %bb.159:
	s_and_b32 s62, s63, 28
	v_mov_b32_e32 v2, 0
	s_mov_b32 s64, 0
	s_mov_b64 s[54:55], s[34:35]
	s_mov_b64 s[56:57], s[48:49]
	v_mov_b32_e32 v0, 0
	v_mov_b32_e32 v1, v19
.LBB37_160:                             ; =>This Inner Loop Header: Depth=1
	s_load_dwordx8 s[16:23], s[54:55], 0x4
	s_load_dwordx4 s[36:39], s[54:55], 0x24
	s_load_dwordx8 s[8:15], s[56:57], 0x0
	s_add_u32 s54, s54, 48
	s_addc_u32 s55, s55, 0
	s_waitcnt lgkmcnt(0)
	v_mul_hi_u32 v3, s17, v1
	s_add_i32 s64, s64, 4
	s_add_u32 s56, s56, 32
	s_addc_u32 s57, s57, 0
	v_add_u32_e32 v3, v1, v3
	v_lshrrev_b32_e32 v3, s18, v3
	v_mul_lo_u32 v4, v3, s16
	v_mul_hi_u32 v5, s20, v3
	s_cmp_eq_u32 s62, s64
	v_sub_u32_e32 v1, v1, v4
	v_add_u32_e32 v4, v3, v5
	v_mul_lo_u32 v5, v1, s8
	v_mul_lo_u32 v6, v1, s9
	v_lshrrev_b32_e32 v1, s21, v4
	v_mul_lo_u32 v4, v1, s19
	v_mul_hi_u32 v7, s23, v1
	v_sub_u32_e32 v3, v3, v4
	v_add_u32_e32 v4, v1, v7
	v_lshrrev_b32_e32 v4, s36, v4
	v_mul_hi_u32 v8, s38, v4
	v_mul_lo_u32 v9, v4, s22
	v_mul_lo_u32 v7, v3, s10
	;; [unrolled: 1-line block ×3, first 2 shown]
	v_sub_u32_e32 v9, v1, v9
	v_add_u32_e32 v1, v4, v8
	v_lshrrev_b32_e32 v1, s39, v1
	v_mul_lo_u32 v8, v1, s37
	v_mul_lo_u32 v10, v9, s12
	;; [unrolled: 1-line block ×3, first 2 shown]
	v_add3_u32 v0, v5, v0, v7
	v_sub_u32_e32 v4, v4, v8
	v_mul_lo_u32 v8, v4, s14
	v_mul_lo_u32 v4, v4, s15
	v_add3_u32 v2, v6, v2, v3
	v_add3_u32 v0, v10, v0, v8
	v_add3_u32 v2, v9, v2, v4
	s_cbranch_scc0 .LBB37_160
	s_branch .LBB37_180
.LBB37_161:
                                        ; implicit-def: $vgpr0
                                        ; implicit-def: $vgpr2
	s_branch .LBB37_184
.LBB37_162:
	v_mov_b32_e32 v0, 0
	v_mov_b32_e32 v2, 0
	s_branch .LBB37_183
.LBB37_163:
	s_mov_b32 s62, 0
	v_mov_b32_e32 v0, 0
	v_mov_b32_e32 v2, 0
	;; [unrolled: 1-line block ×3, first 2 shown]
.LBB37_164:
	s_and_b32 s12, s63, 3
	s_cmp_eq_u32 s12, 0
	s_cbranch_scc1 .LBB37_167
; %bb.165:
	s_lshl_b32 s8, s62, 3
	s_add_u32 s8, s34, s8
	s_addc_u32 s9, s35, 0
	s_add_u32 s8, s8, 0xc4
	s_addc_u32 s9, s9, 0
	s_mul_i32 s10, s62, 12
	s_add_u32 s10, s34, s10
	s_addc_u32 s11, s35, 0
.LBB37_166:                             ; =>This Inner Loop Header: Depth=1
	s_load_dwordx2 s[14:15], s[10:11], 0x4
	s_load_dword s13, s[10:11], 0xc
	s_load_dwordx2 s[16:17], s[8:9], 0x0
	s_add_u32 s10, s10, 12
	s_addc_u32 s11, s11, 0
	s_waitcnt lgkmcnt(0)
	v_mul_hi_u32 v3, s15, v1
	s_add_u32 s8, s8, 8
	s_addc_u32 s9, s9, 0
	s_add_i32 s12, s12, -1
	v_add_u32_e32 v3, v1, v3
	v_lshrrev_b32_e32 v4, s13, v3
	v_mul_lo_u32 v3, v4, s14
	s_cmp_lg_u32 s12, 0
	v_sub_u32_e32 v3, v1, v3
	v_mad_u64_u32 v[0:1], s[14:15], v3, s16, v[0:1]
	v_mad_u64_u32 v[2:3], s[14:15], v3, s17, v[2:3]
	v_mov_b32_e32 v1, v4
	s_cbranch_scc1 .LBB37_166
.LBB37_167:
	s_cbranch_execnz .LBB37_170
.LBB37_168:
	v_mul_hi_u32 v0, s25, v19
	s_andn2_b64 vcc, exec, s[46:47]
	v_add_u32_e32 v0, v19, v0
	v_lshrrev_b32_e32 v1, s26, v0
	v_mul_lo_u32 v0, v1, s24
	v_sub_u32_e32 v2, v19, v0
	v_mul_lo_u32 v0, v2, s28
	v_mul_lo_u32 v2, v2, s29
	s_cbranch_vccnz .LBB37_170
; %bb.169:
	v_mul_hi_u32 v3, s44, v1
	v_add_u32_e32 v3, v1, v3
	v_lshrrev_b32_e32 v3, s45, v3
	v_mul_lo_u32 v3, v3, s27
	v_sub_u32_e32 v3, v1, v3
	v_mad_u64_u32 v[0:1], s[8:9], v3, s30, v[0:1]
	v_mad_u64_u32 v[2:3], s[8:9], v3, s31, v[2:3]
.LBB37_170:
	global_load_ubyte v1, v2, s[2:3]
	v_add_u32_e32 v19, 0x80, v19
	s_waitcnt vmcnt(0)
	v_lshlrev_b32_e32 v1, s59, v1
	v_cndmask_b32_e64 v1, v1, 0, s[42:43]
	global_store_byte v0, v1, s[0:1]
	s_or_b64 exec, exec, s[52:53]
	v_cmp_gt_i32_e32 vcc, s60, v19
	s_and_saveexec_b64 s[52:53], vcc
	s_cbranch_execnz .LBB37_156
.LBB37_171:
	s_or_b64 exec, exec, s[52:53]
	v_cmp_gt_i32_e32 vcc, s60, v19
	s_and_saveexec_b64 s[52:53], vcc
	s_cbranch_execz .LBB37_187
.LBB37_172:
	s_andn2_b64 vcc, exec, s[6:7]
	s_cbranch_vccnz .LBB37_177
; %bb.173:
	s_andn2_b64 vcc, exec, s[50:51]
	s_cbranch_vccnz .LBB37_178
; %bb.174:
	s_add_i32 s63, s61, 1
	s_cmp_eq_u32 s58, 2
	s_cbranch_scc1 .LBB37_195
; %bb.175:
	s_and_b32 s62, s63, 28
	v_mov_b32_e32 v2, 0
	s_mov_b32 s64, 0
	s_mov_b64 s[54:55], s[34:35]
	s_mov_b64 s[56:57], s[48:49]
	v_mov_b32_e32 v0, 0
	v_mov_b32_e32 v1, v19
.LBB37_176:                             ; =>This Inner Loop Header: Depth=1
	s_load_dwordx8 s[16:23], s[54:55], 0x4
	s_load_dwordx4 s[36:39], s[54:55], 0x24
	s_load_dwordx8 s[8:15], s[56:57], 0x0
	s_add_u32 s54, s54, 48
	s_addc_u32 s55, s55, 0
	s_waitcnt lgkmcnt(0)
	v_mul_hi_u32 v3, s17, v1
	s_add_i32 s64, s64, 4
	s_add_u32 s56, s56, 32
	s_addc_u32 s57, s57, 0
	v_add_u32_e32 v3, v1, v3
	v_lshrrev_b32_e32 v3, s18, v3
	v_mul_lo_u32 v4, v3, s16
	v_mul_hi_u32 v5, s20, v3
	s_cmp_eq_u32 s62, s64
	v_sub_u32_e32 v1, v1, v4
	v_add_u32_e32 v4, v3, v5
	v_mul_lo_u32 v5, v1, s8
	v_mul_lo_u32 v6, v1, s9
	v_lshrrev_b32_e32 v1, s21, v4
	v_mul_lo_u32 v4, v1, s19
	v_mul_hi_u32 v7, s23, v1
	v_sub_u32_e32 v3, v3, v4
	v_add_u32_e32 v4, v1, v7
	v_lshrrev_b32_e32 v4, s36, v4
	v_mul_hi_u32 v8, s38, v4
	v_mul_lo_u32 v9, v4, s22
	v_mul_lo_u32 v7, v3, s10
	;; [unrolled: 1-line block ×3, first 2 shown]
	v_sub_u32_e32 v9, v1, v9
	v_add_u32_e32 v1, v4, v8
	v_lshrrev_b32_e32 v1, s39, v1
	v_mul_lo_u32 v8, v1, s37
	v_mul_lo_u32 v10, v9, s12
	;; [unrolled: 1-line block ×3, first 2 shown]
	v_add3_u32 v0, v5, v0, v7
	v_sub_u32_e32 v4, v4, v8
	v_mul_lo_u32 v8, v4, s14
	v_mul_lo_u32 v4, v4, s15
	v_add3_u32 v2, v6, v2, v3
	v_add3_u32 v0, v10, v0, v8
	;; [unrolled: 1-line block ×3, first 2 shown]
	s_cbranch_scc0 .LBB37_176
	s_branch .LBB37_196
.LBB37_177:
                                        ; implicit-def: $vgpr0
                                        ; implicit-def: $vgpr2
	s_branch .LBB37_200
.LBB37_178:
	v_mov_b32_e32 v0, 0
	v_mov_b32_e32 v2, 0
	s_branch .LBB37_199
.LBB37_179:
	s_mov_b32 s62, 0
	v_mov_b32_e32 v0, 0
	v_mov_b32_e32 v2, 0
	;; [unrolled: 1-line block ×3, first 2 shown]
.LBB37_180:
	s_and_b32 s12, s63, 3
	s_cmp_eq_u32 s12, 0
	s_cbranch_scc1 .LBB37_183
; %bb.181:
	s_lshl_b32 s8, s62, 3
	s_add_u32 s8, s34, s8
	s_addc_u32 s9, s35, 0
	s_add_u32 s8, s8, 0xc4
	s_addc_u32 s9, s9, 0
	s_mul_i32 s10, s62, 12
	s_add_u32 s10, s34, s10
	s_addc_u32 s11, s35, 0
.LBB37_182:                             ; =>This Inner Loop Header: Depth=1
	s_load_dwordx2 s[14:15], s[10:11], 0x4
	s_load_dword s13, s[10:11], 0xc
	s_load_dwordx2 s[16:17], s[8:9], 0x0
	s_add_u32 s10, s10, 12
	s_addc_u32 s11, s11, 0
	s_waitcnt lgkmcnt(0)
	v_mul_hi_u32 v3, s15, v1
	s_add_u32 s8, s8, 8
	s_addc_u32 s9, s9, 0
	s_add_i32 s12, s12, -1
	v_add_u32_e32 v3, v1, v3
	v_lshrrev_b32_e32 v4, s13, v3
	v_mul_lo_u32 v3, v4, s14
	s_cmp_lg_u32 s12, 0
	v_sub_u32_e32 v3, v1, v3
	v_mad_u64_u32 v[0:1], s[14:15], v3, s16, v[0:1]
	v_mad_u64_u32 v[2:3], s[14:15], v3, s17, v[2:3]
	v_mov_b32_e32 v1, v4
	s_cbranch_scc1 .LBB37_182
.LBB37_183:
	s_cbranch_execnz .LBB37_186
.LBB37_184:
	v_mul_hi_u32 v0, s25, v19
	s_andn2_b64 vcc, exec, s[46:47]
	v_add_u32_e32 v0, v19, v0
	v_lshrrev_b32_e32 v1, s26, v0
	v_mul_lo_u32 v0, v1, s24
	v_sub_u32_e32 v2, v19, v0
	v_mul_lo_u32 v0, v2, s28
	v_mul_lo_u32 v2, v2, s29
	s_cbranch_vccnz .LBB37_186
; %bb.185:
	v_mul_hi_u32 v3, s44, v1
	v_add_u32_e32 v3, v1, v3
	v_lshrrev_b32_e32 v3, s45, v3
	v_mul_lo_u32 v3, v3, s27
	v_sub_u32_e32 v3, v1, v3
	v_mad_u64_u32 v[0:1], s[8:9], v3, s30, v[0:1]
	v_mad_u64_u32 v[2:3], s[8:9], v3, s31, v[2:3]
.LBB37_186:
	global_load_ubyte v1, v2, s[2:3]
	v_add_u32_e32 v19, 0x80, v19
	s_waitcnt vmcnt(0)
	v_lshlrev_b32_e32 v1, s59, v1
	v_cndmask_b32_e64 v1, v1, 0, s[42:43]
	global_store_byte v0, v1, s[0:1]
	s_or_b64 exec, exec, s[52:53]
	v_cmp_gt_i32_e32 vcc, s60, v19
	s_and_saveexec_b64 s[52:53], vcc
	s_cbranch_execnz .LBB37_172
.LBB37_187:
	s_or_b64 exec, exec, s[52:53]
	v_cmp_gt_i32_e32 vcc, s60, v19
	s_and_saveexec_b64 s[52:53], vcc
	s_cbranch_execz .LBB37_203
.LBB37_188:
	s_andn2_b64 vcc, exec, s[6:7]
	s_cbranch_vccnz .LBB37_193
; %bb.189:
	s_andn2_b64 vcc, exec, s[50:51]
	s_cbranch_vccnz .LBB37_194
; %bb.190:
	s_add_i32 s63, s61, 1
	s_cmp_eq_u32 s58, 2
	s_cbranch_scc1 .LBB37_211
; %bb.191:
	s_and_b32 s62, s63, 28
	v_mov_b32_e32 v2, 0
	s_mov_b32 s64, 0
	s_mov_b64 s[54:55], s[34:35]
	s_mov_b64 s[56:57], s[48:49]
	v_mov_b32_e32 v0, 0
	v_mov_b32_e32 v1, v19
.LBB37_192:                             ; =>This Inner Loop Header: Depth=1
	s_load_dwordx8 s[16:23], s[54:55], 0x4
	s_load_dwordx4 s[36:39], s[54:55], 0x24
	s_load_dwordx8 s[8:15], s[56:57], 0x0
	s_add_u32 s54, s54, 48
	s_addc_u32 s55, s55, 0
	s_waitcnt lgkmcnt(0)
	v_mul_hi_u32 v3, s17, v1
	s_add_i32 s64, s64, 4
	s_add_u32 s56, s56, 32
	s_addc_u32 s57, s57, 0
	v_add_u32_e32 v3, v1, v3
	v_lshrrev_b32_e32 v3, s18, v3
	v_mul_lo_u32 v4, v3, s16
	v_mul_hi_u32 v5, s20, v3
	s_cmp_eq_u32 s62, s64
	v_sub_u32_e32 v1, v1, v4
	v_add_u32_e32 v4, v3, v5
	v_mul_lo_u32 v5, v1, s8
	v_mul_lo_u32 v6, v1, s9
	v_lshrrev_b32_e32 v1, s21, v4
	v_mul_lo_u32 v4, v1, s19
	v_mul_hi_u32 v7, s23, v1
	v_sub_u32_e32 v3, v3, v4
	v_add_u32_e32 v4, v1, v7
	v_lshrrev_b32_e32 v4, s36, v4
	v_mul_hi_u32 v8, s38, v4
	v_mul_lo_u32 v9, v4, s22
	v_mul_lo_u32 v7, v3, s10
	;; [unrolled: 1-line block ×3, first 2 shown]
	v_sub_u32_e32 v9, v1, v9
	v_add_u32_e32 v1, v4, v8
	v_lshrrev_b32_e32 v1, s39, v1
	v_mul_lo_u32 v8, v1, s37
	v_mul_lo_u32 v10, v9, s12
	;; [unrolled: 1-line block ×3, first 2 shown]
	v_add3_u32 v0, v5, v0, v7
	v_sub_u32_e32 v4, v4, v8
	v_mul_lo_u32 v8, v4, s14
	v_mul_lo_u32 v4, v4, s15
	v_add3_u32 v2, v6, v2, v3
	v_add3_u32 v0, v10, v0, v8
	;; [unrolled: 1-line block ×3, first 2 shown]
	s_cbranch_scc0 .LBB37_192
	s_branch .LBB37_212
.LBB37_193:
                                        ; implicit-def: $vgpr0
                                        ; implicit-def: $vgpr2
	s_branch .LBB37_216
.LBB37_194:
	v_mov_b32_e32 v0, 0
	v_mov_b32_e32 v2, 0
	s_branch .LBB37_215
.LBB37_195:
	s_mov_b32 s62, 0
	v_mov_b32_e32 v0, 0
	v_mov_b32_e32 v2, 0
	;; [unrolled: 1-line block ×3, first 2 shown]
.LBB37_196:
	s_and_b32 s12, s63, 3
	s_cmp_eq_u32 s12, 0
	s_cbranch_scc1 .LBB37_199
; %bb.197:
	s_lshl_b32 s8, s62, 3
	s_add_u32 s8, s34, s8
	s_addc_u32 s9, s35, 0
	s_add_u32 s8, s8, 0xc4
	s_addc_u32 s9, s9, 0
	s_mul_i32 s10, s62, 12
	s_add_u32 s10, s34, s10
	s_addc_u32 s11, s35, 0
.LBB37_198:                             ; =>This Inner Loop Header: Depth=1
	s_load_dwordx2 s[14:15], s[10:11], 0x4
	s_load_dword s13, s[10:11], 0xc
	s_load_dwordx2 s[16:17], s[8:9], 0x0
	s_add_u32 s10, s10, 12
	s_addc_u32 s11, s11, 0
	s_waitcnt lgkmcnt(0)
	v_mul_hi_u32 v3, s15, v1
	s_add_u32 s8, s8, 8
	s_addc_u32 s9, s9, 0
	s_add_i32 s12, s12, -1
	v_add_u32_e32 v3, v1, v3
	v_lshrrev_b32_e32 v4, s13, v3
	v_mul_lo_u32 v3, v4, s14
	s_cmp_lg_u32 s12, 0
	v_sub_u32_e32 v3, v1, v3
	v_mad_u64_u32 v[0:1], s[14:15], v3, s16, v[0:1]
	v_mad_u64_u32 v[2:3], s[14:15], v3, s17, v[2:3]
	v_mov_b32_e32 v1, v4
	s_cbranch_scc1 .LBB37_198
.LBB37_199:
	s_cbranch_execnz .LBB37_202
.LBB37_200:
	v_mul_hi_u32 v0, s25, v19
	s_andn2_b64 vcc, exec, s[46:47]
	v_add_u32_e32 v0, v19, v0
	v_lshrrev_b32_e32 v1, s26, v0
	v_mul_lo_u32 v0, v1, s24
	v_sub_u32_e32 v2, v19, v0
	v_mul_lo_u32 v0, v2, s28
	v_mul_lo_u32 v2, v2, s29
	s_cbranch_vccnz .LBB37_202
; %bb.201:
	v_mul_hi_u32 v3, s44, v1
	v_add_u32_e32 v3, v1, v3
	v_lshrrev_b32_e32 v3, s45, v3
	v_mul_lo_u32 v3, v3, s27
	v_sub_u32_e32 v3, v1, v3
	v_mad_u64_u32 v[0:1], s[8:9], v3, s30, v[0:1]
	v_mad_u64_u32 v[2:3], s[8:9], v3, s31, v[2:3]
.LBB37_202:
	global_load_ubyte v1, v2, s[2:3]
	v_add_u32_e32 v19, 0x80, v19
	s_waitcnt vmcnt(0)
	v_lshlrev_b32_e32 v1, s59, v1
	v_cndmask_b32_e64 v1, v1, 0, s[42:43]
	global_store_byte v0, v1, s[0:1]
	s_or_b64 exec, exec, s[52:53]
	v_cmp_gt_i32_e32 vcc, s60, v19
	s_and_saveexec_b64 s[52:53], vcc
	s_cbranch_execnz .LBB37_188
.LBB37_203:
	s_or_b64 exec, exec, s[52:53]
	v_cmp_gt_i32_e32 vcc, s60, v19
	s_and_saveexec_b64 s[52:53], vcc
	s_cbranch_execz .LBB37_219
.LBB37_204:
	s_andn2_b64 vcc, exec, s[6:7]
	s_cbranch_vccnz .LBB37_209
; %bb.205:
	s_andn2_b64 vcc, exec, s[50:51]
	s_cbranch_vccnz .LBB37_210
; %bb.206:
	s_add_i32 s63, s61, 1
	s_cmp_eq_u32 s58, 2
	s_cbranch_scc1 .LBB37_222
; %bb.207:
	s_and_b32 s62, s63, 28
	v_mov_b32_e32 v2, 0
	s_mov_b32 s64, 0
	s_mov_b64 s[54:55], s[34:35]
	s_mov_b64 s[56:57], s[48:49]
	v_mov_b32_e32 v0, 0
	v_mov_b32_e32 v1, v19
.LBB37_208:                             ; =>This Inner Loop Header: Depth=1
	s_load_dwordx8 s[16:23], s[54:55], 0x4
	s_load_dwordx4 s[36:39], s[54:55], 0x24
	s_load_dwordx8 s[8:15], s[56:57], 0x0
	s_add_u32 s54, s54, 48
	s_addc_u32 s55, s55, 0
	s_waitcnt lgkmcnt(0)
	v_mul_hi_u32 v3, s17, v1
	s_add_i32 s64, s64, 4
	s_add_u32 s56, s56, 32
	s_addc_u32 s57, s57, 0
	v_add_u32_e32 v3, v1, v3
	v_lshrrev_b32_e32 v3, s18, v3
	v_mul_lo_u32 v4, v3, s16
	v_mul_hi_u32 v5, s20, v3
	s_cmp_eq_u32 s62, s64
	v_sub_u32_e32 v1, v1, v4
	v_add_u32_e32 v4, v3, v5
	v_mul_lo_u32 v5, v1, s8
	v_mul_lo_u32 v6, v1, s9
	v_lshrrev_b32_e32 v1, s21, v4
	v_mul_lo_u32 v4, v1, s19
	v_mul_hi_u32 v7, s23, v1
	v_sub_u32_e32 v3, v3, v4
	v_add_u32_e32 v4, v1, v7
	v_lshrrev_b32_e32 v4, s36, v4
	v_mul_hi_u32 v8, s38, v4
	v_mul_lo_u32 v9, v4, s22
	v_mul_lo_u32 v7, v3, s10
	;; [unrolled: 1-line block ×3, first 2 shown]
	v_sub_u32_e32 v9, v1, v9
	v_add_u32_e32 v1, v4, v8
	v_lshrrev_b32_e32 v1, s39, v1
	v_mul_lo_u32 v8, v1, s37
	v_mul_lo_u32 v10, v9, s12
	;; [unrolled: 1-line block ×3, first 2 shown]
	v_add3_u32 v0, v5, v0, v7
	v_sub_u32_e32 v4, v4, v8
	v_mul_lo_u32 v8, v4, s14
	v_mul_lo_u32 v4, v4, s15
	v_add3_u32 v2, v6, v2, v3
	v_add3_u32 v0, v10, v0, v8
	;; [unrolled: 1-line block ×3, first 2 shown]
	s_cbranch_scc0 .LBB37_208
	s_branch .LBB37_223
.LBB37_209:
                                        ; implicit-def: $vgpr0
                                        ; implicit-def: $vgpr2
	s_branch .LBB37_227
.LBB37_210:
	v_mov_b32_e32 v0, 0
	v_mov_b32_e32 v2, 0
	s_branch .LBB37_226
.LBB37_211:
	s_mov_b32 s62, 0
	v_mov_b32_e32 v0, 0
	v_mov_b32_e32 v2, 0
	;; [unrolled: 1-line block ×3, first 2 shown]
.LBB37_212:
	s_and_b32 s12, s63, 3
	s_cmp_eq_u32 s12, 0
	s_cbranch_scc1 .LBB37_215
; %bb.213:
	s_lshl_b32 s8, s62, 3
	s_add_u32 s8, s34, s8
	s_addc_u32 s9, s35, 0
	s_add_u32 s8, s8, 0xc4
	s_addc_u32 s9, s9, 0
	s_mul_i32 s10, s62, 12
	s_add_u32 s10, s34, s10
	s_addc_u32 s11, s35, 0
.LBB37_214:                             ; =>This Inner Loop Header: Depth=1
	s_load_dwordx2 s[14:15], s[10:11], 0x4
	s_load_dword s13, s[10:11], 0xc
	s_load_dwordx2 s[16:17], s[8:9], 0x0
	s_add_u32 s10, s10, 12
	s_addc_u32 s11, s11, 0
	s_waitcnt lgkmcnt(0)
	v_mul_hi_u32 v3, s15, v1
	s_add_u32 s8, s8, 8
	s_addc_u32 s9, s9, 0
	s_add_i32 s12, s12, -1
	v_add_u32_e32 v3, v1, v3
	v_lshrrev_b32_e32 v4, s13, v3
	v_mul_lo_u32 v3, v4, s14
	s_cmp_lg_u32 s12, 0
	v_sub_u32_e32 v3, v1, v3
	v_mad_u64_u32 v[0:1], s[14:15], v3, s16, v[0:1]
	v_mad_u64_u32 v[2:3], s[14:15], v3, s17, v[2:3]
	v_mov_b32_e32 v1, v4
	s_cbranch_scc1 .LBB37_214
.LBB37_215:
	s_cbranch_execnz .LBB37_218
.LBB37_216:
	v_mul_hi_u32 v0, s25, v19
	s_andn2_b64 vcc, exec, s[46:47]
	v_add_u32_e32 v0, v19, v0
	v_lshrrev_b32_e32 v1, s26, v0
	v_mul_lo_u32 v0, v1, s24
	v_sub_u32_e32 v2, v19, v0
	v_mul_lo_u32 v0, v2, s28
	v_mul_lo_u32 v2, v2, s29
	s_cbranch_vccnz .LBB37_218
; %bb.217:
	v_mul_hi_u32 v3, s44, v1
	v_add_u32_e32 v3, v1, v3
	v_lshrrev_b32_e32 v3, s45, v3
	v_mul_lo_u32 v3, v3, s27
	v_sub_u32_e32 v3, v1, v3
	v_mad_u64_u32 v[0:1], s[8:9], v3, s30, v[0:1]
	v_mad_u64_u32 v[2:3], s[8:9], v3, s31, v[2:3]
.LBB37_218:
	global_load_ubyte v1, v2, s[2:3]
	v_add_u32_e32 v19, 0x80, v19
	s_waitcnt vmcnt(0)
	v_lshlrev_b32_e32 v1, s59, v1
	v_cndmask_b32_e64 v1, v1, 0, s[42:43]
	global_store_byte v0, v1, s[0:1]
	s_or_b64 exec, exec, s[52:53]
	v_cmp_gt_i32_e32 vcc, s60, v19
	s_and_saveexec_b64 s[52:53], vcc
	s_cbranch_execnz .LBB37_204
.LBB37_219:
	s_or_b64 exec, exec, s[52:53]
	v_cmp_gt_i32_e32 vcc, s60, v19
	s_and_saveexec_b64 s[52:53], vcc
	s_cbranch_execnz .LBB37_230
.LBB37_220:
	s_or_b64 exec, exec, s[52:53]
                                        ; implicit-def: $vgpr25
                                        ; implicit-def: $vgpr19
	s_andn2_saveexec_b64 s[0:1], s[40:41]
	s_cbranch_execnz .LBB37_8
.LBB37_221:
	s_endpgm
.LBB37_222:
	s_mov_b32 s62, 0
	v_mov_b32_e32 v0, 0
	v_mov_b32_e32 v2, 0
	v_mov_b32_e32 v1, v19
.LBB37_223:
	s_and_b32 s12, s63, 3
	s_cmp_eq_u32 s12, 0
	s_cbranch_scc1 .LBB37_226
; %bb.224:
	s_lshl_b32 s8, s62, 3
	s_add_u32 s8, s34, s8
	s_addc_u32 s9, s35, 0
	s_add_u32 s8, s8, 0xc4
	s_addc_u32 s9, s9, 0
	s_mul_i32 s10, s62, 12
	s_add_u32 s10, s34, s10
	s_addc_u32 s11, s35, 0
.LBB37_225:                             ; =>This Inner Loop Header: Depth=1
	s_load_dwordx2 s[14:15], s[10:11], 0x4
	s_load_dword s13, s[10:11], 0xc
	s_load_dwordx2 s[16:17], s[8:9], 0x0
	s_add_u32 s10, s10, 12
	s_addc_u32 s11, s11, 0
	s_waitcnt lgkmcnt(0)
	v_mul_hi_u32 v3, s15, v1
	s_add_u32 s8, s8, 8
	s_addc_u32 s9, s9, 0
	s_add_i32 s12, s12, -1
	v_add_u32_e32 v3, v1, v3
	v_lshrrev_b32_e32 v4, s13, v3
	v_mul_lo_u32 v3, v4, s14
	s_cmp_lg_u32 s12, 0
	v_sub_u32_e32 v3, v1, v3
	v_mad_u64_u32 v[0:1], s[14:15], v3, s16, v[0:1]
	v_mad_u64_u32 v[2:3], s[14:15], v3, s17, v[2:3]
	v_mov_b32_e32 v1, v4
	s_cbranch_scc1 .LBB37_225
.LBB37_226:
	s_cbranch_execnz .LBB37_229
.LBB37_227:
	v_mul_hi_u32 v0, s25, v19
	s_andn2_b64 vcc, exec, s[46:47]
	v_add_u32_e32 v0, v19, v0
	v_lshrrev_b32_e32 v1, s26, v0
	v_mul_lo_u32 v0, v1, s24
	v_sub_u32_e32 v2, v19, v0
	v_mul_lo_u32 v0, v2, s28
	v_mul_lo_u32 v2, v2, s29
	s_cbranch_vccnz .LBB37_229
; %bb.228:
	v_mul_hi_u32 v3, s44, v1
	v_add_u32_e32 v3, v1, v3
	v_lshrrev_b32_e32 v3, s45, v3
	v_mul_lo_u32 v3, v3, s27
	v_sub_u32_e32 v3, v1, v3
	v_mad_u64_u32 v[0:1], s[8:9], v3, s30, v[0:1]
	v_mad_u64_u32 v[2:3], s[8:9], v3, s31, v[2:3]
.LBB37_229:
	global_load_ubyte v1, v2, s[2:3]
	v_add_u32_e32 v19, 0x80, v19
	s_waitcnt vmcnt(0)
	v_lshlrev_b32_e32 v1, s59, v1
	v_cndmask_b32_e64 v1, v1, 0, s[42:43]
	global_store_byte v0, v1, s[0:1]
	s_or_b64 exec, exec, s[52:53]
	v_cmp_gt_i32_e32 vcc, s60, v19
	s_and_saveexec_b64 s[52:53], vcc
	s_cbranch_execz .LBB37_220
.LBB37_230:
	s_andn2_b64 vcc, exec, s[6:7]
	s_cbranch_vccnz .LBB37_235
; %bb.231:
	s_andn2_b64 vcc, exec, s[50:51]
	s_cbranch_vccnz .LBB37_236
; %bb.232:
	s_add_i32 s61, s61, 1
	s_cmp_eq_u32 s58, 2
	s_cbranch_scc1 .LBB37_237
; %bb.233:
	s_and_b32 s54, s61, 28
	v_mov_b32_e32 v2, 0
	s_mov_b32 s55, 0
	s_mov_b64 s[50:51], s[34:35]
	v_mov_b32_e32 v0, 0
	v_mov_b32_e32 v1, v19
.LBB37_234:                             ; =>This Inner Loop Header: Depth=1
	s_load_dwordx8 s[16:23], s[50:51], 0x4
	s_load_dwordx4 s[36:39], s[50:51], 0x24
	s_load_dwordx8 s[8:15], s[48:49], 0x0
	s_add_u32 s50, s50, 48
	s_addc_u32 s51, s51, 0
	s_waitcnt lgkmcnt(0)
	v_mul_hi_u32 v3, s17, v1
	s_add_i32 s55, s55, 4
	s_add_u32 s48, s48, 32
	s_addc_u32 s49, s49, 0
	v_add_u32_e32 v3, v1, v3
	v_lshrrev_b32_e32 v3, s18, v3
	v_mul_lo_u32 v4, v3, s16
	v_mul_hi_u32 v5, s20, v3
	s_cmp_eq_u32 s54, s55
	v_sub_u32_e32 v1, v1, v4
	v_add_u32_e32 v4, v3, v5
	v_mul_lo_u32 v5, v1, s8
	v_mul_lo_u32 v6, v1, s9
	v_lshrrev_b32_e32 v1, s21, v4
	v_mul_lo_u32 v4, v1, s19
	v_mul_hi_u32 v7, s23, v1
	v_sub_u32_e32 v3, v3, v4
	v_add_u32_e32 v4, v1, v7
	v_lshrrev_b32_e32 v4, s36, v4
	v_mul_hi_u32 v8, s38, v4
	v_mul_lo_u32 v9, v4, s22
	v_mul_lo_u32 v7, v3, s10
	;; [unrolled: 1-line block ×3, first 2 shown]
	v_sub_u32_e32 v9, v1, v9
	v_add_u32_e32 v1, v4, v8
	v_lshrrev_b32_e32 v1, s39, v1
	v_mul_lo_u32 v8, v1, s37
	v_mul_lo_u32 v10, v9, s12
	;; [unrolled: 1-line block ×3, first 2 shown]
	v_add3_u32 v0, v5, v0, v7
	v_sub_u32_e32 v4, v4, v8
	v_mul_lo_u32 v8, v4, s14
	v_mul_lo_u32 v4, v4, s15
	v_add3_u32 v2, v6, v2, v3
	v_add3_u32 v0, v10, v0, v8
	;; [unrolled: 1-line block ×3, first 2 shown]
	s_cbranch_scc0 .LBB37_234
	s_branch .LBB37_238
.LBB37_235:
                                        ; implicit-def: $vgpr0
                                        ; implicit-def: $vgpr2
	s_branch .LBB37_242
.LBB37_236:
	v_mov_b32_e32 v0, 0
	v_mov_b32_e32 v2, 0
	s_branch .LBB37_241
.LBB37_237:
	s_mov_b32 s54, 0
	v_mov_b32_e32 v0, 0
	v_mov_b32_e32 v2, 0
	;; [unrolled: 1-line block ×3, first 2 shown]
.LBB37_238:
	s_and_b32 s12, s61, 3
	s_cmp_eq_u32 s12, 0
	s_cbranch_scc1 .LBB37_241
; %bb.239:
	s_lshl_b32 s8, s54, 3
	s_add_u32 s8, s34, s8
	s_addc_u32 s9, s35, 0
	s_add_u32 s8, s8, 0xc4
	s_addc_u32 s9, s9, 0
	s_mul_i32 s10, s54, 12
	s_add_u32 s10, s34, s10
	s_addc_u32 s11, s35, 0
.LBB37_240:                             ; =>This Inner Loop Header: Depth=1
	s_load_dwordx2 s[14:15], s[10:11], 0x4
	s_load_dword s13, s[10:11], 0xc
	s_load_dwordx2 s[16:17], s[8:9], 0x0
	s_add_u32 s10, s10, 12
	s_addc_u32 s11, s11, 0
	s_waitcnt lgkmcnt(0)
	v_mul_hi_u32 v3, s15, v1
	s_add_u32 s8, s8, 8
	s_addc_u32 s9, s9, 0
	s_add_i32 s12, s12, -1
	v_add_u32_e32 v3, v1, v3
	v_lshrrev_b32_e32 v4, s13, v3
	v_mul_lo_u32 v3, v4, s14
	s_cmp_lg_u32 s12, 0
	v_sub_u32_e32 v3, v1, v3
	v_mad_u64_u32 v[0:1], s[14:15], v3, s16, v[0:1]
	v_mad_u64_u32 v[2:3], s[14:15], v3, s17, v[2:3]
	v_mov_b32_e32 v1, v4
	s_cbranch_scc1 .LBB37_240
.LBB37_241:
	s_cbranch_execnz .LBB37_244
.LBB37_242:
	v_mul_hi_u32 v0, s25, v19
	s_andn2_b64 vcc, exec, s[46:47]
	v_add_u32_e32 v0, v19, v0
	v_lshrrev_b32_e32 v1, s26, v0
	v_mul_lo_u32 v0, v1, s24
	v_sub_u32_e32 v2, v19, v0
	v_mul_lo_u32 v0, v2, s28
	v_mul_lo_u32 v2, v2, s29
	s_cbranch_vccnz .LBB37_244
; %bb.243:
	v_mul_hi_u32 v3, s44, v1
	v_add_u32_e32 v3, v1, v3
	v_lshrrev_b32_e32 v3, s45, v3
	v_mul_lo_u32 v3, v3, s27
	v_sub_u32_e32 v3, v1, v3
	v_mad_u64_u32 v[0:1], s[8:9], v3, s30, v[0:1]
	v_mad_u64_u32 v[2:3], s[8:9], v3, s31, v[2:3]
.LBB37_244:
	global_load_ubyte v1, v2, s[2:3]
	s_waitcnt vmcnt(0)
	v_lshlrev_b32_e32 v1, s59, v1
	v_cndmask_b32_e64 v1, v1, 0, s[42:43]
	global_store_byte v0, v1, s[0:1]
	s_or_b64 exec, exec, s[52:53]
                                        ; implicit-def: $vgpr25
                                        ; implicit-def: $vgpr19
	s_andn2_saveexec_b64 s[0:1], s[40:41]
	s_cbranch_execz .LBB37_221
	s_branch .LBB37_8
	.section	.rodata,"a",@progbits
	.p2align	6, 0x0
	.amdhsa_kernel _ZN2at6native32elementwise_kernel_manual_unrollILi128ELi8EZNS0_22gpu_kernel_impl_nocastINS0_13BUnaryFunctorIaaaZZZNS0_18lshift_kernel_cudaERNS_18TensorIteratorBaseEENKUlvE_clEvENKUlvE0_clEvEUlaaE_EEEEvS5_RKT_EUlibE_EEviT1_
		.amdhsa_group_segment_fixed_size 0
		.amdhsa_private_segment_fixed_size 0
		.amdhsa_kernarg_size 360
		.amdhsa_user_sgpr_count 6
		.amdhsa_user_sgpr_private_segment_buffer 1
		.amdhsa_user_sgpr_dispatch_ptr 0
		.amdhsa_user_sgpr_queue_ptr 0
		.amdhsa_user_sgpr_kernarg_segment_ptr 1
		.amdhsa_user_sgpr_dispatch_id 0
		.amdhsa_user_sgpr_flat_scratch_init 0
		.amdhsa_user_sgpr_private_segment_size 0
		.amdhsa_uses_dynamic_stack 0
		.amdhsa_system_sgpr_private_segment_wavefront_offset 0
		.amdhsa_system_sgpr_workgroup_id_x 1
		.amdhsa_system_sgpr_workgroup_id_y 0
		.amdhsa_system_sgpr_workgroup_id_z 0
		.amdhsa_system_sgpr_workgroup_info 0
		.amdhsa_system_vgpr_workitem_id 0
		.amdhsa_next_free_vgpr 26
		.amdhsa_next_free_sgpr 65
		.amdhsa_reserve_vcc 1
		.amdhsa_reserve_flat_scratch 0
		.amdhsa_float_round_mode_32 0
		.amdhsa_float_round_mode_16_64 0
		.amdhsa_float_denorm_mode_32 3
		.amdhsa_float_denorm_mode_16_64 3
		.amdhsa_dx10_clamp 1
		.amdhsa_ieee_mode 1
		.amdhsa_fp16_overflow 0
		.amdhsa_exception_fp_ieee_invalid_op 0
		.amdhsa_exception_fp_denorm_src 0
		.amdhsa_exception_fp_ieee_div_zero 0
		.amdhsa_exception_fp_ieee_overflow 0
		.amdhsa_exception_fp_ieee_underflow 0
		.amdhsa_exception_fp_ieee_inexact 0
		.amdhsa_exception_int_div_zero 0
	.end_amdhsa_kernel
	.section	.text._ZN2at6native32elementwise_kernel_manual_unrollILi128ELi8EZNS0_22gpu_kernel_impl_nocastINS0_13BUnaryFunctorIaaaZZZNS0_18lshift_kernel_cudaERNS_18TensorIteratorBaseEENKUlvE_clEvENKUlvE0_clEvEUlaaE_EEEEvS5_RKT_EUlibE_EEviT1_,"axG",@progbits,_ZN2at6native32elementwise_kernel_manual_unrollILi128ELi8EZNS0_22gpu_kernel_impl_nocastINS0_13BUnaryFunctorIaaaZZZNS0_18lshift_kernel_cudaERNS_18TensorIteratorBaseEENKUlvE_clEvENKUlvE0_clEvEUlaaE_EEEEvS5_RKT_EUlibE_EEviT1_,comdat
.Lfunc_end37:
	.size	_ZN2at6native32elementwise_kernel_manual_unrollILi128ELi8EZNS0_22gpu_kernel_impl_nocastINS0_13BUnaryFunctorIaaaZZZNS0_18lshift_kernel_cudaERNS_18TensorIteratorBaseEENKUlvE_clEvENKUlvE0_clEvEUlaaE_EEEEvS5_RKT_EUlibE_EEviT1_, .Lfunc_end37-_ZN2at6native32elementwise_kernel_manual_unrollILi128ELi8EZNS0_22gpu_kernel_impl_nocastINS0_13BUnaryFunctorIaaaZZZNS0_18lshift_kernel_cudaERNS_18TensorIteratorBaseEENKUlvE_clEvENKUlvE0_clEvEUlaaE_EEEEvS5_RKT_EUlibE_EEviT1_
                                        ; -- End function
	.set _ZN2at6native32elementwise_kernel_manual_unrollILi128ELi8EZNS0_22gpu_kernel_impl_nocastINS0_13BUnaryFunctorIaaaZZZNS0_18lshift_kernel_cudaERNS_18TensorIteratorBaseEENKUlvE_clEvENKUlvE0_clEvEUlaaE_EEEEvS5_RKT_EUlibE_EEviT1_.num_vgpr, 26
	.set _ZN2at6native32elementwise_kernel_manual_unrollILi128ELi8EZNS0_22gpu_kernel_impl_nocastINS0_13BUnaryFunctorIaaaZZZNS0_18lshift_kernel_cudaERNS_18TensorIteratorBaseEENKUlvE_clEvENKUlvE0_clEvEUlaaE_EEEEvS5_RKT_EUlibE_EEviT1_.num_agpr, 0
	.set _ZN2at6native32elementwise_kernel_manual_unrollILi128ELi8EZNS0_22gpu_kernel_impl_nocastINS0_13BUnaryFunctorIaaaZZZNS0_18lshift_kernel_cudaERNS_18TensorIteratorBaseEENKUlvE_clEvENKUlvE0_clEvEUlaaE_EEEEvS5_RKT_EUlibE_EEviT1_.numbered_sgpr, 65
	.set _ZN2at6native32elementwise_kernel_manual_unrollILi128ELi8EZNS0_22gpu_kernel_impl_nocastINS0_13BUnaryFunctorIaaaZZZNS0_18lshift_kernel_cudaERNS_18TensorIteratorBaseEENKUlvE_clEvENKUlvE0_clEvEUlaaE_EEEEvS5_RKT_EUlibE_EEviT1_.num_named_barrier, 0
	.set _ZN2at6native32elementwise_kernel_manual_unrollILi128ELi8EZNS0_22gpu_kernel_impl_nocastINS0_13BUnaryFunctorIaaaZZZNS0_18lshift_kernel_cudaERNS_18TensorIteratorBaseEENKUlvE_clEvENKUlvE0_clEvEUlaaE_EEEEvS5_RKT_EUlibE_EEviT1_.private_seg_size, 0
	.set _ZN2at6native32elementwise_kernel_manual_unrollILi128ELi8EZNS0_22gpu_kernel_impl_nocastINS0_13BUnaryFunctorIaaaZZZNS0_18lshift_kernel_cudaERNS_18TensorIteratorBaseEENKUlvE_clEvENKUlvE0_clEvEUlaaE_EEEEvS5_RKT_EUlibE_EEviT1_.uses_vcc, 1
	.set _ZN2at6native32elementwise_kernel_manual_unrollILi128ELi8EZNS0_22gpu_kernel_impl_nocastINS0_13BUnaryFunctorIaaaZZZNS0_18lshift_kernel_cudaERNS_18TensorIteratorBaseEENKUlvE_clEvENKUlvE0_clEvEUlaaE_EEEEvS5_RKT_EUlibE_EEviT1_.uses_flat_scratch, 0
	.set _ZN2at6native32elementwise_kernel_manual_unrollILi128ELi8EZNS0_22gpu_kernel_impl_nocastINS0_13BUnaryFunctorIaaaZZZNS0_18lshift_kernel_cudaERNS_18TensorIteratorBaseEENKUlvE_clEvENKUlvE0_clEvEUlaaE_EEEEvS5_RKT_EUlibE_EEviT1_.has_dyn_sized_stack, 0
	.set _ZN2at6native32elementwise_kernel_manual_unrollILi128ELi8EZNS0_22gpu_kernel_impl_nocastINS0_13BUnaryFunctorIaaaZZZNS0_18lshift_kernel_cudaERNS_18TensorIteratorBaseEENKUlvE_clEvENKUlvE0_clEvEUlaaE_EEEEvS5_RKT_EUlibE_EEviT1_.has_recursion, 0
	.set _ZN2at6native32elementwise_kernel_manual_unrollILi128ELi8EZNS0_22gpu_kernel_impl_nocastINS0_13BUnaryFunctorIaaaZZZNS0_18lshift_kernel_cudaERNS_18TensorIteratorBaseEENKUlvE_clEvENKUlvE0_clEvEUlaaE_EEEEvS5_RKT_EUlibE_EEviT1_.has_indirect_call, 0
	.section	.AMDGPU.csdata,"",@progbits
; Kernel info:
; codeLenInByte = 11352
; TotalNumSgprs: 69
; NumVgprs: 26
; ScratchSize: 0
; MemoryBound: 0
; FloatMode: 240
; IeeeMode: 1
; LDSByteSize: 0 bytes/workgroup (compile time only)
; SGPRBlocks: 8
; VGPRBlocks: 6
; NumSGPRsForWavesPerEU: 69
; NumVGPRsForWavesPerEU: 26
; Occupancy: 9
; WaveLimiterHint : 1
; COMPUTE_PGM_RSRC2:SCRATCH_EN: 0
; COMPUTE_PGM_RSRC2:USER_SGPR: 6
; COMPUTE_PGM_RSRC2:TRAP_HANDLER: 0
; COMPUTE_PGM_RSRC2:TGID_X_EN: 1
; COMPUTE_PGM_RSRC2:TGID_Y_EN: 0
; COMPUTE_PGM_RSRC2:TGID_Z_EN: 0
; COMPUTE_PGM_RSRC2:TIDIG_COMP_CNT: 0
	.section	.text._ZN2at6native32elementwise_kernel_manual_unrollILi128ELi4EZNS0_15gpu_kernel_implINS0_13BUnaryFunctorIaaaZZZNS0_18lshift_kernel_cudaERNS_18TensorIteratorBaseEENKUlvE_clEvENKUlvE0_clEvEUlaaE_EEEEvS5_RKT_EUlibE_EEviT1_,"axG",@progbits,_ZN2at6native32elementwise_kernel_manual_unrollILi128ELi4EZNS0_15gpu_kernel_implINS0_13BUnaryFunctorIaaaZZZNS0_18lshift_kernel_cudaERNS_18TensorIteratorBaseEENKUlvE_clEvENKUlvE0_clEvEUlaaE_EEEEvS5_RKT_EUlibE_EEviT1_,comdat
	.globl	_ZN2at6native32elementwise_kernel_manual_unrollILi128ELi4EZNS0_15gpu_kernel_implINS0_13BUnaryFunctorIaaaZZZNS0_18lshift_kernel_cudaERNS_18TensorIteratorBaseEENKUlvE_clEvENKUlvE0_clEvEUlaaE_EEEEvS5_RKT_EUlibE_EEviT1_ ; -- Begin function _ZN2at6native32elementwise_kernel_manual_unrollILi128ELi4EZNS0_15gpu_kernel_implINS0_13BUnaryFunctorIaaaZZZNS0_18lshift_kernel_cudaERNS_18TensorIteratorBaseEENKUlvE_clEvENKUlvE0_clEvEUlaaE_EEEEvS5_RKT_EUlibE_EEviT1_
	.p2align	8
	.type	_ZN2at6native32elementwise_kernel_manual_unrollILi128ELi4EZNS0_15gpu_kernel_implINS0_13BUnaryFunctorIaaaZZZNS0_18lshift_kernel_cudaERNS_18TensorIteratorBaseEENKUlvE_clEvENKUlvE0_clEvEUlaaE_EEEEvS5_RKT_EUlibE_EEviT1_,@function
_ZN2at6native32elementwise_kernel_manual_unrollILi128ELi4EZNS0_15gpu_kernel_implINS0_13BUnaryFunctorIaaaZZZNS0_18lshift_kernel_cudaERNS_18TensorIteratorBaseEENKUlvE_clEvENKUlvE0_clEvEUlaaE_EEEEvS5_RKT_EUlibE_EEviT1_: ; @_ZN2at6native32elementwise_kernel_manual_unrollILi128ELi4EZNS0_15gpu_kernel_implINS0_13BUnaryFunctorIaaaZZZNS0_18lshift_kernel_cudaERNS_18TensorIteratorBaseEENKUlvE_clEvENKUlvE0_clEvEUlaaE_EEEEvS5_RKT_EUlibE_EEviT1_
; %bb.0:
	v_mov_b32_e32 v1, 0
	global_load_ushort v2, v1, s[4:5] offset:33
	global_load_sbyte v3, v1, s[4:5] offset:35
	s_load_dwordx2 s[2:3], s[4:5], 0x18
	s_load_dword s40, s[4:5], 0x0
	s_load_dwordx4 s[8:11], s[4:5], 0x8
	v_lshl_or_b32 v9, s6, 9, v0
	v_or_b32_e32 v0, 0x180, v9
	s_mov_b64 s[12:13], 0
	s_waitcnt lgkmcnt(0)
	v_cmp_le_i32_e32 vcc, s40, v0
	s_mov_b64 s[6:7], 0
	s_waitcnt vmcnt(1)
	v_readfirstlane_b32 s44, v2
	s_waitcnt vmcnt(0)
	v_readfirstlane_b32 s45, v3
	s_lshr_b32 s33, s44, 8
	s_and_saveexec_b64 s[0:1], vcc
	s_xor_b64 s[4:5], exec, s[0:1]
	s_cbranch_execz .LBB38_1011
; %bb.1:
	s_and_b32 s46, s44, 0xff
	s_cmp_gt_u32 s46, 7
	s_cselect_b64 s[6:7], -1, 0
	v_cmp_gt_i32_e32 vcc, s40, v9
	s_mov_b64 s[20:21], -1
	s_mov_b64 s[22:23], 0
	s_mov_b64 s[16:17], 0
	;; [unrolled: 1-line block ×3, first 2 shown]
	s_and_saveexec_b64 s[18:19], vcc
	s_cbranch_execz .LBB38_248
; %bb.2:
	v_mul_lo_u32 v0, v9, s3
	v_mov_b32_e32 v1, s11
	s_and_b32 s20, s45, 0xff
	s_cmp_lt_i32 s20, 11
	v_ashrrev_i32_e32 v2, 31, v0
	v_add_co_u32_e32 v0, vcc, s10, v0
	v_addc_co_u32_e32 v1, vcc, v1, v2, vcc
	s_cbranch_scc1 .LBB38_9
; %bb.3:
	s_and_b32 s21, 0xffff, s20
	s_cmp_gt_i32 s21, 25
	s_cbranch_scc0 .LBB38_18
; %bb.4:
	s_cmp_gt_i32 s21, 28
	s_cbranch_scc0 .LBB38_22
; %bb.5:
	;; [unrolled: 3-line block ×4, first 2 shown]
	s_cmp_eq_u32 s21, 46
	s_cbranch_scc0 .LBB38_28
; %bb.8:
	global_load_dword v2, v[0:1], off
	s_mov_b64 s[0:1], -1
	s_waitcnt vmcnt(0)
	v_lshlrev_b32_e32 v2, 16, v2
	v_cvt_i32_f32_e32 v2, v2
	s_branch .LBB38_30
.LBB38_9:
                                        ; implicit-def: $vgpr2
	s_mov_b64 s[0:1], 0
	s_cbranch_execnz .LBB38_199
.LBB38_10:
	s_andn2_b64 vcc, exec, s[0:1]
	s_cbranch_vccnz .LBB38_246
.LBB38_11:
	v_mul_lo_u32 v0, v9, s2
	s_waitcnt vmcnt(0)
	v_lshlrev_b32_e32 v1, s46, v2
	v_mov_b32_e32 v3, s9
	v_cndmask_b32_e64 v2, v1, 0, s[6:7]
	v_ashrrev_i32_e32 v1, 31, v0
	s_and_b32 s26, s33, 0xff
	v_add_co_u32_e32 v0, vcc, s8, v0
	s_cmp_lt_i32 s26, 11
	v_addc_co_u32_e32 v1, vcc, v3, v1, vcc
	s_cbranch_scc1 .LBB38_19
; %bb.12:
	s_and_b32 s27, 0xffff, s26
	s_cmp_gt_i32 s27, 25
	s_cbranch_scc0 .LBB38_23
; %bb.13:
	s_cmp_gt_i32 s27, 28
	s_cbranch_scc0 .LBB38_25
; %bb.14:
	;; [unrolled: 3-line block ×4, first 2 shown]
	s_mov_b64 s[20:21], 0
	s_mov_b64 s[0:1], -1
	s_cmp_eq_u32 s27, 46
	s_mov_b64 s[14:15], 0
	s_cbranch_scc0 .LBB38_34
; %bb.17:
	v_bfe_i32 v3, v2, 0, 8
	v_cvt_f32_i32_sdwa v3, sext(v3) dst_sel:DWORD dst_unused:UNUSED_PAD src0_sel:WORD_0
	s_movk_i32 s0, 0x7fff
	s_mov_b64 s[14:15], -1
	v_bfe_u32 v4, v3, 16, 1
	v_add3_u32 v3, v3, v4, s0
	v_lshrrev_b32_e32 v3, 16, v3
	global_store_dword v[0:1], v3, off
	s_mov_b64 s[0:1], 0
	s_branch .LBB38_34
.LBB38_18:
	s_mov_b64 s[0:1], 0
                                        ; implicit-def: $vgpr2
	s_cbranch_execnz .LBB38_166
	s_branch .LBB38_198
.LBB38_19:
	s_mov_b64 s[0:1], 0
	s_mov_b64 s[14:15], 0
	s_cbranch_execnz .LBB38_103
.LBB38_20:
	s_andn2_b64 vcc, exec, s[14:15]
	s_cbranch_vccnz .LBB38_141
.LBB38_21:
	v_add_u32_e32 v9, 0x80, v9
	s_mov_b64 s[20:21], -1
	s_branch .LBB38_247
.LBB38_22:
	s_mov_b64 s[14:15], -1
	s_mov_b64 s[0:1], 0
                                        ; implicit-def: $vgpr2
	s_branch .LBB38_149
.LBB38_23:
	s_mov_b64 s[20:21], -1
	s_mov_b64 s[0:1], 0
	s_mov_b64 s[14:15], 0
	s_branch .LBB38_61
.LBB38_24:
	s_mov_b64 s[14:15], -1
	s_mov_b64 s[0:1], 0
                                        ; implicit-def: $vgpr2
	s_branch .LBB38_144
.LBB38_25:
	s_mov_b64 s[20:21], -1
	s_mov_b64 s[0:1], 0
	s_mov_b64 s[14:15], 0
	s_branch .LBB38_44
.LBB38_26:
	s_mov_b64 s[14:15], -1
	s_branch .LBB38_29
.LBB38_27:
	s_mov_b64 s[20:21], -1
	s_mov_b64 s[0:1], 0
	s_mov_b64 s[14:15], 0
	s_branch .LBB38_40
.LBB38_28:
	s_mov_b64 s[16:17], -1
.LBB38_29:
	s_mov_b64 s[0:1], 0
                                        ; implicit-def: $vgpr2
.LBB38_30:
	s_and_b64 vcc, exec, s[14:15]
	s_cbranch_vccz .LBB38_143
; %bb.31:
	s_cmp_eq_u32 s21, 44
	s_cbranch_scc0 .LBB38_142
; %bb.32:
	global_load_ubyte v2, v[0:1], off
	s_mov_b64 s[0:1], -1
	s_mov_b64 s[16:17], 0
	s_waitcnt vmcnt(0)
	v_lshlrev_b32_e32 v3, 23, v2
	v_cvt_i32_f32_e32 v3, v3
	v_cmp_ne_u32_e32 vcc, 0, v2
	v_cndmask_b32_e32 v2, 0, v3, vcc
	s_branch .LBB38_143
.LBB38_33:
	s_mov_b64 s[20:21], -1
	s_mov_b64 s[0:1], 0
	s_mov_b64 s[14:15], 0
.LBB38_34:
	s_and_b64 vcc, exec, s[20:21]
	s_cbranch_vccz .LBB38_39
; %bb.35:
	s_cmp_eq_u32 s27, 44
	s_mov_b64 s[0:1], -1
	s_cbranch_scc0 .LBB38_39
; %bb.36:
	v_bfe_i32 v3, v2, 0, 8
	v_cvt_f32_i32_sdwa v3, sext(v3) dst_sel:DWORD dst_unused:UNUSED_PAD src0_sel:WORD_0
	s_movk_i32 s0, 0xff
	v_mov_b32_e32 v5, 0xff
	v_bfe_u32 v4, v3, 23, 8
	v_cmp_ne_u32_e32 vcc, s0, v4
	s_and_saveexec_b64 s[14:15], vcc
; %bb.37:
	s_mov_b32 s0, 0x3fffff
	v_lshrrev_b32_e32 v5, 23, v3
	v_and_b32_e32 v6, 0x400000, v3
	v_and_or_b32 v3, v3, s0, v4
	v_cmp_ne_u32_e32 vcc, 0, v6
	v_cmp_ne_u32_e64 s[0:1], 0, v3
	s_and_b64 s[0:1], vcc, s[0:1]
	v_cndmask_b32_e64 v3, 0, 1, s[0:1]
	v_add_u32_e32 v5, v5, v3
; %bb.38:
	s_or_b64 exec, exec, s[14:15]
	s_mov_b64 s[14:15], -1
	s_mov_b64 s[0:1], 0
	global_store_byte v[0:1], v5, off
.LBB38_39:
	s_mov_b64 s[20:21], 0
.LBB38_40:
	s_and_b64 vcc, exec, s[20:21]
	s_cbranch_vccz .LBB38_43
; %bb.41:
	s_cmp_eq_u32 s27, 29
	s_mov_b64 s[0:1], -1
	s_cbranch_scc0 .LBB38_43
; %bb.42:
	v_bfe_i32 v3, v2, 0, 8
	v_ashrrev_i32_e32 v4, 31, v3
	global_store_dwordx2 v[0:1], v[3:4], off
	s_mov_b64 s[14:15], -1
	s_mov_b64 s[0:1], 0
.LBB38_43:
	s_mov_b64 s[20:21], 0
.LBB38_44:
	s_and_b64 vcc, exec, s[20:21]
	s_cbranch_vccz .LBB38_60
; %bb.45:
	s_cmp_lt_i32 s27, 27
	s_mov_b64 s[14:15], -1
	s_cbranch_scc1 .LBB38_51
; %bb.46:
	s_cmp_gt_i32 s27, 27
	s_cbranch_scc0 .LBB38_48
; %bb.47:
	v_bfe_i32 v3, v2, 0, 8
	s_mov_b64 s[14:15], 0
	global_store_dword v[0:1], v3, off
.LBB38_48:
	s_andn2_b64 vcc, exec, s[14:15]
	s_cbranch_vccnz .LBB38_50
; %bb.49:
	v_bfe_i32 v3, v2, 0, 8
	global_store_short v[0:1], v3, off
.LBB38_50:
	s_mov_b64 s[14:15], 0
.LBB38_51:
	s_andn2_b64 vcc, exec, s[14:15]
	s_cbranch_vccnz .LBB38_59
; %bb.52:
	v_bfe_i32 v3, v2, 0, 8
	v_cvt_f32_i32_sdwa v3, sext(v3) dst_sel:DWORD dst_unused:UNUSED_PAD src0_sel:WORD_0
	s_mov_b32 s14, 0x43800000
	v_mov_b32_e32 v5, 0x80
	v_and_b32_e32 v4, 0x7fffffff, v3
	v_cmp_gt_u32_e32 vcc, s14, v4
	s_and_saveexec_b64 s[14:15], vcc
	s_cbranch_execz .LBB38_58
; %bb.53:
	s_mov_b32 s20, 0x3bffffff
	v_cmp_lt_u32_e32 vcc, s20, v4
	s_mov_b64 s[20:21], 0
                                        ; implicit-def: $vgpr4
	s_and_saveexec_b64 s[24:25], vcc
	s_xor_b64 s[24:25], exec, s[24:25]
	s_cbranch_execz .LBB38_275
; %bb.54:
	v_bfe_u32 v4, v3, 20, 1
	s_mov_b32 s28, 0x487ffff
	v_add3_u32 v4, v3, v4, s28
	s_mov_b64 s[20:21], exec
	v_lshrrev_b32_e32 v4, 20, v4
	s_andn2_saveexec_b64 s[24:25], s[24:25]
	s_cbranch_execnz .LBB38_276
.LBB38_55:
	s_or_b64 exec, exec, s[24:25]
	v_mov_b32_e32 v5, 0
	s_and_saveexec_b64 s[24:25], s[20:21]
.LBB38_56:
	v_lshrrev_b32_e32 v3, 24, v3
	s_movk_i32 s20, 0x80
	v_and_or_b32 v5, v3, s20, v4
.LBB38_57:
	s_or_b64 exec, exec, s[24:25]
.LBB38_58:
	s_or_b64 exec, exec, s[14:15]
	global_store_byte v[0:1], v5, off
.LBB38_59:
	s_mov_b64 s[14:15], -1
.LBB38_60:
	s_mov_b64 s[20:21], 0
.LBB38_61:
	s_and_b64 vcc, exec, s[20:21]
	s_cbranch_vccz .LBB38_102
; %bb.62:
	s_cmp_gt_i32 s27, 22
	s_mov_b64 s[20:21], -1
	s_cbranch_scc0 .LBB38_94
; %bb.63:
	s_cmp_lt_i32 s27, 24
	s_mov_b64 s[14:15], -1
	s_cbranch_scc1 .LBB38_83
; %bb.64:
	s_cmp_gt_i32 s27, 24
	s_cbranch_scc0 .LBB38_72
; %bb.65:
	v_bfe_i32 v3, v2, 0, 8
	v_cvt_f32_i32_sdwa v3, sext(v3) dst_sel:DWORD dst_unused:UNUSED_PAD src0_sel:WORD_0
	s_mov_b32 s14, 0x47800000
	v_mov_b32_e32 v5, 0x80
	v_and_b32_e32 v4, 0x7fffffff, v3
	v_cmp_gt_u32_e32 vcc, s14, v4
	s_and_saveexec_b64 s[14:15], vcc
	s_cbranch_execz .LBB38_71
; %bb.66:
	s_mov_b32 s20, 0x37ffffff
	v_cmp_lt_u32_e32 vcc, s20, v4
	s_mov_b64 s[20:21], 0
                                        ; implicit-def: $vgpr4
	s_and_saveexec_b64 s[24:25], vcc
	s_xor_b64 s[24:25], exec, s[24:25]
	s_cbranch_execz .LBB38_279
; %bb.67:
	v_bfe_u32 v4, v3, 21, 1
	s_mov_b32 s28, 0x88fffff
	v_add3_u32 v4, v3, v4, s28
	s_mov_b64 s[20:21], exec
	v_lshrrev_b32_e32 v4, 21, v4
	s_andn2_saveexec_b64 s[24:25], s[24:25]
	s_cbranch_execnz .LBB38_280
.LBB38_68:
	s_or_b64 exec, exec, s[24:25]
	v_mov_b32_e32 v5, 0
	s_and_saveexec_b64 s[24:25], s[20:21]
.LBB38_69:
	v_lshrrev_b32_e32 v3, 24, v3
	s_movk_i32 s20, 0x80
	v_and_or_b32 v5, v3, s20, v4
.LBB38_70:
	s_or_b64 exec, exec, s[24:25]
.LBB38_71:
	s_or_b64 exec, exec, s[14:15]
	s_mov_b64 s[14:15], 0
	global_store_byte v[0:1], v5, off
.LBB38_72:
	s_and_b64 vcc, exec, s[14:15]
	s_cbranch_vccz .LBB38_82
; %bb.73:
	v_bfe_i32 v3, v2, 0, 8
	v_cvt_f32_i32_sdwa v3, sext(v3) dst_sel:DWORD dst_unused:UNUSED_PAD src0_sel:WORD_0
	s_mov_b32 s14, 0x43f00000
                                        ; implicit-def: $vgpr4
	v_and_b32_e32 v5, 0x7fffffff, v3
	v_cmp_gt_u32_e32 vcc, s14, v5
	s_and_saveexec_b64 s[14:15], vcc
	s_xor_b64 s[14:15], exec, s[14:15]
	s_cbranch_execz .LBB38_79
; %bb.74:
	s_mov_b32 s20, 0x3c7fffff
	v_cmp_lt_u32_e32 vcc, s20, v5
                                        ; implicit-def: $vgpr4
	s_and_saveexec_b64 s[20:21], vcc
	s_xor_b64 s[20:21], exec, s[20:21]
; %bb.75:
	v_bfe_u32 v4, v3, 20, 1
	s_mov_b32 s24, 0x407ffff
	v_add3_u32 v4, v3, v4, s24
	v_lshrrev_b32_e32 v5, 20, v4
	v_and_b32_e32 v4, 0xff00000, v4
	s_mov_b32 s24, 0x7f00000
	v_mov_b32_e32 v6, 0x7e
	v_cmp_ne_u32_e32 vcc, s24, v4
	v_cndmask_b32_e32 v4, v6, v5, vcc
; %bb.76:
	s_andn2_saveexec_b64 s[20:21], s[20:21]
; %bb.77:
	s_mov_b32 s24, 0x46800000
	v_add_f32_e64 v4, |v3|, s24
; %bb.78:
	s_or_b64 exec, exec, s[20:21]
                                        ; implicit-def: $vgpr5
.LBB38_79:
	s_andn2_saveexec_b64 s[14:15], s[14:15]
; %bb.80:
	s_mov_b32 s20, 0x7f800000
	v_mov_b32_e32 v4, 0x7e
	v_mov_b32_e32 v6, 0x7f
	v_cmp_lt_u32_e32 vcc, s20, v5
	v_cndmask_b32_e32 v4, v4, v6, vcc
; %bb.81:
	s_or_b64 exec, exec, s[14:15]
	v_lshrrev_b32_e32 v3, 24, v3
	s_movk_i32 s14, 0x80
	v_and_or_b32 v3, v3, s14, v4
	global_store_byte v[0:1], v3, off
.LBB38_82:
	s_mov_b64 s[14:15], 0
.LBB38_83:
	s_andn2_b64 vcc, exec, s[14:15]
	s_cbranch_vccnz .LBB38_93
; %bb.84:
	v_bfe_i32 v3, v2, 0, 8
	v_cvt_f32_i32_sdwa v3, sext(v3) dst_sel:DWORD dst_unused:UNUSED_PAD src0_sel:WORD_0
	s_mov_b32 s14, 0x47800000
                                        ; implicit-def: $vgpr4
	v_and_b32_e32 v5, 0x7fffffff, v3
	v_cmp_gt_u32_e32 vcc, s14, v5
	s_and_saveexec_b64 s[14:15], vcc
	s_xor_b64 s[14:15], exec, s[14:15]
	s_cbranch_execz .LBB38_90
; %bb.85:
	s_mov_b32 s20, 0x387fffff
	v_cmp_lt_u32_e32 vcc, s20, v5
                                        ; implicit-def: $vgpr4
	s_and_saveexec_b64 s[20:21], vcc
	s_xor_b64 s[20:21], exec, s[20:21]
; %bb.86:
	v_bfe_u32 v4, v3, 21, 1
	s_mov_b32 s24, 0x80fffff
	v_add3_u32 v4, v3, v4, s24
	v_lshrrev_b32_e32 v4, 21, v4
; %bb.87:
	s_andn2_saveexec_b64 s[20:21], s[20:21]
; %bb.88:
	s_mov_b32 s24, 0x43000000
	v_add_f32_e64 v4, |v3|, s24
; %bb.89:
	s_or_b64 exec, exec, s[20:21]
                                        ; implicit-def: $vgpr5
.LBB38_90:
	s_andn2_saveexec_b64 s[14:15], s[14:15]
; %bb.91:
	s_mov_b32 s20, 0x7f800000
	v_mov_b32_e32 v4, 0x7c
	v_mov_b32_e32 v6, 0x7f
	v_cmp_lt_u32_e32 vcc, s20, v5
	v_cndmask_b32_e32 v4, v4, v6, vcc
; %bb.92:
	s_or_b64 exec, exec, s[14:15]
	v_lshrrev_b32_e32 v3, 24, v3
	s_movk_i32 s14, 0x80
	v_and_or_b32 v3, v3, s14, v4
	global_store_byte v[0:1], v3, off
.LBB38_93:
	s_mov_b64 s[20:21], 0
	s_mov_b64 s[14:15], -1
.LBB38_94:
	s_andn2_b64 vcc, exec, s[20:21]
	s_cbranch_vccnz .LBB38_102
; %bb.95:
	s_cmp_gt_i32 s27, 14
	s_mov_b64 s[20:21], -1
	s_cbranch_scc0 .LBB38_99
; %bb.96:
	s_cmp_eq_u32 s27, 15
	s_mov_b64 s[0:1], -1
	s_cbranch_scc0 .LBB38_98
; %bb.97:
	v_bfe_i32 v3, v2, 0, 8
	v_cvt_f32_i32_sdwa v3, sext(v3) dst_sel:DWORD dst_unused:UNUSED_PAD src0_sel:WORD_0
	s_movk_i32 s0, 0x7fff
	s_mov_b64 s[14:15], -1
	v_bfe_u32 v4, v3, 16, 1
	v_add3_u32 v3, v3, v4, s0
	global_store_short_d16_hi v[0:1], v3, off
	s_mov_b64 s[0:1], 0
.LBB38_98:
	s_mov_b64 s[20:21], 0
.LBB38_99:
	s_and_b64 vcc, exec, s[20:21]
	s_cbranch_vccz .LBB38_102
; %bb.100:
	s_cmp_eq_u32 s27, 11
	s_mov_b64 s[0:1], -1
	s_cbranch_scc0 .LBB38_102
; %bb.101:
	v_mov_b32_e32 v3, 0
	v_cmp_ne_u16_sdwa s[0:1], v2, v3 src0_sel:BYTE_0 src1_sel:DWORD
	v_cndmask_b32_e64 v3, 0, 1, s[0:1]
	s_mov_b64 s[14:15], -1
	s_mov_b64 s[0:1], 0
	global_store_byte v[0:1], v3, off
.LBB38_102:
	s_branch .LBB38_20
.LBB38_103:
	s_and_b32 s20, 0xffff, s26
	s_cmp_lt_i32 s20, 5
	s_mov_b64 s[14:15], -1
	s_cbranch_scc1 .LBB38_124
; %bb.104:
	s_cmp_lt_i32 s20, 8
	s_cbranch_scc1 .LBB38_114
; %bb.105:
	s_cmp_lt_i32 s20, 9
	s_cbranch_scc1 .LBB38_111
; %bb.106:
	s_cmp_gt_i32 s20, 9
	s_cbranch_scc0 .LBB38_108
; %bb.107:
	v_bfe_i32 v3, v2, 0, 8
	v_bfe_i32 v3, v3, 0, 16
	v_cvt_f64_i32_e32 v[3:4], v3
	v_mov_b32_e32 v5, 0
	v_mov_b32_e32 v6, v5
	s_mov_b64 s[14:15], 0
	global_store_dwordx4 v[0:1], v[3:6], off
.LBB38_108:
	s_andn2_b64 vcc, exec, s[14:15]
	s_cbranch_vccnz .LBB38_110
; %bb.109:
	v_bfe_i32 v3, v2, 0, 8
	v_cvt_f32_i32_sdwa v3, sext(v3) dst_sel:DWORD dst_unused:UNUSED_PAD src0_sel:WORD_0
	v_mov_b32_e32 v4, 0
	global_store_dwordx2 v[0:1], v[3:4], off
.LBB38_110:
	s_mov_b64 s[14:15], 0
.LBB38_111:
	s_andn2_b64 vcc, exec, s[14:15]
	s_cbranch_vccnz .LBB38_113
; %bb.112:
	v_cvt_f16_i16_sdwa v3, sext(v2) dst_sel:DWORD dst_unused:UNUSED_PAD src0_sel:BYTE_0
	global_store_dword v[0:1], v3, off
.LBB38_113:
	s_mov_b64 s[14:15], 0
.LBB38_114:
	s_andn2_b64 vcc, exec, s[14:15]
	s_cbranch_vccnz .LBB38_123
; %bb.115:
	s_cmp_lt_i32 s20, 6
	s_mov_b64 s[14:15], -1
	s_cbranch_scc1 .LBB38_121
; %bb.116:
	s_cmp_gt_i32 s20, 6
	s_cbranch_scc0 .LBB38_118
; %bb.117:
	v_bfe_i32 v3, v2, 0, 8
	v_bfe_i32 v3, v3, 0, 16
	v_cvt_f64_i32_e32 v[3:4], v3
	s_mov_b64 s[14:15], 0
	global_store_dwordx2 v[0:1], v[3:4], off
.LBB38_118:
	s_andn2_b64 vcc, exec, s[14:15]
	s_cbranch_vccnz .LBB38_120
; %bb.119:
	v_bfe_i32 v3, v2, 0, 8
	v_cvt_f32_i32_sdwa v3, sext(v3) dst_sel:DWORD dst_unused:UNUSED_PAD src0_sel:WORD_0
	global_store_dword v[0:1], v3, off
.LBB38_120:
	s_mov_b64 s[14:15], 0
.LBB38_121:
	s_andn2_b64 vcc, exec, s[14:15]
	s_cbranch_vccnz .LBB38_123
; %bb.122:
	v_cvt_f16_i16_sdwa v3, sext(v2) dst_sel:DWORD dst_unused:UNUSED_PAD src0_sel:BYTE_0
	global_store_short v[0:1], v3, off
.LBB38_123:
	s_mov_b64 s[14:15], 0
.LBB38_124:
	s_andn2_b64 vcc, exec, s[14:15]
	s_cbranch_vccnz .LBB38_140
; %bb.125:
	s_cmp_lt_i32 s20, 2
	s_mov_b64 s[14:15], -1
	s_cbranch_scc1 .LBB38_135
; %bb.126:
	s_cmp_lt_i32 s20, 3
	s_cbranch_scc1 .LBB38_132
; %bb.127:
	s_cmp_gt_i32 s20, 3
	s_cbranch_scc0 .LBB38_129
; %bb.128:
	v_bfe_i32 v3, v2, 0, 8
	v_ashrrev_i32_e32 v4, 31, v3
	global_store_dwordx2 v[0:1], v[3:4], off
	s_mov_b64 s[14:15], 0
.LBB38_129:
	s_andn2_b64 vcc, exec, s[14:15]
	s_cbranch_vccnz .LBB38_131
; %bb.130:
	v_bfe_i32 v3, v2, 0, 8
	global_store_dword v[0:1], v3, off
.LBB38_131:
	s_mov_b64 s[14:15], 0
.LBB38_132:
	s_andn2_b64 vcc, exec, s[14:15]
	s_cbranch_vccnz .LBB38_134
; %bb.133:
	v_bfe_i32 v3, v2, 0, 8
	global_store_short v[0:1], v3, off
.LBB38_134:
	s_mov_b64 s[14:15], 0
.LBB38_135:
	s_andn2_b64 vcc, exec, s[14:15]
	s_cbranch_vccnz .LBB38_140
; %bb.136:
	s_cmp_gt_i32 s20, 0
	s_mov_b64 s[14:15], -1
	s_cbranch_scc0 .LBB38_138
; %bb.137:
	global_store_byte v[0:1], v2, off
	s_mov_b64 s[14:15], 0
.LBB38_138:
	s_andn2_b64 vcc, exec, s[14:15]
	s_cbranch_vccnz .LBB38_140
; %bb.139:
	global_store_byte v[0:1], v2, off
.LBB38_140:
	s_branch .LBB38_21
.LBB38_141:
	s_mov_b64 s[20:21], 0
                                        ; implicit-def: $vgpr9
	s_branch .LBB38_247
.LBB38_142:
	s_mov_b64 s[16:17], -1
                                        ; implicit-def: $vgpr2
.LBB38_143:
	s_mov_b64 s[14:15], 0
.LBB38_144:
	s_and_b64 vcc, exec, s[14:15]
	s_cbranch_vccz .LBB38_148
; %bb.145:
	s_cmp_eq_u32 s21, 29
	s_cbranch_scc0 .LBB38_147
; %bb.146:
	global_load_dwordx2 v[2:3], v[0:1], off
	s_mov_b64 s[0:1], -1
	s_mov_b64 s[16:17], 0
	s_branch .LBB38_148
.LBB38_147:
	s_mov_b64 s[16:17], -1
                                        ; implicit-def: $vgpr2
.LBB38_148:
	s_mov_b64 s[14:15], 0
.LBB38_149:
	s_and_b64 vcc, exec, s[14:15]
	s_cbranch_vccz .LBB38_165
; %bb.150:
	s_cmp_lt_i32 s21, 27
	s_cbranch_scc1 .LBB38_153
; %bb.151:
	s_cmp_gt_i32 s21, 27
	s_cbranch_scc0 .LBB38_154
; %bb.152:
	global_load_dword v2, v[0:1], off
	s_mov_b64 s[0:1], 0
	s_branch .LBB38_155
.LBB38_153:
	s_mov_b64 s[0:1], -1
                                        ; implicit-def: $vgpr2
	s_branch .LBB38_158
.LBB38_154:
	s_mov_b64 s[0:1], -1
                                        ; implicit-def: $vgpr2
.LBB38_155:
	s_andn2_b64 vcc, exec, s[0:1]
	s_cbranch_vccnz .LBB38_157
; %bb.156:
	global_load_ushort v2, v[0:1], off
.LBB38_157:
	s_mov_b64 s[0:1], 0
.LBB38_158:
	s_andn2_b64 vcc, exec, s[0:1]
	s_cbranch_vccnz .LBB38_164
; %bb.159:
	global_load_ubyte v3, v[0:1], off
	s_movk_i32 s0, 0x7f
	s_mov_b64 s[14:15], 0
	s_waitcnt vmcnt(0)
	v_cmp_lt_i16_e32 vcc, s0, v3
	s_and_saveexec_b64 s[0:1], vcc
	s_xor_b64 s[0:1], exec, s[0:1]
	s_cbranch_execz .LBB38_175
; %bb.160:
	s_movk_i32 s14, 0x80
	v_cmp_ne_u16_e32 vcc, s14, v3
	s_and_b64 s[14:15], vcc, exec
	s_andn2_saveexec_b64 s[0:1], s[0:1]
	s_cbranch_execnz .LBB38_176
.LBB38_161:
	s_or_b64 exec, exec, s[0:1]
	v_mov_b32_e32 v2, 0
	s_and_saveexec_b64 s[0:1], s[14:15]
	s_cbranch_execz .LBB38_163
.LBB38_162:
	v_lshlrev_b32_e32 v2, 24, v3
	v_and_b32_e32 v3, 0xffff, v3
	v_and_b32_e32 v4, 7, v3
	v_ffbh_u32_e32 v6, v4
	v_min_u32_e32 v6, 32, v6
	v_subrev_u32_e32 v7, 28, v6
	v_bfe_u32 v5, v3, 3, 4
	v_lshlrev_b32_e32 v3, v7, v3
	v_sub_u32_e32 v6, 29, v6
	v_and_b32_e32 v3, 7, v3
	v_cmp_eq_u32_e32 vcc, 0, v5
	v_cndmask_b32_e32 v5, v5, v6, vcc
	v_cndmask_b32_e32 v3, v4, v3, vcc
	v_mov_b32_e32 v4, 0x3b800000
	v_lshlrev_b32_e32 v3, 20, v3
	v_and_b32_e32 v2, 0x80000000, v2
	v_lshl_add_u32 v4, v5, 23, v4
	v_or3_b32 v2, v2, v4, v3
	v_cvt_i32_f32_e32 v2, v2
.LBB38_163:
	s_or_b64 exec, exec, s[0:1]
.LBB38_164:
	s_mov_b64 s[0:1], -1
.LBB38_165:
	s_branch .LBB38_198
.LBB38_166:
	s_cmp_gt_i32 s21, 22
	s_cbranch_scc0 .LBB38_174
; %bb.167:
	s_cmp_lt_i32 s21, 24
	s_cbranch_scc1 .LBB38_177
; %bb.168:
	s_cmp_gt_i32 s21, 24
	s_cbranch_scc0 .LBB38_178
; %bb.169:
	global_load_ubyte v3, v[0:1], off
	s_movk_i32 s0, 0x7f
	s_mov_b64 s[14:15], 0
	s_waitcnt vmcnt(0)
	v_cmp_lt_i16_e32 vcc, s0, v3
	s_and_saveexec_b64 s[0:1], vcc
	s_xor_b64 s[0:1], exec, s[0:1]
	s_cbranch_execz .LBB38_190
; %bb.170:
	s_movk_i32 s14, 0x80
	v_cmp_ne_u16_e32 vcc, s14, v3
	s_and_b64 s[14:15], vcc, exec
	s_andn2_saveexec_b64 s[0:1], s[0:1]
	s_cbranch_execnz .LBB38_191
.LBB38_171:
	s_or_b64 exec, exec, s[0:1]
	v_mov_b32_e32 v2, 0
	s_and_saveexec_b64 s[0:1], s[14:15]
	s_cbranch_execz .LBB38_173
.LBB38_172:
	v_lshlrev_b32_e32 v2, 24, v3
	v_and_b32_e32 v3, 0xffff, v3
	v_and_b32_e32 v4, 3, v3
	v_ffbh_u32_e32 v6, v4
	v_min_u32_e32 v6, 32, v6
	v_subrev_u32_e32 v7, 29, v6
	v_bfe_u32 v5, v3, 2, 5
	v_lshlrev_b32_e32 v3, v7, v3
	v_sub_u32_e32 v6, 30, v6
	v_and_b32_e32 v3, 3, v3
	v_cmp_eq_u32_e32 vcc, 0, v5
	v_cndmask_b32_e32 v5, v5, v6, vcc
	v_cndmask_b32_e32 v3, v4, v3, vcc
	v_mov_b32_e32 v4, 0x37800000
	v_lshlrev_b32_e32 v3, 21, v3
	v_and_b32_e32 v2, 0x80000000, v2
	v_lshl_add_u32 v4, v5, 23, v4
	v_or3_b32 v2, v2, v4, v3
	v_cvt_i32_f32_e32 v2, v2
.LBB38_173:
	s_or_b64 exec, exec, s[0:1]
	s_mov_b64 s[0:1], 0
	s_branch .LBB38_179
.LBB38_174:
	s_mov_b64 s[14:15], -1
                                        ; implicit-def: $vgpr2
	s_branch .LBB38_185
.LBB38_175:
	s_andn2_saveexec_b64 s[0:1], s[0:1]
	s_cbranch_execz .LBB38_161
.LBB38_176:
	v_cmp_ne_u16_e32 vcc, 0, v3
	s_andn2_b64 s[14:15], s[14:15], exec
	s_and_b64 s[24:25], vcc, exec
	s_or_b64 s[14:15], s[14:15], s[24:25]
	s_or_b64 exec, exec, s[0:1]
	v_mov_b32_e32 v2, 0
	s_and_saveexec_b64 s[0:1], s[14:15]
	s_cbranch_execnz .LBB38_162
	s_branch .LBB38_163
.LBB38_177:
	s_mov_b64 s[0:1], -1
                                        ; implicit-def: $vgpr2
	s_branch .LBB38_182
.LBB38_178:
	s_mov_b64 s[0:1], -1
                                        ; implicit-def: $vgpr2
.LBB38_179:
	s_and_b64 vcc, exec, s[0:1]
	s_cbranch_vccz .LBB38_181
; %bb.180:
	global_load_ubyte v2, v[0:1], off
	s_mov_b32 s0, 0x7f800000
	s_waitcnt vmcnt(0)
	v_lshlrev_b32_e32 v2, 24, v2
	v_and_b32_e32 v3, 0x7f000000, v2
	v_ffbh_u32_e32 v4, v3
	v_min_u32_e32 v4, 32, v4
	v_sub_u32_e64 v4, v4, 4 clamp
	v_lshlrev_b32_e32 v6, v4, v3
	v_lshlrev_b32_e32 v4, 23, v4
	v_lshrrev_b32_e32 v6, 4, v6
	v_add_u32_e32 v5, 0x1000000, v3
	v_sub_u32_e32 v4, v6, v4
	v_ashrrev_i32_e32 v5, 8, v5
	v_add_u32_e32 v4, 0x3c000000, v4
	v_and_or_b32 v4, v5, s0, v4
	v_cmp_ne_u32_e32 vcc, 0, v3
	v_cndmask_b32_e32 v3, 0, v4, vcc
	s_brev_b32 s0, 1
	v_and_or_b32 v2, v2, s0, v3
	v_cvt_i32_f32_e32 v2, v2
.LBB38_181:
	s_mov_b64 s[0:1], 0
.LBB38_182:
	s_andn2_b64 vcc, exec, s[0:1]
	s_cbranch_vccnz .LBB38_184
; %bb.183:
	global_load_ubyte v2, v[0:1], off
	s_movk_i32 s0, 0x7f00
	s_brev_b32 s1, 16
	s_waitcnt vmcnt(0)
	v_lshlrev_b16_e32 v3, 8, v2
	v_lshlrev_b32_e32 v2, 25, v2
	v_lshrrev_b32_e32 v4, 4, v2
	v_and_or_b32 v5, v3, s0, 0.5
	v_or_b32_e32 v4, 0x70000000, v4
	v_add_f32_e32 v5, -0.5, v5
	v_mul_f32_e32 v4, 0x7800000, v4
	v_cmp_gt_u32_e32 vcc, s1, v2
	v_bfe_i32 v3, v3, 0, 16
	v_cndmask_b32_e32 v2, v4, v5, vcc
	s_brev_b32 s0, 1
	v_and_or_b32 v2, v3, s0, v2
	v_cvt_i32_f32_e32 v2, v2
.LBB38_184:
	s_mov_b64 s[14:15], 0
	s_mov_b64 s[0:1], -1
.LBB38_185:
	s_andn2_b64 vcc, exec, s[14:15]
	s_cbranch_vccnz .LBB38_198
; %bb.186:
	s_cmp_gt_i32 s21, 14
	s_cbranch_scc0 .LBB38_189
; %bb.187:
	s_cmp_eq_u32 s21, 15
	s_cbranch_scc0 .LBB38_192
; %bb.188:
	global_load_ushort v2, v[0:1], off
	s_mov_b64 s[0:1], -1
	s_mov_b64 s[16:17], 0
	s_waitcnt vmcnt(0)
	v_lshlrev_b32_e32 v2, 16, v2
	v_cvt_i32_f32_e32 v2, v2
	s_branch .LBB38_193
.LBB38_189:
	s_mov_b64 s[14:15], -1
                                        ; implicit-def: $vgpr2
	s_branch .LBB38_194
.LBB38_190:
	s_andn2_saveexec_b64 s[0:1], s[0:1]
	s_cbranch_execz .LBB38_171
.LBB38_191:
	v_cmp_ne_u16_e32 vcc, 0, v3
	s_andn2_b64 s[14:15], s[14:15], exec
	s_and_b64 s[24:25], vcc, exec
	s_or_b64 s[14:15], s[14:15], s[24:25]
	s_or_b64 exec, exec, s[0:1]
	v_mov_b32_e32 v2, 0
	s_and_saveexec_b64 s[0:1], s[14:15]
	s_cbranch_execnz .LBB38_172
	s_branch .LBB38_173
.LBB38_192:
	s_mov_b64 s[16:17], -1
                                        ; implicit-def: $vgpr2
.LBB38_193:
	s_mov_b64 s[14:15], 0
.LBB38_194:
	s_and_b64 vcc, exec, s[14:15]
	s_cbranch_vccz .LBB38_198
; %bb.195:
	s_cmp_eq_u32 s21, 11
	s_cbranch_scc0 .LBB38_197
; %bb.196:
	global_load_ubyte v2, v[0:1], off
	s_mov_b64 s[0:1], -1
	s_mov_b64 s[16:17], 0
	s_waitcnt vmcnt(0)
	v_cmp_ne_u16_e32 vcc, 0, v2
	v_cndmask_b32_e64 v2, 0, 1, vcc
	s_branch .LBB38_198
.LBB38_197:
	s_mov_b64 s[16:17], -1
                                        ; implicit-def: $vgpr2
.LBB38_198:
	s_branch .LBB38_10
.LBB38_199:
	s_and_b32 s14, 0xffff, s20
	s_cmp_lt_i32 s14, 5
	s_cbranch_scc1 .LBB38_204
; %bb.200:
	s_cmp_lt_i32 s14, 8
	s_cbranch_scc1 .LBB38_205
; %bb.201:
	;; [unrolled: 3-line block ×3, first 2 shown]
	s_cmp_gt_i32 s14, 9
	s_cbranch_scc0 .LBB38_207
; %bb.203:
	global_load_dwordx2 v[2:3], v[0:1], off
	s_mov_b64 s[0:1], 0
	s_waitcnt vmcnt(0)
	v_cvt_i32_f64_e32 v2, v[2:3]
	s_branch .LBB38_208
.LBB38_204:
                                        ; implicit-def: $vgpr2
	s_branch .LBB38_226
.LBB38_205:
	s_mov_b64 s[0:1], -1
                                        ; implicit-def: $vgpr2
	s_branch .LBB38_214
.LBB38_206:
	s_mov_b64 s[0:1], -1
                                        ; implicit-def: $vgpr2
	s_branch .LBB38_211
.LBB38_207:
	s_mov_b64 s[0:1], -1
                                        ; implicit-def: $vgpr2
.LBB38_208:
	s_andn2_b64 vcc, exec, s[0:1]
	s_cbranch_vccnz .LBB38_210
; %bb.209:
	global_load_dword v2, v[0:1], off
	s_waitcnt vmcnt(0)
	v_cvt_i32_f32_e32 v2, v2
.LBB38_210:
	s_mov_b64 s[0:1], 0
.LBB38_211:
	s_andn2_b64 vcc, exec, s[0:1]
	s_cbranch_vccnz .LBB38_213
; %bb.212:
	global_load_dword v2, v[0:1], off
	s_waitcnt vmcnt(0)
	v_cvt_i16_f16_e32 v2, v2
.LBB38_213:
	s_mov_b64 s[0:1], 0
.LBB38_214:
	s_andn2_b64 vcc, exec, s[0:1]
	s_cbranch_vccnz .LBB38_225
; %bb.215:
	s_cmp_lt_i32 s14, 6
	s_cbranch_scc1 .LBB38_218
; %bb.216:
	s_cmp_gt_i32 s14, 6
	s_cbranch_scc0 .LBB38_219
; %bb.217:
	global_load_dwordx2 v[2:3], v[0:1], off
	s_mov_b64 s[0:1], 0
	s_waitcnt vmcnt(0)
	v_cvt_i32_f64_e32 v2, v[2:3]
	s_branch .LBB38_220
.LBB38_218:
	s_mov_b64 s[0:1], -1
                                        ; implicit-def: $vgpr2
	s_branch .LBB38_223
.LBB38_219:
	s_mov_b64 s[0:1], -1
                                        ; implicit-def: $vgpr2
.LBB38_220:
	s_andn2_b64 vcc, exec, s[0:1]
	s_cbranch_vccnz .LBB38_222
; %bb.221:
	global_load_dword v2, v[0:1], off
	s_waitcnt vmcnt(0)
	v_cvt_i32_f32_e32 v2, v2
.LBB38_222:
	s_mov_b64 s[0:1], 0
.LBB38_223:
	s_andn2_b64 vcc, exec, s[0:1]
	s_cbranch_vccnz .LBB38_225
; %bb.224:
	global_load_ushort v2, v[0:1], off
	s_waitcnt vmcnt(0)
	v_cvt_i16_f16_e32 v2, v2
.LBB38_225:
	s_cbranch_execnz .LBB38_245
.LBB38_226:
	s_cmp_lt_i32 s14, 2
	s_cbranch_scc1 .LBB38_230
; %bb.227:
	s_cmp_lt_i32 s14, 3
	s_cbranch_scc1 .LBB38_231
; %bb.228:
	s_cmp_gt_i32 s14, 3
	s_cbranch_scc0 .LBB38_232
; %bb.229:
	global_load_dwordx2 v[2:3], v[0:1], off
	s_mov_b64 s[0:1], 0
	s_branch .LBB38_233
.LBB38_230:
	s_mov_b64 s[0:1], -1
                                        ; implicit-def: $vgpr2
	s_branch .LBB38_239
.LBB38_231:
	s_mov_b64 s[0:1], -1
                                        ; implicit-def: $vgpr2
	s_branch .LBB38_236
.LBB38_232:
	s_mov_b64 s[0:1], -1
                                        ; implicit-def: $vgpr2
.LBB38_233:
	s_andn2_b64 vcc, exec, s[0:1]
	s_cbranch_vccnz .LBB38_235
; %bb.234:
	global_load_dword v2, v[0:1], off
.LBB38_235:
	s_mov_b64 s[0:1], 0
.LBB38_236:
	s_andn2_b64 vcc, exec, s[0:1]
	s_cbranch_vccnz .LBB38_238
; %bb.237:
	global_load_ushort v2, v[0:1], off
.LBB38_238:
	s_mov_b64 s[0:1], 0
.LBB38_239:
	s_andn2_b64 vcc, exec, s[0:1]
	s_cbranch_vccnz .LBB38_245
; %bb.240:
	s_cmp_gt_i32 s14, 0
	s_cbranch_scc0 .LBB38_242
; %bb.241:
	global_load_ubyte v2, v[0:1], off
	s_mov_b64 s[0:1], 0
	s_branch .LBB38_243
.LBB38_242:
	s_mov_b64 s[0:1], -1
                                        ; implicit-def: $vgpr2
.LBB38_243:
	s_andn2_b64 vcc, exec, s[0:1]
	s_cbranch_vccnz .LBB38_245
; %bb.244:
	global_load_ubyte v2, v[0:1], off
.LBB38_245:
	s_branch .LBB38_11
.LBB38_246:
	s_mov_b64 s[0:1], 0
                                        ; implicit-def: $vgpr9
	s_mov_b64 s[20:21], 0
.LBB38_247:
	s_and_b64 s[14:15], s[0:1], exec
	s_and_b64 s[16:17], s[16:17], exec
	s_orn2_b64 s[20:21], s[20:21], exec
.LBB38_248:
	s_or_b64 exec, exec, s[18:19]
	s_mov_b64 s[24:25], 0
	s_mov_b64 s[0:1], 0
                                        ; implicit-def: $sgpr47
                                        ; implicit-def: $vgpr0_vgpr1
                                        ; implicit-def: $vgpr2
	s_and_saveexec_b64 s[18:19], s[20:21]
	s_cbranch_execz .LBB38_257
; %bb.249:
	v_cmp_gt_i32_e32 vcc, s40, v9
	s_mov_b64 s[0:1], -1
	s_mov_b64 s[20:21], s[16:17]
	s_mov_b64 s[22:23], s[14:15]
	s_and_saveexec_b64 s[24:25], vcc
	s_cbranch_execz .LBB38_505
; %bb.250:
	v_mul_lo_u32 v0, v9, s3
	v_mov_b32_e32 v1, s11
	s_and_b32 s26, s45, 0xff
	s_cmp_lt_i32 s26, 11
	s_waitcnt vmcnt(0)
	v_ashrrev_i32_e32 v2, 31, v0
	v_add_co_u32_e32 v0, vcc, s10, v0
	v_addc_co_u32_e32 v1, vcc, v1, v2, vcc
	s_cbranch_scc1 .LBB38_260
; %bb.251:
	s_and_b32 s27, 0xffff, s26
	s_cmp_gt_i32 s27, 25
	s_cbranch_scc0 .LBB38_269
; %bb.252:
	s_cmp_gt_i32 s27, 28
	s_cbranch_scc0 .LBB38_271
; %bb.253:
	;; [unrolled: 3-line block ×4, first 2 shown]
	s_cmp_eq_u32 s27, 46
	s_mov_b64 s[22:23], 0
	s_cbranch_scc0 .LBB38_281
; %bb.256:
	global_load_dword v2, v[0:1], off
	s_mov_b64 s[20:21], 0
	s_waitcnt vmcnt(0)
	v_lshlrev_b32_e32 v2, 16, v2
	v_cvt_i32_f32_e32 v2, v2
	s_branch .LBB38_282
.LBB38_257:
	s_or_b64 exec, exec, s[18:19]
	s_mov_b64 s[18:19], 0
	s_and_saveexec_b64 s[20:21], s[16:17]
	s_cbranch_execnz .LBB38_843
.LBB38_258:
	s_or_b64 exec, exec, s[20:21]
	s_and_saveexec_b64 s[16:17], s[22:23]
	s_xor_b64 s[16:17], exec, s[16:17]
	s_cbranch_execz .LBB38_844
.LBB38_259:
	global_load_ubyte v2, v[0:1], off
	s_or_b64 s[0:1], s[0:1], exec
	s_waitcnt vmcnt(0)
	v_cmp_ne_u16_e32 vcc, 0, v2
	v_cndmask_b32_e64 v2, 0, 1, vcc
	s_or_b64 exec, exec, s[16:17]
	s_and_saveexec_b64 s[16:17], s[24:25]
	s_cbranch_execz .LBB38_890
	s_branch .LBB38_845
.LBB38_260:
	s_mov_b64 s[0:1], 0
                                        ; implicit-def: $vgpr2
	s_mov_b64 s[20:21], s[16:17]
	s_cbranch_execnz .LBB38_455
.LBB38_261:
	s_andn2_b64 vcc, exec, s[0:1]
	s_cbranch_vccnz .LBB38_503
.LBB38_262:
	v_mul_lo_u32 v0, v9, s2
	s_waitcnt vmcnt(0)
	v_lshlrev_b32_e32 v1, s46, v2
	v_mov_b32_e32 v3, s9
	v_cndmask_b32_e64 v2, v1, 0, s[6:7]
	v_ashrrev_i32_e32 v1, 31, v0
	s_and_b32 s30, s33, 0xff
	v_add_co_u32_e32 v0, vcc, s8, v0
	s_cmp_lt_i32 s30, 11
	v_addc_co_u32_e32 v1, vcc, v3, v1, vcc
	s_cbranch_scc1 .LBB38_270
; %bb.263:
	s_and_b32 s31, 0xffff, s30
	s_cmp_gt_i32 s31, 25
	s_cbranch_scc0 .LBB38_272
; %bb.264:
	s_cmp_gt_i32 s31, 28
	s_cbranch_scc0 .LBB38_274
; %bb.265:
	;; [unrolled: 3-line block ×4, first 2 shown]
	s_mov_b64 s[26:27], 0
	s_mov_b64 s[0:1], -1
	s_cmp_eq_u32 s31, 46
	s_mov_b64 s[22:23], 0
	s_cbranch_scc0 .LBB38_286
; %bb.268:
	v_bfe_i32 v3, v2, 0, 8
	v_cvt_f32_i32_sdwa v3, sext(v3) dst_sel:DWORD dst_unused:UNUSED_PAD src0_sel:WORD_0
	s_movk_i32 s0, 0x7fff
	s_mov_b64 s[22:23], -1
	v_bfe_u32 v4, v3, 16, 1
	v_add3_u32 v3, v3, v4, s0
	v_lshrrev_b32_e32 v3, 16, v3
	global_store_dword v[0:1], v3, off
	s_mov_b64 s[0:1], 0
	s_branch .LBB38_286
.LBB38_269:
	s_mov_b64 s[22:23], -1
	s_mov_b64 s[0:1], 0
	s_mov_b64 s[20:21], s[16:17]
                                        ; implicit-def: $vgpr2
	s_branch .LBB38_421
.LBB38_270:
	s_mov_b64 s[26:27], -1
	s_mov_b64 s[22:23], 0
	s_mov_b64 s[0:1], s[14:15]
	s_branch .LBB38_355
.LBB38_271:
	s_mov_b64 s[22:23], -1
	s_mov_b64 s[0:1], 0
	s_mov_b64 s[20:21], s[16:17]
                                        ; implicit-def: $vgpr2
	s_branch .LBB38_404
.LBB38_272:
	s_mov_b64 s[26:27], -1
	s_mov_b64 s[22:23], 0
	s_mov_b64 s[0:1], s[14:15]
	s_branch .LBB38_313
.LBB38_273:
	s_mov_b64 s[22:23], -1
	s_mov_b64 s[0:1], 0
	s_mov_b64 s[20:21], s[16:17]
                                        ; implicit-def: $vgpr2
	s_branch .LBB38_399
.LBB38_274:
	s_mov_b64 s[26:27], -1
	s_mov_b64 s[22:23], 0
	s_mov_b64 s[0:1], s[14:15]
	s_branch .LBB38_296
.LBB38_275:
	s_andn2_saveexec_b64 s[24:25], s[24:25]
	s_cbranch_execz .LBB38_55
.LBB38_276:
	s_mov_b32 s28, 0x46000000
	v_add_f32_e64 v4, |v3|, s28
	v_and_b32_e32 v4, 0xff, v4
	v_cmp_ne_u32_e32 vcc, 0, v4
	s_andn2_b64 s[20:21], s[20:21], exec
	s_and_b64 s[28:29], vcc, exec
	s_or_b64 s[20:21], s[20:21], s[28:29]
	s_or_b64 exec, exec, s[24:25]
	v_mov_b32_e32 v5, 0
	s_and_saveexec_b64 s[24:25], s[20:21]
	s_cbranch_execnz .LBB38_56
	s_branch .LBB38_57
.LBB38_277:
	s_mov_b64 s[22:23], -1
	s_mov_b64 s[0:1], 0
	s_mov_b64 s[20:21], s[16:17]
                                        ; implicit-def: $vgpr2
	s_branch .LBB38_282
.LBB38_278:
	s_mov_b64 s[26:27], -1
	s_mov_b64 s[22:23], 0
	s_mov_b64 s[0:1], s[14:15]
	s_branch .LBB38_292
.LBB38_279:
	s_andn2_saveexec_b64 s[24:25], s[24:25]
	s_cbranch_execz .LBB38_68
.LBB38_280:
	s_mov_b32 s28, 0x42800000
	v_add_f32_e64 v4, |v3|, s28
	v_and_b32_e32 v4, 0xff, v4
	v_cmp_ne_u32_e32 vcc, 0, v4
	s_andn2_b64 s[20:21], s[20:21], exec
	s_and_b64 s[28:29], vcc, exec
	s_or_b64 s[20:21], s[20:21], s[28:29]
	s_or_b64 exec, exec, s[24:25]
	v_mov_b32_e32 v5, 0
	s_and_saveexec_b64 s[24:25], s[20:21]
	s_cbranch_execnz .LBB38_69
	s_branch .LBB38_70
.LBB38_281:
	s_mov_b64 s[20:21], -1
                                        ; implicit-def: $vgpr2
	s_mov_b64 s[0:1], 0
.LBB38_282:
	s_and_b64 vcc, exec, s[22:23]
	s_cbranch_vccz .LBB38_398
; %bb.283:
	s_cmp_eq_u32 s27, 44
	s_cbranch_scc0 .LBB38_397
; %bb.284:
	global_load_ubyte v2, v[0:1], off
	s_mov_b64 s[0:1], -1
	s_mov_b64 s[20:21], 0
	s_waitcnt vmcnt(0)
	v_lshlrev_b32_e32 v3, 23, v2
	v_cvt_i32_f32_e32 v3, v3
	v_cmp_ne_u32_e32 vcc, 0, v2
	v_cndmask_b32_e32 v2, 0, v3, vcc
	s_branch .LBB38_398
.LBB38_285:
	s_mov_b64 s[26:27], -1
	s_mov_b64 s[22:23], 0
	s_mov_b64 s[0:1], s[14:15]
.LBB38_286:
	s_and_b64 vcc, exec, s[26:27]
	s_cbranch_vccz .LBB38_291
; %bb.287:
	s_cmp_eq_u32 s31, 44
	s_mov_b64 s[0:1], -1
	s_cbranch_scc0 .LBB38_291
; %bb.288:
	v_bfe_i32 v3, v2, 0, 8
	v_cvt_f32_i32_sdwa v3, sext(v3) dst_sel:DWORD dst_unused:UNUSED_PAD src0_sel:WORD_0
	s_movk_i32 s0, 0xff
	v_mov_b32_e32 v5, 0xff
	v_bfe_u32 v4, v3, 23, 8
	v_cmp_ne_u32_e32 vcc, s0, v4
	s_and_saveexec_b64 s[22:23], vcc
; %bb.289:
	s_mov_b32 s0, 0x3fffff
	v_lshrrev_b32_e32 v5, 23, v3
	v_and_b32_e32 v6, 0x400000, v3
	v_and_or_b32 v3, v3, s0, v4
	v_cmp_ne_u32_e32 vcc, 0, v6
	v_cmp_ne_u32_e64 s[0:1], 0, v3
	s_and_b64 s[0:1], vcc, s[0:1]
	v_cndmask_b32_e64 v3, 0, 1, s[0:1]
	v_add_u32_e32 v5, v5, v3
; %bb.290:
	s_or_b64 exec, exec, s[22:23]
	s_mov_b64 s[22:23], -1
	s_mov_b64 s[0:1], 0
	global_store_byte v[0:1], v5, off
.LBB38_291:
	s_mov_b64 s[26:27], 0
.LBB38_292:
	s_and_b64 vcc, exec, s[26:27]
	s_cbranch_vccz .LBB38_295
; %bb.293:
	s_cmp_eq_u32 s31, 29
	s_mov_b64 s[0:1], -1
	s_cbranch_scc0 .LBB38_295
; %bb.294:
	v_bfe_i32 v3, v2, 0, 8
	v_ashrrev_i32_e32 v4, 31, v3
	global_store_dwordx2 v[0:1], v[3:4], off
	s_mov_b64 s[22:23], -1
	s_mov_b64 s[0:1], 0
.LBB38_295:
	s_mov_b64 s[26:27], 0
.LBB38_296:
	s_and_b64 vcc, exec, s[26:27]
	s_cbranch_vccz .LBB38_312
; %bb.297:
	s_cmp_lt_i32 s31, 27
	s_mov_b64 s[22:23], -1
	s_cbranch_scc1 .LBB38_303
; %bb.298:
	s_cmp_gt_i32 s31, 27
	s_cbranch_scc0 .LBB38_300
; %bb.299:
	v_bfe_i32 v3, v2, 0, 8
	s_mov_b64 s[22:23], 0
	global_store_dword v[0:1], v3, off
.LBB38_300:
	s_andn2_b64 vcc, exec, s[22:23]
	s_cbranch_vccnz .LBB38_302
; %bb.301:
	v_bfe_i32 v3, v2, 0, 8
	global_store_short v[0:1], v3, off
.LBB38_302:
	s_mov_b64 s[22:23], 0
.LBB38_303:
	s_andn2_b64 vcc, exec, s[22:23]
	s_cbranch_vccnz .LBB38_311
; %bb.304:
	v_bfe_i32 v3, v2, 0, 8
	v_cvt_f32_i32_sdwa v3, sext(v3) dst_sel:DWORD dst_unused:UNUSED_PAD src0_sel:WORD_0
	s_mov_b32 s22, 0x43800000
	v_mov_b32_e32 v5, 0x80
	v_and_b32_e32 v4, 0x7fffffff, v3
	v_cmp_gt_u32_e32 vcc, s22, v4
	s_and_saveexec_b64 s[22:23], vcc
	s_cbranch_execz .LBB38_310
; %bb.305:
	s_mov_b32 s26, 0x3bffffff
	v_cmp_lt_u32_e32 vcc, s26, v4
	s_mov_b64 s[26:27], 0
                                        ; implicit-def: $vgpr4
	s_and_saveexec_b64 s[28:29], vcc
	s_xor_b64 s[28:29], exec, s[28:29]
	s_cbranch_execz .LBB38_518
; %bb.306:
	v_bfe_u32 v4, v3, 20, 1
	s_mov_b32 s34, 0x487ffff
	v_add3_u32 v4, v3, v4, s34
	s_mov_b64 s[26:27], exec
	v_lshrrev_b32_e32 v4, 20, v4
	s_andn2_saveexec_b64 s[28:29], s[28:29]
	s_cbranch_execnz .LBB38_519
.LBB38_307:
	s_or_b64 exec, exec, s[28:29]
	v_mov_b32_e32 v5, 0
	s_and_saveexec_b64 s[28:29], s[26:27]
.LBB38_308:
	v_lshrrev_b32_e32 v3, 24, v3
	s_movk_i32 s26, 0x80
	v_and_or_b32 v5, v3, s26, v4
.LBB38_309:
	s_or_b64 exec, exec, s[28:29]
.LBB38_310:
	s_or_b64 exec, exec, s[22:23]
	global_store_byte v[0:1], v5, off
.LBB38_311:
	s_mov_b64 s[22:23], -1
.LBB38_312:
	s_mov_b64 s[26:27], 0
.LBB38_313:
	s_and_b64 vcc, exec, s[26:27]
	s_cbranch_vccz .LBB38_354
; %bb.314:
	s_cmp_gt_i32 s31, 22
	s_mov_b64 s[26:27], -1
	s_cbranch_scc0 .LBB38_346
; %bb.315:
	s_cmp_lt_i32 s31, 24
	s_mov_b64 s[22:23], -1
	s_cbranch_scc1 .LBB38_335
; %bb.316:
	s_cmp_gt_i32 s31, 24
	s_cbranch_scc0 .LBB38_324
; %bb.317:
	v_bfe_i32 v3, v2, 0, 8
	v_cvt_f32_i32_sdwa v3, sext(v3) dst_sel:DWORD dst_unused:UNUSED_PAD src0_sel:WORD_0
	s_mov_b32 s22, 0x47800000
	v_mov_b32_e32 v5, 0x80
	v_and_b32_e32 v4, 0x7fffffff, v3
	v_cmp_gt_u32_e32 vcc, s22, v4
	s_and_saveexec_b64 s[22:23], vcc
	s_cbranch_execz .LBB38_323
; %bb.318:
	s_mov_b32 s26, 0x37ffffff
	v_cmp_lt_u32_e32 vcc, s26, v4
	s_mov_b64 s[26:27], 0
                                        ; implicit-def: $vgpr4
	s_and_saveexec_b64 s[28:29], vcc
	s_xor_b64 s[28:29], exec, s[28:29]
	s_cbranch_execz .LBB38_521
; %bb.319:
	v_bfe_u32 v4, v3, 21, 1
	s_mov_b32 s34, 0x88fffff
	v_add3_u32 v4, v3, v4, s34
	s_mov_b64 s[26:27], exec
	v_lshrrev_b32_e32 v4, 21, v4
	s_andn2_saveexec_b64 s[28:29], s[28:29]
	s_cbranch_execnz .LBB38_522
.LBB38_320:
	s_or_b64 exec, exec, s[28:29]
	v_mov_b32_e32 v5, 0
	s_and_saveexec_b64 s[28:29], s[26:27]
.LBB38_321:
	v_lshrrev_b32_e32 v3, 24, v3
	s_movk_i32 s26, 0x80
	v_and_or_b32 v5, v3, s26, v4
.LBB38_322:
	s_or_b64 exec, exec, s[28:29]
.LBB38_323:
	s_or_b64 exec, exec, s[22:23]
	s_mov_b64 s[22:23], 0
	global_store_byte v[0:1], v5, off
.LBB38_324:
	s_and_b64 vcc, exec, s[22:23]
	s_cbranch_vccz .LBB38_334
; %bb.325:
	v_bfe_i32 v3, v2, 0, 8
	v_cvt_f32_i32_sdwa v3, sext(v3) dst_sel:DWORD dst_unused:UNUSED_PAD src0_sel:WORD_0
	s_mov_b32 s22, 0x43f00000
                                        ; implicit-def: $vgpr4
	v_and_b32_e32 v5, 0x7fffffff, v3
	v_cmp_gt_u32_e32 vcc, s22, v5
	s_and_saveexec_b64 s[22:23], vcc
	s_xor_b64 s[22:23], exec, s[22:23]
	s_cbranch_execz .LBB38_331
; %bb.326:
	s_mov_b32 s26, 0x3c7fffff
	v_cmp_lt_u32_e32 vcc, s26, v5
                                        ; implicit-def: $vgpr4
	s_and_saveexec_b64 s[26:27], vcc
	s_xor_b64 s[26:27], exec, s[26:27]
; %bb.327:
	v_bfe_u32 v4, v3, 20, 1
	s_mov_b32 s28, 0x407ffff
	v_add3_u32 v4, v3, v4, s28
	v_lshrrev_b32_e32 v5, 20, v4
	v_and_b32_e32 v4, 0xff00000, v4
	s_mov_b32 s28, 0x7f00000
	v_mov_b32_e32 v6, 0x7e
	v_cmp_ne_u32_e32 vcc, s28, v4
	v_cndmask_b32_e32 v4, v6, v5, vcc
; %bb.328:
	s_andn2_saveexec_b64 s[26:27], s[26:27]
; %bb.329:
	s_mov_b32 s28, 0x46800000
	v_add_f32_e64 v4, |v3|, s28
; %bb.330:
	s_or_b64 exec, exec, s[26:27]
                                        ; implicit-def: $vgpr5
.LBB38_331:
	s_andn2_saveexec_b64 s[22:23], s[22:23]
; %bb.332:
	s_mov_b32 s26, 0x7f800000
	v_mov_b32_e32 v4, 0x7e
	v_mov_b32_e32 v6, 0x7f
	v_cmp_lt_u32_e32 vcc, s26, v5
	v_cndmask_b32_e32 v4, v4, v6, vcc
; %bb.333:
	s_or_b64 exec, exec, s[22:23]
	v_lshrrev_b32_e32 v3, 24, v3
	s_movk_i32 s22, 0x80
	v_and_or_b32 v3, v3, s22, v4
	global_store_byte v[0:1], v3, off
.LBB38_334:
	s_mov_b64 s[22:23], 0
.LBB38_335:
	s_andn2_b64 vcc, exec, s[22:23]
	s_cbranch_vccnz .LBB38_345
; %bb.336:
	v_bfe_i32 v3, v2, 0, 8
	v_cvt_f32_i32_sdwa v3, sext(v3) dst_sel:DWORD dst_unused:UNUSED_PAD src0_sel:WORD_0
	s_mov_b32 s22, 0x47800000
                                        ; implicit-def: $vgpr4
	v_and_b32_e32 v5, 0x7fffffff, v3
	v_cmp_gt_u32_e32 vcc, s22, v5
	s_and_saveexec_b64 s[22:23], vcc
	s_xor_b64 s[22:23], exec, s[22:23]
	s_cbranch_execz .LBB38_342
; %bb.337:
	s_mov_b32 s26, 0x387fffff
	v_cmp_lt_u32_e32 vcc, s26, v5
                                        ; implicit-def: $vgpr4
	s_and_saveexec_b64 s[26:27], vcc
	s_xor_b64 s[26:27], exec, s[26:27]
; %bb.338:
	v_bfe_u32 v4, v3, 21, 1
	s_mov_b32 s28, 0x80fffff
	v_add3_u32 v4, v3, v4, s28
	v_lshrrev_b32_e32 v4, 21, v4
; %bb.339:
	s_andn2_saveexec_b64 s[26:27], s[26:27]
; %bb.340:
	s_mov_b32 s28, 0x43000000
	v_add_f32_e64 v4, |v3|, s28
; %bb.341:
	s_or_b64 exec, exec, s[26:27]
                                        ; implicit-def: $vgpr5
.LBB38_342:
	s_andn2_saveexec_b64 s[22:23], s[22:23]
; %bb.343:
	s_mov_b32 s26, 0x7f800000
	v_mov_b32_e32 v4, 0x7c
	v_mov_b32_e32 v6, 0x7f
	v_cmp_lt_u32_e32 vcc, s26, v5
	v_cndmask_b32_e32 v4, v4, v6, vcc
; %bb.344:
	s_or_b64 exec, exec, s[22:23]
	v_lshrrev_b32_e32 v3, 24, v3
	s_movk_i32 s22, 0x80
	v_and_or_b32 v3, v3, s22, v4
	global_store_byte v[0:1], v3, off
.LBB38_345:
	s_mov_b64 s[26:27], 0
	s_mov_b64 s[22:23], -1
.LBB38_346:
	s_andn2_b64 vcc, exec, s[26:27]
	s_cbranch_vccnz .LBB38_354
; %bb.347:
	s_cmp_gt_i32 s31, 14
	s_mov_b64 s[26:27], -1
	s_cbranch_scc0 .LBB38_351
; %bb.348:
	s_cmp_eq_u32 s31, 15
	s_mov_b64 s[0:1], -1
	s_cbranch_scc0 .LBB38_350
; %bb.349:
	v_bfe_i32 v3, v2, 0, 8
	v_cvt_f32_i32_sdwa v3, sext(v3) dst_sel:DWORD dst_unused:UNUSED_PAD src0_sel:WORD_0
	s_movk_i32 s0, 0x7fff
	s_mov_b64 s[22:23], -1
	v_bfe_u32 v4, v3, 16, 1
	v_add3_u32 v3, v3, v4, s0
	global_store_short_d16_hi v[0:1], v3, off
	s_mov_b64 s[0:1], 0
.LBB38_350:
	s_mov_b64 s[26:27], 0
.LBB38_351:
	s_and_b64 vcc, exec, s[26:27]
	s_cbranch_vccz .LBB38_354
; %bb.352:
	s_cmp_eq_u32 s31, 11
	s_mov_b64 s[0:1], -1
	s_cbranch_scc0 .LBB38_354
; %bb.353:
	v_mov_b32_e32 v3, 0
	v_cmp_ne_u16_sdwa s[0:1], v2, v3 src0_sel:BYTE_0 src1_sel:DWORD
	v_cndmask_b32_e64 v3, 0, 1, s[0:1]
	s_mov_b64 s[22:23], -1
	s_mov_b64 s[0:1], 0
	global_store_byte v[0:1], v3, off
.LBB38_354:
	s_mov_b64 s[26:27], 0
.LBB38_355:
	s_and_b64 vcc, exec, s[26:27]
	s_cbranch_vccz .LBB38_394
; %bb.356:
	s_and_b32 s26, 0xffff, s30
	s_cmp_lt_i32 s26, 5
	s_mov_b64 s[22:23], -1
	s_cbranch_scc1 .LBB38_377
; %bb.357:
	s_cmp_lt_i32 s26, 8
	s_cbranch_scc1 .LBB38_367
; %bb.358:
	s_cmp_lt_i32 s26, 9
	s_cbranch_scc1 .LBB38_364
; %bb.359:
	s_cmp_gt_i32 s26, 9
	s_cbranch_scc0 .LBB38_361
; %bb.360:
	v_bfe_i32 v3, v2, 0, 8
	v_bfe_i32 v3, v3, 0, 16
	v_cvt_f64_i32_e32 v[3:4], v3
	v_mov_b32_e32 v5, 0
	v_mov_b32_e32 v6, v5
	s_mov_b64 s[22:23], 0
	global_store_dwordx4 v[0:1], v[3:6], off
.LBB38_361:
	s_andn2_b64 vcc, exec, s[22:23]
	s_cbranch_vccnz .LBB38_363
; %bb.362:
	v_bfe_i32 v3, v2, 0, 8
	v_cvt_f32_i32_sdwa v3, sext(v3) dst_sel:DWORD dst_unused:UNUSED_PAD src0_sel:WORD_0
	v_mov_b32_e32 v4, 0
	global_store_dwordx2 v[0:1], v[3:4], off
.LBB38_363:
	s_mov_b64 s[22:23], 0
.LBB38_364:
	s_andn2_b64 vcc, exec, s[22:23]
	s_cbranch_vccnz .LBB38_366
; %bb.365:
	v_cvt_f16_i16_sdwa v3, sext(v2) dst_sel:DWORD dst_unused:UNUSED_PAD src0_sel:BYTE_0
	global_store_dword v[0:1], v3, off
.LBB38_366:
	s_mov_b64 s[22:23], 0
.LBB38_367:
	s_andn2_b64 vcc, exec, s[22:23]
	s_cbranch_vccnz .LBB38_376
; %bb.368:
	s_cmp_lt_i32 s26, 6
	s_mov_b64 s[22:23], -1
	s_cbranch_scc1 .LBB38_374
; %bb.369:
	s_cmp_gt_i32 s26, 6
	s_cbranch_scc0 .LBB38_371
; %bb.370:
	v_bfe_i32 v3, v2, 0, 8
	v_bfe_i32 v3, v3, 0, 16
	v_cvt_f64_i32_e32 v[3:4], v3
	s_mov_b64 s[22:23], 0
	global_store_dwordx2 v[0:1], v[3:4], off
.LBB38_371:
	s_andn2_b64 vcc, exec, s[22:23]
	s_cbranch_vccnz .LBB38_373
; %bb.372:
	v_bfe_i32 v3, v2, 0, 8
	v_cvt_f32_i32_sdwa v3, sext(v3) dst_sel:DWORD dst_unused:UNUSED_PAD src0_sel:WORD_0
	global_store_dword v[0:1], v3, off
.LBB38_373:
	s_mov_b64 s[22:23], 0
.LBB38_374:
	s_andn2_b64 vcc, exec, s[22:23]
	s_cbranch_vccnz .LBB38_376
; %bb.375:
	v_cvt_f16_i16_sdwa v3, sext(v2) dst_sel:DWORD dst_unused:UNUSED_PAD src0_sel:BYTE_0
	global_store_short v[0:1], v3, off
.LBB38_376:
	s_mov_b64 s[22:23], 0
.LBB38_377:
	s_andn2_b64 vcc, exec, s[22:23]
	s_cbranch_vccnz .LBB38_393
; %bb.378:
	s_cmp_lt_i32 s26, 2
	s_mov_b64 s[22:23], -1
	s_cbranch_scc1 .LBB38_388
; %bb.379:
	s_cmp_lt_i32 s26, 3
	s_cbranch_scc1 .LBB38_385
; %bb.380:
	s_cmp_gt_i32 s26, 3
	s_cbranch_scc0 .LBB38_382
; %bb.381:
	v_bfe_i32 v3, v2, 0, 8
	v_ashrrev_i32_e32 v4, 31, v3
	s_mov_b64 s[22:23], 0
	global_store_dwordx2 v[0:1], v[3:4], off
.LBB38_382:
	s_andn2_b64 vcc, exec, s[22:23]
	s_cbranch_vccnz .LBB38_384
; %bb.383:
	v_bfe_i32 v3, v2, 0, 8
	global_store_dword v[0:1], v3, off
.LBB38_384:
	s_mov_b64 s[22:23], 0
.LBB38_385:
	s_andn2_b64 vcc, exec, s[22:23]
	s_cbranch_vccnz .LBB38_387
; %bb.386:
	v_bfe_i32 v3, v2, 0, 8
	global_store_short v[0:1], v3, off
.LBB38_387:
	s_mov_b64 s[22:23], 0
.LBB38_388:
	s_andn2_b64 vcc, exec, s[22:23]
	s_cbranch_vccnz .LBB38_393
; %bb.389:
	s_cmp_gt_i32 s26, 0
	s_mov_b64 s[22:23], -1
	s_cbranch_scc0 .LBB38_391
; %bb.390:
	s_mov_b64 s[22:23], 0
	global_store_byte v[0:1], v2, off
.LBB38_391:
	s_andn2_b64 vcc, exec, s[22:23]
	s_cbranch_vccnz .LBB38_393
; %bb.392:
	global_store_byte v[0:1], v2, off
.LBB38_393:
	s_mov_b64 s[22:23], -1
.LBB38_394:
	s_andn2_b64 vcc, exec, s[22:23]
	s_cbranch_vccnz .LBB38_396
; %bb.395:
	v_add_u32_e32 v9, 0x80, v9
	s_mov_b64 s[26:27], -1
	s_branch .LBB38_504
.LBB38_396:
	s_mov_b64 s[26:27], 0
                                        ; implicit-def: $vgpr9
	s_branch .LBB38_504
.LBB38_397:
	s_mov_b64 s[20:21], -1
                                        ; implicit-def: $vgpr2
.LBB38_398:
	s_mov_b64 s[22:23], 0
.LBB38_399:
	s_and_b64 vcc, exec, s[22:23]
	s_cbranch_vccz .LBB38_403
; %bb.400:
	s_cmp_eq_u32 s27, 29
	s_cbranch_scc0 .LBB38_402
; %bb.401:
	global_load_dwordx2 v[2:3], v[0:1], off
	s_mov_b64 s[0:1], -1
	s_mov_b64 s[20:21], 0
	s_branch .LBB38_403
.LBB38_402:
	s_mov_b64 s[20:21], -1
                                        ; implicit-def: $vgpr2
.LBB38_403:
	s_mov_b64 s[22:23], 0
.LBB38_404:
	s_and_b64 vcc, exec, s[22:23]
	s_cbranch_vccz .LBB38_420
; %bb.405:
	s_cmp_lt_i32 s27, 27
	s_cbranch_scc1 .LBB38_408
; %bb.406:
	s_cmp_gt_i32 s27, 27
	s_cbranch_scc0 .LBB38_409
; %bb.407:
	global_load_dword v2, v[0:1], off
	s_mov_b64 s[0:1], 0
	s_branch .LBB38_410
.LBB38_408:
	s_mov_b64 s[0:1], -1
                                        ; implicit-def: $vgpr2
	s_branch .LBB38_413
.LBB38_409:
	s_mov_b64 s[0:1], -1
                                        ; implicit-def: $vgpr2
.LBB38_410:
	s_andn2_b64 vcc, exec, s[0:1]
	s_cbranch_vccnz .LBB38_412
; %bb.411:
	global_load_ushort v2, v[0:1], off
.LBB38_412:
	s_mov_b64 s[0:1], 0
.LBB38_413:
	s_andn2_b64 vcc, exec, s[0:1]
	s_cbranch_vccnz .LBB38_419
; %bb.414:
	global_load_ubyte v3, v[0:1], off
	s_movk_i32 s0, 0x7f
	s_mov_b64 s[22:23], 0
	s_waitcnt vmcnt(0)
	v_cmp_lt_i16_e32 vcc, s0, v3
	s_and_saveexec_b64 s[0:1], vcc
	s_xor_b64 s[0:1], exec, s[0:1]
	s_cbranch_execz .LBB38_431
; %bb.415:
	s_movk_i32 s22, 0x80
	v_cmp_ne_u16_e32 vcc, s22, v3
	s_and_b64 s[22:23], vcc, exec
	s_andn2_saveexec_b64 s[0:1], s[0:1]
	s_cbranch_execnz .LBB38_432
.LBB38_416:
	s_or_b64 exec, exec, s[0:1]
	v_mov_b32_e32 v2, 0
	s_and_saveexec_b64 s[0:1], s[22:23]
	s_cbranch_execz .LBB38_418
.LBB38_417:
	v_lshlrev_b32_e32 v2, 24, v3
	v_and_b32_e32 v3, 0xffff, v3
	v_and_b32_e32 v4, 7, v3
	v_ffbh_u32_e32 v6, v4
	v_min_u32_e32 v6, 32, v6
	v_subrev_u32_e32 v7, 28, v6
	v_bfe_u32 v5, v3, 3, 4
	v_lshlrev_b32_e32 v3, v7, v3
	v_sub_u32_e32 v6, 29, v6
	v_and_b32_e32 v3, 7, v3
	v_cmp_eq_u32_e32 vcc, 0, v5
	v_cndmask_b32_e32 v5, v5, v6, vcc
	v_cndmask_b32_e32 v3, v4, v3, vcc
	v_mov_b32_e32 v4, 0x3b800000
	v_lshlrev_b32_e32 v3, 20, v3
	v_and_b32_e32 v2, 0x80000000, v2
	v_lshl_add_u32 v4, v5, 23, v4
	v_or3_b32 v2, v2, v4, v3
	v_cvt_i32_f32_e32 v2, v2
.LBB38_418:
	s_or_b64 exec, exec, s[0:1]
.LBB38_419:
	s_mov_b64 s[0:1], -1
.LBB38_420:
	s_mov_b64 s[22:23], 0
.LBB38_421:
	s_and_b64 vcc, exec, s[22:23]
	s_cbranch_vccz .LBB38_454
; %bb.422:
	s_cmp_gt_i32 s27, 22
	s_cbranch_scc0 .LBB38_430
; %bb.423:
	s_cmp_lt_i32 s27, 24
	s_cbranch_scc1 .LBB38_433
; %bb.424:
	s_cmp_gt_i32 s27, 24
	s_cbranch_scc0 .LBB38_434
; %bb.425:
	global_load_ubyte v3, v[0:1], off
	s_movk_i32 s0, 0x7f
	s_mov_b64 s[22:23], 0
	s_waitcnt vmcnt(0)
	v_cmp_lt_i16_e32 vcc, s0, v3
	s_and_saveexec_b64 s[0:1], vcc
	s_xor_b64 s[0:1], exec, s[0:1]
	s_cbranch_execz .LBB38_446
; %bb.426:
	s_movk_i32 s22, 0x80
	v_cmp_ne_u16_e32 vcc, s22, v3
	s_and_b64 s[22:23], vcc, exec
	s_andn2_saveexec_b64 s[0:1], s[0:1]
	s_cbranch_execnz .LBB38_447
.LBB38_427:
	s_or_b64 exec, exec, s[0:1]
	v_mov_b32_e32 v2, 0
	s_and_saveexec_b64 s[0:1], s[22:23]
	s_cbranch_execz .LBB38_429
.LBB38_428:
	v_lshlrev_b32_e32 v2, 24, v3
	v_and_b32_e32 v3, 0xffff, v3
	v_and_b32_e32 v4, 3, v3
	v_ffbh_u32_e32 v6, v4
	v_min_u32_e32 v6, 32, v6
	v_subrev_u32_e32 v7, 29, v6
	v_bfe_u32 v5, v3, 2, 5
	v_lshlrev_b32_e32 v3, v7, v3
	v_sub_u32_e32 v6, 30, v6
	v_and_b32_e32 v3, 3, v3
	v_cmp_eq_u32_e32 vcc, 0, v5
	v_cndmask_b32_e32 v5, v5, v6, vcc
	v_cndmask_b32_e32 v3, v4, v3, vcc
	v_mov_b32_e32 v4, 0x37800000
	v_lshlrev_b32_e32 v3, 21, v3
	v_and_b32_e32 v2, 0x80000000, v2
	v_lshl_add_u32 v4, v5, 23, v4
	v_or3_b32 v2, v2, v4, v3
	v_cvt_i32_f32_e32 v2, v2
.LBB38_429:
	s_or_b64 exec, exec, s[0:1]
	s_mov_b64 s[0:1], 0
	s_branch .LBB38_435
.LBB38_430:
	s_mov_b64 s[22:23], -1
                                        ; implicit-def: $vgpr2
	s_branch .LBB38_441
.LBB38_431:
	s_andn2_saveexec_b64 s[0:1], s[0:1]
	s_cbranch_execz .LBB38_416
.LBB38_432:
	v_cmp_ne_u16_e32 vcc, 0, v3
	s_andn2_b64 s[22:23], s[22:23], exec
	s_and_b64 s[28:29], vcc, exec
	s_or_b64 s[22:23], s[22:23], s[28:29]
	s_or_b64 exec, exec, s[0:1]
	v_mov_b32_e32 v2, 0
	s_and_saveexec_b64 s[0:1], s[22:23]
	s_cbranch_execnz .LBB38_417
	s_branch .LBB38_418
.LBB38_433:
	s_mov_b64 s[0:1], -1
                                        ; implicit-def: $vgpr2
	s_branch .LBB38_438
.LBB38_434:
	s_mov_b64 s[0:1], -1
                                        ; implicit-def: $vgpr2
.LBB38_435:
	s_and_b64 vcc, exec, s[0:1]
	s_cbranch_vccz .LBB38_437
; %bb.436:
	global_load_ubyte v2, v[0:1], off
	s_mov_b32 s0, 0x7f800000
	s_waitcnt vmcnt(0)
	v_lshlrev_b32_e32 v2, 24, v2
	v_and_b32_e32 v3, 0x7f000000, v2
	v_ffbh_u32_e32 v4, v3
	v_min_u32_e32 v4, 32, v4
	v_sub_u32_e64 v4, v4, 4 clamp
	v_lshlrev_b32_e32 v6, v4, v3
	v_lshlrev_b32_e32 v4, 23, v4
	v_lshrrev_b32_e32 v6, 4, v6
	v_add_u32_e32 v5, 0x1000000, v3
	v_sub_u32_e32 v4, v6, v4
	v_ashrrev_i32_e32 v5, 8, v5
	v_add_u32_e32 v4, 0x3c000000, v4
	v_and_or_b32 v4, v5, s0, v4
	v_cmp_ne_u32_e32 vcc, 0, v3
	v_cndmask_b32_e32 v3, 0, v4, vcc
	s_brev_b32 s0, 1
	v_and_or_b32 v2, v2, s0, v3
	v_cvt_i32_f32_e32 v2, v2
.LBB38_437:
	s_mov_b64 s[0:1], 0
.LBB38_438:
	s_andn2_b64 vcc, exec, s[0:1]
	s_cbranch_vccnz .LBB38_440
; %bb.439:
	global_load_ubyte v2, v[0:1], off
	s_movk_i32 s0, 0x7f00
	s_brev_b32 s1, 16
	s_waitcnt vmcnt(0)
	v_lshlrev_b16_e32 v3, 8, v2
	v_lshlrev_b32_e32 v2, 25, v2
	v_lshrrev_b32_e32 v4, 4, v2
	v_and_or_b32 v5, v3, s0, 0.5
	v_or_b32_e32 v4, 0x70000000, v4
	v_add_f32_e32 v5, -0.5, v5
	v_mul_f32_e32 v4, 0x7800000, v4
	v_cmp_gt_u32_e32 vcc, s1, v2
	v_bfe_i32 v3, v3, 0, 16
	v_cndmask_b32_e32 v2, v4, v5, vcc
	s_brev_b32 s0, 1
	v_and_or_b32 v2, v3, s0, v2
	v_cvt_i32_f32_e32 v2, v2
.LBB38_440:
	s_mov_b64 s[22:23], 0
	s_mov_b64 s[0:1], -1
.LBB38_441:
	s_andn2_b64 vcc, exec, s[22:23]
	s_cbranch_vccnz .LBB38_454
; %bb.442:
	s_cmp_gt_i32 s27, 14
	s_cbranch_scc0 .LBB38_445
; %bb.443:
	s_cmp_eq_u32 s27, 15
	s_cbranch_scc0 .LBB38_448
; %bb.444:
	global_load_ushort v2, v[0:1], off
	s_mov_b64 s[0:1], -1
	s_mov_b64 s[20:21], 0
	s_waitcnt vmcnt(0)
	v_lshlrev_b32_e32 v2, 16, v2
	v_cvt_i32_f32_e32 v2, v2
	s_branch .LBB38_449
.LBB38_445:
	s_mov_b64 s[22:23], -1
                                        ; implicit-def: $vgpr2
	s_branch .LBB38_450
.LBB38_446:
	s_andn2_saveexec_b64 s[0:1], s[0:1]
	s_cbranch_execz .LBB38_427
.LBB38_447:
	v_cmp_ne_u16_e32 vcc, 0, v3
	s_andn2_b64 s[22:23], s[22:23], exec
	s_and_b64 s[28:29], vcc, exec
	s_or_b64 s[22:23], s[22:23], s[28:29]
	s_or_b64 exec, exec, s[0:1]
	v_mov_b32_e32 v2, 0
	s_and_saveexec_b64 s[0:1], s[22:23]
	s_cbranch_execnz .LBB38_428
	s_branch .LBB38_429
.LBB38_448:
	s_mov_b64 s[20:21], -1
                                        ; implicit-def: $vgpr2
.LBB38_449:
	s_mov_b64 s[22:23], 0
.LBB38_450:
	s_and_b64 vcc, exec, s[22:23]
	s_cbranch_vccz .LBB38_454
; %bb.451:
	s_cmp_eq_u32 s27, 11
	s_cbranch_scc0 .LBB38_453
; %bb.452:
	global_load_ubyte v2, v[0:1], off
	s_mov_b64 s[0:1], -1
	s_mov_b64 s[20:21], 0
	s_waitcnt vmcnt(0)
	v_cmp_ne_u16_e32 vcc, 0, v2
	v_cndmask_b32_e64 v2, 0, 1, vcc
	s_branch .LBB38_454
.LBB38_453:
	s_mov_b64 s[20:21], -1
                                        ; implicit-def: $vgpr2
.LBB38_454:
	s_branch .LBB38_261
.LBB38_455:
	s_and_b32 s22, 0xffff, s26
	s_cmp_lt_i32 s22, 5
	s_cbranch_scc1 .LBB38_460
; %bb.456:
	s_cmp_lt_i32 s22, 8
	s_cbranch_scc1 .LBB38_461
; %bb.457:
	;; [unrolled: 3-line block ×3, first 2 shown]
	s_cmp_gt_i32 s22, 9
	s_cbranch_scc0 .LBB38_463
; %bb.459:
	global_load_dwordx2 v[2:3], v[0:1], off
	s_mov_b64 s[0:1], 0
	s_waitcnt vmcnt(0)
	v_cvt_i32_f64_e32 v2, v[2:3]
	s_branch .LBB38_464
.LBB38_460:
	s_mov_b64 s[0:1], -1
                                        ; implicit-def: $vgpr2
	s_branch .LBB38_482
.LBB38_461:
	s_mov_b64 s[0:1], -1
                                        ; implicit-def: $vgpr2
	s_branch .LBB38_470
.LBB38_462:
	s_mov_b64 s[0:1], -1
                                        ; implicit-def: $vgpr2
	s_branch .LBB38_467
.LBB38_463:
	s_mov_b64 s[0:1], -1
                                        ; implicit-def: $vgpr2
.LBB38_464:
	s_andn2_b64 vcc, exec, s[0:1]
	s_cbranch_vccnz .LBB38_466
; %bb.465:
	global_load_dword v2, v[0:1], off
	s_waitcnt vmcnt(0)
	v_cvt_i32_f32_e32 v2, v2
.LBB38_466:
	s_mov_b64 s[0:1], 0
.LBB38_467:
	s_andn2_b64 vcc, exec, s[0:1]
	s_cbranch_vccnz .LBB38_469
; %bb.468:
	global_load_dword v2, v[0:1], off
	s_waitcnt vmcnt(0)
	v_cvt_i16_f16_e32 v2, v2
.LBB38_469:
	s_mov_b64 s[0:1], 0
.LBB38_470:
	s_andn2_b64 vcc, exec, s[0:1]
	s_cbranch_vccnz .LBB38_481
; %bb.471:
	s_cmp_lt_i32 s22, 6
	s_cbranch_scc1 .LBB38_474
; %bb.472:
	s_cmp_gt_i32 s22, 6
	s_cbranch_scc0 .LBB38_475
; %bb.473:
	global_load_dwordx2 v[2:3], v[0:1], off
	s_mov_b64 s[0:1], 0
	s_waitcnt vmcnt(0)
	v_cvt_i32_f64_e32 v2, v[2:3]
	s_branch .LBB38_476
.LBB38_474:
	s_mov_b64 s[0:1], -1
                                        ; implicit-def: $vgpr2
	s_branch .LBB38_479
.LBB38_475:
	s_mov_b64 s[0:1], -1
                                        ; implicit-def: $vgpr2
.LBB38_476:
	s_andn2_b64 vcc, exec, s[0:1]
	s_cbranch_vccnz .LBB38_478
; %bb.477:
	global_load_dword v2, v[0:1], off
	s_waitcnt vmcnt(0)
	v_cvt_i32_f32_e32 v2, v2
.LBB38_478:
	s_mov_b64 s[0:1], 0
.LBB38_479:
	s_andn2_b64 vcc, exec, s[0:1]
	s_cbranch_vccnz .LBB38_481
; %bb.480:
	global_load_ushort v2, v[0:1], off
	s_waitcnt vmcnt(0)
	v_cvt_i16_f16_e32 v2, v2
.LBB38_481:
	s_mov_b64 s[0:1], 0
.LBB38_482:
	s_andn2_b64 vcc, exec, s[0:1]
	s_cbranch_vccnz .LBB38_502
; %bb.483:
	s_cmp_lt_i32 s22, 2
	s_cbranch_scc1 .LBB38_487
; %bb.484:
	s_cmp_lt_i32 s22, 3
	s_cbranch_scc1 .LBB38_488
; %bb.485:
	s_cmp_gt_i32 s22, 3
	s_cbranch_scc0 .LBB38_489
; %bb.486:
	global_load_dwordx2 v[2:3], v[0:1], off
	s_mov_b64 s[0:1], 0
	s_branch .LBB38_490
.LBB38_487:
	s_mov_b64 s[0:1], -1
                                        ; implicit-def: $vgpr2
	s_branch .LBB38_496
.LBB38_488:
	s_mov_b64 s[0:1], -1
                                        ; implicit-def: $vgpr2
	s_branch .LBB38_493
.LBB38_489:
	s_mov_b64 s[0:1], -1
                                        ; implicit-def: $vgpr2
.LBB38_490:
	s_andn2_b64 vcc, exec, s[0:1]
	s_cbranch_vccnz .LBB38_492
; %bb.491:
	global_load_dword v2, v[0:1], off
.LBB38_492:
	s_mov_b64 s[0:1], 0
.LBB38_493:
	s_andn2_b64 vcc, exec, s[0:1]
	s_cbranch_vccnz .LBB38_495
; %bb.494:
	global_load_ushort v2, v[0:1], off
.LBB38_495:
	s_mov_b64 s[0:1], 0
.LBB38_496:
	s_andn2_b64 vcc, exec, s[0:1]
	s_cbranch_vccnz .LBB38_502
; %bb.497:
	s_cmp_gt_i32 s22, 0
	s_cbranch_scc0 .LBB38_499
; %bb.498:
	global_load_ubyte v2, v[0:1], off
	s_mov_b64 s[0:1], 0
	s_branch .LBB38_500
.LBB38_499:
	s_mov_b64 s[0:1], -1
                                        ; implicit-def: $vgpr2
.LBB38_500:
	s_andn2_b64 vcc, exec, s[0:1]
	s_cbranch_vccnz .LBB38_502
; %bb.501:
	global_load_ubyte v2, v[0:1], off
.LBB38_502:
	s_branch .LBB38_262
.LBB38_503:
	s_mov_b64 s[26:27], 0
                                        ; implicit-def: $vgpr9
	s_mov_b64 s[0:1], s[14:15]
.LBB38_504:
	s_andn2_b64 s[22:23], s[14:15], exec
	s_and_b64 s[0:1], s[0:1], exec
	s_or_b64 s[22:23], s[22:23], s[0:1]
	s_andn2_b64 s[0:1], s[16:17], exec
	s_and_b64 s[20:21], s[20:21], exec
	s_or_b64 s[20:21], s[0:1], s[20:21]
	s_orn2_b64 s[0:1], s[26:27], exec
.LBB38_505:
	s_or_b64 exec, exec, s[24:25]
	s_mov_b64 s[26:27], 0
	s_mov_b64 s[28:29], 0
	;; [unrolled: 1-line block ×3, first 2 shown]
                                        ; implicit-def: $sgpr47
                                        ; implicit-def: $vgpr0_vgpr1
                                        ; implicit-def: $vgpr2
	s_and_saveexec_b64 s[24:25], s[0:1]
	s_cbranch_execz .LBB38_842
; %bb.506:
	v_cmp_gt_i32_e32 vcc, s40, v9
	s_mov_b64 s[36:37], -1
	s_mov_b64 s[0:1], s[20:21]
	s_mov_b64 s[30:31], s[22:23]
	s_and_saveexec_b64 s[26:27], vcc
	s_cbranch_execz .LBB38_760
; %bb.507:
	v_mul_lo_u32 v0, v9, s3
	v_mov_b32_e32 v1, s11
	s_and_b32 s34, s45, 0xff
	s_cmp_lt_i32 s34, 11
	s_waitcnt vmcnt(0)
	v_ashrrev_i32_e32 v2, 31, v0
	v_add_co_u32_e32 v0, vcc, s10, v0
	v_addc_co_u32_e32 v1, vcc, v1, v2, vcc
	s_cbranch_scc1 .LBB38_514
; %bb.508:
	s_and_b32 s35, 0xffff, s34
	s_cmp_gt_i32 s35, 25
	s_cbranch_scc0 .LBB38_515
; %bb.509:
	s_cmp_gt_i32 s35, 28
	s_cbranch_scc0 .LBB38_516
; %bb.510:
	;; [unrolled: 3-line block ×4, first 2 shown]
	s_cmp_eq_u32 s35, 46
	s_mov_b64 s[30:31], 0
	s_cbranch_scc0 .LBB38_523
; %bb.513:
	global_load_dword v2, v[0:1], off
	s_mov_b64 s[0:1], -1
	s_waitcnt vmcnt(0)
	v_lshlrev_b32_e32 v2, 16, v2
	v_cvt_i32_f32_e32 v2, v2
	s_branch .LBB38_524
.LBB38_514:
	s_mov_b64 s[30:31], -1
	s_mov_b64 s[0:1], 0
                                        ; implicit-def: $vgpr2
	s_mov_b64 s[28:29], s[20:21]
	s_branch .LBB38_585
.LBB38_515:
	s_mov_b64 s[30:31], -1
	s_mov_b64 s[0:1], 0
	s_mov_b64 s[28:29], s[20:21]
                                        ; implicit-def: $vgpr2
	s_branch .LBB38_551
.LBB38_516:
	s_mov_b64 s[30:31], -1
	s_mov_b64 s[0:1], 0
	s_mov_b64 s[28:29], s[20:21]
                                        ; implicit-def: $vgpr2
	s_branch .LBB38_534
.LBB38_517:
	s_mov_b64 s[30:31], -1
	s_mov_b64 s[0:1], 0
	s_mov_b64 s[28:29], s[20:21]
                                        ; implicit-def: $vgpr2
	s_branch .LBB38_529
.LBB38_518:
	s_andn2_saveexec_b64 s[28:29], s[28:29]
	s_cbranch_execz .LBB38_307
.LBB38_519:
	s_mov_b32 s34, 0x46000000
	v_add_f32_e64 v4, |v3|, s34
	v_and_b32_e32 v4, 0xff, v4
	v_cmp_ne_u32_e32 vcc, 0, v4
	s_andn2_b64 s[26:27], s[26:27], exec
	s_and_b64 s[34:35], vcc, exec
	s_or_b64 s[26:27], s[26:27], s[34:35]
	s_or_b64 exec, exec, s[28:29]
	v_mov_b32_e32 v5, 0
	s_and_saveexec_b64 s[28:29], s[26:27]
	s_cbranch_execnz .LBB38_308
	s_branch .LBB38_309
.LBB38_520:
	s_mov_b64 s[30:31], -1
	s_mov_b64 s[0:1], 0
	s_mov_b64 s[28:29], s[20:21]
                                        ; implicit-def: $vgpr2
	s_branch .LBB38_524
.LBB38_521:
	s_andn2_saveexec_b64 s[28:29], s[28:29]
	s_cbranch_execz .LBB38_320
.LBB38_522:
	s_mov_b32 s34, 0x42800000
	v_add_f32_e64 v4, |v3|, s34
	v_and_b32_e32 v4, 0xff, v4
	v_cmp_ne_u32_e32 vcc, 0, v4
	s_andn2_b64 s[26:27], s[26:27], exec
	s_and_b64 s[34:35], vcc, exec
	s_or_b64 s[26:27], s[26:27], s[34:35]
	s_or_b64 exec, exec, s[28:29]
	v_mov_b32_e32 v5, 0
	s_and_saveexec_b64 s[28:29], s[26:27]
	s_cbranch_execnz .LBB38_321
	s_branch .LBB38_322
.LBB38_523:
	s_mov_b64 s[28:29], -1
                                        ; implicit-def: $vgpr2
	s_mov_b64 s[0:1], 0
.LBB38_524:
	s_and_b64 vcc, exec, s[30:31]
	s_cbranch_vccz .LBB38_528
; %bb.525:
	s_cmp_eq_u32 s35, 44
	s_cbranch_scc0 .LBB38_527
; %bb.526:
	global_load_ubyte v2, v[0:1], off
	s_mov_b64 s[0:1], -1
	s_mov_b64 s[28:29], 0
	s_waitcnt vmcnt(0)
	v_lshlrev_b32_e32 v3, 23, v2
	v_cvt_i32_f32_e32 v3, v3
	v_cmp_ne_u32_e32 vcc, 0, v2
	v_cndmask_b32_e32 v2, 0, v3, vcc
	s_branch .LBB38_528
.LBB38_527:
	s_mov_b64 s[28:29], -1
                                        ; implicit-def: $vgpr2
.LBB38_528:
	s_mov_b64 s[30:31], 0
.LBB38_529:
	s_and_b64 vcc, exec, s[30:31]
	s_cbranch_vccz .LBB38_533
; %bb.530:
	s_cmp_eq_u32 s35, 29
	s_cbranch_scc0 .LBB38_532
; %bb.531:
	global_load_dwordx2 v[2:3], v[0:1], off
	s_mov_b64 s[0:1], -1
	s_mov_b64 s[28:29], 0
	s_branch .LBB38_533
.LBB38_532:
	s_mov_b64 s[28:29], -1
                                        ; implicit-def: $vgpr2
.LBB38_533:
	s_mov_b64 s[30:31], 0
.LBB38_534:
	s_and_b64 vcc, exec, s[30:31]
	s_cbranch_vccz .LBB38_550
; %bb.535:
	s_cmp_lt_i32 s35, 27
	s_cbranch_scc1 .LBB38_538
; %bb.536:
	s_cmp_gt_i32 s35, 27
	s_cbranch_scc0 .LBB38_539
; %bb.537:
	global_load_dword v2, v[0:1], off
	s_mov_b64 s[0:1], 0
	s_branch .LBB38_540
.LBB38_538:
	s_mov_b64 s[0:1], -1
                                        ; implicit-def: $vgpr2
	s_branch .LBB38_543
.LBB38_539:
	s_mov_b64 s[0:1], -1
                                        ; implicit-def: $vgpr2
.LBB38_540:
	s_andn2_b64 vcc, exec, s[0:1]
	s_cbranch_vccnz .LBB38_542
; %bb.541:
	global_load_ushort v2, v[0:1], off
.LBB38_542:
	s_mov_b64 s[0:1], 0
.LBB38_543:
	s_andn2_b64 vcc, exec, s[0:1]
	s_cbranch_vccnz .LBB38_549
; %bb.544:
	global_load_ubyte v3, v[0:1], off
	s_movk_i32 s0, 0x7f
	s_mov_b64 s[30:31], 0
	s_waitcnt vmcnt(0)
	v_cmp_lt_i16_e32 vcc, s0, v3
	s_and_saveexec_b64 s[0:1], vcc
	s_xor_b64 s[0:1], exec, s[0:1]
	s_cbranch_execz .LBB38_561
; %bb.545:
	s_movk_i32 s30, 0x80
	v_cmp_ne_u16_e32 vcc, s30, v3
	s_and_b64 s[30:31], vcc, exec
	s_andn2_saveexec_b64 s[0:1], s[0:1]
	s_cbranch_execnz .LBB38_562
.LBB38_546:
	s_or_b64 exec, exec, s[0:1]
	v_mov_b32_e32 v2, 0
	s_and_saveexec_b64 s[0:1], s[30:31]
	s_cbranch_execz .LBB38_548
.LBB38_547:
	v_lshlrev_b32_e32 v2, 24, v3
	v_and_b32_e32 v3, 0xffff, v3
	v_and_b32_e32 v4, 7, v3
	v_ffbh_u32_e32 v6, v4
	v_min_u32_e32 v6, 32, v6
	v_subrev_u32_e32 v7, 28, v6
	v_bfe_u32 v5, v3, 3, 4
	v_lshlrev_b32_e32 v3, v7, v3
	v_sub_u32_e32 v6, 29, v6
	v_and_b32_e32 v3, 7, v3
	v_cmp_eq_u32_e32 vcc, 0, v5
	v_cndmask_b32_e32 v5, v5, v6, vcc
	v_cndmask_b32_e32 v3, v4, v3, vcc
	v_mov_b32_e32 v4, 0x3b800000
	v_lshlrev_b32_e32 v3, 20, v3
	v_and_b32_e32 v2, 0x80000000, v2
	v_lshl_add_u32 v4, v5, 23, v4
	v_or3_b32 v2, v2, v4, v3
	v_cvt_i32_f32_e32 v2, v2
.LBB38_548:
	s_or_b64 exec, exec, s[0:1]
.LBB38_549:
	s_mov_b64 s[0:1], -1
.LBB38_550:
	s_mov_b64 s[30:31], 0
.LBB38_551:
	s_and_b64 vcc, exec, s[30:31]
	s_cbranch_vccz .LBB38_584
; %bb.552:
	s_cmp_gt_i32 s35, 22
	s_cbranch_scc0 .LBB38_560
; %bb.553:
	s_cmp_lt_i32 s35, 24
	s_cbranch_scc1 .LBB38_563
; %bb.554:
	s_cmp_gt_i32 s35, 24
	s_cbranch_scc0 .LBB38_564
; %bb.555:
	global_load_ubyte v3, v[0:1], off
	s_movk_i32 s0, 0x7f
	s_mov_b64 s[30:31], 0
	s_waitcnt vmcnt(0)
	v_cmp_lt_i16_e32 vcc, s0, v3
	s_and_saveexec_b64 s[0:1], vcc
	s_xor_b64 s[0:1], exec, s[0:1]
	s_cbranch_execz .LBB38_576
; %bb.556:
	s_movk_i32 s30, 0x80
	v_cmp_ne_u16_e32 vcc, s30, v3
	s_and_b64 s[30:31], vcc, exec
	s_andn2_saveexec_b64 s[0:1], s[0:1]
	s_cbranch_execnz .LBB38_577
.LBB38_557:
	s_or_b64 exec, exec, s[0:1]
	v_mov_b32_e32 v2, 0
	s_and_saveexec_b64 s[0:1], s[30:31]
	s_cbranch_execz .LBB38_559
.LBB38_558:
	v_lshlrev_b32_e32 v2, 24, v3
	v_and_b32_e32 v3, 0xffff, v3
	v_and_b32_e32 v4, 3, v3
	v_ffbh_u32_e32 v6, v4
	v_min_u32_e32 v6, 32, v6
	v_subrev_u32_e32 v7, 29, v6
	v_bfe_u32 v5, v3, 2, 5
	v_lshlrev_b32_e32 v3, v7, v3
	v_sub_u32_e32 v6, 30, v6
	v_and_b32_e32 v3, 3, v3
	v_cmp_eq_u32_e32 vcc, 0, v5
	v_cndmask_b32_e32 v5, v5, v6, vcc
	v_cndmask_b32_e32 v3, v4, v3, vcc
	v_mov_b32_e32 v4, 0x37800000
	v_lshlrev_b32_e32 v3, 21, v3
	v_and_b32_e32 v2, 0x80000000, v2
	v_lshl_add_u32 v4, v5, 23, v4
	v_or3_b32 v2, v2, v4, v3
	v_cvt_i32_f32_e32 v2, v2
.LBB38_559:
	s_or_b64 exec, exec, s[0:1]
	s_mov_b64 s[0:1], 0
	s_branch .LBB38_565
.LBB38_560:
	s_mov_b64 s[30:31], -1
                                        ; implicit-def: $vgpr2
	s_branch .LBB38_571
.LBB38_561:
	s_andn2_saveexec_b64 s[0:1], s[0:1]
	s_cbranch_execz .LBB38_546
.LBB38_562:
	v_cmp_ne_u16_e32 vcc, 0, v3
	s_andn2_b64 s[30:31], s[30:31], exec
	s_and_b64 s[36:37], vcc, exec
	s_or_b64 s[30:31], s[30:31], s[36:37]
	s_or_b64 exec, exec, s[0:1]
	v_mov_b32_e32 v2, 0
	s_and_saveexec_b64 s[0:1], s[30:31]
	s_cbranch_execnz .LBB38_547
	s_branch .LBB38_548
.LBB38_563:
	s_mov_b64 s[0:1], -1
                                        ; implicit-def: $vgpr2
	s_branch .LBB38_568
.LBB38_564:
	s_mov_b64 s[0:1], -1
                                        ; implicit-def: $vgpr2
.LBB38_565:
	s_and_b64 vcc, exec, s[0:1]
	s_cbranch_vccz .LBB38_567
; %bb.566:
	global_load_ubyte v2, v[0:1], off
	s_mov_b32 s0, 0x7f800000
	s_waitcnt vmcnt(0)
	v_lshlrev_b32_e32 v2, 24, v2
	v_and_b32_e32 v3, 0x7f000000, v2
	v_ffbh_u32_e32 v4, v3
	v_min_u32_e32 v4, 32, v4
	v_sub_u32_e64 v4, v4, 4 clamp
	v_lshlrev_b32_e32 v6, v4, v3
	v_lshlrev_b32_e32 v4, 23, v4
	v_lshrrev_b32_e32 v6, 4, v6
	v_add_u32_e32 v5, 0x1000000, v3
	v_sub_u32_e32 v4, v6, v4
	v_ashrrev_i32_e32 v5, 8, v5
	v_add_u32_e32 v4, 0x3c000000, v4
	v_and_or_b32 v4, v5, s0, v4
	v_cmp_ne_u32_e32 vcc, 0, v3
	v_cndmask_b32_e32 v3, 0, v4, vcc
	s_brev_b32 s0, 1
	v_and_or_b32 v2, v2, s0, v3
	v_cvt_i32_f32_e32 v2, v2
.LBB38_567:
	s_mov_b64 s[0:1], 0
.LBB38_568:
	s_andn2_b64 vcc, exec, s[0:1]
	s_cbranch_vccnz .LBB38_570
; %bb.569:
	global_load_ubyte v2, v[0:1], off
	s_movk_i32 s0, 0x7f00
	s_brev_b32 s1, 16
	s_waitcnt vmcnt(0)
	v_lshlrev_b16_e32 v3, 8, v2
	v_lshlrev_b32_e32 v2, 25, v2
	v_lshrrev_b32_e32 v4, 4, v2
	v_and_or_b32 v5, v3, s0, 0.5
	v_or_b32_e32 v4, 0x70000000, v4
	v_add_f32_e32 v5, -0.5, v5
	v_mul_f32_e32 v4, 0x7800000, v4
	v_cmp_gt_u32_e32 vcc, s1, v2
	v_bfe_i32 v3, v3, 0, 16
	v_cndmask_b32_e32 v2, v4, v5, vcc
	s_brev_b32 s0, 1
	v_and_or_b32 v2, v3, s0, v2
	v_cvt_i32_f32_e32 v2, v2
.LBB38_570:
	s_mov_b64 s[30:31], 0
	s_mov_b64 s[0:1], -1
.LBB38_571:
	s_andn2_b64 vcc, exec, s[30:31]
	s_cbranch_vccnz .LBB38_584
; %bb.572:
	s_cmp_gt_i32 s35, 14
	s_cbranch_scc0 .LBB38_575
; %bb.573:
	s_cmp_eq_u32 s35, 15
	s_cbranch_scc0 .LBB38_578
; %bb.574:
	global_load_ushort v2, v[0:1], off
	s_mov_b64 s[0:1], -1
	s_mov_b64 s[28:29], 0
	s_waitcnt vmcnt(0)
	v_lshlrev_b32_e32 v2, 16, v2
	v_cvt_i32_f32_e32 v2, v2
	s_branch .LBB38_579
.LBB38_575:
	s_mov_b64 s[30:31], -1
                                        ; implicit-def: $vgpr2
	s_branch .LBB38_580
.LBB38_576:
	s_andn2_saveexec_b64 s[0:1], s[0:1]
	s_cbranch_execz .LBB38_557
.LBB38_577:
	v_cmp_ne_u16_e32 vcc, 0, v3
	s_andn2_b64 s[30:31], s[30:31], exec
	s_and_b64 s[36:37], vcc, exec
	s_or_b64 s[30:31], s[30:31], s[36:37]
	s_or_b64 exec, exec, s[0:1]
	v_mov_b32_e32 v2, 0
	s_and_saveexec_b64 s[0:1], s[30:31]
	s_cbranch_execnz .LBB38_558
	s_branch .LBB38_559
.LBB38_578:
	s_mov_b64 s[28:29], -1
                                        ; implicit-def: $vgpr2
.LBB38_579:
	s_mov_b64 s[30:31], 0
.LBB38_580:
	s_and_b64 vcc, exec, s[30:31]
	s_cbranch_vccz .LBB38_584
; %bb.581:
	s_cmp_eq_u32 s35, 11
	s_cbranch_scc0 .LBB38_583
; %bb.582:
	global_load_ubyte v2, v[0:1], off
	s_mov_b64 s[0:1], -1
	s_mov_b64 s[28:29], 0
	s_waitcnt vmcnt(0)
	v_cmp_ne_u16_e32 vcc, 0, v2
	v_cndmask_b32_e64 v2, 0, 1, vcc
	s_branch .LBB38_584
.LBB38_583:
	s_mov_b64 s[28:29], -1
                                        ; implicit-def: $vgpr2
.LBB38_584:
	s_mov_b64 s[30:31], 0
.LBB38_585:
	s_and_b64 vcc, exec, s[30:31]
	s_cbranch_vccz .LBB38_634
; %bb.586:
	s_and_b32 s30, 0xffff, s34
	s_cmp_lt_i32 s30, 5
	s_cbranch_scc1 .LBB38_591
; %bb.587:
	s_cmp_lt_i32 s30, 8
	s_cbranch_scc1 .LBB38_592
; %bb.588:
	;; [unrolled: 3-line block ×3, first 2 shown]
	s_cmp_gt_i32 s30, 9
	s_cbranch_scc0 .LBB38_594
; %bb.590:
	global_load_dwordx2 v[2:3], v[0:1], off
	s_mov_b64 s[0:1], 0
	s_waitcnt vmcnt(0)
	v_cvt_i32_f64_e32 v2, v[2:3]
	s_branch .LBB38_595
.LBB38_591:
	s_mov_b64 s[0:1], -1
                                        ; implicit-def: $vgpr2
	s_branch .LBB38_613
.LBB38_592:
	s_mov_b64 s[0:1], -1
                                        ; implicit-def: $vgpr2
	s_branch .LBB38_601
.LBB38_593:
	s_mov_b64 s[0:1], -1
                                        ; implicit-def: $vgpr2
	s_branch .LBB38_598
.LBB38_594:
	s_mov_b64 s[0:1], -1
                                        ; implicit-def: $vgpr2
.LBB38_595:
	s_andn2_b64 vcc, exec, s[0:1]
	s_cbranch_vccnz .LBB38_597
; %bb.596:
	global_load_dword v2, v[0:1], off
	s_waitcnt vmcnt(0)
	v_cvt_i32_f32_e32 v2, v2
.LBB38_597:
	s_mov_b64 s[0:1], 0
.LBB38_598:
	s_andn2_b64 vcc, exec, s[0:1]
	s_cbranch_vccnz .LBB38_600
; %bb.599:
	global_load_dword v2, v[0:1], off
	s_waitcnt vmcnt(0)
	v_cvt_i16_f16_e32 v2, v2
.LBB38_600:
	s_mov_b64 s[0:1], 0
.LBB38_601:
	s_andn2_b64 vcc, exec, s[0:1]
	s_cbranch_vccnz .LBB38_612
; %bb.602:
	s_cmp_lt_i32 s30, 6
	s_cbranch_scc1 .LBB38_605
; %bb.603:
	s_cmp_gt_i32 s30, 6
	s_cbranch_scc0 .LBB38_606
; %bb.604:
	global_load_dwordx2 v[2:3], v[0:1], off
	s_mov_b64 s[0:1], 0
	s_waitcnt vmcnt(0)
	v_cvt_i32_f64_e32 v2, v[2:3]
	s_branch .LBB38_607
.LBB38_605:
	s_mov_b64 s[0:1], -1
                                        ; implicit-def: $vgpr2
	s_branch .LBB38_610
.LBB38_606:
	s_mov_b64 s[0:1], -1
                                        ; implicit-def: $vgpr2
.LBB38_607:
	s_andn2_b64 vcc, exec, s[0:1]
	s_cbranch_vccnz .LBB38_609
; %bb.608:
	global_load_dword v2, v[0:1], off
	s_waitcnt vmcnt(0)
	v_cvt_i32_f32_e32 v2, v2
.LBB38_609:
	s_mov_b64 s[0:1], 0
.LBB38_610:
	s_andn2_b64 vcc, exec, s[0:1]
	s_cbranch_vccnz .LBB38_612
; %bb.611:
	global_load_ushort v2, v[0:1], off
	s_waitcnt vmcnt(0)
	v_cvt_i16_f16_e32 v2, v2
.LBB38_612:
	s_mov_b64 s[0:1], 0
.LBB38_613:
	s_andn2_b64 vcc, exec, s[0:1]
	s_cbranch_vccnz .LBB38_633
; %bb.614:
	s_cmp_lt_i32 s30, 2
	s_cbranch_scc1 .LBB38_618
; %bb.615:
	s_cmp_lt_i32 s30, 3
	s_cbranch_scc1 .LBB38_619
; %bb.616:
	s_cmp_gt_i32 s30, 3
	s_cbranch_scc0 .LBB38_620
; %bb.617:
	global_load_dwordx2 v[2:3], v[0:1], off
	s_mov_b64 s[0:1], 0
	s_branch .LBB38_621
.LBB38_618:
	s_mov_b64 s[0:1], -1
                                        ; implicit-def: $vgpr2
	s_branch .LBB38_627
.LBB38_619:
	s_mov_b64 s[0:1], -1
                                        ; implicit-def: $vgpr2
	s_branch .LBB38_624
.LBB38_620:
	s_mov_b64 s[0:1], -1
                                        ; implicit-def: $vgpr2
.LBB38_621:
	s_andn2_b64 vcc, exec, s[0:1]
	s_cbranch_vccnz .LBB38_623
; %bb.622:
	global_load_dword v2, v[0:1], off
.LBB38_623:
	s_mov_b64 s[0:1], 0
.LBB38_624:
	s_andn2_b64 vcc, exec, s[0:1]
	s_cbranch_vccnz .LBB38_626
; %bb.625:
	global_load_ushort v2, v[0:1], off
.LBB38_626:
	s_mov_b64 s[0:1], 0
.LBB38_627:
	s_andn2_b64 vcc, exec, s[0:1]
	s_cbranch_vccnz .LBB38_633
; %bb.628:
	s_cmp_gt_i32 s30, 0
	s_cbranch_scc0 .LBB38_630
; %bb.629:
	global_load_ubyte v2, v[0:1], off
	s_mov_b64 s[0:1], 0
	s_branch .LBB38_631
.LBB38_630:
	s_mov_b64 s[0:1], -1
                                        ; implicit-def: $vgpr2
.LBB38_631:
	s_andn2_b64 vcc, exec, s[0:1]
	s_cbranch_vccnz .LBB38_633
; %bb.632:
	global_load_ubyte v2, v[0:1], off
.LBB38_633:
	s_mov_b64 s[0:1], -1
.LBB38_634:
	s_andn2_b64 vcc, exec, s[0:1]
	s_cbranch_vccnz .LBB38_642
; %bb.635:
	v_mul_lo_u32 v0, v9, s2
	s_waitcnt vmcnt(0)
	v_lshlrev_b32_e32 v1, s46, v2
	v_mov_b32_e32 v3, s9
	v_cndmask_b32_e64 v2, v1, 0, s[6:7]
	v_ashrrev_i32_e32 v1, 31, v0
	s_and_b32 s38, s33, 0xff
	v_add_co_u32_e32 v0, vcc, s8, v0
	s_cmp_lt_i32 s38, 11
	v_addc_co_u32_e32 v1, vcc, v3, v1, vcc
	s_cbranch_scc1 .LBB38_643
; %bb.636:
	s_and_b32 s39, 0xffff, s38
	s_cmp_gt_i32 s39, 25
	s_cbranch_scc0 .LBB38_644
; %bb.637:
	s_cmp_gt_i32 s39, 28
	s_cbranch_scc0 .LBB38_645
; %bb.638:
	;; [unrolled: 3-line block ×4, first 2 shown]
	s_mov_b64 s[34:35], 0
	s_mov_b64 s[0:1], -1
	s_cmp_eq_u32 s39, 46
	s_mov_b64 s[30:31], 0
	s_cbranch_scc0 .LBB38_648
; %bb.641:
	v_bfe_i32 v3, v2, 0, 8
	v_cvt_f32_i32_sdwa v3, sext(v3) dst_sel:DWORD dst_unused:UNUSED_PAD src0_sel:WORD_0
	s_movk_i32 s0, 0x7fff
	s_mov_b64 s[30:31], -1
	v_bfe_u32 v4, v3, 16, 1
	v_add3_u32 v3, v3, v4, s0
	v_lshrrev_b32_e32 v3, 16, v3
	global_store_dword v[0:1], v3, off
	s_mov_b64 s[0:1], 0
	s_branch .LBB38_648
.LBB38_642:
	s_mov_b64 s[34:35], 0
                                        ; implicit-def: $vgpr9
	s_mov_b64 s[0:1], s[22:23]
	s_branch .LBB38_759
.LBB38_643:
	s_mov_b64 s[34:35], -1
	s_mov_b64 s[30:31], 0
	s_mov_b64 s[0:1], s[22:23]
	s_branch .LBB38_717
.LBB38_644:
	s_mov_b64 s[34:35], -1
	s_mov_b64 s[30:31], 0
	s_mov_b64 s[0:1], s[22:23]
	s_branch .LBB38_675
.LBB38_645:
	s_mov_b64 s[34:35], -1
	s_mov_b64 s[30:31], 0
	s_mov_b64 s[0:1], s[22:23]
	s_branch .LBB38_658
.LBB38_646:
	s_mov_b64 s[34:35], -1
	s_mov_b64 s[30:31], 0
	s_mov_b64 s[0:1], s[22:23]
	s_branch .LBB38_654
.LBB38_647:
	s_mov_b64 s[34:35], -1
	s_mov_b64 s[30:31], 0
	s_mov_b64 s[0:1], s[22:23]
.LBB38_648:
	s_and_b64 vcc, exec, s[34:35]
	s_cbranch_vccz .LBB38_653
; %bb.649:
	s_cmp_eq_u32 s39, 44
	s_mov_b64 s[0:1], -1
	s_cbranch_scc0 .LBB38_653
; %bb.650:
	v_bfe_i32 v3, v2, 0, 8
	v_cvt_f32_i32_sdwa v3, sext(v3) dst_sel:DWORD dst_unused:UNUSED_PAD src0_sel:WORD_0
	s_movk_i32 s0, 0xff
	v_mov_b32_e32 v5, 0xff
	v_bfe_u32 v4, v3, 23, 8
	v_cmp_ne_u32_e32 vcc, s0, v4
	s_and_saveexec_b64 s[30:31], vcc
; %bb.651:
	s_mov_b32 s0, 0x3fffff
	v_lshrrev_b32_e32 v5, 23, v3
	v_and_b32_e32 v6, 0x400000, v3
	v_and_or_b32 v3, v3, s0, v4
	v_cmp_ne_u32_e32 vcc, 0, v6
	v_cmp_ne_u32_e64 s[0:1], 0, v3
	s_and_b64 s[0:1], vcc, s[0:1]
	v_cndmask_b32_e64 v3, 0, 1, s[0:1]
	v_add_u32_e32 v5, v5, v3
; %bb.652:
	s_or_b64 exec, exec, s[30:31]
	s_mov_b64 s[30:31], -1
	s_mov_b64 s[0:1], 0
	global_store_byte v[0:1], v5, off
.LBB38_653:
	s_mov_b64 s[34:35], 0
.LBB38_654:
	s_and_b64 vcc, exec, s[34:35]
	s_cbranch_vccz .LBB38_657
; %bb.655:
	s_cmp_eq_u32 s39, 29
	s_mov_b64 s[0:1], -1
	s_cbranch_scc0 .LBB38_657
; %bb.656:
	v_bfe_i32 v3, v2, 0, 8
	v_ashrrev_i32_e32 v4, 31, v3
	global_store_dwordx2 v[0:1], v[3:4], off
	s_mov_b64 s[30:31], -1
	s_mov_b64 s[0:1], 0
.LBB38_657:
	s_mov_b64 s[34:35], 0
.LBB38_658:
	s_and_b64 vcc, exec, s[34:35]
	s_cbranch_vccz .LBB38_674
; %bb.659:
	s_cmp_lt_i32 s39, 27
	s_mov_b64 s[30:31], -1
	s_cbranch_scc1 .LBB38_665
; %bb.660:
	s_cmp_gt_i32 s39, 27
	s_cbranch_scc0 .LBB38_662
; %bb.661:
	v_bfe_i32 v3, v2, 0, 8
	s_mov_b64 s[30:31], 0
	global_store_dword v[0:1], v3, off
.LBB38_662:
	s_andn2_b64 vcc, exec, s[30:31]
	s_cbranch_vccnz .LBB38_664
; %bb.663:
	v_bfe_i32 v3, v2, 0, 8
	global_store_short v[0:1], v3, off
.LBB38_664:
	s_mov_b64 s[30:31], 0
.LBB38_665:
	s_andn2_b64 vcc, exec, s[30:31]
	s_cbranch_vccnz .LBB38_673
; %bb.666:
	v_bfe_i32 v3, v2, 0, 8
	v_cvt_f32_i32_sdwa v3, sext(v3) dst_sel:DWORD dst_unused:UNUSED_PAD src0_sel:WORD_0
	s_mov_b32 s30, 0x43800000
	v_mov_b32_e32 v5, 0x80
	v_and_b32_e32 v4, 0x7fffffff, v3
	v_cmp_gt_u32_e32 vcc, s30, v4
	s_and_saveexec_b64 s[30:31], vcc
	s_cbranch_execz .LBB38_672
; %bb.667:
	s_mov_b32 s34, 0x3bffffff
	v_cmp_lt_u32_e32 vcc, s34, v4
	s_mov_b64 s[34:35], 0
                                        ; implicit-def: $vgpr4
	s_and_saveexec_b64 s[36:37], vcc
	s_xor_b64 s[36:37], exec, s[36:37]
	s_cbranch_execz .LBB38_773
; %bb.668:
	v_bfe_u32 v4, v3, 20, 1
	s_mov_b32 s41, 0x487ffff
	v_add3_u32 v4, v3, v4, s41
	s_mov_b64 s[34:35], exec
	v_lshrrev_b32_e32 v4, 20, v4
	s_andn2_saveexec_b64 s[36:37], s[36:37]
	s_cbranch_execnz .LBB38_774
.LBB38_669:
	s_or_b64 exec, exec, s[36:37]
	v_mov_b32_e32 v5, 0
	s_and_saveexec_b64 s[36:37], s[34:35]
.LBB38_670:
	v_lshrrev_b32_e32 v3, 24, v3
	s_movk_i32 s34, 0x80
	v_and_or_b32 v5, v3, s34, v4
.LBB38_671:
	s_or_b64 exec, exec, s[36:37]
.LBB38_672:
	s_or_b64 exec, exec, s[30:31]
	global_store_byte v[0:1], v5, off
.LBB38_673:
	s_mov_b64 s[30:31], -1
.LBB38_674:
	s_mov_b64 s[34:35], 0
.LBB38_675:
	s_and_b64 vcc, exec, s[34:35]
	s_cbranch_vccz .LBB38_716
; %bb.676:
	s_cmp_gt_i32 s39, 22
	s_mov_b64 s[34:35], -1
	s_cbranch_scc0 .LBB38_708
; %bb.677:
	s_cmp_lt_i32 s39, 24
	s_mov_b64 s[30:31], -1
	s_cbranch_scc1 .LBB38_697
; %bb.678:
	s_cmp_gt_i32 s39, 24
	s_cbranch_scc0 .LBB38_686
; %bb.679:
	v_bfe_i32 v3, v2, 0, 8
	v_cvt_f32_i32_sdwa v3, sext(v3) dst_sel:DWORD dst_unused:UNUSED_PAD src0_sel:WORD_0
	s_mov_b32 s30, 0x47800000
	v_mov_b32_e32 v5, 0x80
	v_and_b32_e32 v4, 0x7fffffff, v3
	v_cmp_gt_u32_e32 vcc, s30, v4
	s_and_saveexec_b64 s[30:31], vcc
	s_cbranch_execz .LBB38_685
; %bb.680:
	s_mov_b32 s34, 0x37ffffff
	v_cmp_lt_u32_e32 vcc, s34, v4
	s_mov_b64 s[34:35], 0
                                        ; implicit-def: $vgpr4
	s_and_saveexec_b64 s[36:37], vcc
	s_xor_b64 s[36:37], exec, s[36:37]
	s_cbranch_execz .LBB38_776
; %bb.681:
	v_bfe_u32 v4, v3, 21, 1
	s_mov_b32 s41, 0x88fffff
	v_add3_u32 v4, v3, v4, s41
	s_mov_b64 s[34:35], exec
	v_lshrrev_b32_e32 v4, 21, v4
	s_andn2_saveexec_b64 s[36:37], s[36:37]
	s_cbranch_execnz .LBB38_777
.LBB38_682:
	s_or_b64 exec, exec, s[36:37]
	v_mov_b32_e32 v5, 0
	s_and_saveexec_b64 s[36:37], s[34:35]
.LBB38_683:
	v_lshrrev_b32_e32 v3, 24, v3
	s_movk_i32 s34, 0x80
	v_and_or_b32 v5, v3, s34, v4
.LBB38_684:
	s_or_b64 exec, exec, s[36:37]
.LBB38_685:
	s_or_b64 exec, exec, s[30:31]
	s_mov_b64 s[30:31], 0
	global_store_byte v[0:1], v5, off
.LBB38_686:
	s_and_b64 vcc, exec, s[30:31]
	s_cbranch_vccz .LBB38_696
; %bb.687:
	v_bfe_i32 v3, v2, 0, 8
	v_cvt_f32_i32_sdwa v3, sext(v3) dst_sel:DWORD dst_unused:UNUSED_PAD src0_sel:WORD_0
	s_mov_b32 s30, 0x43f00000
                                        ; implicit-def: $vgpr4
	v_and_b32_e32 v5, 0x7fffffff, v3
	v_cmp_gt_u32_e32 vcc, s30, v5
	s_and_saveexec_b64 s[30:31], vcc
	s_xor_b64 s[30:31], exec, s[30:31]
	s_cbranch_execz .LBB38_693
; %bb.688:
	s_mov_b32 s34, 0x3c7fffff
	v_cmp_lt_u32_e32 vcc, s34, v5
                                        ; implicit-def: $vgpr4
	s_and_saveexec_b64 s[34:35], vcc
	s_xor_b64 s[34:35], exec, s[34:35]
; %bb.689:
	v_bfe_u32 v4, v3, 20, 1
	s_mov_b32 s36, 0x407ffff
	v_add3_u32 v4, v3, v4, s36
	v_lshrrev_b32_e32 v5, 20, v4
	v_and_b32_e32 v4, 0xff00000, v4
	s_mov_b32 s36, 0x7f00000
	v_mov_b32_e32 v6, 0x7e
	v_cmp_ne_u32_e32 vcc, s36, v4
	v_cndmask_b32_e32 v4, v6, v5, vcc
; %bb.690:
	s_andn2_saveexec_b64 s[34:35], s[34:35]
; %bb.691:
	s_mov_b32 s36, 0x46800000
	v_add_f32_e64 v4, |v3|, s36
; %bb.692:
	s_or_b64 exec, exec, s[34:35]
                                        ; implicit-def: $vgpr5
.LBB38_693:
	s_andn2_saveexec_b64 s[30:31], s[30:31]
; %bb.694:
	s_mov_b32 s34, 0x7f800000
	v_mov_b32_e32 v4, 0x7e
	v_mov_b32_e32 v6, 0x7f
	v_cmp_lt_u32_e32 vcc, s34, v5
	v_cndmask_b32_e32 v4, v4, v6, vcc
; %bb.695:
	s_or_b64 exec, exec, s[30:31]
	v_lshrrev_b32_e32 v3, 24, v3
	s_movk_i32 s30, 0x80
	v_and_or_b32 v3, v3, s30, v4
	global_store_byte v[0:1], v3, off
.LBB38_696:
	s_mov_b64 s[30:31], 0
.LBB38_697:
	s_andn2_b64 vcc, exec, s[30:31]
	s_cbranch_vccnz .LBB38_707
; %bb.698:
	v_bfe_i32 v3, v2, 0, 8
	v_cvt_f32_i32_sdwa v3, sext(v3) dst_sel:DWORD dst_unused:UNUSED_PAD src0_sel:WORD_0
	s_mov_b32 s30, 0x47800000
                                        ; implicit-def: $vgpr4
	v_and_b32_e32 v5, 0x7fffffff, v3
	v_cmp_gt_u32_e32 vcc, s30, v5
	s_and_saveexec_b64 s[30:31], vcc
	s_xor_b64 s[30:31], exec, s[30:31]
	s_cbranch_execz .LBB38_704
; %bb.699:
	s_mov_b32 s34, 0x387fffff
	v_cmp_lt_u32_e32 vcc, s34, v5
                                        ; implicit-def: $vgpr4
	s_and_saveexec_b64 s[34:35], vcc
	s_xor_b64 s[34:35], exec, s[34:35]
; %bb.700:
	v_bfe_u32 v4, v3, 21, 1
	s_mov_b32 s36, 0x80fffff
	v_add3_u32 v4, v3, v4, s36
	v_lshrrev_b32_e32 v4, 21, v4
; %bb.701:
	s_andn2_saveexec_b64 s[34:35], s[34:35]
; %bb.702:
	s_mov_b32 s36, 0x43000000
	v_add_f32_e64 v4, |v3|, s36
; %bb.703:
	s_or_b64 exec, exec, s[34:35]
                                        ; implicit-def: $vgpr5
.LBB38_704:
	s_andn2_saveexec_b64 s[30:31], s[30:31]
; %bb.705:
	s_mov_b32 s34, 0x7f800000
	v_mov_b32_e32 v4, 0x7c
	v_mov_b32_e32 v6, 0x7f
	v_cmp_lt_u32_e32 vcc, s34, v5
	v_cndmask_b32_e32 v4, v4, v6, vcc
; %bb.706:
	s_or_b64 exec, exec, s[30:31]
	v_lshrrev_b32_e32 v3, 24, v3
	s_movk_i32 s30, 0x80
	v_and_or_b32 v3, v3, s30, v4
	global_store_byte v[0:1], v3, off
.LBB38_707:
	s_mov_b64 s[34:35], 0
	s_mov_b64 s[30:31], -1
.LBB38_708:
	s_andn2_b64 vcc, exec, s[34:35]
	s_cbranch_vccnz .LBB38_716
; %bb.709:
	s_cmp_gt_i32 s39, 14
	s_mov_b64 s[34:35], -1
	s_cbranch_scc0 .LBB38_713
; %bb.710:
	s_cmp_eq_u32 s39, 15
	s_mov_b64 s[0:1], -1
	s_cbranch_scc0 .LBB38_712
; %bb.711:
	v_bfe_i32 v3, v2, 0, 8
	v_cvt_f32_i32_sdwa v3, sext(v3) dst_sel:DWORD dst_unused:UNUSED_PAD src0_sel:WORD_0
	s_movk_i32 s0, 0x7fff
	s_mov_b64 s[30:31], -1
	v_bfe_u32 v4, v3, 16, 1
	v_add3_u32 v3, v3, v4, s0
	global_store_short_d16_hi v[0:1], v3, off
	s_mov_b64 s[0:1], 0
.LBB38_712:
	s_mov_b64 s[34:35], 0
.LBB38_713:
	s_and_b64 vcc, exec, s[34:35]
	s_cbranch_vccz .LBB38_716
; %bb.714:
	s_cmp_eq_u32 s39, 11
	s_mov_b64 s[0:1], -1
	s_cbranch_scc0 .LBB38_716
; %bb.715:
	v_mov_b32_e32 v3, 0
	v_cmp_ne_u16_sdwa s[0:1], v2, v3 src0_sel:BYTE_0 src1_sel:DWORD
	v_cndmask_b32_e64 v3, 0, 1, s[0:1]
	s_mov_b64 s[30:31], -1
	s_mov_b64 s[0:1], 0
	global_store_byte v[0:1], v3, off
.LBB38_716:
	s_mov_b64 s[34:35], 0
.LBB38_717:
	s_and_b64 vcc, exec, s[34:35]
	s_cbranch_vccz .LBB38_756
; %bb.718:
	s_and_b32 s34, 0xffff, s38
	s_cmp_lt_i32 s34, 5
	s_mov_b64 s[30:31], -1
	s_cbranch_scc1 .LBB38_739
; %bb.719:
	s_cmp_lt_i32 s34, 8
	s_cbranch_scc1 .LBB38_729
; %bb.720:
	s_cmp_lt_i32 s34, 9
	s_cbranch_scc1 .LBB38_726
; %bb.721:
	s_cmp_gt_i32 s34, 9
	s_cbranch_scc0 .LBB38_723
; %bb.722:
	v_bfe_i32 v3, v2, 0, 8
	v_bfe_i32 v3, v3, 0, 16
	v_cvt_f64_i32_e32 v[3:4], v3
	v_mov_b32_e32 v5, 0
	v_mov_b32_e32 v6, v5
	s_mov_b64 s[30:31], 0
	global_store_dwordx4 v[0:1], v[3:6], off
.LBB38_723:
	s_andn2_b64 vcc, exec, s[30:31]
	s_cbranch_vccnz .LBB38_725
; %bb.724:
	v_bfe_i32 v3, v2, 0, 8
	v_cvt_f32_i32_sdwa v3, sext(v3) dst_sel:DWORD dst_unused:UNUSED_PAD src0_sel:WORD_0
	v_mov_b32_e32 v4, 0
	global_store_dwordx2 v[0:1], v[3:4], off
.LBB38_725:
	s_mov_b64 s[30:31], 0
.LBB38_726:
	s_andn2_b64 vcc, exec, s[30:31]
	s_cbranch_vccnz .LBB38_728
; %bb.727:
	v_cvt_f16_i16_sdwa v3, sext(v2) dst_sel:DWORD dst_unused:UNUSED_PAD src0_sel:BYTE_0
	global_store_dword v[0:1], v3, off
.LBB38_728:
	s_mov_b64 s[30:31], 0
.LBB38_729:
	s_andn2_b64 vcc, exec, s[30:31]
	s_cbranch_vccnz .LBB38_738
; %bb.730:
	s_cmp_lt_i32 s34, 6
	s_mov_b64 s[30:31], -1
	s_cbranch_scc1 .LBB38_736
; %bb.731:
	s_cmp_gt_i32 s34, 6
	s_cbranch_scc0 .LBB38_733
; %bb.732:
	v_bfe_i32 v3, v2, 0, 8
	v_bfe_i32 v3, v3, 0, 16
	v_cvt_f64_i32_e32 v[3:4], v3
	s_mov_b64 s[30:31], 0
	global_store_dwordx2 v[0:1], v[3:4], off
.LBB38_733:
	s_andn2_b64 vcc, exec, s[30:31]
	s_cbranch_vccnz .LBB38_735
; %bb.734:
	v_bfe_i32 v3, v2, 0, 8
	v_cvt_f32_i32_sdwa v3, sext(v3) dst_sel:DWORD dst_unused:UNUSED_PAD src0_sel:WORD_0
	global_store_dword v[0:1], v3, off
.LBB38_735:
	s_mov_b64 s[30:31], 0
.LBB38_736:
	s_andn2_b64 vcc, exec, s[30:31]
	s_cbranch_vccnz .LBB38_738
; %bb.737:
	v_cvt_f16_i16_sdwa v3, sext(v2) dst_sel:DWORD dst_unused:UNUSED_PAD src0_sel:BYTE_0
	global_store_short v[0:1], v3, off
.LBB38_738:
	s_mov_b64 s[30:31], 0
.LBB38_739:
	s_andn2_b64 vcc, exec, s[30:31]
	s_cbranch_vccnz .LBB38_755
; %bb.740:
	s_cmp_lt_i32 s34, 2
	s_mov_b64 s[30:31], -1
	s_cbranch_scc1 .LBB38_750
; %bb.741:
	s_cmp_lt_i32 s34, 3
	s_cbranch_scc1 .LBB38_747
; %bb.742:
	s_cmp_gt_i32 s34, 3
	s_cbranch_scc0 .LBB38_744
; %bb.743:
	v_bfe_i32 v3, v2, 0, 8
	v_ashrrev_i32_e32 v4, 31, v3
	s_mov_b64 s[30:31], 0
	global_store_dwordx2 v[0:1], v[3:4], off
.LBB38_744:
	s_andn2_b64 vcc, exec, s[30:31]
	s_cbranch_vccnz .LBB38_746
; %bb.745:
	v_bfe_i32 v3, v2, 0, 8
	global_store_dword v[0:1], v3, off
.LBB38_746:
	s_mov_b64 s[30:31], 0
.LBB38_747:
	s_andn2_b64 vcc, exec, s[30:31]
	s_cbranch_vccnz .LBB38_749
; %bb.748:
	v_bfe_i32 v3, v2, 0, 8
	global_store_short v[0:1], v3, off
.LBB38_749:
	s_mov_b64 s[30:31], 0
.LBB38_750:
	s_andn2_b64 vcc, exec, s[30:31]
	s_cbranch_vccnz .LBB38_755
; %bb.751:
	s_cmp_gt_i32 s34, 0
	s_mov_b64 s[30:31], -1
	s_cbranch_scc0 .LBB38_753
; %bb.752:
	s_mov_b64 s[30:31], 0
	global_store_byte v[0:1], v2, off
.LBB38_753:
	s_andn2_b64 vcc, exec, s[30:31]
	s_cbranch_vccnz .LBB38_755
; %bb.754:
	global_store_byte v[0:1], v2, off
.LBB38_755:
	s_mov_b64 s[30:31], -1
.LBB38_756:
	s_andn2_b64 vcc, exec, s[30:31]
	s_cbranch_vccnz .LBB38_758
; %bb.757:
	v_add_u32_e32 v9, 0x80, v9
	s_mov_b64 s[34:35], -1
	s_branch .LBB38_759
.LBB38_758:
	s_mov_b64 s[34:35], 0
                                        ; implicit-def: $vgpr9
.LBB38_759:
	s_andn2_b64 s[30:31], s[22:23], exec
	s_and_b64 s[0:1], s[0:1], exec
	s_or_b64 s[30:31], s[30:31], s[0:1]
	s_andn2_b64 s[0:1], s[20:21], exec
	s_and_b64 s[28:29], s[28:29], exec
	s_or_b64 s[0:1], s[0:1], s[28:29]
	s_orn2_b64 s[36:37], s[34:35], exec
.LBB38_760:
	s_or_b64 exec, exec, s[26:27]
	s_mov_b64 s[34:35], 0
	s_mov_b64 s[28:29], 0
	;; [unrolled: 1-line block ×3, first 2 shown]
                                        ; implicit-def: $sgpr47
                                        ; implicit-def: $vgpr0_vgpr1
                                        ; implicit-def: $vgpr2
	s_and_saveexec_b64 s[26:27], s[36:37]
	s_cbranch_execz .LBB38_841
; %bb.761:
	v_cmp_gt_i32_e32 vcc, s40, v9
	s_mov_b64 s[36:37], 0
	s_mov_b64 s[40:41], s[0:1]
	s_mov_b64 s[42:43], 0
                                        ; implicit-def: $sgpr47
                                        ; implicit-def: $vgpr0_vgpr1
                                        ; implicit-def: $vgpr2
	s_and_saveexec_b64 s[28:29], vcc
	s_cbranch_execz .LBB38_840
; %bb.762:
	v_mul_lo_u32 v0, v9, s3
	v_mov_b32_e32 v1, s11
	s_and_b32 s47, s45, 0xff
	s_cmp_lt_i32 s47, 11
	s_waitcnt vmcnt(0)
	v_ashrrev_i32_e32 v2, 31, v0
	v_add_co_u32_e32 v0, vcc, s10, v0
	v_addc_co_u32_e32 v1, vcc, v1, v2, vcc
	s_cbranch_scc1 .LBB38_769
; %bb.763:
	s_and_b32 s42, 0xffff, s47
	s_cmp_gt_i32 s42, 25
	s_cbranch_scc0 .LBB38_770
; %bb.764:
	s_cmp_gt_i32 s42, 28
	s_cbranch_scc0 .LBB38_771
; %bb.765:
	;; [unrolled: 3-line block ×4, first 2 shown]
	s_cmp_eq_u32 s42, 46
	s_mov_b64 s[40:41], 0
	s_cbranch_scc0 .LBB38_778
; %bb.768:
	global_load_dword v2, v[0:1], off
	s_mov_b64 s[38:39], -1
	s_waitcnt vmcnt(0)
	v_lshlrev_b32_e32 v2, 16, v2
	v_cvt_i32_f32_e32 v2, v2
	s_branch .LBB38_780
.LBB38_769:
	s_mov_b64 s[40:41], -1
                                        ; implicit-def: $vgpr2
	s_mov_b64 s[34:35], s[0:1]
	s_branch .LBB38_839
.LBB38_770:
	s_mov_b64 s[40:41], -1
	s_mov_b64 s[34:35], s[0:1]
                                        ; implicit-def: $vgpr2
	s_branch .LBB38_807
.LBB38_771:
	s_mov_b64 s[40:41], -1
	s_mov_b64 s[34:35], s[0:1]
                                        ; implicit-def: $vgpr2
	s_branch .LBB38_790
.LBB38_772:
	s_mov_b64 s[40:41], -1
	s_mov_b64 s[34:35], s[0:1]
                                        ; implicit-def: $vgpr2
	s_branch .LBB38_785
.LBB38_773:
	s_andn2_saveexec_b64 s[36:37], s[36:37]
	s_cbranch_execz .LBB38_669
.LBB38_774:
	s_mov_b32 s41, 0x46000000
	v_add_f32_e64 v4, |v3|, s41
	v_and_b32_e32 v4, 0xff, v4
	v_cmp_ne_u32_e32 vcc, 0, v4
	s_andn2_b64 s[34:35], s[34:35], exec
	s_and_b64 s[42:43], vcc, exec
	s_or_b64 s[34:35], s[34:35], s[42:43]
	s_or_b64 exec, exec, s[36:37]
	v_mov_b32_e32 v5, 0
	s_and_saveexec_b64 s[36:37], s[34:35]
	s_cbranch_execnz .LBB38_670
	s_branch .LBB38_671
.LBB38_775:
	s_mov_b64 s[40:41], -1
	s_mov_b64 s[34:35], s[0:1]
	s_branch .LBB38_779
.LBB38_776:
	s_andn2_saveexec_b64 s[36:37], s[36:37]
	s_cbranch_execz .LBB38_682
.LBB38_777:
	s_mov_b32 s41, 0x42800000
	v_add_f32_e64 v4, |v3|, s41
	v_and_b32_e32 v4, 0xff, v4
	v_cmp_ne_u32_e32 vcc, 0, v4
	s_andn2_b64 s[34:35], s[34:35], exec
	s_and_b64 s[42:43], vcc, exec
	s_or_b64 s[34:35], s[34:35], s[42:43]
	s_or_b64 exec, exec, s[36:37]
	v_mov_b32_e32 v5, 0
	s_and_saveexec_b64 s[36:37], s[34:35]
	s_cbranch_execnz .LBB38_683
	s_branch .LBB38_684
.LBB38_778:
	s_mov_b64 s[34:35], -1
.LBB38_779:
                                        ; implicit-def: $vgpr2
.LBB38_780:
	s_and_b64 vcc, exec, s[40:41]
	s_cbranch_vccz .LBB38_784
; %bb.781:
	s_cmp_eq_u32 s42, 44
	s_cbranch_scc0 .LBB38_783
; %bb.782:
	global_load_ubyte v2, v[0:1], off
	s_mov_b64 s[34:35], 0
	s_mov_b64 s[38:39], -1
	s_waitcnt vmcnt(0)
	v_lshlrev_b32_e32 v3, 23, v2
	v_cvt_i32_f32_e32 v3, v3
	v_cmp_ne_u32_e32 vcc, 0, v2
	v_cndmask_b32_e32 v2, 0, v3, vcc
	s_branch .LBB38_784
.LBB38_783:
	s_mov_b64 s[34:35], -1
                                        ; implicit-def: $vgpr2
.LBB38_784:
	s_mov_b64 s[40:41], 0
.LBB38_785:
	s_and_b64 vcc, exec, s[40:41]
	s_cbranch_vccz .LBB38_789
; %bb.786:
	s_cmp_eq_u32 s42, 29
	s_cbranch_scc0 .LBB38_788
; %bb.787:
	global_load_dwordx2 v[2:3], v[0:1], off
	s_mov_b64 s[34:35], 0
	s_mov_b64 s[38:39], -1
	s_branch .LBB38_789
.LBB38_788:
	s_mov_b64 s[34:35], -1
                                        ; implicit-def: $vgpr2
.LBB38_789:
	s_mov_b64 s[40:41], 0
.LBB38_790:
	s_and_b64 vcc, exec, s[40:41]
	s_cbranch_vccz .LBB38_806
; %bb.791:
	s_cmp_lt_i32 s42, 27
	s_cbranch_scc1 .LBB38_794
; %bb.792:
	s_cmp_gt_i32 s42, 27
	s_cbranch_scc0 .LBB38_795
; %bb.793:
	global_load_dword v2, v[0:1], off
	s_mov_b64 s[38:39], 0
	s_branch .LBB38_796
.LBB38_794:
	s_mov_b64 s[38:39], -1
                                        ; implicit-def: $vgpr2
	s_branch .LBB38_799
.LBB38_795:
	s_mov_b64 s[38:39], -1
                                        ; implicit-def: $vgpr2
.LBB38_796:
	s_andn2_b64 vcc, exec, s[38:39]
	s_cbranch_vccnz .LBB38_798
; %bb.797:
	global_load_ushort v2, v[0:1], off
.LBB38_798:
	s_mov_b64 s[38:39], 0
.LBB38_799:
	s_andn2_b64 vcc, exec, s[38:39]
	s_cbranch_vccnz .LBB38_805
; %bb.800:
	global_load_ubyte v3, v[0:1], off
	s_movk_i32 s38, 0x7f
	s_mov_b64 s[40:41], 0
	s_waitcnt vmcnt(0)
	v_cmp_lt_i16_e32 vcc, s38, v3
	s_and_saveexec_b64 s[38:39], vcc
	s_xor_b64 s[38:39], exec, s[38:39]
	s_cbranch_execz .LBB38_817
; %bb.801:
	s_movk_i32 s40, 0x80
	v_cmp_ne_u16_e32 vcc, s40, v3
	s_and_b64 s[40:41], vcc, exec
	s_andn2_saveexec_b64 s[38:39], s[38:39]
	s_cbranch_execnz .LBB38_818
.LBB38_802:
	s_or_b64 exec, exec, s[38:39]
	v_mov_b32_e32 v2, 0
	s_and_saveexec_b64 s[38:39], s[40:41]
	s_cbranch_execz .LBB38_804
.LBB38_803:
	v_lshlrev_b32_e32 v2, 24, v3
	v_and_b32_e32 v3, 0xffff, v3
	v_and_b32_e32 v4, 7, v3
	v_ffbh_u32_e32 v6, v4
	v_min_u32_e32 v6, 32, v6
	v_subrev_u32_e32 v7, 28, v6
	v_bfe_u32 v5, v3, 3, 4
	v_lshlrev_b32_e32 v3, v7, v3
	v_sub_u32_e32 v6, 29, v6
	v_and_b32_e32 v3, 7, v3
	v_cmp_eq_u32_e32 vcc, 0, v5
	v_cndmask_b32_e32 v5, v5, v6, vcc
	v_cndmask_b32_e32 v3, v4, v3, vcc
	v_mov_b32_e32 v4, 0x3b800000
	v_lshlrev_b32_e32 v3, 20, v3
	v_and_b32_e32 v2, 0x80000000, v2
	v_lshl_add_u32 v4, v5, 23, v4
	v_or3_b32 v2, v2, v4, v3
	v_cvt_i32_f32_e32 v2, v2
.LBB38_804:
	s_or_b64 exec, exec, s[38:39]
.LBB38_805:
	s_mov_b64 s[38:39], -1
.LBB38_806:
	s_mov_b64 s[40:41], 0
.LBB38_807:
	s_and_b64 vcc, exec, s[40:41]
	s_cbranch_vccz .LBB38_838
; %bb.808:
	s_cmp_gt_i32 s42, 22
	s_cbranch_scc0 .LBB38_816
; %bb.809:
	s_cmp_lt_i32 s42, 24
	s_cbranch_scc1 .LBB38_819
; %bb.810:
	s_cmp_gt_i32 s42, 24
	s_cbranch_scc0 .LBB38_820
; %bb.811:
	global_load_ubyte v3, v[0:1], off
	s_movk_i32 s36, 0x7f
	s_mov_b64 s[38:39], 0
	s_waitcnt vmcnt(0)
	v_cmp_lt_i16_e32 vcc, s36, v3
	s_and_saveexec_b64 s[36:37], vcc
	s_xor_b64 s[36:37], exec, s[36:37]
	s_cbranch_execz .LBB38_832
; %bb.812:
	s_movk_i32 s38, 0x80
	v_cmp_ne_u16_e32 vcc, s38, v3
	s_and_b64 s[38:39], vcc, exec
	s_andn2_saveexec_b64 s[36:37], s[36:37]
	s_cbranch_execnz .LBB38_833
.LBB38_813:
	s_or_b64 exec, exec, s[36:37]
	v_mov_b32_e32 v2, 0
	s_and_saveexec_b64 s[36:37], s[38:39]
	s_cbranch_execz .LBB38_815
.LBB38_814:
	v_lshlrev_b32_e32 v2, 24, v3
	v_and_b32_e32 v3, 0xffff, v3
	v_and_b32_e32 v4, 3, v3
	v_ffbh_u32_e32 v6, v4
	v_min_u32_e32 v6, 32, v6
	v_subrev_u32_e32 v7, 29, v6
	v_bfe_u32 v5, v3, 2, 5
	v_lshlrev_b32_e32 v3, v7, v3
	v_sub_u32_e32 v6, 30, v6
	v_and_b32_e32 v3, 3, v3
	v_cmp_eq_u32_e32 vcc, 0, v5
	v_cndmask_b32_e32 v5, v5, v6, vcc
	v_cndmask_b32_e32 v3, v4, v3, vcc
	v_mov_b32_e32 v4, 0x37800000
	v_lshlrev_b32_e32 v3, 21, v3
	v_and_b32_e32 v2, 0x80000000, v2
	v_lshl_add_u32 v4, v5, 23, v4
	v_or3_b32 v2, v2, v4, v3
	v_cvt_i32_f32_e32 v2, v2
.LBB38_815:
	s_or_b64 exec, exec, s[36:37]
	s_mov_b64 s[36:37], 0
	s_branch .LBB38_821
.LBB38_816:
	s_mov_b64 s[36:37], -1
                                        ; implicit-def: $vgpr2
	s_branch .LBB38_827
.LBB38_817:
	s_andn2_saveexec_b64 s[38:39], s[38:39]
	s_cbranch_execz .LBB38_802
.LBB38_818:
	v_cmp_ne_u16_e32 vcc, 0, v3
	s_andn2_b64 s[40:41], s[40:41], exec
	s_and_b64 s[48:49], vcc, exec
	s_or_b64 s[40:41], s[40:41], s[48:49]
	s_or_b64 exec, exec, s[38:39]
	v_mov_b32_e32 v2, 0
	s_and_saveexec_b64 s[38:39], s[40:41]
	s_cbranch_execnz .LBB38_803
	s_branch .LBB38_804
.LBB38_819:
	s_mov_b64 s[36:37], -1
                                        ; implicit-def: $vgpr2
	s_branch .LBB38_824
.LBB38_820:
	s_mov_b64 s[36:37], -1
                                        ; implicit-def: $vgpr2
.LBB38_821:
	s_and_b64 vcc, exec, s[36:37]
	s_cbranch_vccz .LBB38_823
; %bb.822:
	global_load_ubyte v2, v[0:1], off
	s_mov_b32 s36, 0x7f800000
	s_waitcnt vmcnt(0)
	v_lshlrev_b32_e32 v2, 24, v2
	v_and_b32_e32 v3, 0x7f000000, v2
	v_ffbh_u32_e32 v4, v3
	v_min_u32_e32 v4, 32, v4
	v_sub_u32_e64 v4, v4, 4 clamp
	v_lshlrev_b32_e32 v6, v4, v3
	v_lshlrev_b32_e32 v4, 23, v4
	v_lshrrev_b32_e32 v6, 4, v6
	v_add_u32_e32 v5, 0x1000000, v3
	v_sub_u32_e32 v4, v6, v4
	v_ashrrev_i32_e32 v5, 8, v5
	v_add_u32_e32 v4, 0x3c000000, v4
	v_and_or_b32 v4, v5, s36, v4
	v_cmp_ne_u32_e32 vcc, 0, v3
	v_cndmask_b32_e32 v3, 0, v4, vcc
	s_brev_b32 s36, 1
	v_and_or_b32 v2, v2, s36, v3
	v_cvt_i32_f32_e32 v2, v2
.LBB38_823:
	s_mov_b64 s[36:37], 0
.LBB38_824:
	s_andn2_b64 vcc, exec, s[36:37]
	s_cbranch_vccnz .LBB38_826
; %bb.825:
	global_load_ubyte v2, v[0:1], off
	s_movk_i32 s36, 0x7f00
	s_brev_b32 s37, 16
	s_waitcnt vmcnt(0)
	v_lshlrev_b16_e32 v3, 8, v2
	v_lshlrev_b32_e32 v2, 25, v2
	v_lshrrev_b32_e32 v4, 4, v2
	v_and_or_b32 v5, v3, s36, 0.5
	v_or_b32_e32 v4, 0x70000000, v4
	v_add_f32_e32 v5, -0.5, v5
	v_mul_f32_e32 v4, 0x7800000, v4
	v_cmp_gt_u32_e32 vcc, s37, v2
	v_bfe_i32 v3, v3, 0, 16
	v_cndmask_b32_e32 v2, v4, v5, vcc
	s_brev_b32 s36, 1
	v_and_or_b32 v2, v3, s36, v2
	v_cvt_i32_f32_e32 v2, v2
.LBB38_826:
	s_mov_b64 s[36:37], 0
	s_mov_b64 s[38:39], -1
.LBB38_827:
	s_andn2_b64 vcc, exec, s[36:37]
	s_mov_b64 s[36:37], 0
	s_cbranch_vccnz .LBB38_838
; %bb.828:
	s_cmp_gt_i32 s42, 14
	s_cbranch_scc0 .LBB38_831
; %bb.829:
	s_cmp_eq_u32 s42, 15
	s_cbranch_scc0 .LBB38_834
; %bb.830:
	global_load_ushort v2, v[0:1], off
	s_mov_b64 s[34:35], 0
	s_mov_b64 s[38:39], -1
	s_waitcnt vmcnt(0)
	v_lshlrev_b32_e32 v2, 16, v2
	v_cvt_i32_f32_e32 v2, v2
	s_branch .LBB38_835
.LBB38_831:
	s_mov_b64 s[40:41], -1
                                        ; implicit-def: $vgpr2
	s_branch .LBB38_836
.LBB38_832:
	s_andn2_saveexec_b64 s[36:37], s[36:37]
	s_cbranch_execz .LBB38_813
.LBB38_833:
	v_cmp_ne_u16_e32 vcc, 0, v3
	s_andn2_b64 s[38:39], s[38:39], exec
	s_and_b64 s[40:41], vcc, exec
	s_or_b64 s[38:39], s[38:39], s[40:41]
	s_or_b64 exec, exec, s[36:37]
	v_mov_b32_e32 v2, 0
	s_and_saveexec_b64 s[36:37], s[38:39]
	s_cbranch_execnz .LBB38_814
	s_branch .LBB38_815
.LBB38_834:
	s_mov_b64 s[34:35], -1
                                        ; implicit-def: $vgpr2
.LBB38_835:
	s_mov_b64 s[40:41], 0
.LBB38_836:
	s_and_b64 vcc, exec, s[40:41]
	s_cbranch_vccz .LBB38_838
; %bb.837:
	s_cmp_lg_u32 s42, 11
	s_cselect_b64 s[40:41], -1, 0
	s_andn2_b64 s[34:35], s[34:35], exec
	s_and_b64 s[40:41], s[40:41], exec
	s_mov_b64 s[36:37], -1
	s_or_b64 s[34:35], s[34:35], s[40:41]
.LBB38_838:
	s_mov_b64 s[40:41], 0
.LBB38_839:
	s_and_b64 s[42:43], s[40:41], exec
	s_andn2_b64 s[40:41], s[0:1], exec
	s_and_b64 s[34:35], s[34:35], exec
	s_and_b64 s[38:39], s[38:39], exec
	;; [unrolled: 1-line block ×3, first 2 shown]
	s_or_b64 s[40:41], s[40:41], s[34:35]
.LBB38_840:
	s_or_b64 exec, exec, s[28:29]
	s_and_b64 s[34:35], s[36:37], exec
	s_andn2_b64 s[0:1], s[0:1], exec
	s_and_b64 s[36:37], s[40:41], exec
	s_and_b64 s[38:39], s[38:39], exec
	;; [unrolled: 1-line block ×3, first 2 shown]
	s_or_b64 s[0:1], s[0:1], s[36:37]
.LBB38_841:
	s_or_b64 exec, exec, s[26:27]
	s_andn2_b64 s[22:23], s[22:23], exec
	s_and_b64 s[26:27], s[30:31], exec
	s_andn2_b64 s[20:21], s[20:21], exec
	s_and_b64 s[0:1], s[0:1], exec
	s_or_b64 s[22:23], s[22:23], s[26:27]
	s_and_b64 s[30:31], s[38:39], exec
	s_and_b64 s[28:29], s[28:29], exec
	;; [unrolled: 1-line block ×3, first 2 shown]
	s_or_b64 s[20:21], s[20:21], s[0:1]
.LBB38_842:
	s_or_b64 exec, exec, s[24:25]
	s_andn2_b64 s[0:1], s[14:15], exec
	s_and_b64 s[14:15], s[22:23], exec
	s_andn2_b64 s[16:17], s[16:17], exec
	s_and_b64 s[20:21], s[20:21], exec
	s_or_b64 s[14:15], s[0:1], s[14:15]
	s_and_b64 s[0:1], s[30:31], exec
	s_and_b64 s[24:25], s[28:29], exec
	;; [unrolled: 1-line block ×3, first 2 shown]
	s_or_b64 s[16:17], s[16:17], s[20:21]
	s_or_b64 exec, exec, s[18:19]
	s_mov_b64 s[18:19], 0
	s_and_saveexec_b64 s[20:21], s[16:17]
	s_cbranch_execz .LBB38_258
.LBB38_843:
	s_mov_b64 s[18:19], exec
	s_andn2_b64 s[22:23], s[22:23], exec
	s_trap 2
	s_or_b64 exec, exec, s[20:21]
	s_and_saveexec_b64 s[16:17], s[22:23]
	s_xor_b64 s[16:17], exec, s[16:17]
	s_cbranch_execnz .LBB38_259
.LBB38_844:
	s_or_b64 exec, exec, s[16:17]
	s_and_saveexec_b64 s[16:17], s[24:25]
	s_cbranch_execz .LBB38_890
.LBB38_845:
	s_sext_i32_i16 s20, s47
	s_cmp_lt_i32 s20, 5
	s_cbranch_scc1 .LBB38_850
; %bb.846:
	s_cmp_lt_i32 s20, 8
	s_cbranch_scc1 .LBB38_851
; %bb.847:
	;; [unrolled: 3-line block ×3, first 2 shown]
	s_cmp_gt_i32 s20, 9
	s_cbranch_scc0 .LBB38_853
; %bb.849:
	global_load_dwordx2 v[2:3], v[0:1], off
	s_mov_b64 s[20:21], 0
	s_waitcnt vmcnt(0)
	v_cvt_i32_f64_e32 v2, v[2:3]
	s_branch .LBB38_854
.LBB38_850:
                                        ; implicit-def: $vgpr2
	s_branch .LBB38_871
.LBB38_851:
                                        ; implicit-def: $vgpr2
	s_branch .LBB38_860
.LBB38_852:
	s_mov_b64 s[20:21], -1
                                        ; implicit-def: $vgpr2
	s_branch .LBB38_857
.LBB38_853:
	s_mov_b64 s[20:21], -1
                                        ; implicit-def: $vgpr2
.LBB38_854:
	s_andn2_b64 vcc, exec, s[20:21]
	s_cbranch_vccnz .LBB38_856
; %bb.855:
	global_load_dword v2, v[0:1], off
	s_waitcnt vmcnt(0)
	v_cvt_i32_f32_e32 v2, v2
.LBB38_856:
	s_mov_b64 s[20:21], 0
.LBB38_857:
	s_andn2_b64 vcc, exec, s[20:21]
	s_cbranch_vccnz .LBB38_859
; %bb.858:
	global_load_dword v2, v[0:1], off
	s_waitcnt vmcnt(0)
	v_cvt_i16_f16_e32 v2, v2
.LBB38_859:
	s_cbranch_execnz .LBB38_870
.LBB38_860:
	s_sext_i32_i16 s20, s47
	s_cmp_lt_i32 s20, 6
	s_cbranch_scc1 .LBB38_863
; %bb.861:
	s_cmp_gt_i32 s20, 6
	s_cbranch_scc0 .LBB38_864
; %bb.862:
	global_load_dwordx2 v[2:3], v[0:1], off
	s_mov_b64 s[20:21], 0
	s_waitcnt vmcnt(0)
	v_cvt_i32_f64_e32 v2, v[2:3]
	s_branch .LBB38_865
.LBB38_863:
	s_mov_b64 s[20:21], -1
                                        ; implicit-def: $vgpr2
	s_branch .LBB38_868
.LBB38_864:
	s_mov_b64 s[20:21], -1
                                        ; implicit-def: $vgpr2
.LBB38_865:
	s_andn2_b64 vcc, exec, s[20:21]
	s_cbranch_vccnz .LBB38_867
; %bb.866:
	global_load_dword v2, v[0:1], off
	s_waitcnt vmcnt(0)
	v_cvt_i32_f32_e32 v2, v2
.LBB38_867:
	s_mov_b64 s[20:21], 0
.LBB38_868:
	s_andn2_b64 vcc, exec, s[20:21]
	s_cbranch_vccnz .LBB38_870
; %bb.869:
	global_load_ushort v2, v[0:1], off
	s_waitcnt vmcnt(0)
	v_cvt_i16_f16_e32 v2, v2
.LBB38_870:
	s_cbranch_execnz .LBB38_889
.LBB38_871:
	s_sext_i32_i16 s20, s47
	s_cmp_lt_i32 s20, 2
	s_cbranch_scc1 .LBB38_875
; %bb.872:
	s_cmp_lt_i32 s20, 3
	s_cbranch_scc1 .LBB38_876
; %bb.873:
	s_cmp_gt_i32 s20, 3
	s_cbranch_scc0 .LBB38_877
; %bb.874:
	global_load_dwordx2 v[2:3], v[0:1], off
	s_mov_b64 s[20:21], 0
	s_branch .LBB38_878
.LBB38_875:
                                        ; implicit-def: $vgpr2
	s_branch .LBB38_884
.LBB38_876:
	s_mov_b64 s[20:21], -1
                                        ; implicit-def: $vgpr2
	s_branch .LBB38_881
.LBB38_877:
	s_mov_b64 s[20:21], -1
                                        ; implicit-def: $vgpr2
.LBB38_878:
	s_andn2_b64 vcc, exec, s[20:21]
	s_cbranch_vccnz .LBB38_880
; %bb.879:
	global_load_dword v2, v[0:1], off
.LBB38_880:
	s_mov_b64 s[20:21], 0
.LBB38_881:
	s_andn2_b64 vcc, exec, s[20:21]
	s_cbranch_vccnz .LBB38_883
; %bb.882:
	global_load_ushort v2, v[0:1], off
.LBB38_883:
	s_cbranch_execnz .LBB38_889
.LBB38_884:
	s_sext_i32_i16 s20, s47
	s_cmp_gt_i32 s20, 0
	s_cbranch_scc0 .LBB38_886
; %bb.885:
	global_load_ubyte v2, v[0:1], off
	s_mov_b64 s[20:21], 0
	s_branch .LBB38_887
.LBB38_886:
	s_mov_b64 s[20:21], -1
                                        ; implicit-def: $vgpr2
.LBB38_887:
	s_andn2_b64 vcc, exec, s[20:21]
	s_cbranch_vccnz .LBB38_889
; %bb.888:
	global_load_ubyte v2, v[0:1], off
.LBB38_889:
	s_or_b64 s[0:1], s[0:1], exec
.LBB38_890:
	s_or_b64 exec, exec, s[16:17]
	s_mov_b64 s[22:23], 0
	s_mov_b64 s[20:21], 0
                                        ; implicit-def: $sgpr26
                                        ; implicit-def: $vgpr0_vgpr1
                                        ; implicit-def: $vgpr3
	s_and_saveexec_b64 s[16:17], s[0:1]
	s_cbranch_execz .LBB38_898
; %bb.891:
	v_mul_lo_u32 v0, v9, s2
	s_waitcnt vmcnt(0)
	v_lshlrev_b32_e32 v1, s46, v2
	v_mov_b32_e32 v2, s9
	v_cndmask_b32_e64 v3, v1, 0, s[6:7]
	v_ashrrev_i32_e32 v1, 31, v0
	s_and_b32 s26, s33, 0xff
	v_add_co_u32_e32 v0, vcc, s8, v0
	s_cmp_lt_i32 s26, 11
	v_addc_co_u32_e32 v1, vcc, v2, v1, vcc
	s_cbranch_scc1 .LBB38_901
; %bb.892:
	s_and_b32 s27, 0xffff, s26
	s_mov_b64 s[20:21], -1
	s_cmp_gt_i32 s27, 25
	s_mov_b64 s[0:1], s[14:15]
	s_cbranch_scc0 .LBB38_929
; %bb.893:
	s_mov_b64 s[6:7], -1
	s_cmp_gt_i32 s27, 28
	s_mov_b64 s[0:1], s[14:15]
	s_cbranch_scc0 .LBB38_913
; %bb.894:
	s_cmp_gt_i32 s27, 43
	s_mov_b64 s[0:1], s[14:15]
	s_cbranch_scc0 .LBB38_909
; %bb.895:
	;; [unrolled: 4-line block ×3, first 2 shown]
	s_cmp_eq_u32 s27, 46
	s_mov_b64 s[0:1], -1
	s_cbranch_scc0 .LBB38_902
; %bb.897:
	v_bfe_i32 v2, v3, 0, 8
	v_cvt_f32_i32_sdwa v2, sext(v2) dst_sel:DWORD dst_unused:UNUSED_PAD src0_sel:WORD_0
	s_movk_i32 s0, 0x7fff
	s_mov_b64 s[6:7], 0
	v_bfe_u32 v4, v2, 16, 1
	v_add3_u32 v2, v2, v4, s0
	v_lshrrev_b32_e32 v2, 16, v2
	global_store_dword v[0:1], v2, off
	s_mov_b64 s[0:1], 0
	s_branch .LBB38_903
.LBB38_898:
	s_or_b64 exec, exec, s[16:17]
	s_and_saveexec_b64 s[0:1], s[14:15]
	s_cbranch_execnz .LBB38_971
.LBB38_899:
	s_or_b64 exec, exec, s[0:1]
	s_and_saveexec_b64 s[0:1], s[22:23]
	s_xor_b64 s[0:1], exec, s[0:1]
	s_cbranch_execz .LBB38_972
.LBB38_900:
	s_waitcnt vmcnt(0)
	v_mov_b32_e32 v2, 0
	v_cmp_ne_u16_sdwa s[6:7], v3, v2 src0_sel:BYTE_0 src1_sel:DWORD
	v_cndmask_b32_e64 v2, 0, 1, s[6:7]
	global_store_byte v[0:1], v2, off
	s_or_b64 exec, exec, s[0:1]
	s_and_saveexec_b64 s[0:1], s[20:21]
	s_xor_b64 s[0:1], exec, s[0:1]
	s_cbranch_execz .LBB38_1010
	s_branch .LBB38_973
.LBB38_901:
	s_mov_b64 s[6:7], -1
	s_mov_b64 s[0:1], s[14:15]
	s_branch .LBB38_970
.LBB38_902:
	s_mov_b64 s[6:7], 0
.LBB38_903:
	s_and_b64 vcc, exec, s[6:7]
	s_cbranch_vccz .LBB38_908
; %bb.904:
	s_cmp_eq_u32 s27, 44
	s_mov_b64 s[0:1], -1
	s_cbranch_scc0 .LBB38_908
; %bb.905:
	v_bfe_i32 v2, v3, 0, 8
	v_cvt_f32_i32_sdwa v2, sext(v2) dst_sel:DWORD dst_unused:UNUSED_PAD src0_sel:WORD_0
	s_movk_i32 s0, 0xff
	v_mov_b32_e32 v5, 0xff
	v_bfe_u32 v4, v2, 23, 8
	v_cmp_ne_u32_e32 vcc, s0, v4
	s_and_saveexec_b64 s[6:7], vcc
; %bb.906:
	s_mov_b32 s0, 0x3fffff
	v_lshrrev_b32_e32 v5, 23, v2
	v_and_b32_e32 v6, 0x400000, v2
	v_and_or_b32 v2, v2, s0, v4
	v_cmp_ne_u32_e32 vcc, 0, v6
	v_cmp_ne_u32_e64 s[0:1], 0, v2
	s_and_b64 s[0:1], vcc, s[0:1]
	v_cndmask_b32_e64 v2, 0, 1, s[0:1]
	v_add_u32_e32 v5, v5, v2
; %bb.907:
	s_or_b64 exec, exec, s[6:7]
	s_mov_b64 s[0:1], 0
	global_store_byte v[0:1], v5, off
.LBB38_908:
	s_mov_b64 s[6:7], 0
.LBB38_909:
	s_and_b64 vcc, exec, s[6:7]
	s_cbranch_vccz .LBB38_912
; %bb.910:
	s_cmp_eq_u32 s27, 29
	s_mov_b64 s[0:1], -1
	s_cbranch_scc0 .LBB38_912
; %bb.911:
	v_bfe_i32 v4, v3, 0, 8
	v_ashrrev_i32_e32 v5, 31, v4
	global_store_dwordx2 v[0:1], v[4:5], off
	s_mov_b64 s[0:1], 0
.LBB38_912:
	s_mov_b64 s[6:7], 0
.LBB38_913:
	s_and_b64 vcc, exec, s[6:7]
	s_cbranch_vccz .LBB38_928
; %bb.914:
	s_cmp_lt_i32 s27, 27
	s_mov_b64 s[6:7], -1
	s_cbranch_scc1 .LBB38_920
; %bb.915:
	s_cmp_gt_i32 s27, 27
	s_cbranch_scc0 .LBB38_917
; %bb.916:
	v_bfe_i32 v2, v3, 0, 8
	s_mov_b64 s[6:7], 0
	global_store_dword v[0:1], v2, off
.LBB38_917:
	s_andn2_b64 vcc, exec, s[6:7]
	s_cbranch_vccnz .LBB38_919
; %bb.918:
	v_bfe_i32 v2, v3, 0, 8
	global_store_short v[0:1], v2, off
.LBB38_919:
	s_mov_b64 s[6:7], 0
.LBB38_920:
	s_andn2_b64 vcc, exec, s[6:7]
	s_cbranch_vccnz .LBB38_928
; %bb.921:
	v_bfe_i32 v2, v3, 0, 8
	v_cvt_f32_i32_sdwa v2, sext(v2) dst_sel:DWORD dst_unused:UNUSED_PAD src0_sel:WORD_0
	s_mov_b32 s6, 0x43800000
	v_mov_b32_e32 v5, 0x80
	v_and_b32_e32 v4, 0x7fffffff, v2
	v_cmp_gt_u32_e32 vcc, s6, v4
	s_and_saveexec_b64 s[6:7], vcc
	s_cbranch_execz .LBB38_927
; %bb.922:
	s_mov_b32 s20, 0x3bffffff
	v_cmp_lt_u32_e32 vcc, s20, v4
	s_mov_b64 s[20:21], 0
                                        ; implicit-def: $vgpr4
	s_and_saveexec_b64 s[22:23], vcc
	s_xor_b64 s[22:23], exec, s[22:23]
	s_cbranch_execz .LBB38_1025
; %bb.923:
	v_bfe_u32 v4, v2, 20, 1
	s_mov_b32 s24, 0x487ffff
	v_add3_u32 v4, v2, v4, s24
	s_mov_b64 s[20:21], exec
	v_lshrrev_b32_e32 v4, 20, v4
	s_andn2_saveexec_b64 s[22:23], s[22:23]
	s_cbranch_execnz .LBB38_1026
.LBB38_924:
	s_or_b64 exec, exec, s[22:23]
	v_mov_b32_e32 v5, 0
	s_and_saveexec_b64 s[22:23], s[20:21]
.LBB38_925:
	v_lshrrev_b32_e32 v2, 24, v2
	s_movk_i32 s20, 0x80
	v_and_or_b32 v5, v2, s20, v4
.LBB38_926:
	s_or_b64 exec, exec, s[22:23]
.LBB38_927:
	s_or_b64 exec, exec, s[6:7]
	global_store_byte v[0:1], v5, off
.LBB38_928:
	s_mov_b64 s[20:21], 0
.LBB38_929:
	s_mov_b64 s[6:7], 0
	s_and_b64 vcc, exec, s[20:21]
	s_cbranch_vccz .LBB38_969
; %bb.930:
	s_cmp_gt_i32 s27, 22
	s_mov_b64 s[20:21], -1
	s_cbranch_scc0 .LBB38_962
; %bb.931:
	s_cmp_lt_i32 s27, 24
	s_cbranch_scc1 .LBB38_951
; %bb.932:
	s_cmp_gt_i32 s27, 24
	s_cbranch_scc0 .LBB38_940
; %bb.933:
	v_bfe_i32 v2, v3, 0, 8
	v_cvt_f32_i32_sdwa v2, sext(v2) dst_sel:DWORD dst_unused:UNUSED_PAD src0_sel:WORD_0
	s_mov_b32 s20, 0x47800000
	v_mov_b32_e32 v5, 0x80
	v_and_b32_e32 v4, 0x7fffffff, v2
	v_cmp_gt_u32_e32 vcc, s20, v4
	s_and_saveexec_b64 s[20:21], vcc
	s_cbranch_execz .LBB38_939
; %bb.934:
	s_mov_b32 s22, 0x37ffffff
	v_cmp_lt_u32_e32 vcc, s22, v4
	s_mov_b64 s[22:23], 0
                                        ; implicit-def: $vgpr4
	s_and_saveexec_b64 s[24:25], vcc
	s_xor_b64 s[24:25], exec, s[24:25]
	s_cbranch_execz .LBB38_1145
; %bb.935:
	v_bfe_u32 v4, v2, 21, 1
	s_mov_b32 s28, 0x88fffff
	v_add3_u32 v4, v2, v4, s28
	s_mov_b64 s[22:23], exec
	v_lshrrev_b32_e32 v4, 21, v4
	s_andn2_saveexec_b64 s[24:25], s[24:25]
	s_cbranch_execnz .LBB38_1146
.LBB38_936:
	s_or_b64 exec, exec, s[24:25]
	v_mov_b32_e32 v5, 0
	s_and_saveexec_b64 s[24:25], s[22:23]
.LBB38_937:
	v_lshrrev_b32_e32 v2, 24, v2
	s_movk_i32 s22, 0x80
	v_and_or_b32 v5, v2, s22, v4
.LBB38_938:
	s_or_b64 exec, exec, s[24:25]
.LBB38_939:
	s_or_b64 exec, exec, s[20:21]
	s_mov_b64 s[20:21], 0
	global_store_byte v[0:1], v5, off
.LBB38_940:
	s_and_b64 vcc, exec, s[20:21]
	s_cbranch_vccz .LBB38_950
; %bb.941:
	v_bfe_i32 v2, v3, 0, 8
	v_cvt_f32_i32_sdwa v2, sext(v2) dst_sel:DWORD dst_unused:UNUSED_PAD src0_sel:WORD_0
	s_mov_b32 s20, 0x43f00000
                                        ; implicit-def: $vgpr4
	v_and_b32_e32 v5, 0x7fffffff, v2
	v_cmp_gt_u32_e32 vcc, s20, v5
	s_and_saveexec_b64 s[20:21], vcc
	s_xor_b64 s[20:21], exec, s[20:21]
	s_cbranch_execz .LBB38_947
; %bb.942:
	s_mov_b32 s22, 0x3c7fffff
	v_cmp_lt_u32_e32 vcc, s22, v5
                                        ; implicit-def: $vgpr4
	s_and_saveexec_b64 s[22:23], vcc
	s_xor_b64 s[22:23], exec, s[22:23]
; %bb.943:
	v_bfe_u32 v4, v2, 20, 1
	s_mov_b32 s24, 0x407ffff
	v_add3_u32 v4, v2, v4, s24
	v_lshrrev_b32_e32 v5, 20, v4
	v_and_b32_e32 v4, 0xff00000, v4
	s_mov_b32 s24, 0x7f00000
	v_mov_b32_e32 v6, 0x7e
	v_cmp_ne_u32_e32 vcc, s24, v4
	v_cndmask_b32_e32 v4, v6, v5, vcc
; %bb.944:
	s_andn2_saveexec_b64 s[22:23], s[22:23]
; %bb.945:
	s_mov_b32 s24, 0x46800000
	v_add_f32_e64 v4, |v2|, s24
; %bb.946:
	s_or_b64 exec, exec, s[22:23]
                                        ; implicit-def: $vgpr5
.LBB38_947:
	s_andn2_saveexec_b64 s[20:21], s[20:21]
; %bb.948:
	s_mov_b32 s22, 0x7f800000
	v_mov_b32_e32 v4, 0x7e
	v_mov_b32_e32 v6, 0x7f
	v_cmp_lt_u32_e32 vcc, s22, v5
	v_cndmask_b32_e32 v4, v4, v6, vcc
; %bb.949:
	s_or_b64 exec, exec, s[20:21]
	v_lshrrev_b32_e32 v2, 24, v2
	s_movk_i32 s20, 0x80
	v_and_or_b32 v2, v2, s20, v4
	global_store_byte v[0:1], v2, off
.LBB38_950:
	s_mov_b64 s[20:21], 0
.LBB38_951:
	s_andn2_b64 vcc, exec, s[20:21]
	s_cbranch_vccnz .LBB38_961
; %bb.952:
	v_bfe_i32 v2, v3, 0, 8
	v_cvt_f32_i32_sdwa v2, sext(v2) dst_sel:DWORD dst_unused:UNUSED_PAD src0_sel:WORD_0
	s_mov_b32 s20, 0x47800000
                                        ; implicit-def: $vgpr4
	v_and_b32_e32 v5, 0x7fffffff, v2
	v_cmp_gt_u32_e32 vcc, s20, v5
	s_and_saveexec_b64 s[20:21], vcc
	s_xor_b64 s[20:21], exec, s[20:21]
	s_cbranch_execz .LBB38_958
; %bb.953:
	s_mov_b32 s22, 0x387fffff
	v_cmp_lt_u32_e32 vcc, s22, v5
                                        ; implicit-def: $vgpr4
	s_and_saveexec_b64 s[22:23], vcc
	s_xor_b64 s[22:23], exec, s[22:23]
; %bb.954:
	v_bfe_u32 v4, v2, 21, 1
	s_mov_b32 s24, 0x80fffff
	v_add3_u32 v4, v2, v4, s24
	v_lshrrev_b32_e32 v4, 21, v4
; %bb.955:
	s_andn2_saveexec_b64 s[22:23], s[22:23]
; %bb.956:
	s_mov_b32 s24, 0x43000000
	v_add_f32_e64 v4, |v2|, s24
; %bb.957:
	s_or_b64 exec, exec, s[22:23]
                                        ; implicit-def: $vgpr5
.LBB38_958:
	s_andn2_saveexec_b64 s[20:21], s[20:21]
; %bb.959:
	s_mov_b32 s22, 0x7f800000
	v_mov_b32_e32 v4, 0x7c
	v_mov_b32_e32 v6, 0x7f
	v_cmp_lt_u32_e32 vcc, s22, v5
	v_cndmask_b32_e32 v4, v4, v6, vcc
; %bb.960:
	s_or_b64 exec, exec, s[20:21]
	v_lshrrev_b32_e32 v2, 24, v2
	s_movk_i32 s20, 0x80
	v_and_or_b32 v2, v2, s20, v4
	global_store_byte v[0:1], v2, off
.LBB38_961:
	s_mov_b64 s[20:21], 0
.LBB38_962:
	s_andn2_b64 vcc, exec, s[20:21]
	s_mov_b64 s[22:23], 0
	s_cbranch_vccnz .LBB38_970
; %bb.963:
	s_cmp_gt_i32 s27, 14
	s_mov_b64 s[20:21], -1
	s_cbranch_scc0 .LBB38_967
; %bb.964:
	s_cmp_eq_u32 s27, 15
	s_mov_b64 s[0:1], -1
	s_cbranch_scc0 .LBB38_966
; %bb.965:
	v_bfe_i32 v2, v3, 0, 8
	v_cvt_f32_i32_sdwa v2, sext(v2) dst_sel:DWORD dst_unused:UNUSED_PAD src0_sel:WORD_0
	s_movk_i32 s0, 0x7fff
	v_bfe_u32 v4, v2, 16, 1
	v_add3_u32 v2, v2, v4, s0
	global_store_short_d16_hi v[0:1], v2, off
	s_mov_b64 s[0:1], 0
.LBB38_966:
	s_mov_b64 s[20:21], 0
.LBB38_967:
	s_and_b64 vcc, exec, s[20:21]
	s_cbranch_vccz .LBB38_970
; %bb.968:
	s_cmp_lg_u32 s27, 11
	s_cselect_b64 s[20:21], -1, 0
	s_andn2_b64 s[0:1], s[0:1], exec
	s_and_b64 s[20:21], s[20:21], exec
	s_mov_b64 s[22:23], -1
	s_or_b64 s[0:1], s[0:1], s[20:21]
	s_branch .LBB38_970
.LBB38_969:
	s_mov_b64 s[22:23], 0
.LBB38_970:
	s_and_b64 s[20:21], s[6:7], exec
	s_andn2_b64 s[6:7], s[14:15], exec
	s_and_b64 s[0:1], s[0:1], exec
	s_and_b64 s[22:23], s[22:23], exec
	s_or_b64 s[14:15], s[6:7], s[0:1]
	s_or_b64 exec, exec, s[16:17]
	s_and_saveexec_b64 s[0:1], s[14:15]
	s_cbranch_execz .LBB38_899
.LBB38_971:
	s_or_b64 s[18:19], s[18:19], exec
	s_andn2_b64 s[22:23], s[22:23], exec
	s_trap 2
	s_or_b64 exec, exec, s[0:1]
	s_and_saveexec_b64 s[0:1], s[22:23]
	s_xor_b64 s[0:1], exec, s[0:1]
	s_cbranch_execnz .LBB38_900
.LBB38_972:
	s_or_b64 exec, exec, s[0:1]
	s_and_saveexec_b64 s[0:1], s[20:21]
	s_xor_b64 s[0:1], exec, s[0:1]
	s_cbranch_execz .LBB38_1010
.LBB38_973:
	s_sext_i32_i16 s14, s26
	s_cmp_lt_i32 s14, 5
	s_mov_b64 s[6:7], -1
	s_cbranch_scc1 .LBB38_994
; %bb.974:
	s_cmp_lt_i32 s14, 8
	s_cbranch_scc1 .LBB38_984
; %bb.975:
	s_cmp_lt_i32 s14, 9
	s_cbranch_scc1 .LBB38_981
; %bb.976:
	s_cmp_gt_i32 s14, 9
	s_cbranch_scc0 .LBB38_978
; %bb.977:
	s_waitcnt vmcnt(0)
	v_bfe_i32 v2, v3, 0, 8
	v_bfe_i32 v2, v2, 0, 16
	v_cvt_f64_i32_e32 v[4:5], v2
	v_mov_b32_e32 v6, 0
	v_mov_b32_e32 v7, v6
	s_mov_b64 s[6:7], 0
	global_store_dwordx4 v[0:1], v[4:7], off
.LBB38_978:
	s_andn2_b64 vcc, exec, s[6:7]
	s_cbranch_vccnz .LBB38_980
; %bb.979:
	s_waitcnt vmcnt(0)
	v_bfe_i32 v2, v3, 0, 8
	v_cvt_f32_i32_sdwa v4, sext(v2) dst_sel:DWORD dst_unused:UNUSED_PAD src0_sel:WORD_0
	v_mov_b32_e32 v5, 0
	global_store_dwordx2 v[0:1], v[4:5], off
.LBB38_980:
	s_mov_b64 s[6:7], 0
.LBB38_981:
	s_andn2_b64 vcc, exec, s[6:7]
	s_cbranch_vccnz .LBB38_983
; %bb.982:
	s_waitcnt vmcnt(0)
	v_cvt_f16_i16_sdwa v2, sext(v3) dst_sel:DWORD dst_unused:UNUSED_PAD src0_sel:BYTE_0
	global_store_dword v[0:1], v2, off
.LBB38_983:
	s_mov_b64 s[6:7], 0
.LBB38_984:
	s_andn2_b64 vcc, exec, s[6:7]
	s_cbranch_vccnz .LBB38_993
; %bb.985:
	s_sext_i32_i16 s14, s26
	s_cmp_lt_i32 s14, 6
	s_mov_b64 s[6:7], -1
	s_cbranch_scc1 .LBB38_991
; %bb.986:
	s_cmp_gt_i32 s14, 6
	s_cbranch_scc0 .LBB38_988
; %bb.987:
	s_waitcnt vmcnt(0)
	v_bfe_i32 v2, v3, 0, 8
	v_bfe_i32 v2, v2, 0, 16
	v_cvt_f64_i32_e32 v[4:5], v2
	s_mov_b64 s[6:7], 0
	global_store_dwordx2 v[0:1], v[4:5], off
.LBB38_988:
	s_andn2_b64 vcc, exec, s[6:7]
	s_cbranch_vccnz .LBB38_990
; %bb.989:
	s_waitcnt vmcnt(0)
	v_bfe_i32 v2, v3, 0, 8
	v_cvt_f32_i32_sdwa v2, sext(v2) dst_sel:DWORD dst_unused:UNUSED_PAD src0_sel:WORD_0
	global_store_dword v[0:1], v2, off
.LBB38_990:
	s_mov_b64 s[6:7], 0
.LBB38_991:
	s_andn2_b64 vcc, exec, s[6:7]
	s_cbranch_vccnz .LBB38_993
; %bb.992:
	s_waitcnt vmcnt(0)
	v_cvt_f16_i16_sdwa v2, sext(v3) dst_sel:DWORD dst_unused:UNUSED_PAD src0_sel:BYTE_0
	global_store_short v[0:1], v2, off
.LBB38_993:
	s_mov_b64 s[6:7], 0
.LBB38_994:
	s_andn2_b64 vcc, exec, s[6:7]
	s_cbranch_vccnz .LBB38_1010
; %bb.995:
	s_sext_i32_i16 s14, s26
	s_cmp_lt_i32 s14, 2
	s_mov_b64 s[6:7], -1
	s_cbranch_scc1 .LBB38_1005
; %bb.996:
	s_cmp_lt_i32 s14, 3
	s_cbranch_scc1 .LBB38_1002
; %bb.997:
	s_cmp_gt_i32 s14, 3
	s_cbranch_scc0 .LBB38_999
; %bb.998:
	s_waitcnt vmcnt(0)
	v_bfe_i32 v4, v3, 0, 8
	v_ashrrev_i32_e32 v5, 31, v4
	s_mov_b64 s[6:7], 0
	global_store_dwordx2 v[0:1], v[4:5], off
.LBB38_999:
	s_andn2_b64 vcc, exec, s[6:7]
	s_cbranch_vccnz .LBB38_1001
; %bb.1000:
	s_waitcnt vmcnt(0)
	v_bfe_i32 v2, v3, 0, 8
	global_store_dword v[0:1], v2, off
.LBB38_1001:
	s_mov_b64 s[6:7], 0
.LBB38_1002:
	s_andn2_b64 vcc, exec, s[6:7]
	s_cbranch_vccnz .LBB38_1004
; %bb.1003:
	s_waitcnt vmcnt(0)
	v_bfe_i32 v2, v3, 0, 8
	global_store_short v[0:1], v2, off
.LBB38_1004:
	s_mov_b64 s[6:7], 0
.LBB38_1005:
	s_andn2_b64 vcc, exec, s[6:7]
	s_cbranch_vccnz .LBB38_1010
; %bb.1006:
	s_sext_i32_i16 s6, s26
	s_cmp_gt_i32 s6, 0
	s_mov_b64 s[6:7], -1
	s_cbranch_scc0 .LBB38_1008
; %bb.1007:
	s_mov_b64 s[6:7], 0
	s_waitcnt vmcnt(0)
	global_store_byte v[0:1], v3, off
.LBB38_1008:
	s_andn2_b64 vcc, exec, s[6:7]
	s_cbranch_vccnz .LBB38_1010
; %bb.1009:
	s_waitcnt vmcnt(0)
	global_store_byte v[0:1], v3, off
.LBB38_1010:
	s_or_b64 exec, exec, s[0:1]
	s_and_b64 s[6:7], s[18:19], exec
                                        ; implicit-def: $vgpr9
.LBB38_1011:
	s_or_saveexec_b64 s[4:5], s[4:5]
	s_mov_b64 s[0:1], 0
                                        ; implicit-def: $sgpr22
                                        ; implicit-def: $vgpr0_vgpr1
                                        ; implicit-def: $vgpr2
	s_xor_b64 exec, exec, s[4:5]
	s_cbranch_execz .LBB38_1942
; %bb.1012:
	s_waitcnt vmcnt(0)
	v_mul_lo_u32 v2, s3, v9
	v_mov_b32_e32 v1, s11
	s_and_b32 s20, s45, 0xff
	s_cmp_lt_i32 s20, 11
	v_ashrrev_i32_e32 v3, 31, v2
	v_add_co_u32_e32 v0, vcc, s10, v2
	v_addc_co_u32_e32 v1, vcc, v1, v3, vcc
	s_cbranch_scc1 .LBB38_1019
; %bb.1013:
	s_and_b32 s18, 0xffff, s20
	s_cmp_gt_i32 s18, 25
	s_cbranch_scc0 .LBB38_1021
; %bb.1014:
	s_cmp_gt_i32 s18, 28
	s_cbranch_scc0 .LBB38_1022
; %bb.1015:
	;; [unrolled: 3-line block ×4, first 2 shown]
	s_cmp_eq_u32 s18, 46
	s_mov_b64 s[14:15], 0
	s_cbranch_scc0 .LBB38_1027
; %bb.1018:
	global_load_dword v3, v[0:1], off
	s_mov_b64 s[16:17], -1
	s_waitcnt vmcnt(0)
	v_lshlrev_b32_e32 v3, 16, v3
	v_cvt_i32_f32_e32 v6, v3
	s_branch .LBB38_1028
.LBB38_1019:
	s_mov_b64 s[16:17], 0
                                        ; implicit-def: $vgpr6
	s_mov_b64 s[14:15], s[6:7]
	s_cbranch_execnz .LBB38_1086
.LBB38_1020:
	s_andn2_b64 vcc, exec, s[16:17]
	s_cbranch_vccz .LBB38_1131
	s_branch .LBB38_1940
.LBB38_1021:
	s_mov_b64 s[16:17], 0
                                        ; implicit-def: $vgpr6
	s_cbranch_execnz .LBB38_1053
	s_branch .LBB38_1082
.LBB38_1022:
	s_mov_b64 s[16:17], 0
                                        ; implicit-def: $vgpr6
	s_cbranch_execz .LBB38_1052
	s_branch .LBB38_1037
.LBB38_1023:
	s_mov_b64 s[16:17], 0
                                        ; implicit-def: $vgpr6
	s_cbranch_execnz .LBB38_1033
	s_branch .LBB38_1036
.LBB38_1024:
	s_mov_b64 s[14:15], -1
	s_mov_b64 s[16:17], 0
                                        ; implicit-def: $vgpr6
	s_branch .LBB38_1028
.LBB38_1025:
	s_andn2_saveexec_b64 s[22:23], s[22:23]
	s_cbranch_execz .LBB38_924
.LBB38_1026:
	s_mov_b32 s24, 0x46000000
	v_add_f32_e64 v4, |v2|, s24
	v_and_b32_e32 v4, 0xff, v4
	v_cmp_ne_u32_e32 vcc, 0, v4
	s_andn2_b64 s[20:21], s[20:21], exec
	s_and_b64 s[24:25], vcc, exec
	s_or_b64 s[20:21], s[20:21], s[24:25]
	s_or_b64 exec, exec, s[22:23]
	v_mov_b32_e32 v5, 0
	s_and_saveexec_b64 s[22:23], s[20:21]
	s_cbranch_execnz .LBB38_925
	s_branch .LBB38_926
.LBB38_1027:
	s_mov_b64 s[0:1], -1
                                        ; implicit-def: $vgpr6
	s_mov_b64 s[16:17], 0
.LBB38_1028:
	s_and_b64 vcc, exec, s[14:15]
	s_cbranch_vccz .LBB38_1031
; %bb.1029:
	s_cmp_eq_u32 s18, 44
	s_cbranch_scc0 .LBB38_1032
; %bb.1030:
	global_load_ubyte v3, v[0:1], off
	s_mov_b64 s[0:1], 0
	s_mov_b64 s[16:17], -1
	s_waitcnt vmcnt(0)
	v_lshlrev_b32_e32 v4, 23, v3
	v_cvt_i32_f32_e32 v4, v4
	v_cmp_ne_u32_e32 vcc, 0, v3
	v_cndmask_b32_e32 v6, 0, v4, vcc
.LBB38_1031:
	s_branch .LBB38_1036
.LBB38_1032:
	s_mov_b64 s[0:1], -1
                                        ; implicit-def: $vgpr6
	s_branch .LBB38_1036
.LBB38_1033:
	s_cmp_eq_u32 s18, 29
	s_cbranch_scc0 .LBB38_1035
; %bb.1034:
	global_load_dwordx2 v[6:7], v[0:1], off
	s_mov_b64 s[0:1], 0
	s_mov_b64 s[16:17], -1
	s_branch .LBB38_1036
.LBB38_1035:
	s_mov_b64 s[0:1], -1
                                        ; implicit-def: $vgpr6
.LBB38_1036:
	s_branch .LBB38_1052
.LBB38_1037:
	s_cmp_lt_i32 s18, 27
	s_cbranch_scc1 .LBB38_1040
; %bb.1038:
	s_cmp_gt_i32 s18, 27
	s_cbranch_scc0 .LBB38_1041
; %bb.1039:
	global_load_dword v6, v[0:1], off
	s_mov_b64 s[14:15], 0
	s_branch .LBB38_1042
.LBB38_1040:
	s_mov_b64 s[14:15], -1
                                        ; implicit-def: $vgpr6
	s_branch .LBB38_1045
.LBB38_1041:
	s_mov_b64 s[14:15], -1
                                        ; implicit-def: $vgpr6
.LBB38_1042:
	s_andn2_b64 vcc, exec, s[14:15]
	s_cbranch_vccnz .LBB38_1044
; %bb.1043:
	global_load_ushort v6, v[0:1], off
.LBB38_1044:
	s_mov_b64 s[14:15], 0
.LBB38_1045:
	s_andn2_b64 vcc, exec, s[14:15]
	s_cbranch_vccnz .LBB38_1051
; %bb.1046:
	global_load_ubyte v3, v[0:1], off
	s_movk_i32 s14, 0x7f
	s_mov_b64 s[16:17], 0
	s_waitcnt vmcnt(0)
	v_cmp_lt_i16_e32 vcc, s14, v3
	s_and_saveexec_b64 s[14:15], vcc
	s_xor_b64 s[14:15], exec, s[14:15]
	s_cbranch_execz .LBB38_1062
; %bb.1047:
	s_movk_i32 s16, 0x80
	v_cmp_ne_u16_e32 vcc, s16, v3
	s_and_b64 s[16:17], vcc, exec
	s_andn2_saveexec_b64 s[14:15], s[14:15]
	s_cbranch_execnz .LBB38_1063
.LBB38_1048:
	s_or_b64 exec, exec, s[14:15]
	v_mov_b32_e32 v6, 0
	s_and_saveexec_b64 s[14:15], s[16:17]
	s_cbranch_execz .LBB38_1050
.LBB38_1049:
	v_lshlrev_b32_e32 v4, 24, v3
	v_and_b32_e32 v3, 0xffff, v3
	v_and_b32_e32 v5, 7, v3
	v_ffbh_u32_e32 v7, v5
	v_min_u32_e32 v7, 32, v7
	v_subrev_u32_e32 v8, 28, v7
	v_bfe_u32 v6, v3, 3, 4
	v_lshlrev_b32_e32 v3, v8, v3
	v_sub_u32_e32 v7, 29, v7
	v_and_b32_e32 v3, 7, v3
	v_cmp_eq_u32_e32 vcc, 0, v6
	v_cndmask_b32_e32 v6, v6, v7, vcc
	v_cndmask_b32_e32 v3, v5, v3, vcc
	v_mov_b32_e32 v5, 0x3b800000
	v_lshlrev_b32_e32 v3, 20, v3
	v_and_b32_e32 v4, 0x80000000, v4
	v_lshl_add_u32 v5, v6, 23, v5
	v_or3_b32 v3, v4, v5, v3
	v_cvt_i32_f32_e32 v6, v3
.LBB38_1050:
	s_or_b64 exec, exec, s[14:15]
.LBB38_1051:
	s_mov_b64 s[16:17], -1
.LBB38_1052:
	s_branch .LBB38_1082
.LBB38_1053:
	s_cmp_gt_i32 s18, 22
	s_cbranch_scc0 .LBB38_1061
; %bb.1054:
	s_cmp_lt_i32 s18, 24
	s_cbranch_scc1 .LBB38_1064
; %bb.1055:
	s_cmp_gt_i32 s18, 24
	s_cbranch_scc0 .LBB38_1065
; %bb.1056:
	global_load_ubyte v3, v[0:1], off
	s_movk_i32 s12, 0x7f
	s_mov_b64 s[14:15], 0
	s_waitcnt vmcnt(0)
	v_cmp_lt_i16_e32 vcc, s12, v3
	s_and_saveexec_b64 s[12:13], vcc
	s_xor_b64 s[12:13], exec, s[12:13]
	s_cbranch_execz .LBB38_1076
; %bb.1057:
	s_movk_i32 s14, 0x80
	v_cmp_ne_u16_e32 vcc, s14, v3
	s_and_b64 s[14:15], vcc, exec
	s_andn2_saveexec_b64 s[12:13], s[12:13]
	s_cbranch_execnz .LBB38_1077
.LBB38_1058:
	s_or_b64 exec, exec, s[12:13]
	v_mov_b32_e32 v6, 0
	s_and_saveexec_b64 s[12:13], s[14:15]
	s_cbranch_execz .LBB38_1060
.LBB38_1059:
	v_lshlrev_b32_e32 v4, 24, v3
	v_and_b32_e32 v3, 0xffff, v3
	v_and_b32_e32 v5, 3, v3
	v_ffbh_u32_e32 v7, v5
	v_min_u32_e32 v7, 32, v7
	v_subrev_u32_e32 v8, 29, v7
	v_bfe_u32 v6, v3, 2, 5
	v_lshlrev_b32_e32 v3, v8, v3
	v_sub_u32_e32 v7, 30, v7
	v_and_b32_e32 v3, 3, v3
	v_cmp_eq_u32_e32 vcc, 0, v6
	v_cndmask_b32_e32 v6, v6, v7, vcc
	v_cndmask_b32_e32 v3, v5, v3, vcc
	v_mov_b32_e32 v5, 0x37800000
	v_lshlrev_b32_e32 v3, 21, v3
	v_and_b32_e32 v4, 0x80000000, v4
	v_lshl_add_u32 v5, v6, 23, v5
	v_or3_b32 v3, v4, v5, v3
	v_cvt_i32_f32_e32 v6, v3
.LBB38_1060:
	s_or_b64 exec, exec, s[12:13]
	s_mov_b64 s[12:13], 0
	s_branch .LBB38_1066
.LBB38_1061:
                                        ; implicit-def: $vgpr6
	s_mov_b64 s[12:13], 0
	s_branch .LBB38_1072
.LBB38_1062:
	s_andn2_saveexec_b64 s[14:15], s[14:15]
	s_cbranch_execz .LBB38_1048
.LBB38_1063:
	v_cmp_ne_u16_e32 vcc, 0, v3
	s_andn2_b64 s[16:17], s[16:17], exec
	s_and_b64 s[22:23], vcc, exec
	s_or_b64 s[16:17], s[16:17], s[22:23]
	s_or_b64 exec, exec, s[14:15]
	v_mov_b32_e32 v6, 0
	s_and_saveexec_b64 s[14:15], s[16:17]
	s_cbranch_execnz .LBB38_1049
	s_branch .LBB38_1050
.LBB38_1064:
	s_mov_b64 s[12:13], -1
                                        ; implicit-def: $vgpr6
	s_branch .LBB38_1069
.LBB38_1065:
	s_mov_b64 s[12:13], -1
                                        ; implicit-def: $vgpr6
.LBB38_1066:
	s_and_b64 vcc, exec, s[12:13]
	s_cbranch_vccz .LBB38_1068
; %bb.1067:
	global_load_ubyte v3, v[0:1], off
	s_mov_b32 s12, 0x7f800000
	s_waitcnt vmcnt(0)
	v_lshlrev_b32_e32 v3, 24, v3
	v_and_b32_e32 v4, 0x7f000000, v3
	v_ffbh_u32_e32 v5, v4
	v_min_u32_e32 v5, 32, v5
	v_sub_u32_e64 v5, v5, 4 clamp
	v_lshlrev_b32_e32 v7, v5, v4
	v_lshlrev_b32_e32 v5, 23, v5
	v_lshrrev_b32_e32 v7, 4, v7
	v_add_u32_e32 v6, 0x1000000, v4
	v_sub_u32_e32 v5, v7, v5
	v_ashrrev_i32_e32 v6, 8, v6
	v_add_u32_e32 v5, 0x3c000000, v5
	v_and_or_b32 v5, v6, s12, v5
	v_cmp_ne_u32_e32 vcc, 0, v4
	v_cndmask_b32_e32 v4, 0, v5, vcc
	s_brev_b32 s12, 1
	v_and_or_b32 v3, v3, s12, v4
	v_cvt_i32_f32_e32 v6, v3
.LBB38_1068:
	s_mov_b64 s[12:13], 0
.LBB38_1069:
	s_andn2_b64 vcc, exec, s[12:13]
	s_cbranch_vccnz .LBB38_1071
; %bb.1070:
	global_load_ubyte v3, v[0:1], off
	s_movk_i32 s12, 0x7f00
	s_brev_b32 s13, 16
	s_waitcnt vmcnt(0)
	v_lshlrev_b16_e32 v4, 8, v3
	v_lshlrev_b32_e32 v3, 25, v3
	v_lshrrev_b32_e32 v5, 4, v3
	v_and_or_b32 v6, v4, s12, 0.5
	v_or_b32_e32 v5, 0x70000000, v5
	v_add_f32_e32 v6, -0.5, v6
	v_mul_f32_e32 v5, 0x7800000, v5
	v_cmp_gt_u32_e32 vcc, s13, v3
	v_bfe_i32 v4, v4, 0, 16
	v_cndmask_b32_e32 v3, v5, v6, vcc
	s_brev_b32 s12, 1
	v_and_or_b32 v3, v4, s12, v3
	v_cvt_i32_f32_e32 v6, v3
.LBB38_1071:
	s_mov_b64 s[16:17], -1
	s_mov_b64 s[12:13], 0
	s_cbranch_execnz .LBB38_1082
.LBB38_1072:
	s_cmp_gt_i32 s18, 14
	s_cbranch_scc0 .LBB38_1075
; %bb.1073:
	s_cmp_eq_u32 s18, 15
	s_cbranch_scc0 .LBB38_1078
; %bb.1074:
	global_load_ushort v3, v[0:1], off
	s_mov_b64 s[0:1], 0
	s_mov_b64 s[16:17], -1
	s_waitcnt vmcnt(0)
	v_lshlrev_b32_e32 v3, 16, v3
	v_cvt_i32_f32_e32 v6, v3
	s_branch .LBB38_1079
.LBB38_1075:
	s_mov_b64 s[14:15], -1
                                        ; implicit-def: $vgpr6
	s_branch .LBB38_1080
.LBB38_1076:
	s_andn2_saveexec_b64 s[12:13], s[12:13]
	s_cbranch_execz .LBB38_1058
.LBB38_1077:
	v_cmp_ne_u16_e32 vcc, 0, v3
	s_andn2_b64 s[14:15], s[14:15], exec
	s_and_b64 s[16:17], vcc, exec
	s_or_b64 s[14:15], s[14:15], s[16:17]
	s_or_b64 exec, exec, s[12:13]
	v_mov_b32_e32 v6, 0
	s_and_saveexec_b64 s[12:13], s[14:15]
	s_cbranch_execnz .LBB38_1059
	s_branch .LBB38_1060
.LBB38_1078:
	s_mov_b64 s[0:1], -1
                                        ; implicit-def: $vgpr6
.LBB38_1079:
	s_mov_b64 s[14:15], 0
.LBB38_1080:
	s_and_b64 vcc, exec, s[14:15]
	s_cbranch_vccz .LBB38_1082
; %bb.1081:
	s_cmp_lg_u32 s18, 11
	s_mov_b64 s[12:13], -1
	s_cselect_b64 s[0:1], -1, 0
.LBB38_1082:
	s_and_b64 vcc, exec, s[0:1]
	s_mov_b64 s[14:15], s[6:7]
	s_cbranch_vccnz .LBB38_1143
; %bb.1083:
	s_andn2_b64 vcc, exec, s[12:13]
	s_cbranch_vccnz .LBB38_1085
.LBB38_1084:
	global_load_ubyte v3, v[0:1], off
	s_mov_b64 s[16:17], -1
	s_waitcnt vmcnt(0)
	v_cmp_ne_u16_e32 vcc, 0, v3
	v_cndmask_b32_e64 v6, 0, 1, vcc
.LBB38_1085:
	s_branch .LBB38_1020
.LBB38_1086:
	s_and_b32 s12, 0xffff, s20
	s_cmp_lt_i32 s12, 5
	s_cbranch_scc1 .LBB38_1091
; %bb.1087:
	s_cmp_lt_i32 s12, 8
	s_cbranch_scc1 .LBB38_1092
; %bb.1088:
	;; [unrolled: 3-line block ×3, first 2 shown]
	s_cmp_gt_i32 s12, 9
	s_cbranch_scc0 .LBB38_1094
; %bb.1090:
	global_load_dwordx2 v[3:4], v[0:1], off
	s_mov_b64 s[0:1], 0
	s_waitcnt vmcnt(0)
	v_cvt_i32_f64_e32 v6, v[3:4]
	s_branch .LBB38_1095
.LBB38_1091:
                                        ; implicit-def: $vgpr6
	s_branch .LBB38_1112
.LBB38_1092:
                                        ; implicit-def: $vgpr6
	s_branch .LBB38_1101
.LBB38_1093:
	s_mov_b64 s[0:1], -1
                                        ; implicit-def: $vgpr6
	s_branch .LBB38_1098
.LBB38_1094:
	s_mov_b64 s[0:1], -1
                                        ; implicit-def: $vgpr6
.LBB38_1095:
	s_andn2_b64 vcc, exec, s[0:1]
	s_cbranch_vccnz .LBB38_1097
; %bb.1096:
	global_load_dword v3, v[0:1], off
	s_waitcnt vmcnt(0)
	v_cvt_i32_f32_e32 v6, v3
.LBB38_1097:
	s_mov_b64 s[0:1], 0
.LBB38_1098:
	s_andn2_b64 vcc, exec, s[0:1]
	s_cbranch_vccnz .LBB38_1100
; %bb.1099:
	global_load_dword v3, v[0:1], off
	s_waitcnt vmcnt(0)
	v_cvt_i16_f16_e32 v6, v3
.LBB38_1100:
	s_cbranch_execnz .LBB38_1111
.LBB38_1101:
	s_cmp_lt_i32 s12, 6
	s_cbranch_scc1 .LBB38_1104
; %bb.1102:
	s_cmp_gt_i32 s12, 6
	s_cbranch_scc0 .LBB38_1105
; %bb.1103:
	global_load_dwordx2 v[3:4], v[0:1], off
	s_mov_b64 s[0:1], 0
	s_waitcnt vmcnt(0)
	v_cvt_i32_f64_e32 v6, v[3:4]
	s_branch .LBB38_1106
.LBB38_1104:
	s_mov_b64 s[0:1], -1
                                        ; implicit-def: $vgpr6
	s_branch .LBB38_1109
.LBB38_1105:
	s_mov_b64 s[0:1], -1
                                        ; implicit-def: $vgpr6
.LBB38_1106:
	s_andn2_b64 vcc, exec, s[0:1]
	s_cbranch_vccnz .LBB38_1108
; %bb.1107:
	global_load_dword v3, v[0:1], off
	s_waitcnt vmcnt(0)
	v_cvt_i32_f32_e32 v6, v3
.LBB38_1108:
	s_mov_b64 s[0:1], 0
.LBB38_1109:
	s_andn2_b64 vcc, exec, s[0:1]
	s_cbranch_vccnz .LBB38_1111
; %bb.1110:
	global_load_ushort v3, v[0:1], off
	s_waitcnt vmcnt(0)
	v_cvt_i16_f16_e32 v6, v3
.LBB38_1111:
	s_cbranch_execnz .LBB38_1130
.LBB38_1112:
	s_cmp_lt_i32 s12, 2
	s_cbranch_scc1 .LBB38_1116
; %bb.1113:
	s_cmp_lt_i32 s12, 3
	s_cbranch_scc1 .LBB38_1117
; %bb.1114:
	s_cmp_gt_i32 s12, 3
	s_cbranch_scc0 .LBB38_1118
; %bb.1115:
	global_load_dwordx2 v[6:7], v[0:1], off
	s_mov_b64 s[0:1], 0
	s_branch .LBB38_1119
.LBB38_1116:
                                        ; implicit-def: $vgpr6
	s_branch .LBB38_1125
.LBB38_1117:
	s_mov_b64 s[0:1], -1
                                        ; implicit-def: $vgpr6
	s_branch .LBB38_1122
.LBB38_1118:
	s_mov_b64 s[0:1], -1
                                        ; implicit-def: $vgpr6
.LBB38_1119:
	s_andn2_b64 vcc, exec, s[0:1]
	s_cbranch_vccnz .LBB38_1121
; %bb.1120:
	global_load_dword v6, v[0:1], off
.LBB38_1121:
	s_mov_b64 s[0:1], 0
.LBB38_1122:
	s_andn2_b64 vcc, exec, s[0:1]
	s_cbranch_vccnz .LBB38_1124
; %bb.1123:
	global_load_ushort v6, v[0:1], off
.LBB38_1124:
	s_cbranch_execnz .LBB38_1130
.LBB38_1125:
	s_cmp_gt_i32 s12, 0
	s_cbranch_scc0 .LBB38_1127
; %bb.1126:
	global_load_ubyte v6, v[0:1], off
	s_mov_b64 s[0:1], 0
	s_branch .LBB38_1128
.LBB38_1127:
	s_mov_b64 s[0:1], -1
                                        ; implicit-def: $vgpr6
.LBB38_1128:
	s_andn2_b64 vcc, exec, s[0:1]
	s_cbranch_vccnz .LBB38_1130
; %bb.1129:
	global_load_ubyte v6, v[0:1], off
.LBB38_1130:
.LBB38_1131:
	s_lshl_b32 s3, s3, 7
	v_add_u32_e32 v2, s3, v2
	v_ashrrev_i32_e32 v1, 31, v2
	v_mov_b32_e32 v3, s11
	v_add_co_u32_e32 v0, vcc, s10, v2
	s_cmp_lt_i32 s20, 11
	v_addc_co_u32_e32 v1, vcc, v3, v1, vcc
	s_cbranch_scc1 .LBB38_1138
; %bb.1132:
	s_and_b32 s21, 0xffff, s20
	s_cmp_gt_i32 s21, 25
	s_mov_b64 s[12:13], 0
	s_cbranch_scc0 .LBB38_1140
; %bb.1133:
	s_cmp_gt_i32 s21, 28
	s_cbranch_scc0 .LBB38_1141
; %bb.1134:
	s_cmp_gt_i32 s21, 43
	;; [unrolled: 3-line block ×3, first 2 shown]
	s_cbranch_scc0 .LBB38_1144
; %bb.1136:
	s_cmp_eq_u32 s21, 46
	s_mov_b64 s[18:19], 0
	s_cbranch_scc0 .LBB38_1147
; %bb.1137:
	global_load_dword v3, v[0:1], off
	s_mov_b64 s[0:1], 0
	s_mov_b64 s[16:17], -1
	s_waitcnt vmcnt(0)
	v_lshlrev_b32_e32 v3, 16, v3
	v_cvt_i32_f32_e32 v4, v3
	s_branch .LBB38_1148
.LBB38_1138:
	s_mov_b64 s[16:17], 0
                                        ; implicit-def: $vgpr4
	s_cbranch_execnz .LBB38_1209
.LBB38_1139:
	s_andn2_b64 vcc, exec, s[16:17]
	s_cbranch_vccnz .LBB38_1940
	s_branch .LBB38_1256
.LBB38_1140:
	s_mov_b64 s[16:17], 0
	s_mov_b64 s[0:1], 0
                                        ; implicit-def: $vgpr4
	s_cbranch_execnz .LBB38_1175
	s_branch .LBB38_1205
.LBB38_1141:
	s_mov_b64 s[18:19], -1
	s_mov_b64 s[16:17], 0
	s_mov_b64 s[0:1], 0
                                        ; implicit-def: $vgpr4
	s_branch .LBB38_1158
.LBB38_1142:
	s_mov_b64 s[18:19], -1
	s_mov_b64 s[16:17], 0
	s_mov_b64 s[0:1], 0
                                        ; implicit-def: $vgpr4
	s_branch .LBB38_1153
.LBB38_1143:
	s_or_b64 s[14:15], s[6:7], exec
	s_trap 2
	s_cbranch_execz .LBB38_1084
	s_branch .LBB38_1085
.LBB38_1144:
	s_mov_b64 s[18:19], -1
	s_mov_b64 s[16:17], 0
	s_mov_b64 s[0:1], 0
                                        ; implicit-def: $vgpr4
	s_branch .LBB38_1148
.LBB38_1145:
	s_andn2_saveexec_b64 s[24:25], s[24:25]
	s_cbranch_execz .LBB38_936
.LBB38_1146:
	s_mov_b32 s28, 0x42800000
	v_add_f32_e64 v4, |v2|, s28
	v_and_b32_e32 v4, 0xff, v4
	v_cmp_ne_u32_e32 vcc, 0, v4
	s_andn2_b64 s[22:23], s[22:23], exec
	s_and_b64 s[28:29], vcc, exec
	s_or_b64 s[22:23], s[22:23], s[28:29]
	s_or_b64 exec, exec, s[24:25]
	v_mov_b32_e32 v5, 0
	s_and_saveexec_b64 s[24:25], s[22:23]
	s_cbranch_execnz .LBB38_937
	s_branch .LBB38_938
.LBB38_1147:
	s_mov_b64 s[0:1], -1
                                        ; implicit-def: $vgpr4
	s_mov_b64 s[16:17], 0
.LBB38_1148:
	s_and_b64 vcc, exec, s[18:19]
	s_cbranch_vccz .LBB38_1152
; %bb.1149:
	s_cmp_eq_u32 s21, 44
	s_cbranch_scc0 .LBB38_1151
; %bb.1150:
	global_load_ubyte v3, v[0:1], off
	s_mov_b64 s[0:1], 0
	s_mov_b64 s[16:17], -1
	s_waitcnt vmcnt(0)
	v_lshlrev_b32_e32 v4, 23, v3
	v_cvt_i32_f32_e32 v4, v4
	v_cmp_ne_u32_e32 vcc, 0, v3
	v_cndmask_b32_e32 v4, 0, v4, vcc
	s_branch .LBB38_1152
.LBB38_1151:
	s_mov_b64 s[0:1], -1
                                        ; implicit-def: $vgpr4
.LBB38_1152:
	s_mov_b64 s[18:19], 0
.LBB38_1153:
	s_and_b64 vcc, exec, s[18:19]
	s_cbranch_vccz .LBB38_1157
; %bb.1154:
	s_cmp_eq_u32 s21, 29
	s_cbranch_scc0 .LBB38_1156
; %bb.1155:
	global_load_dwordx2 v[4:5], v[0:1], off
	s_mov_b64 s[0:1], 0
	s_mov_b64 s[16:17], -1
	s_branch .LBB38_1157
.LBB38_1156:
	s_mov_b64 s[0:1], -1
                                        ; implicit-def: $vgpr4
.LBB38_1157:
	s_mov_b64 s[18:19], 0
.LBB38_1158:
	s_and_b64 vcc, exec, s[18:19]
	s_cbranch_vccz .LBB38_1174
; %bb.1159:
	s_cmp_lt_i32 s21, 27
	s_cbranch_scc1 .LBB38_1162
; %bb.1160:
	s_cmp_gt_i32 s21, 27
	s_cbranch_scc0 .LBB38_1163
; %bb.1161:
	global_load_dword v4, v[0:1], off
	s_mov_b64 s[16:17], 0
	s_branch .LBB38_1164
.LBB38_1162:
	s_mov_b64 s[16:17], -1
                                        ; implicit-def: $vgpr4
	s_branch .LBB38_1167
.LBB38_1163:
	s_mov_b64 s[16:17], -1
                                        ; implicit-def: $vgpr4
.LBB38_1164:
	s_andn2_b64 vcc, exec, s[16:17]
	s_cbranch_vccnz .LBB38_1166
; %bb.1165:
	global_load_ushort v4, v[0:1], off
.LBB38_1166:
	s_mov_b64 s[16:17], 0
.LBB38_1167:
	s_andn2_b64 vcc, exec, s[16:17]
	s_cbranch_vccnz .LBB38_1173
; %bb.1168:
	global_load_ubyte v3, v[0:1], off
	s_movk_i32 s16, 0x7f
	s_mov_b64 s[18:19], 0
	s_waitcnt vmcnt(0)
	v_cmp_lt_i16_e32 vcc, s16, v3
	s_and_saveexec_b64 s[16:17], vcc
	s_xor_b64 s[16:17], exec, s[16:17]
	s_cbranch_execz .LBB38_1184
; %bb.1169:
	s_movk_i32 s18, 0x80
	v_cmp_ne_u16_e32 vcc, s18, v3
	s_and_b64 s[18:19], vcc, exec
	s_andn2_saveexec_b64 s[16:17], s[16:17]
	s_cbranch_execnz .LBB38_1185
.LBB38_1170:
	s_or_b64 exec, exec, s[16:17]
	v_mov_b32_e32 v4, 0
	s_and_saveexec_b64 s[16:17], s[18:19]
	s_cbranch_execz .LBB38_1172
.LBB38_1171:
	v_lshlrev_b32_e32 v4, 24, v3
	v_and_b32_e32 v3, 0xffff, v3
	v_and_b32_e32 v5, 7, v3
	v_ffbh_u32_e32 v8, v5
	v_min_u32_e32 v8, 32, v8
	v_subrev_u32_e32 v10, 28, v8
	v_bfe_u32 v7, v3, 3, 4
	v_lshlrev_b32_e32 v3, v10, v3
	v_sub_u32_e32 v8, 29, v8
	v_and_b32_e32 v3, 7, v3
	v_cmp_eq_u32_e32 vcc, 0, v7
	v_cndmask_b32_e32 v7, v7, v8, vcc
	v_cndmask_b32_e32 v3, v5, v3, vcc
	v_mov_b32_e32 v5, 0x3b800000
	v_lshlrev_b32_e32 v3, 20, v3
	v_and_b32_e32 v4, 0x80000000, v4
	v_lshl_add_u32 v5, v7, 23, v5
	v_or3_b32 v3, v4, v5, v3
	v_cvt_i32_f32_e32 v4, v3
.LBB38_1172:
	s_or_b64 exec, exec, s[16:17]
.LBB38_1173:
	s_mov_b64 s[16:17], -1
.LBB38_1174:
	s_branch .LBB38_1205
.LBB38_1175:
	s_cmp_gt_i32 s21, 22
	s_cbranch_scc0 .LBB38_1183
; %bb.1176:
	s_cmp_lt_i32 s21, 24
	s_cbranch_scc1 .LBB38_1186
; %bb.1177:
	s_cmp_gt_i32 s21, 24
	s_cbranch_scc0 .LBB38_1187
; %bb.1178:
	global_load_ubyte v3, v[0:1], off
	s_movk_i32 s12, 0x7f
	s_mov_b64 s[16:17], 0
	s_waitcnt vmcnt(0)
	v_cmp_lt_i16_e32 vcc, s12, v3
	s_and_saveexec_b64 s[12:13], vcc
	s_xor_b64 s[12:13], exec, s[12:13]
	s_cbranch_execz .LBB38_1199
; %bb.1179:
	s_movk_i32 s16, 0x80
	v_cmp_ne_u16_e32 vcc, s16, v3
	s_and_b64 s[16:17], vcc, exec
	s_andn2_saveexec_b64 s[12:13], s[12:13]
	s_cbranch_execnz .LBB38_1200
.LBB38_1180:
	s_or_b64 exec, exec, s[12:13]
	v_mov_b32_e32 v4, 0
	s_and_saveexec_b64 s[12:13], s[16:17]
	s_cbranch_execz .LBB38_1182
.LBB38_1181:
	v_lshlrev_b32_e32 v4, 24, v3
	v_and_b32_e32 v3, 0xffff, v3
	v_and_b32_e32 v5, 3, v3
	v_ffbh_u32_e32 v8, v5
	v_min_u32_e32 v8, 32, v8
	v_subrev_u32_e32 v10, 29, v8
	v_bfe_u32 v7, v3, 2, 5
	v_lshlrev_b32_e32 v3, v10, v3
	v_sub_u32_e32 v8, 30, v8
	v_and_b32_e32 v3, 3, v3
	v_cmp_eq_u32_e32 vcc, 0, v7
	v_cndmask_b32_e32 v7, v7, v8, vcc
	v_cndmask_b32_e32 v3, v5, v3, vcc
	v_mov_b32_e32 v5, 0x37800000
	v_lshlrev_b32_e32 v3, 21, v3
	v_and_b32_e32 v4, 0x80000000, v4
	v_lshl_add_u32 v5, v7, 23, v5
	v_or3_b32 v3, v4, v5, v3
	v_cvt_i32_f32_e32 v4, v3
.LBB38_1182:
	s_or_b64 exec, exec, s[12:13]
	s_mov_b64 s[12:13], 0
	s_branch .LBB38_1188
.LBB38_1183:
	s_mov_b64 s[12:13], -1
                                        ; implicit-def: $vgpr4
	s_branch .LBB38_1194
.LBB38_1184:
	s_andn2_saveexec_b64 s[16:17], s[16:17]
	s_cbranch_execz .LBB38_1170
.LBB38_1185:
	v_cmp_ne_u16_e32 vcc, 0, v3
	s_andn2_b64 s[18:19], s[18:19], exec
	s_and_b64 s[22:23], vcc, exec
	s_or_b64 s[18:19], s[18:19], s[22:23]
	s_or_b64 exec, exec, s[16:17]
	v_mov_b32_e32 v4, 0
	s_and_saveexec_b64 s[16:17], s[18:19]
	s_cbranch_execnz .LBB38_1171
	s_branch .LBB38_1172
.LBB38_1186:
	s_mov_b64 s[12:13], -1
                                        ; implicit-def: $vgpr4
	s_branch .LBB38_1191
.LBB38_1187:
	s_mov_b64 s[12:13], -1
                                        ; implicit-def: $vgpr4
.LBB38_1188:
	s_and_b64 vcc, exec, s[12:13]
	s_cbranch_vccz .LBB38_1190
; %bb.1189:
	global_load_ubyte v3, v[0:1], off
	s_mov_b32 s12, 0x7f800000
	s_waitcnt vmcnt(0)
	v_lshlrev_b32_e32 v3, 24, v3
	v_and_b32_e32 v4, 0x7f000000, v3
	v_ffbh_u32_e32 v5, v4
	v_min_u32_e32 v5, 32, v5
	v_sub_u32_e64 v5, v5, 4 clamp
	v_lshlrev_b32_e32 v8, v5, v4
	v_lshlrev_b32_e32 v5, 23, v5
	v_lshrrev_b32_e32 v8, 4, v8
	v_add_u32_e32 v7, 0x1000000, v4
	v_sub_u32_e32 v5, v8, v5
	v_ashrrev_i32_e32 v7, 8, v7
	v_add_u32_e32 v5, 0x3c000000, v5
	v_and_or_b32 v5, v7, s12, v5
	v_cmp_ne_u32_e32 vcc, 0, v4
	v_cndmask_b32_e32 v4, 0, v5, vcc
	s_brev_b32 s12, 1
	v_and_or_b32 v3, v3, s12, v4
	v_cvt_i32_f32_e32 v4, v3
.LBB38_1190:
	s_mov_b64 s[12:13], 0
.LBB38_1191:
	s_andn2_b64 vcc, exec, s[12:13]
	s_cbranch_vccnz .LBB38_1193
; %bb.1192:
	global_load_ubyte v3, v[0:1], off
	s_movk_i32 s12, 0x7f00
	s_brev_b32 s13, 16
	s_waitcnt vmcnt(0)
	v_lshlrev_b16_e32 v4, 8, v3
	v_lshlrev_b32_e32 v3, 25, v3
	v_lshrrev_b32_e32 v5, 4, v3
	v_and_or_b32 v7, v4, s12, 0.5
	v_or_b32_e32 v5, 0x70000000, v5
	v_add_f32_e32 v7, -0.5, v7
	v_mul_f32_e32 v5, 0x7800000, v5
	v_cmp_gt_u32_e32 vcc, s13, v3
	v_bfe_i32 v4, v4, 0, 16
	v_cndmask_b32_e32 v3, v5, v7, vcc
	s_brev_b32 s12, 1
	v_and_or_b32 v3, v4, s12, v3
	v_cvt_i32_f32_e32 v4, v3
.LBB38_1193:
	s_mov_b64 s[12:13], 0
	s_mov_b64 s[16:17], -1
.LBB38_1194:
	s_andn2_b64 vcc, exec, s[12:13]
	s_mov_b64 s[12:13], 0
	s_cbranch_vccnz .LBB38_1205
; %bb.1195:
	s_cmp_gt_i32 s21, 14
	s_cbranch_scc0 .LBB38_1198
; %bb.1196:
	s_cmp_eq_u32 s21, 15
	s_cbranch_scc0 .LBB38_1201
; %bb.1197:
	global_load_ushort v3, v[0:1], off
	s_mov_b64 s[0:1], 0
	s_mov_b64 s[16:17], -1
	s_waitcnt vmcnt(0)
	v_lshlrev_b32_e32 v3, 16, v3
	v_cvt_i32_f32_e32 v4, v3
	s_branch .LBB38_1202
.LBB38_1198:
	s_mov_b64 s[18:19], -1
                                        ; implicit-def: $vgpr4
	s_branch .LBB38_1203
.LBB38_1199:
	s_andn2_saveexec_b64 s[12:13], s[12:13]
	s_cbranch_execz .LBB38_1180
.LBB38_1200:
	v_cmp_ne_u16_e32 vcc, 0, v3
	s_andn2_b64 s[16:17], s[16:17], exec
	s_and_b64 s[18:19], vcc, exec
	s_or_b64 s[16:17], s[16:17], s[18:19]
	s_or_b64 exec, exec, s[12:13]
	v_mov_b32_e32 v4, 0
	s_and_saveexec_b64 s[12:13], s[16:17]
	s_cbranch_execnz .LBB38_1181
	s_branch .LBB38_1182
.LBB38_1201:
	s_mov_b64 s[0:1], -1
                                        ; implicit-def: $vgpr4
.LBB38_1202:
	s_mov_b64 s[18:19], 0
.LBB38_1203:
	s_and_b64 vcc, exec, s[18:19]
	s_cbranch_vccz .LBB38_1205
; %bb.1204:
	s_cmp_lg_u32 s21, 11
	s_mov_b64 s[12:13], -1
	s_cselect_b64 s[0:1], -1, 0
.LBB38_1205:
	s_and_b64 vcc, exec, s[0:1]
	s_cbranch_vccnz .LBB38_1268
; %bb.1206:
	s_andn2_b64 vcc, exec, s[12:13]
	s_cbranch_vccnz .LBB38_1208
.LBB38_1207:
	global_load_ubyte v3, v[0:1], off
	s_mov_b64 s[16:17], -1
	s_waitcnt vmcnt(0)
	v_cmp_ne_u16_e32 vcc, 0, v3
	v_cndmask_b32_e64 v4, 0, 1, vcc
.LBB38_1208:
	s_branch .LBB38_1139
.LBB38_1209:
	s_and_b32 s12, 0xffff, s20
	s_cmp_lt_i32 s12, 5
	s_cbranch_scc1 .LBB38_1214
; %bb.1210:
	s_cmp_lt_i32 s12, 8
	s_cbranch_scc1 .LBB38_1215
; %bb.1211:
	;; [unrolled: 3-line block ×3, first 2 shown]
	s_cmp_gt_i32 s12, 9
	s_cbranch_scc0 .LBB38_1217
; %bb.1213:
	global_load_dwordx2 v[3:4], v[0:1], off
	s_mov_b64 s[0:1], 0
	s_waitcnt vmcnt(0)
	v_cvt_i32_f64_e32 v4, v[3:4]
	s_branch .LBB38_1218
.LBB38_1214:
                                        ; implicit-def: $vgpr4
	s_branch .LBB38_1236
.LBB38_1215:
	s_mov_b64 s[0:1], -1
                                        ; implicit-def: $vgpr4
	s_branch .LBB38_1224
.LBB38_1216:
	s_mov_b64 s[0:1], -1
                                        ; implicit-def: $vgpr4
	s_branch .LBB38_1221
.LBB38_1217:
	s_mov_b64 s[0:1], -1
                                        ; implicit-def: $vgpr4
.LBB38_1218:
	s_andn2_b64 vcc, exec, s[0:1]
	s_cbranch_vccnz .LBB38_1220
; %bb.1219:
	global_load_dword v3, v[0:1], off
	s_waitcnt vmcnt(0)
	v_cvt_i32_f32_e32 v4, v3
.LBB38_1220:
	s_mov_b64 s[0:1], 0
.LBB38_1221:
	s_andn2_b64 vcc, exec, s[0:1]
	s_cbranch_vccnz .LBB38_1223
; %bb.1222:
	global_load_dword v3, v[0:1], off
	s_waitcnt vmcnt(0)
	v_cvt_i16_f16_e32 v4, v3
.LBB38_1223:
	s_mov_b64 s[0:1], 0
.LBB38_1224:
	s_andn2_b64 vcc, exec, s[0:1]
	s_cbranch_vccnz .LBB38_1235
; %bb.1225:
	s_cmp_lt_i32 s12, 6
	s_cbranch_scc1 .LBB38_1228
; %bb.1226:
	s_cmp_gt_i32 s12, 6
	s_cbranch_scc0 .LBB38_1229
; %bb.1227:
	global_load_dwordx2 v[3:4], v[0:1], off
	s_mov_b64 s[0:1], 0
	s_waitcnt vmcnt(0)
	v_cvt_i32_f64_e32 v4, v[3:4]
	s_branch .LBB38_1230
.LBB38_1228:
	s_mov_b64 s[0:1], -1
                                        ; implicit-def: $vgpr4
	s_branch .LBB38_1233
.LBB38_1229:
	s_mov_b64 s[0:1], -1
                                        ; implicit-def: $vgpr4
.LBB38_1230:
	s_andn2_b64 vcc, exec, s[0:1]
	s_cbranch_vccnz .LBB38_1232
; %bb.1231:
	global_load_dword v3, v[0:1], off
	s_waitcnt vmcnt(0)
	v_cvt_i32_f32_e32 v4, v3
.LBB38_1232:
	s_mov_b64 s[0:1], 0
.LBB38_1233:
	s_andn2_b64 vcc, exec, s[0:1]
	s_cbranch_vccnz .LBB38_1235
; %bb.1234:
	global_load_ushort v3, v[0:1], off
	s_waitcnt vmcnt(0)
	v_cvt_i16_f16_e32 v4, v3
.LBB38_1235:
	s_cbranch_execnz .LBB38_1255
.LBB38_1236:
	s_cmp_lt_i32 s12, 2
	s_cbranch_scc1 .LBB38_1240
; %bb.1237:
	s_cmp_lt_i32 s12, 3
	s_cbranch_scc1 .LBB38_1241
; %bb.1238:
	s_cmp_gt_i32 s12, 3
	s_cbranch_scc0 .LBB38_1242
; %bb.1239:
	global_load_dwordx2 v[4:5], v[0:1], off
	s_mov_b64 s[0:1], 0
	s_branch .LBB38_1243
.LBB38_1240:
	s_mov_b64 s[0:1], -1
                                        ; implicit-def: $vgpr4
	s_branch .LBB38_1249
.LBB38_1241:
	s_mov_b64 s[0:1], -1
                                        ; implicit-def: $vgpr4
	s_branch .LBB38_1246
.LBB38_1242:
	s_mov_b64 s[0:1], -1
                                        ; implicit-def: $vgpr4
.LBB38_1243:
	s_andn2_b64 vcc, exec, s[0:1]
	s_cbranch_vccnz .LBB38_1245
; %bb.1244:
	global_load_dword v4, v[0:1], off
.LBB38_1245:
	s_mov_b64 s[0:1], 0
.LBB38_1246:
	s_andn2_b64 vcc, exec, s[0:1]
	s_cbranch_vccnz .LBB38_1248
; %bb.1247:
	global_load_ushort v4, v[0:1], off
.LBB38_1248:
	s_mov_b64 s[0:1], 0
.LBB38_1249:
	s_andn2_b64 vcc, exec, s[0:1]
	s_cbranch_vccnz .LBB38_1255
; %bb.1250:
	s_cmp_gt_i32 s12, 0
	s_cbranch_scc0 .LBB38_1252
; %bb.1251:
	global_load_ubyte v4, v[0:1], off
	s_mov_b64 s[0:1], 0
	s_branch .LBB38_1253
.LBB38_1252:
	s_mov_b64 s[0:1], -1
                                        ; implicit-def: $vgpr4
.LBB38_1253:
	s_andn2_b64 vcc, exec, s[0:1]
	s_cbranch_vccnz .LBB38_1255
; %bb.1254:
	global_load_ubyte v4, v[0:1], off
.LBB38_1255:
.LBB38_1256:
	s_waitcnt vmcnt(0)
	v_add_u32_e32 v5, s3, v2
	v_ashrrev_i32_e32 v1, 31, v5
	v_mov_b32_e32 v2, s11
	v_add_co_u32_e32 v0, vcc, s10, v5
	s_cmp_lt_i32 s20, 11
	v_addc_co_u32_e32 v1, vcc, v2, v1, vcc
	s_cbranch_scc1 .LBB38_1263
; %bb.1257:
	s_and_b32 s21, 0xffff, s20
	s_cmp_gt_i32 s21, 25
	s_mov_b64 s[12:13], 0
	s_cbranch_scc0 .LBB38_1265
; %bb.1258:
	s_cmp_gt_i32 s21, 28
	s_cbranch_scc0 .LBB38_1266
; %bb.1259:
	s_cmp_gt_i32 s21, 43
	;; [unrolled: 3-line block ×3, first 2 shown]
	s_cbranch_scc0 .LBB38_1269
; %bb.1261:
	s_cmp_eq_u32 s21, 46
	s_mov_b64 s[18:19], 0
	s_cbranch_scc0 .LBB38_1270
; %bb.1262:
	global_load_dword v2, v[0:1], off
	s_mov_b64 s[0:1], 0
	s_mov_b64 s[16:17], -1
	s_waitcnt vmcnt(0)
	v_lshlrev_b32_e32 v2, 16, v2
	v_cvt_i32_f32_e32 v2, v2
	s_branch .LBB38_1271
.LBB38_1263:
	s_mov_b64 s[16:17], 0
                                        ; implicit-def: $vgpr2
	s_cbranch_execnz .LBB38_1333
.LBB38_1264:
	s_andn2_b64 vcc, exec, s[16:17]
	s_cbranch_vccnz .LBB38_1940
	s_branch .LBB38_1381
.LBB38_1265:
	s_mov_b64 s[18:19], -1
	s_mov_b64 s[16:17], 0
	s_mov_b64 s[0:1], 0
                                        ; implicit-def: $vgpr2
	s_branch .LBB38_1298
.LBB38_1266:
	s_mov_b64 s[18:19], -1
	s_mov_b64 s[16:17], 0
	s_mov_b64 s[0:1], 0
                                        ; implicit-def: $vgpr2
	s_branch .LBB38_1281
.LBB38_1267:
	s_mov_b64 s[18:19], -1
	s_mov_b64 s[16:17], 0
	s_mov_b64 s[0:1], 0
                                        ; implicit-def: $vgpr2
	s_branch .LBB38_1276
.LBB38_1268:
	s_trap 2
	s_or_b64 s[14:15], s[14:15], exec
	s_cbranch_execz .LBB38_1207
	s_branch .LBB38_1208
.LBB38_1269:
	s_mov_b64 s[18:19], -1
	s_mov_b64 s[16:17], 0
	s_mov_b64 s[0:1], 0
                                        ; implicit-def: $vgpr2
	s_branch .LBB38_1271
.LBB38_1270:
	s_mov_b64 s[0:1], -1
                                        ; implicit-def: $vgpr2
	s_mov_b64 s[16:17], 0
.LBB38_1271:
	s_and_b64 vcc, exec, s[18:19]
	s_cbranch_vccz .LBB38_1275
; %bb.1272:
	s_cmp_eq_u32 s21, 44
	s_cbranch_scc0 .LBB38_1274
; %bb.1273:
	global_load_ubyte v2, v[0:1], off
	s_mov_b64 s[0:1], 0
	s_mov_b64 s[16:17], -1
	s_waitcnt vmcnt(0)
	v_lshlrev_b32_e32 v3, 23, v2
	v_cvt_i32_f32_e32 v3, v3
	v_cmp_ne_u32_e32 vcc, 0, v2
	v_cndmask_b32_e32 v2, 0, v3, vcc
	s_branch .LBB38_1275
.LBB38_1274:
	s_mov_b64 s[0:1], -1
                                        ; implicit-def: $vgpr2
.LBB38_1275:
	s_mov_b64 s[18:19], 0
.LBB38_1276:
	s_and_b64 vcc, exec, s[18:19]
	s_cbranch_vccz .LBB38_1280
; %bb.1277:
	s_cmp_eq_u32 s21, 29
	s_cbranch_scc0 .LBB38_1279
; %bb.1278:
	global_load_dwordx2 v[2:3], v[0:1], off
	s_mov_b64 s[0:1], 0
	s_mov_b64 s[16:17], -1
	s_branch .LBB38_1280
.LBB38_1279:
	s_mov_b64 s[0:1], -1
                                        ; implicit-def: $vgpr2
.LBB38_1280:
	s_mov_b64 s[18:19], 0
.LBB38_1281:
	s_and_b64 vcc, exec, s[18:19]
	s_cbranch_vccz .LBB38_1297
; %bb.1282:
	s_cmp_lt_i32 s21, 27
	s_cbranch_scc1 .LBB38_1285
; %bb.1283:
	s_cmp_gt_i32 s21, 27
	s_cbranch_scc0 .LBB38_1286
; %bb.1284:
	global_load_dword v2, v[0:1], off
	s_mov_b64 s[16:17], 0
	s_branch .LBB38_1287
.LBB38_1285:
	s_mov_b64 s[16:17], -1
                                        ; implicit-def: $vgpr2
	s_branch .LBB38_1290
.LBB38_1286:
	s_mov_b64 s[16:17], -1
                                        ; implicit-def: $vgpr2
.LBB38_1287:
	s_andn2_b64 vcc, exec, s[16:17]
	s_cbranch_vccnz .LBB38_1289
; %bb.1288:
	global_load_ushort v2, v[0:1], off
.LBB38_1289:
	s_mov_b64 s[16:17], 0
.LBB38_1290:
	s_andn2_b64 vcc, exec, s[16:17]
	s_cbranch_vccnz .LBB38_1296
; %bb.1291:
	global_load_ubyte v3, v[0:1], off
	s_movk_i32 s16, 0x7f
	s_mov_b64 s[18:19], 0
	s_waitcnt vmcnt(0)
	v_cmp_lt_i16_e32 vcc, s16, v3
	s_and_saveexec_b64 s[16:17], vcc
	s_xor_b64 s[16:17], exec, s[16:17]
	s_cbranch_execz .LBB38_1308
; %bb.1292:
	s_movk_i32 s18, 0x80
	v_cmp_ne_u16_e32 vcc, s18, v3
	s_and_b64 s[18:19], vcc, exec
	s_andn2_saveexec_b64 s[16:17], s[16:17]
	s_cbranch_execnz .LBB38_1309
.LBB38_1293:
	s_or_b64 exec, exec, s[16:17]
	v_mov_b32_e32 v2, 0
	s_and_saveexec_b64 s[16:17], s[18:19]
	s_cbranch_execz .LBB38_1295
.LBB38_1294:
	v_lshlrev_b32_e32 v2, 24, v3
	v_and_b32_e32 v3, 0xffff, v3
	v_and_b32_e32 v7, 7, v3
	v_ffbh_u32_e32 v10, v7
	v_min_u32_e32 v10, 32, v10
	v_subrev_u32_e32 v11, 28, v10
	v_bfe_u32 v8, v3, 3, 4
	v_lshlrev_b32_e32 v3, v11, v3
	v_sub_u32_e32 v10, 29, v10
	v_and_b32_e32 v3, 7, v3
	v_cmp_eq_u32_e32 vcc, 0, v8
	v_cndmask_b32_e32 v8, v8, v10, vcc
	v_cndmask_b32_e32 v3, v7, v3, vcc
	v_mov_b32_e32 v7, 0x3b800000
	v_lshlrev_b32_e32 v3, 20, v3
	v_and_b32_e32 v2, 0x80000000, v2
	v_lshl_add_u32 v7, v8, 23, v7
	v_or3_b32 v2, v2, v7, v3
	v_cvt_i32_f32_e32 v2, v2
.LBB38_1295:
	s_or_b64 exec, exec, s[16:17]
.LBB38_1296:
	s_mov_b64 s[16:17], -1
.LBB38_1297:
	s_mov_b64 s[18:19], 0
.LBB38_1298:
	s_and_b64 vcc, exec, s[18:19]
	s_cbranch_vccz .LBB38_1329
; %bb.1299:
	s_cmp_gt_i32 s21, 22
	s_cbranch_scc0 .LBB38_1307
; %bb.1300:
	s_cmp_lt_i32 s21, 24
	s_cbranch_scc1 .LBB38_1310
; %bb.1301:
	s_cmp_gt_i32 s21, 24
	s_cbranch_scc0 .LBB38_1311
; %bb.1302:
	global_load_ubyte v3, v[0:1], off
	s_movk_i32 s12, 0x7f
	s_mov_b64 s[16:17], 0
	s_waitcnt vmcnt(0)
	v_cmp_lt_i16_e32 vcc, s12, v3
	s_and_saveexec_b64 s[12:13], vcc
	s_xor_b64 s[12:13], exec, s[12:13]
	s_cbranch_execz .LBB38_1323
; %bb.1303:
	s_movk_i32 s16, 0x80
	v_cmp_ne_u16_e32 vcc, s16, v3
	s_and_b64 s[16:17], vcc, exec
	s_andn2_saveexec_b64 s[12:13], s[12:13]
	s_cbranch_execnz .LBB38_1324
.LBB38_1304:
	s_or_b64 exec, exec, s[12:13]
	v_mov_b32_e32 v2, 0
	s_and_saveexec_b64 s[12:13], s[16:17]
	s_cbranch_execz .LBB38_1306
.LBB38_1305:
	v_lshlrev_b32_e32 v2, 24, v3
	v_and_b32_e32 v3, 0xffff, v3
	v_and_b32_e32 v7, 3, v3
	v_ffbh_u32_e32 v10, v7
	v_min_u32_e32 v10, 32, v10
	v_subrev_u32_e32 v11, 29, v10
	v_bfe_u32 v8, v3, 2, 5
	v_lshlrev_b32_e32 v3, v11, v3
	v_sub_u32_e32 v10, 30, v10
	v_and_b32_e32 v3, 3, v3
	v_cmp_eq_u32_e32 vcc, 0, v8
	v_cndmask_b32_e32 v8, v8, v10, vcc
	v_cndmask_b32_e32 v3, v7, v3, vcc
	v_mov_b32_e32 v7, 0x37800000
	v_lshlrev_b32_e32 v3, 21, v3
	v_and_b32_e32 v2, 0x80000000, v2
	v_lshl_add_u32 v7, v8, 23, v7
	v_or3_b32 v2, v2, v7, v3
	v_cvt_i32_f32_e32 v2, v2
.LBB38_1306:
	s_or_b64 exec, exec, s[12:13]
	s_mov_b64 s[12:13], 0
	s_branch .LBB38_1312
.LBB38_1307:
	s_mov_b64 s[12:13], -1
                                        ; implicit-def: $vgpr2
	s_branch .LBB38_1318
.LBB38_1308:
	s_andn2_saveexec_b64 s[16:17], s[16:17]
	s_cbranch_execz .LBB38_1293
.LBB38_1309:
	v_cmp_ne_u16_e32 vcc, 0, v3
	s_andn2_b64 s[18:19], s[18:19], exec
	s_and_b64 s[22:23], vcc, exec
	s_or_b64 s[18:19], s[18:19], s[22:23]
	s_or_b64 exec, exec, s[16:17]
	v_mov_b32_e32 v2, 0
	s_and_saveexec_b64 s[16:17], s[18:19]
	s_cbranch_execnz .LBB38_1294
	s_branch .LBB38_1295
.LBB38_1310:
	s_mov_b64 s[12:13], -1
                                        ; implicit-def: $vgpr2
	s_branch .LBB38_1315
.LBB38_1311:
	s_mov_b64 s[12:13], -1
                                        ; implicit-def: $vgpr2
.LBB38_1312:
	s_and_b64 vcc, exec, s[12:13]
	s_cbranch_vccz .LBB38_1314
; %bb.1313:
	global_load_ubyte v2, v[0:1], off
	s_mov_b32 s12, 0x7f800000
	s_waitcnt vmcnt(0)
	v_lshlrev_b32_e32 v2, 24, v2
	v_and_b32_e32 v3, 0x7f000000, v2
	v_ffbh_u32_e32 v7, v3
	v_min_u32_e32 v7, 32, v7
	v_sub_u32_e64 v7, v7, 4 clamp
	v_lshlrev_b32_e32 v10, v7, v3
	v_lshlrev_b32_e32 v7, 23, v7
	v_lshrrev_b32_e32 v10, 4, v10
	v_add_u32_e32 v8, 0x1000000, v3
	v_sub_u32_e32 v7, v10, v7
	v_ashrrev_i32_e32 v8, 8, v8
	v_add_u32_e32 v7, 0x3c000000, v7
	v_and_or_b32 v7, v8, s12, v7
	v_cmp_ne_u32_e32 vcc, 0, v3
	v_cndmask_b32_e32 v3, 0, v7, vcc
	s_brev_b32 s12, 1
	v_and_or_b32 v2, v2, s12, v3
	v_cvt_i32_f32_e32 v2, v2
.LBB38_1314:
	s_mov_b64 s[12:13], 0
.LBB38_1315:
	s_andn2_b64 vcc, exec, s[12:13]
	s_cbranch_vccnz .LBB38_1317
; %bb.1316:
	global_load_ubyte v2, v[0:1], off
	s_movk_i32 s12, 0x7f00
	s_brev_b32 s13, 16
	s_waitcnt vmcnt(0)
	v_lshlrev_b16_e32 v3, 8, v2
	v_lshlrev_b32_e32 v2, 25, v2
	v_lshrrev_b32_e32 v7, 4, v2
	v_and_or_b32 v8, v3, s12, 0.5
	v_or_b32_e32 v7, 0x70000000, v7
	v_add_f32_e32 v8, -0.5, v8
	v_mul_f32_e32 v7, 0x7800000, v7
	v_cmp_gt_u32_e32 vcc, s13, v2
	v_bfe_i32 v3, v3, 0, 16
	v_cndmask_b32_e32 v2, v7, v8, vcc
	s_brev_b32 s12, 1
	v_and_or_b32 v2, v3, s12, v2
	v_cvt_i32_f32_e32 v2, v2
.LBB38_1317:
	s_mov_b64 s[12:13], 0
	s_mov_b64 s[16:17], -1
.LBB38_1318:
	s_andn2_b64 vcc, exec, s[12:13]
	s_mov_b64 s[12:13], 0
	s_cbranch_vccnz .LBB38_1329
; %bb.1319:
	s_cmp_gt_i32 s21, 14
	s_cbranch_scc0 .LBB38_1322
; %bb.1320:
	s_cmp_eq_u32 s21, 15
	s_cbranch_scc0 .LBB38_1325
; %bb.1321:
	global_load_ushort v2, v[0:1], off
	s_mov_b64 s[0:1], 0
	s_mov_b64 s[16:17], -1
	s_waitcnt vmcnt(0)
	v_lshlrev_b32_e32 v2, 16, v2
	v_cvt_i32_f32_e32 v2, v2
	s_branch .LBB38_1326
.LBB38_1322:
	s_mov_b64 s[18:19], -1
                                        ; implicit-def: $vgpr2
	s_branch .LBB38_1327
.LBB38_1323:
	s_andn2_saveexec_b64 s[12:13], s[12:13]
	s_cbranch_execz .LBB38_1304
.LBB38_1324:
	v_cmp_ne_u16_e32 vcc, 0, v3
	s_andn2_b64 s[16:17], s[16:17], exec
	s_and_b64 s[18:19], vcc, exec
	s_or_b64 s[16:17], s[16:17], s[18:19]
	s_or_b64 exec, exec, s[12:13]
	v_mov_b32_e32 v2, 0
	s_and_saveexec_b64 s[12:13], s[16:17]
	s_cbranch_execnz .LBB38_1305
	s_branch .LBB38_1306
.LBB38_1325:
	s_mov_b64 s[0:1], -1
                                        ; implicit-def: $vgpr2
.LBB38_1326:
	s_mov_b64 s[18:19], 0
.LBB38_1327:
	s_and_b64 vcc, exec, s[18:19]
	s_cbranch_vccz .LBB38_1329
; %bb.1328:
	s_cmp_lg_u32 s21, 11
	s_mov_b64 s[12:13], -1
	s_cselect_b64 s[0:1], -1, 0
.LBB38_1329:
	s_and_b64 vcc, exec, s[0:1]
	s_cbranch_vccnz .LBB38_1392
; %bb.1330:
	s_andn2_b64 vcc, exec, s[12:13]
	s_cbranch_vccnz .LBB38_1332
.LBB38_1331:
	global_load_ubyte v2, v[0:1], off
	s_mov_b64 s[16:17], -1
	s_waitcnt vmcnt(0)
	v_cmp_ne_u16_e32 vcc, 0, v2
	v_cndmask_b32_e64 v2, 0, 1, vcc
.LBB38_1332:
	s_branch .LBB38_1264
.LBB38_1333:
	s_and_b32 s12, 0xffff, s20
	s_cmp_lt_i32 s12, 5
	s_cbranch_scc1 .LBB38_1338
; %bb.1334:
	s_cmp_lt_i32 s12, 8
	s_cbranch_scc1 .LBB38_1339
; %bb.1335:
	;; [unrolled: 3-line block ×3, first 2 shown]
	s_cmp_gt_i32 s12, 9
	s_cbranch_scc0 .LBB38_1341
; %bb.1337:
	global_load_dwordx2 v[2:3], v[0:1], off
	s_mov_b64 s[0:1], 0
	s_waitcnt vmcnt(0)
	v_cvt_i32_f64_e32 v2, v[2:3]
	s_branch .LBB38_1342
.LBB38_1338:
	s_mov_b64 s[0:1], -1
                                        ; implicit-def: $vgpr2
	s_branch .LBB38_1360
.LBB38_1339:
	s_mov_b64 s[0:1], -1
                                        ; implicit-def: $vgpr2
	s_branch .LBB38_1348
.LBB38_1340:
	s_mov_b64 s[0:1], -1
                                        ; implicit-def: $vgpr2
	s_branch .LBB38_1345
.LBB38_1341:
	s_mov_b64 s[0:1], -1
                                        ; implicit-def: $vgpr2
.LBB38_1342:
	s_andn2_b64 vcc, exec, s[0:1]
	s_cbranch_vccnz .LBB38_1344
; %bb.1343:
	global_load_dword v2, v[0:1], off
	s_waitcnt vmcnt(0)
	v_cvt_i32_f32_e32 v2, v2
.LBB38_1344:
	s_mov_b64 s[0:1], 0
.LBB38_1345:
	s_andn2_b64 vcc, exec, s[0:1]
	s_cbranch_vccnz .LBB38_1347
; %bb.1346:
	global_load_dword v2, v[0:1], off
	s_waitcnt vmcnt(0)
	v_cvt_i16_f16_e32 v2, v2
.LBB38_1347:
	s_mov_b64 s[0:1], 0
.LBB38_1348:
	s_andn2_b64 vcc, exec, s[0:1]
	s_cbranch_vccnz .LBB38_1359
; %bb.1349:
	s_cmp_lt_i32 s12, 6
	s_cbranch_scc1 .LBB38_1352
; %bb.1350:
	s_cmp_gt_i32 s12, 6
	s_cbranch_scc0 .LBB38_1353
; %bb.1351:
	global_load_dwordx2 v[2:3], v[0:1], off
	s_mov_b64 s[0:1], 0
	s_waitcnt vmcnt(0)
	v_cvt_i32_f64_e32 v2, v[2:3]
	s_branch .LBB38_1354
.LBB38_1352:
	s_mov_b64 s[0:1], -1
                                        ; implicit-def: $vgpr2
	s_branch .LBB38_1357
.LBB38_1353:
	s_mov_b64 s[0:1], -1
                                        ; implicit-def: $vgpr2
.LBB38_1354:
	s_andn2_b64 vcc, exec, s[0:1]
	s_cbranch_vccnz .LBB38_1356
; %bb.1355:
	global_load_dword v2, v[0:1], off
	s_waitcnt vmcnt(0)
	v_cvt_i32_f32_e32 v2, v2
.LBB38_1356:
	s_mov_b64 s[0:1], 0
.LBB38_1357:
	s_andn2_b64 vcc, exec, s[0:1]
	s_cbranch_vccnz .LBB38_1359
; %bb.1358:
	global_load_ushort v2, v[0:1], off
	s_waitcnt vmcnt(0)
	v_cvt_i16_f16_e32 v2, v2
.LBB38_1359:
	s_mov_b64 s[0:1], 0
.LBB38_1360:
	s_andn2_b64 vcc, exec, s[0:1]
	s_cbranch_vccnz .LBB38_1380
; %bb.1361:
	s_cmp_lt_i32 s12, 2
	s_cbranch_scc1 .LBB38_1365
; %bb.1362:
	s_cmp_lt_i32 s12, 3
	s_cbranch_scc1 .LBB38_1366
; %bb.1363:
	s_cmp_gt_i32 s12, 3
	s_cbranch_scc0 .LBB38_1367
; %bb.1364:
	global_load_dwordx2 v[2:3], v[0:1], off
	s_mov_b64 s[0:1], 0
	s_branch .LBB38_1368
.LBB38_1365:
	s_mov_b64 s[0:1], -1
                                        ; implicit-def: $vgpr2
	s_branch .LBB38_1374
.LBB38_1366:
	s_mov_b64 s[0:1], -1
                                        ; implicit-def: $vgpr2
	s_branch .LBB38_1371
.LBB38_1367:
	s_mov_b64 s[0:1], -1
                                        ; implicit-def: $vgpr2
.LBB38_1368:
	s_andn2_b64 vcc, exec, s[0:1]
	s_cbranch_vccnz .LBB38_1370
; %bb.1369:
	global_load_dword v2, v[0:1], off
.LBB38_1370:
	s_mov_b64 s[0:1], 0
.LBB38_1371:
	s_andn2_b64 vcc, exec, s[0:1]
	s_cbranch_vccnz .LBB38_1373
; %bb.1372:
	global_load_ushort v2, v[0:1], off
.LBB38_1373:
	s_mov_b64 s[0:1], 0
.LBB38_1374:
	s_andn2_b64 vcc, exec, s[0:1]
	s_cbranch_vccnz .LBB38_1380
; %bb.1375:
	s_cmp_gt_i32 s12, 0
	s_cbranch_scc0 .LBB38_1377
; %bb.1376:
	global_load_ubyte v2, v[0:1], off
	s_mov_b64 s[0:1], 0
	s_branch .LBB38_1378
.LBB38_1377:
	s_mov_b64 s[0:1], -1
                                        ; implicit-def: $vgpr2
.LBB38_1378:
	s_andn2_b64 vcc, exec, s[0:1]
	s_cbranch_vccnz .LBB38_1380
; %bb.1379:
	global_load_ubyte v2, v[0:1], off
.LBB38_1380:
.LBB38_1381:
	v_add_u32_e32 v0, s3, v5
	v_ashrrev_i32_e32 v1, 31, v0
	s_waitcnt vmcnt(0)
	v_mov_b32_e32 v3, s11
	v_add_co_u32_e32 v7, vcc, s10, v0
	s_cmp_lt_i32 s20, 11
	v_addc_co_u32_e32 v8, vcc, v3, v1, vcc
	s_cbranch_scc1 .LBB38_1388
; %bb.1382:
	s_and_b32 s3, 0xffff, s20
	s_cmp_gt_i32 s3, 25
	s_mov_b64 s[10:11], 0
	s_cbranch_scc0 .LBB38_1389
; %bb.1383:
	s_cmp_gt_i32 s3, 28
	s_cbranch_scc0 .LBB38_1390
; %bb.1384:
	s_cmp_gt_i32 s3, 43
	;; [unrolled: 3-line block ×3, first 2 shown]
	s_cbranch_scc0 .LBB38_1393
; %bb.1386:
	s_cmp_eq_u32 s3, 46
	s_mov_b64 s[16:17], 0
	s_cbranch_scc0 .LBB38_1394
; %bb.1387:
	global_load_dword v0, v[7:8], off
	s_mov_b64 s[0:1], 0
	s_mov_b64 s[12:13], -1
	s_waitcnt vmcnt(0)
	v_lshlrev_b32_e32 v0, 16, v0
	v_cvt_i32_f32_e32 v0, v0
	s_branch .LBB38_1395
.LBB38_1388:
	s_mov_b64 s[0:1], -1
	s_mov_b64 s[12:13], 0
                                        ; implicit-def: $vgpr0
	s_branch .LBB38_1457
.LBB38_1389:
	s_mov_b64 s[16:17], -1
	s_mov_b64 s[12:13], 0
	s_mov_b64 s[0:1], 0
                                        ; implicit-def: $vgpr0
	s_branch .LBB38_1422
.LBB38_1390:
	s_mov_b64 s[16:17], -1
	s_mov_b64 s[12:13], 0
	s_mov_b64 s[0:1], 0
                                        ; implicit-def: $vgpr0
	s_branch .LBB38_1405
.LBB38_1391:
	s_mov_b64 s[16:17], -1
	s_mov_b64 s[12:13], 0
	s_mov_b64 s[0:1], 0
                                        ; implicit-def: $vgpr0
	s_branch .LBB38_1400
.LBB38_1392:
	s_trap 2
	s_or_b64 s[14:15], s[14:15], exec
	s_cbranch_execz .LBB38_1331
	s_branch .LBB38_1332
.LBB38_1393:
	s_mov_b64 s[16:17], -1
	s_mov_b64 s[12:13], 0
	s_mov_b64 s[0:1], 0
                                        ; implicit-def: $vgpr0
	s_branch .LBB38_1395
.LBB38_1394:
	s_mov_b64 s[0:1], -1
                                        ; implicit-def: $vgpr0
	s_mov_b64 s[12:13], 0
.LBB38_1395:
	s_and_b64 vcc, exec, s[16:17]
	s_cbranch_vccz .LBB38_1399
; %bb.1396:
	s_cmp_eq_u32 s3, 44
	s_cbranch_scc0 .LBB38_1398
; %bb.1397:
	global_load_ubyte v0, v[7:8], off
	s_mov_b64 s[0:1], 0
	s_mov_b64 s[12:13], -1
	s_waitcnt vmcnt(0)
	v_lshlrev_b32_e32 v1, 23, v0
	v_cvt_i32_f32_e32 v1, v1
	v_cmp_ne_u32_e32 vcc, 0, v0
	v_cndmask_b32_e32 v0, 0, v1, vcc
	s_branch .LBB38_1399
.LBB38_1398:
	s_mov_b64 s[0:1], -1
                                        ; implicit-def: $vgpr0
.LBB38_1399:
	s_mov_b64 s[16:17], 0
.LBB38_1400:
	s_and_b64 vcc, exec, s[16:17]
	s_cbranch_vccz .LBB38_1404
; %bb.1401:
	s_cmp_eq_u32 s3, 29
	s_cbranch_scc0 .LBB38_1403
; %bb.1402:
	global_load_dwordx2 v[0:1], v[7:8], off
	s_mov_b64 s[0:1], 0
	s_mov_b64 s[12:13], -1
	s_branch .LBB38_1404
.LBB38_1403:
	s_mov_b64 s[0:1], -1
                                        ; implicit-def: $vgpr0
.LBB38_1404:
	s_mov_b64 s[16:17], 0
.LBB38_1405:
	s_and_b64 vcc, exec, s[16:17]
	s_cbranch_vccz .LBB38_1421
; %bb.1406:
	s_cmp_lt_i32 s3, 27
	s_cbranch_scc1 .LBB38_1409
; %bb.1407:
	s_cmp_gt_i32 s3, 27
	s_cbranch_scc0 .LBB38_1410
; %bb.1408:
	global_load_dword v0, v[7:8], off
	s_mov_b64 s[12:13], 0
	s_branch .LBB38_1411
.LBB38_1409:
	s_mov_b64 s[12:13], -1
                                        ; implicit-def: $vgpr0
	s_branch .LBB38_1414
.LBB38_1410:
	s_mov_b64 s[12:13], -1
                                        ; implicit-def: $vgpr0
.LBB38_1411:
	s_andn2_b64 vcc, exec, s[12:13]
	s_cbranch_vccnz .LBB38_1413
; %bb.1412:
	global_load_ushort v0, v[7:8], off
.LBB38_1413:
	s_mov_b64 s[12:13], 0
.LBB38_1414:
	s_andn2_b64 vcc, exec, s[12:13]
	s_cbranch_vccnz .LBB38_1420
; %bb.1415:
	global_load_ubyte v1, v[7:8], off
	s_movk_i32 s12, 0x7f
	s_mov_b64 s[16:17], 0
	s_waitcnt vmcnt(0)
	v_cmp_lt_i16_e32 vcc, s12, v1
	s_and_saveexec_b64 s[12:13], vcc
	s_xor_b64 s[12:13], exec, s[12:13]
	s_cbranch_execz .LBB38_1432
; %bb.1416:
	s_movk_i32 s16, 0x80
	v_cmp_ne_u16_e32 vcc, s16, v1
	s_and_b64 s[16:17], vcc, exec
	s_andn2_saveexec_b64 s[12:13], s[12:13]
	s_cbranch_execnz .LBB38_1433
.LBB38_1417:
	s_or_b64 exec, exec, s[12:13]
	v_mov_b32_e32 v0, 0
	s_and_saveexec_b64 s[12:13], s[16:17]
	s_cbranch_execz .LBB38_1419
.LBB38_1418:
	v_lshlrev_b32_e32 v0, 24, v1
	v_and_b32_e32 v1, 0xffff, v1
	v_and_b32_e32 v3, 7, v1
	v_ffbh_u32_e32 v10, v3
	v_min_u32_e32 v10, 32, v10
	v_subrev_u32_e32 v11, 28, v10
	v_bfe_u32 v5, v1, 3, 4
	v_lshlrev_b32_e32 v1, v11, v1
	v_sub_u32_e32 v10, 29, v10
	v_and_b32_e32 v1, 7, v1
	v_cmp_eq_u32_e32 vcc, 0, v5
	v_cndmask_b32_e32 v5, v5, v10, vcc
	v_cndmask_b32_e32 v1, v3, v1, vcc
	v_mov_b32_e32 v3, 0x3b800000
	v_lshlrev_b32_e32 v1, 20, v1
	v_and_b32_e32 v0, 0x80000000, v0
	v_lshl_add_u32 v3, v5, 23, v3
	v_or3_b32 v0, v0, v3, v1
	v_cvt_i32_f32_e32 v0, v0
.LBB38_1419:
	s_or_b64 exec, exec, s[12:13]
.LBB38_1420:
	s_mov_b64 s[12:13], -1
.LBB38_1421:
	s_mov_b64 s[16:17], 0
.LBB38_1422:
	s_and_b64 vcc, exec, s[16:17]
	s_cbranch_vccz .LBB38_1453
; %bb.1423:
	s_cmp_gt_i32 s3, 22
	s_cbranch_scc0 .LBB38_1431
; %bb.1424:
	s_cmp_lt_i32 s3, 24
	s_cbranch_scc1 .LBB38_1434
; %bb.1425:
	s_cmp_gt_i32 s3, 24
	s_cbranch_scc0 .LBB38_1435
; %bb.1426:
	global_load_ubyte v1, v[7:8], off
	s_movk_i32 s10, 0x7f
	s_mov_b64 s[12:13], 0
	s_waitcnt vmcnt(0)
	v_cmp_lt_i16_e32 vcc, s10, v1
	s_and_saveexec_b64 s[10:11], vcc
	s_xor_b64 s[10:11], exec, s[10:11]
	s_cbranch_execz .LBB38_1447
; %bb.1427:
	s_movk_i32 s12, 0x80
	v_cmp_ne_u16_e32 vcc, s12, v1
	s_and_b64 s[12:13], vcc, exec
	s_andn2_saveexec_b64 s[10:11], s[10:11]
	s_cbranch_execnz .LBB38_1448
.LBB38_1428:
	s_or_b64 exec, exec, s[10:11]
	v_mov_b32_e32 v0, 0
	s_and_saveexec_b64 s[10:11], s[12:13]
	s_cbranch_execz .LBB38_1430
.LBB38_1429:
	v_lshlrev_b32_e32 v0, 24, v1
	v_and_b32_e32 v1, 0xffff, v1
	v_and_b32_e32 v3, 3, v1
	v_ffbh_u32_e32 v10, v3
	v_min_u32_e32 v10, 32, v10
	v_subrev_u32_e32 v11, 29, v10
	v_bfe_u32 v5, v1, 2, 5
	v_lshlrev_b32_e32 v1, v11, v1
	v_sub_u32_e32 v10, 30, v10
	v_and_b32_e32 v1, 3, v1
	v_cmp_eq_u32_e32 vcc, 0, v5
	v_cndmask_b32_e32 v5, v5, v10, vcc
	v_cndmask_b32_e32 v1, v3, v1, vcc
	v_mov_b32_e32 v3, 0x37800000
	v_lshlrev_b32_e32 v1, 21, v1
	v_and_b32_e32 v0, 0x80000000, v0
	v_lshl_add_u32 v3, v5, 23, v3
	v_or3_b32 v0, v0, v3, v1
	v_cvt_i32_f32_e32 v0, v0
.LBB38_1430:
	s_or_b64 exec, exec, s[10:11]
	s_mov_b64 s[10:11], 0
	s_branch .LBB38_1436
.LBB38_1431:
	s_mov_b64 s[10:11], -1
                                        ; implicit-def: $vgpr0
	s_branch .LBB38_1442
.LBB38_1432:
	s_andn2_saveexec_b64 s[12:13], s[12:13]
	s_cbranch_execz .LBB38_1417
.LBB38_1433:
	v_cmp_ne_u16_e32 vcc, 0, v1
	s_andn2_b64 s[16:17], s[16:17], exec
	s_and_b64 s[18:19], vcc, exec
	s_or_b64 s[16:17], s[16:17], s[18:19]
	s_or_b64 exec, exec, s[12:13]
	v_mov_b32_e32 v0, 0
	s_and_saveexec_b64 s[12:13], s[16:17]
	s_cbranch_execnz .LBB38_1418
	s_branch .LBB38_1419
.LBB38_1434:
	s_mov_b64 s[10:11], -1
                                        ; implicit-def: $vgpr0
	s_branch .LBB38_1439
.LBB38_1435:
	s_mov_b64 s[10:11], -1
                                        ; implicit-def: $vgpr0
.LBB38_1436:
	s_and_b64 vcc, exec, s[10:11]
	s_cbranch_vccz .LBB38_1438
; %bb.1437:
	global_load_ubyte v0, v[7:8], off
	s_mov_b32 s10, 0x7f800000
	s_waitcnt vmcnt(0)
	v_lshlrev_b32_e32 v0, 24, v0
	v_and_b32_e32 v1, 0x7f000000, v0
	v_ffbh_u32_e32 v3, v1
	v_min_u32_e32 v3, 32, v3
	v_sub_u32_e64 v3, v3, 4 clamp
	v_lshlrev_b32_e32 v10, v3, v1
	v_lshlrev_b32_e32 v3, 23, v3
	v_lshrrev_b32_e32 v10, 4, v10
	v_add_u32_e32 v5, 0x1000000, v1
	v_sub_u32_e32 v3, v10, v3
	v_ashrrev_i32_e32 v5, 8, v5
	v_add_u32_e32 v3, 0x3c000000, v3
	v_and_or_b32 v3, v5, s10, v3
	v_cmp_ne_u32_e32 vcc, 0, v1
	v_cndmask_b32_e32 v1, 0, v3, vcc
	s_brev_b32 s10, 1
	v_and_or_b32 v0, v0, s10, v1
	v_cvt_i32_f32_e32 v0, v0
.LBB38_1438:
	s_mov_b64 s[10:11], 0
.LBB38_1439:
	s_andn2_b64 vcc, exec, s[10:11]
	s_cbranch_vccnz .LBB38_1441
; %bb.1440:
	global_load_ubyte v0, v[7:8], off
	s_movk_i32 s10, 0x7f00
	s_brev_b32 s11, 16
	s_waitcnt vmcnt(0)
	v_lshlrev_b16_e32 v1, 8, v0
	v_lshlrev_b32_e32 v0, 25, v0
	v_lshrrev_b32_e32 v3, 4, v0
	v_and_or_b32 v5, v1, s10, 0.5
	v_or_b32_e32 v3, 0x70000000, v3
	v_add_f32_e32 v5, -0.5, v5
	v_mul_f32_e32 v3, 0x7800000, v3
	v_cmp_gt_u32_e32 vcc, s11, v0
	v_bfe_i32 v1, v1, 0, 16
	v_cndmask_b32_e32 v0, v3, v5, vcc
	s_brev_b32 s10, 1
	v_and_or_b32 v0, v1, s10, v0
	v_cvt_i32_f32_e32 v0, v0
.LBB38_1441:
	s_mov_b64 s[10:11], 0
	s_mov_b64 s[12:13], -1
.LBB38_1442:
	s_andn2_b64 vcc, exec, s[10:11]
	s_mov_b64 s[10:11], 0
	s_cbranch_vccnz .LBB38_1453
; %bb.1443:
	s_cmp_gt_i32 s3, 14
	s_cbranch_scc0 .LBB38_1446
; %bb.1444:
	s_cmp_eq_u32 s3, 15
	s_cbranch_scc0 .LBB38_1449
; %bb.1445:
	global_load_ushort v0, v[7:8], off
	s_mov_b64 s[0:1], 0
	s_mov_b64 s[12:13], -1
	s_waitcnt vmcnt(0)
	v_lshlrev_b32_e32 v0, 16, v0
	v_cvt_i32_f32_e32 v0, v0
	s_branch .LBB38_1450
.LBB38_1446:
	s_mov_b64 s[16:17], -1
                                        ; implicit-def: $vgpr0
	s_branch .LBB38_1451
.LBB38_1447:
	s_andn2_saveexec_b64 s[10:11], s[10:11]
	s_cbranch_execz .LBB38_1428
.LBB38_1448:
	v_cmp_ne_u16_e32 vcc, 0, v1
	s_andn2_b64 s[12:13], s[12:13], exec
	s_and_b64 s[16:17], vcc, exec
	s_or_b64 s[12:13], s[12:13], s[16:17]
	s_or_b64 exec, exec, s[10:11]
	v_mov_b32_e32 v0, 0
	s_and_saveexec_b64 s[10:11], s[12:13]
	s_cbranch_execnz .LBB38_1429
	s_branch .LBB38_1430
.LBB38_1449:
	s_mov_b64 s[0:1], -1
                                        ; implicit-def: $vgpr0
.LBB38_1450:
	s_mov_b64 s[16:17], 0
.LBB38_1451:
	s_and_b64 vcc, exec, s[16:17]
	s_cbranch_vccz .LBB38_1453
; %bb.1452:
	s_cmp_lg_u32 s3, 11
	s_mov_b64 s[10:11], -1
	s_cselect_b64 s[0:1], -1, 0
.LBB38_1453:
	s_and_b64 vcc, exec, s[0:1]
	s_cbranch_vccnz .LBB38_1986
; %bb.1454:
	s_andn2_b64 vcc, exec, s[10:11]
	s_cbranch_vccnz .LBB38_1456
.LBB38_1455:
	global_load_ubyte v0, v[7:8], off
	s_mov_b64 s[12:13], -1
	s_waitcnt vmcnt(0)
	v_cmp_ne_u16_e32 vcc, 0, v0
	v_cndmask_b32_e64 v0, 0, 1, vcc
.LBB38_1456:
	s_mov_b64 s[0:1], 0
.LBB38_1457:
	s_and_b64 vcc, exec, s[0:1]
	s_cbranch_vccz .LBB38_1506
; %bb.1458:
	s_and_b32 s3, 0xffff, s20
	s_cmp_lt_i32 s3, 5
	s_cbranch_scc1 .LBB38_1463
; %bb.1459:
	s_cmp_lt_i32 s3, 8
	s_cbranch_scc1 .LBB38_1464
; %bb.1460:
	;; [unrolled: 3-line block ×3, first 2 shown]
	s_cmp_gt_i32 s3, 9
	s_cbranch_scc0 .LBB38_1466
; %bb.1462:
	global_load_dwordx2 v[0:1], v[7:8], off
	s_mov_b64 s[0:1], 0
	s_waitcnt vmcnt(0)
	v_cvt_i32_f64_e32 v0, v[0:1]
	s_branch .LBB38_1467
.LBB38_1463:
	s_mov_b64 s[0:1], -1
                                        ; implicit-def: $vgpr0
	s_branch .LBB38_1485
.LBB38_1464:
	s_mov_b64 s[0:1], -1
                                        ; implicit-def: $vgpr0
	s_branch .LBB38_1473
.LBB38_1465:
	s_mov_b64 s[0:1], -1
                                        ; implicit-def: $vgpr0
	s_branch .LBB38_1470
.LBB38_1466:
	s_mov_b64 s[0:1], -1
                                        ; implicit-def: $vgpr0
.LBB38_1467:
	s_andn2_b64 vcc, exec, s[0:1]
	s_cbranch_vccnz .LBB38_1469
; %bb.1468:
	global_load_dword v0, v[7:8], off
	s_waitcnt vmcnt(0)
	v_cvt_i32_f32_e32 v0, v0
.LBB38_1469:
	s_mov_b64 s[0:1], 0
.LBB38_1470:
	s_andn2_b64 vcc, exec, s[0:1]
	s_cbranch_vccnz .LBB38_1472
; %bb.1471:
	global_load_dword v0, v[7:8], off
	s_waitcnt vmcnt(0)
	v_cvt_i16_f16_e32 v0, v0
.LBB38_1472:
	s_mov_b64 s[0:1], 0
.LBB38_1473:
	s_andn2_b64 vcc, exec, s[0:1]
	s_cbranch_vccnz .LBB38_1484
; %bb.1474:
	s_cmp_lt_i32 s3, 6
	s_cbranch_scc1 .LBB38_1477
; %bb.1475:
	s_cmp_gt_i32 s3, 6
	s_cbranch_scc0 .LBB38_1478
; %bb.1476:
	global_load_dwordx2 v[0:1], v[7:8], off
	s_mov_b64 s[0:1], 0
	s_waitcnt vmcnt(0)
	v_cvt_i32_f64_e32 v0, v[0:1]
	s_branch .LBB38_1479
.LBB38_1477:
	s_mov_b64 s[0:1], -1
                                        ; implicit-def: $vgpr0
	s_branch .LBB38_1482
.LBB38_1478:
	s_mov_b64 s[0:1], -1
                                        ; implicit-def: $vgpr0
.LBB38_1479:
	s_andn2_b64 vcc, exec, s[0:1]
	s_cbranch_vccnz .LBB38_1481
; %bb.1480:
	global_load_dword v0, v[7:8], off
	s_waitcnt vmcnt(0)
	v_cvt_i32_f32_e32 v0, v0
.LBB38_1481:
	s_mov_b64 s[0:1], 0
.LBB38_1482:
	s_andn2_b64 vcc, exec, s[0:1]
	s_cbranch_vccnz .LBB38_1484
; %bb.1483:
	global_load_ushort v0, v[7:8], off
	s_waitcnt vmcnt(0)
	v_cvt_i16_f16_e32 v0, v0
.LBB38_1484:
	s_mov_b64 s[0:1], 0
.LBB38_1485:
	s_andn2_b64 vcc, exec, s[0:1]
	s_cbranch_vccnz .LBB38_1505
; %bb.1486:
	s_cmp_lt_i32 s3, 2
	s_cbranch_scc1 .LBB38_1490
; %bb.1487:
	s_cmp_lt_i32 s3, 3
	s_cbranch_scc1 .LBB38_1491
; %bb.1488:
	s_cmp_gt_i32 s3, 3
	s_cbranch_scc0 .LBB38_1492
; %bb.1489:
	global_load_dwordx2 v[0:1], v[7:8], off
	s_mov_b64 s[0:1], 0
	s_branch .LBB38_1493
.LBB38_1490:
	s_mov_b64 s[0:1], -1
                                        ; implicit-def: $vgpr0
	s_branch .LBB38_1499
.LBB38_1491:
	s_mov_b64 s[0:1], -1
                                        ; implicit-def: $vgpr0
	s_branch .LBB38_1496
.LBB38_1492:
	s_mov_b64 s[0:1], -1
                                        ; implicit-def: $vgpr0
.LBB38_1493:
	s_andn2_b64 vcc, exec, s[0:1]
	s_cbranch_vccnz .LBB38_1495
; %bb.1494:
	global_load_dword v0, v[7:8], off
.LBB38_1495:
	s_mov_b64 s[0:1], 0
.LBB38_1496:
	s_andn2_b64 vcc, exec, s[0:1]
	s_cbranch_vccnz .LBB38_1498
; %bb.1497:
	global_load_ushort v0, v[7:8], off
.LBB38_1498:
	s_mov_b64 s[0:1], 0
.LBB38_1499:
	s_andn2_b64 vcc, exec, s[0:1]
	s_cbranch_vccnz .LBB38_1505
; %bb.1500:
	s_cmp_gt_i32 s3, 0
	s_cbranch_scc0 .LBB38_1502
; %bb.1501:
	global_load_ubyte v0, v[7:8], off
	s_mov_b64 s[0:1], 0
	s_branch .LBB38_1503
.LBB38_1502:
	s_mov_b64 s[0:1], -1
                                        ; implicit-def: $vgpr0
.LBB38_1503:
	s_andn2_b64 vcc, exec, s[0:1]
	s_cbranch_vccnz .LBB38_1505
; %bb.1504:
	global_load_ubyte v0, v[7:8], off
.LBB38_1505:
	s_mov_b64 s[12:13], -1
.LBB38_1506:
	s_andn2_b64 vcc, exec, s[12:13]
	s_cbranch_vccnz .LBB38_1940
; %bb.1507:
	s_waitcnt vmcnt(0)
	v_mul_lo_u32 v1, s2, v9
	s_and_b32 s23, s44, 0xff
	s_cmp_gt_u32 s23, 7
	v_lshlrev_b32_e32 v3, s44, v6
	s_cselect_b64 s[10:11], -1, 0
	v_ashrrev_i32_e32 v6, 31, v1
	v_mov_b32_e32 v7, s9
	s_and_b32 s22, s33, 0xff
	v_add_co_u32_e32 v5, vcc, s8, v1
	v_cndmask_b32_e64 v3, v3, 0, s[10:11]
	s_cmp_lt_i32 s22, 11
	v_addc_co_u32_e32 v6, vcc, v7, v6, vcc
	s_cbranch_scc1 .LBB38_1585
; %bb.1508:
	s_and_b32 s3, 0xffff, s22
	s_mov_b64 s[18:19], -1
	s_mov_b64 s[12:13], 0
	s_cmp_gt_i32 s3, 25
	s_mov_b64 s[16:17], 0
	s_mov_b64 s[0:1], 0
	s_cbranch_scc0 .LBB38_1541
; %bb.1509:
	s_cmp_gt_i32 s3, 28
	s_cbranch_scc0 .LBB38_1524
; %bb.1510:
	s_cmp_gt_i32 s3, 43
	;; [unrolled: 3-line block ×3, first 2 shown]
	s_cbranch_scc0 .LBB38_1514
; %bb.1512:
	s_mov_b64 s[0:1], -1
	s_mov_b64 s[18:19], 0
	s_cmp_eq_u32 s3, 46
	s_cbranch_scc0 .LBB38_1514
; %bb.1513:
	v_bfe_i32 v7, v3, 0, 8
	v_cvt_f32_i32_sdwa v7, sext(v7) dst_sel:DWORD dst_unused:UNUSED_PAD src0_sel:WORD_0
	s_movk_i32 s16, 0x7fff
	s_mov_b64 s[0:1], 0
	v_bfe_u32 v8, v7, 16, 1
	v_add3_u32 v7, v7, v8, s16
	v_lshrrev_b32_e32 v7, 16, v7
	global_store_dword v[5:6], v7, off
	s_mov_b64 s[16:17], -1
.LBB38_1514:
	s_and_b64 vcc, exec, s[18:19]
	s_cbranch_vccz .LBB38_1519
; %bb.1515:
	s_cmp_eq_u32 s3, 44
	s_mov_b64 s[0:1], -1
	s_cbranch_scc0 .LBB38_1519
; %bb.1516:
	v_bfe_i32 v7, v3, 0, 8
	v_cvt_f32_i32_sdwa v7, sext(v7) dst_sel:DWORD dst_unused:UNUSED_PAD src0_sel:WORD_0
	s_movk_i32 s0, 0xff
	v_mov_b32_e32 v9, 0xff
	v_bfe_u32 v8, v7, 23, 8
	v_cmp_ne_u32_e32 vcc, s0, v8
	s_and_saveexec_b64 s[16:17], vcc
; %bb.1517:
	s_mov_b32 s0, 0x3fffff
	v_lshrrev_b32_e32 v9, 23, v7
	v_and_b32_e32 v10, 0x400000, v7
	v_and_or_b32 v7, v7, s0, v8
	v_cmp_ne_u32_e32 vcc, 0, v10
	v_cmp_ne_u32_e64 s[0:1], 0, v7
	s_and_b64 s[0:1], vcc, s[0:1]
	v_cndmask_b32_e64 v7, 0, 1, s[0:1]
	v_add_u32_e32 v9, v9, v7
; %bb.1518:
	s_or_b64 exec, exec, s[16:17]
	s_mov_b64 s[0:1], 0
	s_mov_b64 s[16:17], -1
	global_store_byte v[5:6], v9, off
.LBB38_1519:
	s_mov_b64 s[18:19], 0
.LBB38_1520:
	s_and_b64 vcc, exec, s[18:19]
	s_cbranch_vccz .LBB38_1523
; %bb.1521:
	s_cmp_eq_u32 s3, 29
	s_mov_b64 s[0:1], -1
	s_cbranch_scc0 .LBB38_1523
; %bb.1522:
	v_bfe_i32 v7, v3, 0, 8
	v_ashrrev_i32_e32 v8, 31, v7
	global_store_dwordx2 v[5:6], v[7:8], off
	s_mov_b64 s[0:1], 0
	s_mov_b64 s[16:17], -1
.LBB38_1523:
	s_mov_b64 s[18:19], 0
.LBB38_1524:
	s_and_b64 vcc, exec, s[18:19]
	s_cbranch_vccz .LBB38_1540
; %bb.1525:
	s_cmp_lt_i32 s3, 27
	s_mov_b64 s[16:17], -1
	s_cbranch_scc1 .LBB38_1531
; %bb.1526:
	s_cmp_gt_i32 s3, 27
	s_cbranch_scc0 .LBB38_1528
; %bb.1527:
	v_bfe_i32 v7, v3, 0, 8
	s_mov_b64 s[16:17], 0
	global_store_dword v[5:6], v7, off
.LBB38_1528:
	s_andn2_b64 vcc, exec, s[16:17]
	s_cbranch_vccnz .LBB38_1530
; %bb.1529:
	v_bfe_i32 v7, v3, 0, 8
	global_store_short v[5:6], v7, off
.LBB38_1530:
	s_mov_b64 s[16:17], 0
.LBB38_1531:
	s_andn2_b64 vcc, exec, s[16:17]
	s_cbranch_vccnz .LBB38_1539
; %bb.1532:
	v_bfe_i32 v7, v3, 0, 8
	v_cvt_f32_i32_sdwa v7, sext(v7) dst_sel:DWORD dst_unused:UNUSED_PAD src0_sel:WORD_0
	s_mov_b32 s16, 0x43800000
	v_mov_b32_e32 v9, 0x80
	v_and_b32_e32 v8, 0x7fffffff, v7
	v_cmp_gt_u32_e32 vcc, s16, v8
	s_and_saveexec_b64 s[16:17], vcc
	s_cbranch_execz .LBB38_1538
; %bb.1533:
	s_mov_b32 s18, 0x3bffffff
	v_cmp_lt_u32_e32 vcc, s18, v8
	s_mov_b64 s[18:19], 0
                                        ; implicit-def: $vgpr8
	s_and_saveexec_b64 s[20:21], vcc
	s_xor_b64 s[20:21], exec, s[20:21]
	s_cbranch_execz .LBB38_1987
; %bb.1534:
	v_bfe_u32 v8, v7, 20, 1
	s_mov_b32 s24, 0x487ffff
	v_add3_u32 v8, v7, v8, s24
	s_mov_b64 s[18:19], exec
	v_lshrrev_b32_e32 v8, 20, v8
	s_andn2_saveexec_b64 s[20:21], s[20:21]
	s_cbranch_execnz .LBB38_1988
.LBB38_1535:
	s_or_b64 exec, exec, s[20:21]
	v_mov_b32_e32 v9, 0
	s_and_saveexec_b64 s[20:21], s[18:19]
.LBB38_1536:
	v_lshrrev_b32_e32 v7, 24, v7
	s_movk_i32 s18, 0x80
	v_and_or_b32 v9, v7, s18, v8
.LBB38_1537:
	s_or_b64 exec, exec, s[20:21]
.LBB38_1538:
	s_or_b64 exec, exec, s[16:17]
	global_store_byte v[5:6], v9, off
.LBB38_1539:
	s_mov_b64 s[16:17], -1
.LBB38_1540:
	s_mov_b64 s[18:19], 0
.LBB38_1541:
	s_and_b64 vcc, exec, s[18:19]
	s_cbranch_vccz .LBB38_1581
; %bb.1542:
	s_cmp_gt_i32 s3, 22
	s_mov_b64 s[12:13], -1
	s_cbranch_scc0 .LBB38_1574
; %bb.1543:
	s_cmp_lt_i32 s3, 24
	s_cbranch_scc1 .LBB38_1563
; %bb.1544:
	s_cmp_gt_i32 s3, 24
	s_cbranch_scc0 .LBB38_1552
; %bb.1545:
	v_bfe_i32 v7, v3, 0, 8
	v_cvt_f32_i32_sdwa v7, sext(v7) dst_sel:DWORD dst_unused:UNUSED_PAD src0_sel:WORD_0
	s_mov_b32 s12, 0x47800000
	v_mov_b32_e32 v9, 0x80
	v_and_b32_e32 v8, 0x7fffffff, v7
	v_cmp_gt_u32_e32 vcc, s12, v8
	s_and_saveexec_b64 s[12:13], vcc
	s_cbranch_execz .LBB38_1551
; %bb.1546:
	s_mov_b32 s16, 0x37ffffff
	v_cmp_lt_u32_e32 vcc, s16, v8
	s_mov_b64 s[16:17], 0
                                        ; implicit-def: $vgpr8
	s_and_saveexec_b64 s[18:19], vcc
	s_xor_b64 s[18:19], exec, s[18:19]
	s_cbranch_execz .LBB38_1990
; %bb.1547:
	v_bfe_u32 v8, v7, 21, 1
	s_mov_b32 s20, 0x88fffff
	v_add3_u32 v8, v7, v8, s20
	s_mov_b64 s[16:17], exec
	v_lshrrev_b32_e32 v8, 21, v8
	s_andn2_saveexec_b64 s[18:19], s[18:19]
	s_cbranch_execnz .LBB38_1991
.LBB38_1548:
	s_or_b64 exec, exec, s[18:19]
	v_mov_b32_e32 v9, 0
	s_and_saveexec_b64 s[18:19], s[16:17]
.LBB38_1549:
	v_lshrrev_b32_e32 v7, 24, v7
	s_movk_i32 s16, 0x80
	v_and_or_b32 v9, v7, s16, v8
.LBB38_1550:
	s_or_b64 exec, exec, s[18:19]
.LBB38_1551:
	s_or_b64 exec, exec, s[12:13]
	s_mov_b64 s[12:13], 0
	global_store_byte v[5:6], v9, off
.LBB38_1552:
	s_and_b64 vcc, exec, s[12:13]
	s_cbranch_vccz .LBB38_1562
; %bb.1553:
	v_bfe_i32 v7, v3, 0, 8
	v_cvt_f32_i32_sdwa v7, sext(v7) dst_sel:DWORD dst_unused:UNUSED_PAD src0_sel:WORD_0
	s_mov_b32 s12, 0x43f00000
                                        ; implicit-def: $vgpr8
	v_and_b32_e32 v9, 0x7fffffff, v7
	v_cmp_gt_u32_e32 vcc, s12, v9
	s_and_saveexec_b64 s[12:13], vcc
	s_xor_b64 s[12:13], exec, s[12:13]
	s_cbranch_execz .LBB38_1559
; %bb.1554:
	s_mov_b32 s16, 0x3c7fffff
	v_cmp_lt_u32_e32 vcc, s16, v9
                                        ; implicit-def: $vgpr8
	s_and_saveexec_b64 s[16:17], vcc
	s_xor_b64 s[16:17], exec, s[16:17]
; %bb.1555:
	v_bfe_u32 v8, v7, 20, 1
	s_mov_b32 s18, 0x407ffff
	v_add3_u32 v8, v7, v8, s18
	v_lshrrev_b32_e32 v9, 20, v8
	v_and_b32_e32 v8, 0xff00000, v8
	s_mov_b32 s18, 0x7f00000
	v_mov_b32_e32 v10, 0x7e
	v_cmp_ne_u32_e32 vcc, s18, v8
	v_cndmask_b32_e32 v8, v10, v9, vcc
; %bb.1556:
	s_andn2_saveexec_b64 s[16:17], s[16:17]
; %bb.1557:
	s_mov_b32 s18, 0x46800000
	v_add_f32_e64 v8, |v7|, s18
; %bb.1558:
	s_or_b64 exec, exec, s[16:17]
                                        ; implicit-def: $vgpr9
.LBB38_1559:
	s_andn2_saveexec_b64 s[12:13], s[12:13]
; %bb.1560:
	s_mov_b32 s16, 0x7f800000
	v_mov_b32_e32 v8, 0x7e
	v_mov_b32_e32 v10, 0x7f
	v_cmp_lt_u32_e32 vcc, s16, v9
	v_cndmask_b32_e32 v8, v8, v10, vcc
; %bb.1561:
	s_or_b64 exec, exec, s[12:13]
	v_lshrrev_b32_e32 v7, 24, v7
	s_movk_i32 s12, 0x80
	v_and_or_b32 v7, v7, s12, v8
	global_store_byte v[5:6], v7, off
.LBB38_1562:
	s_mov_b64 s[12:13], 0
.LBB38_1563:
	s_andn2_b64 vcc, exec, s[12:13]
	s_cbranch_vccnz .LBB38_1573
; %bb.1564:
	v_bfe_i32 v7, v3, 0, 8
	v_cvt_f32_i32_sdwa v7, sext(v7) dst_sel:DWORD dst_unused:UNUSED_PAD src0_sel:WORD_0
	s_mov_b32 s12, 0x47800000
                                        ; implicit-def: $vgpr8
	v_and_b32_e32 v9, 0x7fffffff, v7
	v_cmp_gt_u32_e32 vcc, s12, v9
	s_and_saveexec_b64 s[12:13], vcc
	s_xor_b64 s[12:13], exec, s[12:13]
	s_cbranch_execz .LBB38_1570
; %bb.1565:
	s_mov_b32 s16, 0x387fffff
	v_cmp_lt_u32_e32 vcc, s16, v9
                                        ; implicit-def: $vgpr8
	s_and_saveexec_b64 s[16:17], vcc
	s_xor_b64 s[16:17], exec, s[16:17]
; %bb.1566:
	v_bfe_u32 v8, v7, 21, 1
	s_mov_b32 s18, 0x80fffff
	v_add3_u32 v8, v7, v8, s18
	v_lshrrev_b32_e32 v8, 21, v8
; %bb.1567:
	s_andn2_saveexec_b64 s[16:17], s[16:17]
; %bb.1568:
	s_mov_b32 s18, 0x43000000
	v_add_f32_e64 v8, |v7|, s18
; %bb.1569:
	s_or_b64 exec, exec, s[16:17]
                                        ; implicit-def: $vgpr9
.LBB38_1570:
	s_andn2_saveexec_b64 s[12:13], s[12:13]
; %bb.1571:
	s_mov_b32 s16, 0x7f800000
	v_mov_b32_e32 v8, 0x7c
	v_mov_b32_e32 v10, 0x7f
	v_cmp_lt_u32_e32 vcc, s16, v9
	v_cndmask_b32_e32 v8, v8, v10, vcc
; %bb.1572:
	s_or_b64 exec, exec, s[12:13]
	v_lshrrev_b32_e32 v7, 24, v7
	s_movk_i32 s12, 0x80
	v_and_or_b32 v7, v7, s12, v8
	global_store_byte v[5:6], v7, off
.LBB38_1573:
	s_mov_b64 s[12:13], 0
	s_mov_b64 s[16:17], -1
.LBB38_1574:
	s_andn2_b64 vcc, exec, s[12:13]
	s_mov_b64 s[12:13], 0
	s_cbranch_vccnz .LBB38_1581
; %bb.1575:
	s_cmp_gt_i32 s3, 14
	s_mov_b64 s[18:19], -1
	s_cbranch_scc0 .LBB38_1579
; %bb.1576:
	s_cmp_eq_u32 s3, 15
	s_mov_b64 s[0:1], -1
	s_cbranch_scc0 .LBB38_1578
; %bb.1577:
	v_bfe_i32 v7, v3, 0, 8
	v_cvt_f32_i32_sdwa v7, sext(v7) dst_sel:DWORD dst_unused:UNUSED_PAD src0_sel:WORD_0
	s_movk_i32 s12, 0x7fff
	s_mov_b64 s[0:1], 0
	s_mov_b64 s[16:17], -1
	v_bfe_u32 v8, v7, 16, 1
	v_add3_u32 v7, v7, v8, s12
	global_store_short_d16_hi v[5:6], v7, off
.LBB38_1578:
	s_mov_b64 s[18:19], 0
.LBB38_1579:
	s_mov_b64 s[12:13], 0
	s_and_b64 vcc, exec, s[18:19]
	s_cbranch_vccz .LBB38_1581
; %bb.1580:
	s_cmp_lg_u32 s3, 11
	s_mov_b64 s[12:13], -1
	s_cselect_b64 s[0:1], -1, 0
.LBB38_1581:
	s_and_b64 vcc, exec, s[0:1]
	s_cbranch_vccnz .LBB38_1989
; %bb.1582:
	s_andn2_b64 vcc, exec, s[12:13]
	s_cbranch_vccnz .LBB38_1584
.LBB38_1583:
	v_mov_b32_e32 v7, 0
	v_cmp_ne_u16_sdwa s[0:1], v3, v7 src0_sel:BYTE_0 src1_sel:DWORD
	v_cndmask_b32_e64 v7, 0, 1, s[0:1]
	s_mov_b64 s[16:17], -1
	global_store_byte v[5:6], v7, off
.LBB38_1584:
	s_mov_b64 s[0:1], 0
	s_branch .LBB38_1586
.LBB38_1585:
	s_mov_b64 s[0:1], -1
	s_mov_b64 s[16:17], 0
.LBB38_1586:
	s_and_b64 vcc, exec, s[0:1]
	s_cbranch_vccz .LBB38_1625
; %bb.1587:
	s_and_b32 s3, 0xffff, s22
	s_cmp_lt_i32 s3, 5
	s_mov_b64 s[0:1], -1
	s_cbranch_scc1 .LBB38_1608
; %bb.1588:
	s_cmp_lt_i32 s3, 8
	s_cbranch_scc1 .LBB38_1598
; %bb.1589:
	s_cmp_lt_i32 s3, 9
	s_cbranch_scc1 .LBB38_1595
; %bb.1590:
	s_cmp_gt_i32 s3, 9
	s_cbranch_scc0 .LBB38_1592
; %bb.1591:
	v_bfe_i32 v7, v3, 0, 8
	v_bfe_i32 v7, v7, 0, 16
	v_cvt_f64_i32_e32 v[7:8], v7
	v_mov_b32_e32 v9, 0
	v_mov_b32_e32 v10, v9
	s_mov_b64 s[0:1], 0
	global_store_dwordx4 v[5:6], v[7:10], off
.LBB38_1592:
	s_andn2_b64 vcc, exec, s[0:1]
	s_cbranch_vccnz .LBB38_1594
; %bb.1593:
	v_bfe_i32 v7, v3, 0, 8
	v_cvt_f32_i32_sdwa v7, sext(v7) dst_sel:DWORD dst_unused:UNUSED_PAD src0_sel:WORD_0
	v_mov_b32_e32 v8, 0
	global_store_dwordx2 v[5:6], v[7:8], off
.LBB38_1594:
	s_mov_b64 s[0:1], 0
.LBB38_1595:
	s_andn2_b64 vcc, exec, s[0:1]
	s_cbranch_vccnz .LBB38_1597
; %bb.1596:
	v_cvt_f16_i16_sdwa v7, sext(v3) dst_sel:DWORD dst_unused:UNUSED_PAD src0_sel:BYTE_0
	global_store_dword v[5:6], v7, off
.LBB38_1597:
	s_mov_b64 s[0:1], 0
.LBB38_1598:
	s_andn2_b64 vcc, exec, s[0:1]
	s_cbranch_vccnz .LBB38_1607
; %bb.1599:
	s_cmp_lt_i32 s3, 6
	s_mov_b64 s[0:1], -1
	s_cbranch_scc1 .LBB38_1605
; %bb.1600:
	s_cmp_gt_i32 s3, 6
	s_cbranch_scc0 .LBB38_1602
; %bb.1601:
	v_bfe_i32 v7, v3, 0, 8
	v_bfe_i32 v7, v7, 0, 16
	v_cvt_f64_i32_e32 v[7:8], v7
	s_mov_b64 s[0:1], 0
	global_store_dwordx2 v[5:6], v[7:8], off
.LBB38_1602:
	s_andn2_b64 vcc, exec, s[0:1]
	s_cbranch_vccnz .LBB38_1604
; %bb.1603:
	v_bfe_i32 v7, v3, 0, 8
	v_cvt_f32_i32_sdwa v7, sext(v7) dst_sel:DWORD dst_unused:UNUSED_PAD src0_sel:WORD_0
	global_store_dword v[5:6], v7, off
.LBB38_1604:
	s_mov_b64 s[0:1], 0
.LBB38_1605:
	s_andn2_b64 vcc, exec, s[0:1]
	s_cbranch_vccnz .LBB38_1607
; %bb.1606:
	v_cvt_f16_i16_sdwa v7, sext(v3) dst_sel:DWORD dst_unused:UNUSED_PAD src0_sel:BYTE_0
	global_store_short v[5:6], v7, off
.LBB38_1607:
	s_mov_b64 s[0:1], 0
.LBB38_1608:
	s_andn2_b64 vcc, exec, s[0:1]
	s_cbranch_vccnz .LBB38_1624
; %bb.1609:
	s_cmp_lt_i32 s3, 2
	s_mov_b64 s[0:1], -1
	s_cbranch_scc1 .LBB38_1619
; %bb.1610:
	s_cmp_lt_i32 s3, 3
	s_cbranch_scc1 .LBB38_1616
; %bb.1611:
	s_cmp_gt_i32 s3, 3
	s_cbranch_scc0 .LBB38_1613
; %bb.1612:
	v_bfe_i32 v7, v3, 0, 8
	v_ashrrev_i32_e32 v8, 31, v7
	global_store_dwordx2 v[5:6], v[7:8], off
	s_mov_b64 s[0:1], 0
.LBB38_1613:
	s_andn2_b64 vcc, exec, s[0:1]
	s_cbranch_vccnz .LBB38_1615
; %bb.1614:
	v_bfe_i32 v7, v3, 0, 8
	global_store_dword v[5:6], v7, off
.LBB38_1615:
	s_mov_b64 s[0:1], 0
.LBB38_1616:
	s_andn2_b64 vcc, exec, s[0:1]
	s_cbranch_vccnz .LBB38_1618
; %bb.1617:
	v_bfe_i32 v7, v3, 0, 8
	global_store_short v[5:6], v7, off
.LBB38_1618:
	s_mov_b64 s[0:1], 0
.LBB38_1619:
	s_andn2_b64 vcc, exec, s[0:1]
	s_cbranch_vccnz .LBB38_1624
; %bb.1620:
	s_cmp_gt_i32 s3, 0
	s_mov_b64 s[0:1], -1
	s_cbranch_scc0 .LBB38_1622
; %bb.1621:
	global_store_byte v[5:6], v3, off
	s_mov_b64 s[0:1], 0
.LBB38_1622:
	s_andn2_b64 vcc, exec, s[0:1]
	s_cbranch_vccnz .LBB38_1624
; %bb.1623:
	global_store_byte v[5:6], v3, off
.LBB38_1624:
	s_mov_b64 s[16:17], -1
.LBB38_1625:
	s_andn2_b64 vcc, exec, s[16:17]
	s_cbranch_vccnz .LBB38_1940
; %bb.1626:
	s_lshl_b32 s20, s2, 7
	v_lshlrev_b32_e32 v3, s23, v4
	v_add_u32_e32 v1, s20, v1
	v_cndmask_b32_e64 v5, v3, 0, s[10:11]
	v_ashrrev_i32_e32 v4, 31, v1
	v_mov_b32_e32 v6, s9
	v_add_co_u32_e32 v3, vcc, s8, v1
	s_cmp_lt_i32 s22, 11
	v_addc_co_u32_e32 v4, vcc, v6, v4, vcc
	s_cbranch_scc1 .LBB38_1704
; %bb.1627:
	s_and_b32 s21, 0xffff, s22
	s_mov_b64 s[16:17], -1
	s_mov_b64 s[2:3], 0
	s_cmp_gt_i32 s21, 25
	s_mov_b64 s[12:13], 0
	s_mov_b64 s[0:1], 0
	s_cbranch_scc0 .LBB38_1660
; %bb.1628:
	s_cmp_gt_i32 s21, 28
	s_cbranch_scc0 .LBB38_1643
; %bb.1629:
	s_cmp_gt_i32 s21, 43
	;; [unrolled: 3-line block ×3, first 2 shown]
	s_cbranch_scc0 .LBB38_1633
; %bb.1631:
	s_mov_b64 s[0:1], -1
	s_mov_b64 s[16:17], 0
	s_cmp_eq_u32 s21, 46
	s_cbranch_scc0 .LBB38_1633
; %bb.1632:
	v_bfe_i32 v6, v5, 0, 8
	v_cvt_f32_i32_sdwa v6, sext(v6) dst_sel:DWORD dst_unused:UNUSED_PAD src0_sel:WORD_0
	s_movk_i32 s12, 0x7fff
	s_mov_b64 s[0:1], 0
	v_bfe_u32 v7, v6, 16, 1
	v_add3_u32 v6, v6, v7, s12
	v_lshrrev_b32_e32 v6, 16, v6
	global_store_dword v[3:4], v6, off
	s_mov_b64 s[12:13], -1
.LBB38_1633:
	s_and_b64 vcc, exec, s[16:17]
	s_cbranch_vccz .LBB38_1638
; %bb.1634:
	s_cmp_eq_u32 s21, 44
	s_mov_b64 s[0:1], -1
	s_cbranch_scc0 .LBB38_1638
; %bb.1635:
	v_bfe_i32 v6, v5, 0, 8
	v_cvt_f32_i32_sdwa v6, sext(v6) dst_sel:DWORD dst_unused:UNUSED_PAD src0_sel:WORD_0
	s_movk_i32 s0, 0xff
	v_mov_b32_e32 v8, 0xff
	v_bfe_u32 v7, v6, 23, 8
	v_cmp_ne_u32_e32 vcc, s0, v7
	s_and_saveexec_b64 s[12:13], vcc
; %bb.1636:
	s_mov_b32 s0, 0x3fffff
	v_lshrrev_b32_e32 v8, 23, v6
	v_and_b32_e32 v9, 0x400000, v6
	v_and_or_b32 v6, v6, s0, v7
	v_cmp_ne_u32_e32 vcc, 0, v9
	v_cmp_ne_u32_e64 s[0:1], 0, v6
	s_and_b64 s[0:1], vcc, s[0:1]
	v_cndmask_b32_e64 v6, 0, 1, s[0:1]
	v_add_u32_e32 v8, v8, v6
; %bb.1637:
	s_or_b64 exec, exec, s[12:13]
	s_mov_b64 s[0:1], 0
	s_mov_b64 s[12:13], -1
	global_store_byte v[3:4], v8, off
.LBB38_1638:
	s_mov_b64 s[16:17], 0
.LBB38_1639:
	s_and_b64 vcc, exec, s[16:17]
	s_cbranch_vccz .LBB38_1642
; %bb.1640:
	s_cmp_eq_u32 s21, 29
	s_mov_b64 s[0:1], -1
	s_cbranch_scc0 .LBB38_1642
; %bb.1641:
	v_bfe_i32 v6, v5, 0, 8
	v_ashrrev_i32_e32 v7, 31, v6
	global_store_dwordx2 v[3:4], v[6:7], off
	s_mov_b64 s[0:1], 0
	s_mov_b64 s[12:13], -1
.LBB38_1642:
	s_mov_b64 s[16:17], 0
.LBB38_1643:
	s_and_b64 vcc, exec, s[16:17]
	s_cbranch_vccz .LBB38_1659
; %bb.1644:
	s_cmp_lt_i32 s21, 27
	s_mov_b64 s[12:13], -1
	s_cbranch_scc1 .LBB38_1650
; %bb.1645:
	s_cmp_gt_i32 s21, 27
	s_cbranch_scc0 .LBB38_1647
; %bb.1646:
	v_bfe_i32 v6, v5, 0, 8
	s_mov_b64 s[12:13], 0
	global_store_dword v[3:4], v6, off
.LBB38_1647:
	s_andn2_b64 vcc, exec, s[12:13]
	s_cbranch_vccnz .LBB38_1649
; %bb.1648:
	v_bfe_i32 v6, v5, 0, 8
	global_store_short v[3:4], v6, off
.LBB38_1649:
	s_mov_b64 s[12:13], 0
.LBB38_1650:
	s_andn2_b64 vcc, exec, s[12:13]
	s_cbranch_vccnz .LBB38_1658
; %bb.1651:
	v_bfe_i32 v6, v5, 0, 8
	v_cvt_f32_i32_sdwa v6, sext(v6) dst_sel:DWORD dst_unused:UNUSED_PAD src0_sel:WORD_0
	s_mov_b32 s12, 0x43800000
	v_mov_b32_e32 v8, 0x80
	v_and_b32_e32 v7, 0x7fffffff, v6
	v_cmp_gt_u32_e32 vcc, s12, v7
	s_and_saveexec_b64 s[12:13], vcc
	s_cbranch_execz .LBB38_1657
; %bb.1652:
	s_mov_b32 s16, 0x3bffffff
	v_cmp_lt_u32_e32 vcc, s16, v7
	s_mov_b64 s[16:17], 0
                                        ; implicit-def: $vgpr7
	s_and_saveexec_b64 s[18:19], vcc
	s_xor_b64 s[18:19], exec, s[18:19]
	s_cbranch_execz .LBB38_1992
; %bb.1653:
	v_bfe_u32 v7, v6, 20, 1
	s_mov_b32 s24, 0x487ffff
	v_add3_u32 v7, v6, v7, s24
	s_mov_b64 s[16:17], exec
	v_lshrrev_b32_e32 v7, 20, v7
	s_andn2_saveexec_b64 s[18:19], s[18:19]
	s_cbranch_execnz .LBB38_1993
.LBB38_1654:
	s_or_b64 exec, exec, s[18:19]
	v_mov_b32_e32 v8, 0
	s_and_saveexec_b64 s[18:19], s[16:17]
.LBB38_1655:
	v_lshrrev_b32_e32 v6, 24, v6
	s_movk_i32 s16, 0x80
	v_and_or_b32 v8, v6, s16, v7
.LBB38_1656:
	s_or_b64 exec, exec, s[18:19]
.LBB38_1657:
	s_or_b64 exec, exec, s[12:13]
	global_store_byte v[3:4], v8, off
.LBB38_1658:
	s_mov_b64 s[12:13], -1
.LBB38_1659:
	s_mov_b64 s[16:17], 0
.LBB38_1660:
	s_and_b64 vcc, exec, s[16:17]
	s_cbranch_vccz .LBB38_1700
; %bb.1661:
	s_cmp_gt_i32 s21, 22
	s_mov_b64 s[2:3], -1
	s_cbranch_scc0 .LBB38_1693
; %bb.1662:
	s_cmp_lt_i32 s21, 24
	s_cbranch_scc1 .LBB38_1682
; %bb.1663:
	s_cmp_gt_i32 s21, 24
	s_cbranch_scc0 .LBB38_1671
; %bb.1664:
	v_bfe_i32 v6, v5, 0, 8
	v_cvt_f32_i32_sdwa v6, sext(v6) dst_sel:DWORD dst_unused:UNUSED_PAD src0_sel:WORD_0
	s_mov_b32 s2, 0x47800000
	v_mov_b32_e32 v8, 0x80
	v_and_b32_e32 v7, 0x7fffffff, v6
	v_cmp_gt_u32_e32 vcc, s2, v7
	s_and_saveexec_b64 s[2:3], vcc
	s_cbranch_execz .LBB38_1670
; %bb.1665:
	s_mov_b32 s12, 0x37ffffff
	v_cmp_lt_u32_e32 vcc, s12, v7
	s_mov_b64 s[12:13], 0
                                        ; implicit-def: $vgpr7
	s_and_saveexec_b64 s[16:17], vcc
	s_xor_b64 s[16:17], exec, s[16:17]
	s_cbranch_execz .LBB38_1995
; %bb.1666:
	v_bfe_u32 v7, v6, 21, 1
	s_mov_b32 s18, 0x88fffff
	v_add3_u32 v7, v6, v7, s18
	s_mov_b64 s[12:13], exec
	v_lshrrev_b32_e32 v7, 21, v7
	s_andn2_saveexec_b64 s[16:17], s[16:17]
	s_cbranch_execnz .LBB38_1996
.LBB38_1667:
	s_or_b64 exec, exec, s[16:17]
	v_mov_b32_e32 v8, 0
	s_and_saveexec_b64 s[16:17], s[12:13]
.LBB38_1668:
	v_lshrrev_b32_e32 v6, 24, v6
	s_movk_i32 s12, 0x80
	v_and_or_b32 v8, v6, s12, v7
.LBB38_1669:
	s_or_b64 exec, exec, s[16:17]
.LBB38_1670:
	s_or_b64 exec, exec, s[2:3]
	s_mov_b64 s[2:3], 0
	global_store_byte v[3:4], v8, off
.LBB38_1671:
	s_and_b64 vcc, exec, s[2:3]
	s_cbranch_vccz .LBB38_1681
; %bb.1672:
	v_bfe_i32 v6, v5, 0, 8
	v_cvt_f32_i32_sdwa v6, sext(v6) dst_sel:DWORD dst_unused:UNUSED_PAD src0_sel:WORD_0
	s_mov_b32 s2, 0x43f00000
                                        ; implicit-def: $vgpr7
	v_and_b32_e32 v8, 0x7fffffff, v6
	v_cmp_gt_u32_e32 vcc, s2, v8
	s_and_saveexec_b64 s[2:3], vcc
	s_xor_b64 s[2:3], exec, s[2:3]
	s_cbranch_execz .LBB38_1678
; %bb.1673:
	s_mov_b32 s12, 0x3c7fffff
	v_cmp_lt_u32_e32 vcc, s12, v8
                                        ; implicit-def: $vgpr7
	s_and_saveexec_b64 s[12:13], vcc
	s_xor_b64 s[12:13], exec, s[12:13]
; %bb.1674:
	v_bfe_u32 v7, v6, 20, 1
	s_mov_b32 s16, 0x407ffff
	v_add3_u32 v7, v6, v7, s16
	v_lshrrev_b32_e32 v8, 20, v7
	v_and_b32_e32 v7, 0xff00000, v7
	s_mov_b32 s16, 0x7f00000
	v_mov_b32_e32 v9, 0x7e
	v_cmp_ne_u32_e32 vcc, s16, v7
	v_cndmask_b32_e32 v7, v9, v8, vcc
; %bb.1675:
	s_andn2_saveexec_b64 s[12:13], s[12:13]
; %bb.1676:
	s_mov_b32 s16, 0x46800000
	v_add_f32_e64 v7, |v6|, s16
; %bb.1677:
	s_or_b64 exec, exec, s[12:13]
                                        ; implicit-def: $vgpr8
.LBB38_1678:
	s_andn2_saveexec_b64 s[2:3], s[2:3]
; %bb.1679:
	s_mov_b32 s12, 0x7f800000
	v_mov_b32_e32 v7, 0x7e
	v_mov_b32_e32 v9, 0x7f
	v_cmp_lt_u32_e32 vcc, s12, v8
	v_cndmask_b32_e32 v7, v7, v9, vcc
; %bb.1680:
	s_or_b64 exec, exec, s[2:3]
	v_lshrrev_b32_e32 v6, 24, v6
	s_movk_i32 s2, 0x80
	v_and_or_b32 v6, v6, s2, v7
	global_store_byte v[3:4], v6, off
.LBB38_1681:
	s_mov_b64 s[2:3], 0
.LBB38_1682:
	s_andn2_b64 vcc, exec, s[2:3]
	s_cbranch_vccnz .LBB38_1692
; %bb.1683:
	v_bfe_i32 v6, v5, 0, 8
	v_cvt_f32_i32_sdwa v6, sext(v6) dst_sel:DWORD dst_unused:UNUSED_PAD src0_sel:WORD_0
	s_mov_b32 s2, 0x47800000
                                        ; implicit-def: $vgpr7
	v_and_b32_e32 v8, 0x7fffffff, v6
	v_cmp_gt_u32_e32 vcc, s2, v8
	s_and_saveexec_b64 s[2:3], vcc
	s_xor_b64 s[2:3], exec, s[2:3]
	s_cbranch_execz .LBB38_1689
; %bb.1684:
	s_mov_b32 s12, 0x387fffff
	v_cmp_lt_u32_e32 vcc, s12, v8
                                        ; implicit-def: $vgpr7
	s_and_saveexec_b64 s[12:13], vcc
	s_xor_b64 s[12:13], exec, s[12:13]
; %bb.1685:
	v_bfe_u32 v7, v6, 21, 1
	s_mov_b32 s16, 0x80fffff
	v_add3_u32 v7, v6, v7, s16
	v_lshrrev_b32_e32 v7, 21, v7
; %bb.1686:
	s_andn2_saveexec_b64 s[12:13], s[12:13]
; %bb.1687:
	s_mov_b32 s16, 0x43000000
	v_add_f32_e64 v7, |v6|, s16
; %bb.1688:
	s_or_b64 exec, exec, s[12:13]
                                        ; implicit-def: $vgpr8
.LBB38_1689:
	s_andn2_saveexec_b64 s[2:3], s[2:3]
; %bb.1690:
	s_mov_b32 s12, 0x7f800000
	v_mov_b32_e32 v7, 0x7c
	v_mov_b32_e32 v9, 0x7f
	v_cmp_lt_u32_e32 vcc, s12, v8
	v_cndmask_b32_e32 v7, v7, v9, vcc
; %bb.1691:
	s_or_b64 exec, exec, s[2:3]
	v_lshrrev_b32_e32 v6, 24, v6
	s_movk_i32 s2, 0x80
	v_and_or_b32 v6, v6, s2, v7
	global_store_byte v[3:4], v6, off
.LBB38_1692:
	s_mov_b64 s[2:3], 0
	s_mov_b64 s[12:13], -1
.LBB38_1693:
	s_andn2_b64 vcc, exec, s[2:3]
	s_mov_b64 s[2:3], 0
	s_cbranch_vccnz .LBB38_1700
; %bb.1694:
	s_cmp_gt_i32 s21, 14
	s_mov_b64 s[16:17], -1
	s_cbranch_scc0 .LBB38_1698
; %bb.1695:
	s_cmp_eq_u32 s21, 15
	s_mov_b64 s[0:1], -1
	s_cbranch_scc0 .LBB38_1697
; %bb.1696:
	v_bfe_i32 v6, v5, 0, 8
	v_cvt_f32_i32_sdwa v6, sext(v6) dst_sel:DWORD dst_unused:UNUSED_PAD src0_sel:WORD_0
	s_movk_i32 s2, 0x7fff
	s_mov_b64 s[0:1], 0
	s_mov_b64 s[12:13], -1
	v_bfe_u32 v7, v6, 16, 1
	v_add3_u32 v6, v6, v7, s2
	global_store_short_d16_hi v[3:4], v6, off
.LBB38_1697:
	s_mov_b64 s[16:17], 0
.LBB38_1698:
	s_mov_b64 s[2:3], 0
	s_and_b64 vcc, exec, s[16:17]
	s_cbranch_vccz .LBB38_1700
; %bb.1699:
	s_cmp_lg_u32 s21, 11
	s_mov_b64 s[2:3], -1
	s_cselect_b64 s[0:1], -1, 0
.LBB38_1700:
	s_and_b64 vcc, exec, s[0:1]
	s_cbranch_vccnz .LBB38_1994
; %bb.1701:
	s_andn2_b64 vcc, exec, s[2:3]
	s_cbranch_vccnz .LBB38_1703
.LBB38_1702:
	v_mov_b32_e32 v6, 0
	v_cmp_ne_u16_sdwa s[0:1], v5, v6 src0_sel:BYTE_0 src1_sel:DWORD
	v_cndmask_b32_e64 v6, 0, 1, s[0:1]
	s_mov_b64 s[12:13], -1
	global_store_byte v[3:4], v6, off
.LBB38_1703:
	s_mov_b64 s[0:1], 0
	s_branch .LBB38_1705
.LBB38_1704:
	s_mov_b64 s[0:1], -1
	s_mov_b64 s[12:13], 0
.LBB38_1705:
	s_and_b64 vcc, exec, s[0:1]
	s_cbranch_vccz .LBB38_1744
; %bb.1706:
	s_and_b32 s2, 0xffff, s22
	s_cmp_lt_i32 s2, 5
	s_mov_b64 s[0:1], -1
	s_cbranch_scc1 .LBB38_1727
; %bb.1707:
	s_cmp_lt_i32 s2, 8
	s_cbranch_scc1 .LBB38_1717
; %bb.1708:
	s_cmp_lt_i32 s2, 9
	s_cbranch_scc1 .LBB38_1714
; %bb.1709:
	s_cmp_gt_i32 s2, 9
	s_cbranch_scc0 .LBB38_1711
; %bb.1710:
	v_bfe_i32 v6, v5, 0, 8
	v_bfe_i32 v6, v6, 0, 16
	v_cvt_f64_i32_e32 v[6:7], v6
	v_mov_b32_e32 v8, 0
	v_mov_b32_e32 v9, v8
	s_mov_b64 s[0:1], 0
	global_store_dwordx4 v[3:4], v[6:9], off
.LBB38_1711:
	s_andn2_b64 vcc, exec, s[0:1]
	s_cbranch_vccnz .LBB38_1713
; %bb.1712:
	v_bfe_i32 v6, v5, 0, 8
	v_cvt_f32_i32_sdwa v6, sext(v6) dst_sel:DWORD dst_unused:UNUSED_PAD src0_sel:WORD_0
	v_mov_b32_e32 v7, 0
	global_store_dwordx2 v[3:4], v[6:7], off
.LBB38_1713:
	s_mov_b64 s[0:1], 0
.LBB38_1714:
	s_andn2_b64 vcc, exec, s[0:1]
	s_cbranch_vccnz .LBB38_1716
; %bb.1715:
	v_cvt_f16_i16_sdwa v6, sext(v5) dst_sel:DWORD dst_unused:UNUSED_PAD src0_sel:BYTE_0
	global_store_dword v[3:4], v6, off
.LBB38_1716:
	s_mov_b64 s[0:1], 0
.LBB38_1717:
	s_andn2_b64 vcc, exec, s[0:1]
	s_cbranch_vccnz .LBB38_1726
; %bb.1718:
	s_cmp_lt_i32 s2, 6
	s_mov_b64 s[0:1], -1
	s_cbranch_scc1 .LBB38_1724
; %bb.1719:
	s_cmp_gt_i32 s2, 6
	s_cbranch_scc0 .LBB38_1721
; %bb.1720:
	v_bfe_i32 v6, v5, 0, 8
	v_bfe_i32 v6, v6, 0, 16
	v_cvt_f64_i32_e32 v[6:7], v6
	s_mov_b64 s[0:1], 0
	global_store_dwordx2 v[3:4], v[6:7], off
.LBB38_1721:
	s_andn2_b64 vcc, exec, s[0:1]
	s_cbranch_vccnz .LBB38_1723
; %bb.1722:
	v_bfe_i32 v6, v5, 0, 8
	v_cvt_f32_i32_sdwa v6, sext(v6) dst_sel:DWORD dst_unused:UNUSED_PAD src0_sel:WORD_0
	global_store_dword v[3:4], v6, off
.LBB38_1723:
	s_mov_b64 s[0:1], 0
.LBB38_1724:
	s_andn2_b64 vcc, exec, s[0:1]
	s_cbranch_vccnz .LBB38_1726
; %bb.1725:
	v_cvt_f16_i16_sdwa v6, sext(v5) dst_sel:DWORD dst_unused:UNUSED_PAD src0_sel:BYTE_0
	global_store_short v[3:4], v6, off
.LBB38_1726:
	s_mov_b64 s[0:1], 0
.LBB38_1727:
	s_andn2_b64 vcc, exec, s[0:1]
	s_cbranch_vccnz .LBB38_1743
; %bb.1728:
	s_cmp_lt_i32 s2, 2
	s_mov_b64 s[0:1], -1
	s_cbranch_scc1 .LBB38_1738
; %bb.1729:
	s_cmp_lt_i32 s2, 3
	s_cbranch_scc1 .LBB38_1735
; %bb.1730:
	s_cmp_gt_i32 s2, 3
	s_cbranch_scc0 .LBB38_1732
; %bb.1731:
	v_bfe_i32 v6, v5, 0, 8
	v_ashrrev_i32_e32 v7, 31, v6
	global_store_dwordx2 v[3:4], v[6:7], off
	s_mov_b64 s[0:1], 0
.LBB38_1732:
	s_andn2_b64 vcc, exec, s[0:1]
	s_cbranch_vccnz .LBB38_1734
; %bb.1733:
	v_bfe_i32 v6, v5, 0, 8
	global_store_dword v[3:4], v6, off
.LBB38_1734:
	s_mov_b64 s[0:1], 0
.LBB38_1735:
	s_andn2_b64 vcc, exec, s[0:1]
	s_cbranch_vccnz .LBB38_1737
; %bb.1736:
	v_bfe_i32 v6, v5, 0, 8
	global_store_short v[3:4], v6, off
.LBB38_1737:
	s_mov_b64 s[0:1], 0
.LBB38_1738:
	s_andn2_b64 vcc, exec, s[0:1]
	s_cbranch_vccnz .LBB38_1743
; %bb.1739:
	s_cmp_gt_i32 s2, 0
	s_mov_b64 s[0:1], -1
	s_cbranch_scc0 .LBB38_1741
; %bb.1740:
	global_store_byte v[3:4], v5, off
	s_mov_b64 s[0:1], 0
.LBB38_1741:
	s_andn2_b64 vcc, exec, s[0:1]
	s_cbranch_vccnz .LBB38_1743
; %bb.1742:
	global_store_byte v[3:4], v5, off
.LBB38_1743:
	s_mov_b64 s[12:13], -1
.LBB38_1744:
	s_andn2_b64 vcc, exec, s[12:13]
	s_cbranch_vccnz .LBB38_1940
; %bb.1745:
	v_lshlrev_b32_e32 v2, s23, v2
	v_add_u32_e32 v3, s20, v1
	v_cndmask_b32_e64 v4, v2, 0, s[10:11]
	v_ashrrev_i32_e32 v2, 31, v3
	v_mov_b32_e32 v5, s9
	v_add_co_u32_e32 v1, vcc, s8, v3
	s_cmp_lt_i32 s22, 11
	v_addc_co_u32_e32 v2, vcc, v5, v2, vcc
	s_cbranch_scc1 .LBB38_1823
; %bb.1746:
	s_and_b32 s21, 0xffff, s22
	s_mov_b64 s[16:17], -1
	s_mov_b64 s[2:3], 0
	s_cmp_gt_i32 s21, 25
	s_mov_b64 s[12:13], 0
	s_mov_b64 s[0:1], 0
	s_cbranch_scc0 .LBB38_1779
; %bb.1747:
	s_cmp_gt_i32 s21, 28
	s_cbranch_scc0 .LBB38_1762
; %bb.1748:
	s_cmp_gt_i32 s21, 43
	;; [unrolled: 3-line block ×3, first 2 shown]
	s_cbranch_scc0 .LBB38_1752
; %bb.1750:
	s_mov_b64 s[0:1], -1
	s_mov_b64 s[16:17], 0
	s_cmp_eq_u32 s21, 46
	s_cbranch_scc0 .LBB38_1752
; %bb.1751:
	v_bfe_i32 v5, v4, 0, 8
	v_cvt_f32_i32_sdwa v5, sext(v5) dst_sel:DWORD dst_unused:UNUSED_PAD src0_sel:WORD_0
	s_movk_i32 s12, 0x7fff
	s_mov_b64 s[0:1], 0
	v_bfe_u32 v6, v5, 16, 1
	v_add3_u32 v5, v5, v6, s12
	v_lshrrev_b32_e32 v5, 16, v5
	global_store_dword v[1:2], v5, off
	s_mov_b64 s[12:13], -1
.LBB38_1752:
	s_and_b64 vcc, exec, s[16:17]
	s_cbranch_vccz .LBB38_1757
; %bb.1753:
	s_cmp_eq_u32 s21, 44
	s_mov_b64 s[0:1], -1
	s_cbranch_scc0 .LBB38_1757
; %bb.1754:
	v_bfe_i32 v5, v4, 0, 8
	v_cvt_f32_i32_sdwa v5, sext(v5) dst_sel:DWORD dst_unused:UNUSED_PAD src0_sel:WORD_0
	s_movk_i32 s0, 0xff
	v_mov_b32_e32 v7, 0xff
	v_bfe_u32 v6, v5, 23, 8
	v_cmp_ne_u32_e32 vcc, s0, v6
	s_and_saveexec_b64 s[12:13], vcc
; %bb.1755:
	s_mov_b32 s0, 0x3fffff
	v_lshrrev_b32_e32 v7, 23, v5
	v_and_b32_e32 v8, 0x400000, v5
	v_and_or_b32 v5, v5, s0, v6
	v_cmp_ne_u32_e32 vcc, 0, v8
	v_cmp_ne_u32_e64 s[0:1], 0, v5
	s_and_b64 s[0:1], vcc, s[0:1]
	v_cndmask_b32_e64 v5, 0, 1, s[0:1]
	v_add_u32_e32 v7, v7, v5
; %bb.1756:
	s_or_b64 exec, exec, s[12:13]
	s_mov_b64 s[0:1], 0
	s_mov_b64 s[12:13], -1
	global_store_byte v[1:2], v7, off
.LBB38_1757:
	s_mov_b64 s[16:17], 0
.LBB38_1758:
	s_and_b64 vcc, exec, s[16:17]
	s_cbranch_vccz .LBB38_1761
; %bb.1759:
	s_cmp_eq_u32 s21, 29
	s_mov_b64 s[0:1], -1
	s_cbranch_scc0 .LBB38_1761
; %bb.1760:
	v_bfe_i32 v5, v4, 0, 8
	v_ashrrev_i32_e32 v6, 31, v5
	global_store_dwordx2 v[1:2], v[5:6], off
	s_mov_b64 s[0:1], 0
	s_mov_b64 s[12:13], -1
.LBB38_1761:
	s_mov_b64 s[16:17], 0
.LBB38_1762:
	s_and_b64 vcc, exec, s[16:17]
	s_cbranch_vccz .LBB38_1778
; %bb.1763:
	s_cmp_lt_i32 s21, 27
	s_mov_b64 s[12:13], -1
	s_cbranch_scc1 .LBB38_1769
; %bb.1764:
	s_cmp_gt_i32 s21, 27
	s_cbranch_scc0 .LBB38_1766
; %bb.1765:
	v_bfe_i32 v5, v4, 0, 8
	s_mov_b64 s[12:13], 0
	global_store_dword v[1:2], v5, off
.LBB38_1766:
	s_andn2_b64 vcc, exec, s[12:13]
	s_cbranch_vccnz .LBB38_1768
; %bb.1767:
	v_bfe_i32 v5, v4, 0, 8
	global_store_short v[1:2], v5, off
.LBB38_1768:
	s_mov_b64 s[12:13], 0
.LBB38_1769:
	s_andn2_b64 vcc, exec, s[12:13]
	s_cbranch_vccnz .LBB38_1777
; %bb.1770:
	v_bfe_i32 v5, v4, 0, 8
	v_cvt_f32_i32_sdwa v5, sext(v5) dst_sel:DWORD dst_unused:UNUSED_PAD src0_sel:WORD_0
	s_mov_b32 s12, 0x43800000
	v_mov_b32_e32 v7, 0x80
	v_and_b32_e32 v6, 0x7fffffff, v5
	v_cmp_gt_u32_e32 vcc, s12, v6
	s_and_saveexec_b64 s[12:13], vcc
	s_cbranch_execz .LBB38_1776
; %bb.1771:
	s_mov_b32 s16, 0x3bffffff
	v_cmp_lt_u32_e32 vcc, s16, v6
	s_mov_b64 s[16:17], 0
                                        ; implicit-def: $vgpr6
	s_and_saveexec_b64 s[18:19], vcc
	s_xor_b64 s[18:19], exec, s[18:19]
	s_cbranch_execz .LBB38_1997
; %bb.1772:
	v_bfe_u32 v6, v5, 20, 1
	s_mov_b32 s24, 0x487ffff
	v_add3_u32 v6, v5, v6, s24
	s_mov_b64 s[16:17], exec
	v_lshrrev_b32_e32 v6, 20, v6
	s_andn2_saveexec_b64 s[18:19], s[18:19]
	s_cbranch_execnz .LBB38_1998
.LBB38_1773:
	s_or_b64 exec, exec, s[18:19]
	v_mov_b32_e32 v7, 0
	s_and_saveexec_b64 s[18:19], s[16:17]
.LBB38_1774:
	v_lshrrev_b32_e32 v5, 24, v5
	s_movk_i32 s16, 0x80
	v_and_or_b32 v7, v5, s16, v6
.LBB38_1775:
	s_or_b64 exec, exec, s[18:19]
.LBB38_1776:
	s_or_b64 exec, exec, s[12:13]
	global_store_byte v[1:2], v7, off
.LBB38_1777:
	s_mov_b64 s[12:13], -1
.LBB38_1778:
	s_mov_b64 s[16:17], 0
.LBB38_1779:
	s_and_b64 vcc, exec, s[16:17]
	s_cbranch_vccz .LBB38_1819
; %bb.1780:
	s_cmp_gt_i32 s21, 22
	s_mov_b64 s[2:3], -1
	s_cbranch_scc0 .LBB38_1812
; %bb.1781:
	s_cmp_lt_i32 s21, 24
	s_cbranch_scc1 .LBB38_1801
; %bb.1782:
	s_cmp_gt_i32 s21, 24
	s_cbranch_scc0 .LBB38_1790
; %bb.1783:
	v_bfe_i32 v5, v4, 0, 8
	v_cvt_f32_i32_sdwa v5, sext(v5) dst_sel:DWORD dst_unused:UNUSED_PAD src0_sel:WORD_0
	s_mov_b32 s2, 0x47800000
	v_mov_b32_e32 v7, 0x80
	v_and_b32_e32 v6, 0x7fffffff, v5
	v_cmp_gt_u32_e32 vcc, s2, v6
	s_and_saveexec_b64 s[2:3], vcc
	s_cbranch_execz .LBB38_1789
; %bb.1784:
	s_mov_b32 s12, 0x37ffffff
	v_cmp_lt_u32_e32 vcc, s12, v6
	s_mov_b64 s[12:13], 0
                                        ; implicit-def: $vgpr6
	s_and_saveexec_b64 s[16:17], vcc
	s_xor_b64 s[16:17], exec, s[16:17]
	s_cbranch_execz .LBB38_2000
; %bb.1785:
	v_bfe_u32 v6, v5, 21, 1
	s_mov_b32 s18, 0x88fffff
	v_add3_u32 v6, v5, v6, s18
	s_mov_b64 s[12:13], exec
	v_lshrrev_b32_e32 v6, 21, v6
	s_andn2_saveexec_b64 s[16:17], s[16:17]
	s_cbranch_execnz .LBB38_2001
.LBB38_1786:
	s_or_b64 exec, exec, s[16:17]
	v_mov_b32_e32 v7, 0
	s_and_saveexec_b64 s[16:17], s[12:13]
.LBB38_1787:
	v_lshrrev_b32_e32 v5, 24, v5
	s_movk_i32 s12, 0x80
	v_and_or_b32 v7, v5, s12, v6
.LBB38_1788:
	s_or_b64 exec, exec, s[16:17]
.LBB38_1789:
	s_or_b64 exec, exec, s[2:3]
	s_mov_b64 s[2:3], 0
	global_store_byte v[1:2], v7, off
.LBB38_1790:
	s_and_b64 vcc, exec, s[2:3]
	s_cbranch_vccz .LBB38_1800
; %bb.1791:
	v_bfe_i32 v5, v4, 0, 8
	v_cvt_f32_i32_sdwa v5, sext(v5) dst_sel:DWORD dst_unused:UNUSED_PAD src0_sel:WORD_0
	s_mov_b32 s2, 0x43f00000
                                        ; implicit-def: $vgpr6
	v_and_b32_e32 v7, 0x7fffffff, v5
	v_cmp_gt_u32_e32 vcc, s2, v7
	s_and_saveexec_b64 s[2:3], vcc
	s_xor_b64 s[2:3], exec, s[2:3]
	s_cbranch_execz .LBB38_1797
; %bb.1792:
	s_mov_b32 s12, 0x3c7fffff
	v_cmp_lt_u32_e32 vcc, s12, v7
                                        ; implicit-def: $vgpr6
	s_and_saveexec_b64 s[12:13], vcc
	s_xor_b64 s[12:13], exec, s[12:13]
; %bb.1793:
	v_bfe_u32 v6, v5, 20, 1
	s_mov_b32 s16, 0x407ffff
	v_add3_u32 v6, v5, v6, s16
	v_lshrrev_b32_e32 v7, 20, v6
	v_and_b32_e32 v6, 0xff00000, v6
	s_mov_b32 s16, 0x7f00000
	v_mov_b32_e32 v8, 0x7e
	v_cmp_ne_u32_e32 vcc, s16, v6
	v_cndmask_b32_e32 v6, v8, v7, vcc
; %bb.1794:
	s_andn2_saveexec_b64 s[12:13], s[12:13]
; %bb.1795:
	s_mov_b32 s16, 0x46800000
	v_add_f32_e64 v6, |v5|, s16
; %bb.1796:
	s_or_b64 exec, exec, s[12:13]
                                        ; implicit-def: $vgpr7
.LBB38_1797:
	s_andn2_saveexec_b64 s[2:3], s[2:3]
; %bb.1798:
	s_mov_b32 s12, 0x7f800000
	v_mov_b32_e32 v6, 0x7e
	v_mov_b32_e32 v8, 0x7f
	v_cmp_lt_u32_e32 vcc, s12, v7
	v_cndmask_b32_e32 v6, v6, v8, vcc
; %bb.1799:
	s_or_b64 exec, exec, s[2:3]
	v_lshrrev_b32_e32 v5, 24, v5
	s_movk_i32 s2, 0x80
	v_and_or_b32 v5, v5, s2, v6
	global_store_byte v[1:2], v5, off
.LBB38_1800:
	s_mov_b64 s[2:3], 0
.LBB38_1801:
	s_andn2_b64 vcc, exec, s[2:3]
	s_cbranch_vccnz .LBB38_1811
; %bb.1802:
	v_bfe_i32 v5, v4, 0, 8
	v_cvt_f32_i32_sdwa v5, sext(v5) dst_sel:DWORD dst_unused:UNUSED_PAD src0_sel:WORD_0
	s_mov_b32 s2, 0x47800000
                                        ; implicit-def: $vgpr6
	v_and_b32_e32 v7, 0x7fffffff, v5
	v_cmp_gt_u32_e32 vcc, s2, v7
	s_and_saveexec_b64 s[2:3], vcc
	s_xor_b64 s[2:3], exec, s[2:3]
	s_cbranch_execz .LBB38_1808
; %bb.1803:
	s_mov_b32 s12, 0x387fffff
	v_cmp_lt_u32_e32 vcc, s12, v7
                                        ; implicit-def: $vgpr6
	s_and_saveexec_b64 s[12:13], vcc
	s_xor_b64 s[12:13], exec, s[12:13]
; %bb.1804:
	v_bfe_u32 v6, v5, 21, 1
	s_mov_b32 s16, 0x80fffff
	v_add3_u32 v6, v5, v6, s16
	v_lshrrev_b32_e32 v6, 21, v6
; %bb.1805:
	s_andn2_saveexec_b64 s[12:13], s[12:13]
; %bb.1806:
	s_mov_b32 s16, 0x43000000
	v_add_f32_e64 v6, |v5|, s16
; %bb.1807:
	s_or_b64 exec, exec, s[12:13]
                                        ; implicit-def: $vgpr7
.LBB38_1808:
	s_andn2_saveexec_b64 s[2:3], s[2:3]
; %bb.1809:
	s_mov_b32 s12, 0x7f800000
	v_mov_b32_e32 v6, 0x7c
	v_mov_b32_e32 v8, 0x7f
	v_cmp_lt_u32_e32 vcc, s12, v7
	v_cndmask_b32_e32 v6, v6, v8, vcc
; %bb.1810:
	s_or_b64 exec, exec, s[2:3]
	v_lshrrev_b32_e32 v5, 24, v5
	s_movk_i32 s2, 0x80
	v_and_or_b32 v5, v5, s2, v6
	global_store_byte v[1:2], v5, off
.LBB38_1811:
	s_mov_b64 s[2:3], 0
	s_mov_b64 s[12:13], -1
.LBB38_1812:
	s_andn2_b64 vcc, exec, s[2:3]
	s_mov_b64 s[2:3], 0
	s_cbranch_vccnz .LBB38_1819
; %bb.1813:
	s_cmp_gt_i32 s21, 14
	s_mov_b64 s[16:17], -1
	s_cbranch_scc0 .LBB38_1817
; %bb.1814:
	s_cmp_eq_u32 s21, 15
	s_mov_b64 s[0:1], -1
	s_cbranch_scc0 .LBB38_1816
; %bb.1815:
	v_bfe_i32 v5, v4, 0, 8
	v_cvt_f32_i32_sdwa v5, sext(v5) dst_sel:DWORD dst_unused:UNUSED_PAD src0_sel:WORD_0
	s_movk_i32 s2, 0x7fff
	s_mov_b64 s[0:1], 0
	s_mov_b64 s[12:13], -1
	v_bfe_u32 v6, v5, 16, 1
	v_add3_u32 v5, v5, v6, s2
	global_store_short_d16_hi v[1:2], v5, off
.LBB38_1816:
	s_mov_b64 s[16:17], 0
.LBB38_1817:
	s_mov_b64 s[2:3], 0
	s_and_b64 vcc, exec, s[16:17]
	s_cbranch_vccz .LBB38_1819
; %bb.1818:
	s_cmp_lg_u32 s21, 11
	s_mov_b64 s[2:3], -1
	s_cselect_b64 s[0:1], -1, 0
.LBB38_1819:
	s_and_b64 vcc, exec, s[0:1]
	s_cbranch_vccnz .LBB38_1999
; %bb.1820:
	s_andn2_b64 vcc, exec, s[2:3]
	s_cbranch_vccnz .LBB38_1822
.LBB38_1821:
	v_mov_b32_e32 v5, 0
	v_cmp_ne_u16_sdwa s[0:1], v4, v5 src0_sel:BYTE_0 src1_sel:DWORD
	v_cndmask_b32_e64 v5, 0, 1, s[0:1]
	s_mov_b64 s[12:13], -1
	global_store_byte v[1:2], v5, off
.LBB38_1822:
	s_mov_b64 s[0:1], 0
	s_branch .LBB38_1824
.LBB38_1823:
	s_mov_b64 s[0:1], -1
	s_mov_b64 s[12:13], 0
.LBB38_1824:
	s_and_b64 vcc, exec, s[0:1]
	s_cbranch_vccz .LBB38_1863
; %bb.1825:
	s_and_b32 s2, 0xffff, s22
	s_cmp_lt_i32 s2, 5
	s_mov_b64 s[0:1], -1
	s_cbranch_scc1 .LBB38_1846
; %bb.1826:
	s_cmp_lt_i32 s2, 8
	s_cbranch_scc1 .LBB38_1836
; %bb.1827:
	s_cmp_lt_i32 s2, 9
	s_cbranch_scc1 .LBB38_1833
; %bb.1828:
	s_cmp_gt_i32 s2, 9
	s_cbranch_scc0 .LBB38_1830
; %bb.1829:
	v_bfe_i32 v5, v4, 0, 8
	v_bfe_i32 v5, v5, 0, 16
	v_cvt_f64_i32_e32 v[5:6], v5
	v_mov_b32_e32 v7, 0
	v_mov_b32_e32 v8, v7
	s_mov_b64 s[0:1], 0
	global_store_dwordx4 v[1:2], v[5:8], off
.LBB38_1830:
	s_andn2_b64 vcc, exec, s[0:1]
	s_cbranch_vccnz .LBB38_1832
; %bb.1831:
	v_bfe_i32 v5, v4, 0, 8
	v_cvt_f32_i32_sdwa v5, sext(v5) dst_sel:DWORD dst_unused:UNUSED_PAD src0_sel:WORD_0
	v_mov_b32_e32 v6, 0
	global_store_dwordx2 v[1:2], v[5:6], off
.LBB38_1832:
	s_mov_b64 s[0:1], 0
.LBB38_1833:
	s_andn2_b64 vcc, exec, s[0:1]
	s_cbranch_vccnz .LBB38_1835
; %bb.1834:
	v_cvt_f16_i16_sdwa v5, sext(v4) dst_sel:DWORD dst_unused:UNUSED_PAD src0_sel:BYTE_0
	global_store_dword v[1:2], v5, off
.LBB38_1835:
	s_mov_b64 s[0:1], 0
.LBB38_1836:
	s_andn2_b64 vcc, exec, s[0:1]
	s_cbranch_vccnz .LBB38_1845
; %bb.1837:
	s_cmp_lt_i32 s2, 6
	s_mov_b64 s[0:1], -1
	s_cbranch_scc1 .LBB38_1843
; %bb.1838:
	s_cmp_gt_i32 s2, 6
	s_cbranch_scc0 .LBB38_1840
; %bb.1839:
	v_bfe_i32 v5, v4, 0, 8
	v_bfe_i32 v5, v5, 0, 16
	v_cvt_f64_i32_e32 v[5:6], v5
	s_mov_b64 s[0:1], 0
	global_store_dwordx2 v[1:2], v[5:6], off
.LBB38_1840:
	s_andn2_b64 vcc, exec, s[0:1]
	s_cbranch_vccnz .LBB38_1842
; %bb.1841:
	v_bfe_i32 v5, v4, 0, 8
	v_cvt_f32_i32_sdwa v5, sext(v5) dst_sel:DWORD dst_unused:UNUSED_PAD src0_sel:WORD_0
	global_store_dword v[1:2], v5, off
.LBB38_1842:
	s_mov_b64 s[0:1], 0
.LBB38_1843:
	s_andn2_b64 vcc, exec, s[0:1]
	s_cbranch_vccnz .LBB38_1845
; %bb.1844:
	v_cvt_f16_i16_sdwa v5, sext(v4) dst_sel:DWORD dst_unused:UNUSED_PAD src0_sel:BYTE_0
	global_store_short v[1:2], v5, off
.LBB38_1845:
	s_mov_b64 s[0:1], 0
.LBB38_1846:
	s_andn2_b64 vcc, exec, s[0:1]
	s_cbranch_vccnz .LBB38_1862
; %bb.1847:
	s_cmp_lt_i32 s2, 2
	s_mov_b64 s[0:1], -1
	s_cbranch_scc1 .LBB38_1857
; %bb.1848:
	s_cmp_lt_i32 s2, 3
	s_cbranch_scc1 .LBB38_1854
; %bb.1849:
	s_cmp_gt_i32 s2, 3
	s_cbranch_scc0 .LBB38_1851
; %bb.1850:
	v_bfe_i32 v5, v4, 0, 8
	v_ashrrev_i32_e32 v6, 31, v5
	global_store_dwordx2 v[1:2], v[5:6], off
	s_mov_b64 s[0:1], 0
.LBB38_1851:
	s_andn2_b64 vcc, exec, s[0:1]
	s_cbranch_vccnz .LBB38_1853
; %bb.1852:
	v_bfe_i32 v5, v4, 0, 8
	global_store_dword v[1:2], v5, off
.LBB38_1853:
	s_mov_b64 s[0:1], 0
.LBB38_1854:
	s_andn2_b64 vcc, exec, s[0:1]
	s_cbranch_vccnz .LBB38_1856
; %bb.1855:
	v_bfe_i32 v5, v4, 0, 8
	global_store_short v[1:2], v5, off
.LBB38_1856:
	s_mov_b64 s[0:1], 0
.LBB38_1857:
	s_andn2_b64 vcc, exec, s[0:1]
	s_cbranch_vccnz .LBB38_1862
; %bb.1858:
	s_cmp_gt_i32 s2, 0
	s_mov_b64 s[0:1], -1
	s_cbranch_scc0 .LBB38_1860
; %bb.1859:
	global_store_byte v[1:2], v4, off
	s_mov_b64 s[0:1], 0
.LBB38_1860:
	s_andn2_b64 vcc, exec, s[0:1]
	s_cbranch_vccnz .LBB38_1862
; %bb.1861:
	global_store_byte v[1:2], v4, off
.LBB38_1862:
	s_mov_b64 s[12:13], -1
.LBB38_1863:
	s_andn2_b64 vcc, exec, s[12:13]
	s_cbranch_vccnz .LBB38_1940
; %bb.1864:
	v_lshlrev_b32_e32 v0, s23, v0
	v_cndmask_b32_e64 v2, v0, 0, s[10:11]
	v_add_u32_e32 v0, s20, v3
	v_ashrrev_i32_e32 v1, 31, v0
	v_mov_b32_e32 v3, s9
	v_add_co_u32_e32 v0, vcc, s8, v0
	s_cmp_lt_i32 s22, 11
	v_addc_co_u32_e32 v1, vcc, v3, v1, vcc
	s_cbranch_scc1 .LBB38_1985
; %bb.1865:
	s_and_b32 s16, 0xffff, s22
	s_mov_b64 s[8:9], -1
	s_mov_b64 s[2:3], 0
	s_cmp_gt_i32 s16, 25
	s_mov_b64 s[0:1], 0
	s_cbranch_scc0 .LBB38_1898
; %bb.1866:
	s_cmp_gt_i32 s16, 28
	s_cbranch_scc0 .LBB38_1882
; %bb.1867:
	s_cmp_gt_i32 s16, 43
	s_cbranch_scc0 .LBB38_1878
; %bb.1868:
	s_cmp_gt_i32 s16, 45
	s_cbranch_scc0 .LBB38_1872
; %bb.1869:
	s_cmp_eq_u32 s16, 46
	s_mov_b64 s[0:1], -1
	s_cbranch_scc0 .LBB38_1871
; %bb.1870:
	v_bfe_i32 v3, v2, 0, 8
	v_cvt_f32_i32_sdwa v3, sext(v3) dst_sel:DWORD dst_unused:UNUSED_PAD src0_sel:WORD_0
	s_movk_i32 s0, 0x7fff
	v_bfe_u32 v4, v3, 16, 1
	v_add3_u32 v3, v3, v4, s0
	v_lshrrev_b32_e32 v3, 16, v3
	global_store_dword v[0:1], v3, off
	s_mov_b64 s[0:1], 0
.LBB38_1871:
	s_mov_b64 s[8:9], 0
.LBB38_1872:
	s_and_b64 vcc, exec, s[8:9]
	s_cbranch_vccz .LBB38_1877
; %bb.1873:
	s_cmp_eq_u32 s16, 44
	s_mov_b64 s[0:1], -1
	s_cbranch_scc0 .LBB38_1877
; %bb.1874:
	v_bfe_i32 v3, v2, 0, 8
	v_cvt_f32_i32_sdwa v3, sext(v3) dst_sel:DWORD dst_unused:UNUSED_PAD src0_sel:WORD_0
	s_movk_i32 s0, 0xff
	v_mov_b32_e32 v5, 0xff
	v_bfe_u32 v4, v3, 23, 8
	v_cmp_ne_u32_e32 vcc, s0, v4
	s_and_saveexec_b64 s[8:9], vcc
; %bb.1875:
	s_mov_b32 s0, 0x3fffff
	v_lshrrev_b32_e32 v5, 23, v3
	v_and_b32_e32 v6, 0x400000, v3
	v_and_or_b32 v3, v3, s0, v4
	v_cmp_ne_u32_e32 vcc, 0, v6
	v_cmp_ne_u32_e64 s[0:1], 0, v3
	s_and_b64 s[0:1], vcc, s[0:1]
	v_cndmask_b32_e64 v3, 0, 1, s[0:1]
	v_add_u32_e32 v5, v5, v3
; %bb.1876:
	s_or_b64 exec, exec, s[8:9]
	s_mov_b64 s[0:1], 0
	global_store_byte v[0:1], v5, off
.LBB38_1877:
	s_mov_b64 s[8:9], 0
.LBB38_1878:
	s_and_b64 vcc, exec, s[8:9]
	s_cbranch_vccz .LBB38_1881
; %bb.1879:
	s_cmp_eq_u32 s16, 29
	s_mov_b64 s[0:1], -1
	s_cbranch_scc0 .LBB38_1881
; %bb.1880:
	v_bfe_i32 v3, v2, 0, 8
	v_ashrrev_i32_e32 v4, 31, v3
	global_store_dwordx2 v[0:1], v[3:4], off
	s_mov_b64 s[0:1], 0
.LBB38_1881:
	s_mov_b64 s[8:9], 0
.LBB38_1882:
	s_and_b64 vcc, exec, s[8:9]
	s_cbranch_vccz .LBB38_1897
; %bb.1883:
	s_cmp_lt_i32 s16, 27
	s_mov_b64 s[8:9], -1
	s_cbranch_scc1 .LBB38_1889
; %bb.1884:
	s_cmp_gt_i32 s16, 27
	s_cbranch_scc0 .LBB38_1886
; %bb.1885:
	v_bfe_i32 v3, v2, 0, 8
	global_store_dword v[0:1], v3, off
	s_mov_b64 s[8:9], 0
.LBB38_1886:
	s_andn2_b64 vcc, exec, s[8:9]
	s_cbranch_vccnz .LBB38_1888
; %bb.1887:
	v_bfe_i32 v3, v2, 0, 8
	global_store_short v[0:1], v3, off
.LBB38_1888:
	s_mov_b64 s[8:9], 0
.LBB38_1889:
	s_andn2_b64 vcc, exec, s[8:9]
	s_cbranch_vccnz .LBB38_1897
; %bb.1890:
	v_bfe_i32 v3, v2, 0, 8
	v_cvt_f32_i32_sdwa v3, sext(v3) dst_sel:DWORD dst_unused:UNUSED_PAD src0_sel:WORD_0
	s_mov_b32 s8, 0x43800000
	v_mov_b32_e32 v5, 0x80
	v_and_b32_e32 v4, 0x7fffffff, v3
	v_cmp_gt_u32_e32 vcc, s8, v4
	s_and_saveexec_b64 s[8:9], vcc
	s_cbranch_execz .LBB38_1896
; %bb.1891:
	s_mov_b32 s10, 0x3bffffff
	v_cmp_lt_u32_e32 vcc, s10, v4
	s_mov_b64 s[10:11], 0
                                        ; implicit-def: $vgpr4
	s_and_saveexec_b64 s[12:13], vcc
	s_xor_b64 s[12:13], exec, s[12:13]
	s_cbranch_execz .LBB38_2002
; %bb.1892:
	v_bfe_u32 v4, v3, 20, 1
	s_mov_b32 s17, 0x487ffff
	v_add3_u32 v4, v3, v4, s17
	s_mov_b64 s[10:11], exec
	v_lshrrev_b32_e32 v4, 20, v4
	s_andn2_saveexec_b64 s[12:13], s[12:13]
	s_cbranch_execnz .LBB38_2003
.LBB38_1893:
	s_or_b64 exec, exec, s[12:13]
	v_mov_b32_e32 v5, 0
	s_and_saveexec_b64 s[12:13], s[10:11]
.LBB38_1894:
	v_lshrrev_b32_e32 v3, 24, v3
	s_movk_i32 s10, 0x80
	v_and_or_b32 v5, v3, s10, v4
.LBB38_1895:
	s_or_b64 exec, exec, s[12:13]
.LBB38_1896:
	s_or_b64 exec, exec, s[8:9]
	global_store_byte v[0:1], v5, off
.LBB38_1897:
	s_mov_b64 s[8:9], 0
.LBB38_1898:
	s_and_b64 vcc, exec, s[8:9]
	s_cbranch_vccz .LBB38_1938
; %bb.1899:
	s_cmp_gt_i32 s16, 22
	s_mov_b64 s[2:3], -1
	s_cbranch_scc0 .LBB38_1931
; %bb.1900:
	s_cmp_lt_i32 s16, 24
	s_cbranch_scc1 .LBB38_1920
; %bb.1901:
	s_cmp_gt_i32 s16, 24
	s_cbranch_scc0 .LBB38_1909
; %bb.1902:
	v_bfe_i32 v3, v2, 0, 8
	v_cvt_f32_i32_sdwa v3, sext(v3) dst_sel:DWORD dst_unused:UNUSED_PAD src0_sel:WORD_0
	s_mov_b32 s2, 0x47800000
	v_mov_b32_e32 v5, 0x80
	v_and_b32_e32 v4, 0x7fffffff, v3
	v_cmp_gt_u32_e32 vcc, s2, v4
	s_and_saveexec_b64 s[2:3], vcc
	s_cbranch_execz .LBB38_1908
; %bb.1903:
	s_mov_b32 s8, 0x37ffffff
	v_cmp_lt_u32_e32 vcc, s8, v4
	s_mov_b64 s[8:9], 0
                                        ; implicit-def: $vgpr4
	s_and_saveexec_b64 s[10:11], vcc
	s_xor_b64 s[10:11], exec, s[10:11]
	s_cbranch_execz .LBB38_2005
; %bb.1904:
	v_bfe_u32 v4, v3, 21, 1
	s_mov_b32 s12, 0x88fffff
	v_add3_u32 v4, v3, v4, s12
	s_mov_b64 s[8:9], exec
	v_lshrrev_b32_e32 v4, 21, v4
	s_andn2_saveexec_b64 s[10:11], s[10:11]
	s_cbranch_execnz .LBB38_2006
.LBB38_1905:
	s_or_b64 exec, exec, s[10:11]
	v_mov_b32_e32 v5, 0
	s_and_saveexec_b64 s[10:11], s[8:9]
.LBB38_1906:
	v_lshrrev_b32_e32 v3, 24, v3
	s_movk_i32 s8, 0x80
	v_and_or_b32 v5, v3, s8, v4
.LBB38_1907:
	s_or_b64 exec, exec, s[10:11]
.LBB38_1908:
	s_or_b64 exec, exec, s[2:3]
	s_mov_b64 s[2:3], 0
	global_store_byte v[0:1], v5, off
.LBB38_1909:
	s_and_b64 vcc, exec, s[2:3]
	s_cbranch_vccz .LBB38_1919
; %bb.1910:
	v_bfe_i32 v3, v2, 0, 8
	v_cvt_f32_i32_sdwa v3, sext(v3) dst_sel:DWORD dst_unused:UNUSED_PAD src0_sel:WORD_0
	s_mov_b32 s2, 0x43f00000
                                        ; implicit-def: $vgpr4
	v_and_b32_e32 v5, 0x7fffffff, v3
	v_cmp_gt_u32_e32 vcc, s2, v5
	s_and_saveexec_b64 s[2:3], vcc
	s_xor_b64 s[2:3], exec, s[2:3]
	s_cbranch_execz .LBB38_1916
; %bb.1911:
	s_mov_b32 s8, 0x3c7fffff
	v_cmp_lt_u32_e32 vcc, s8, v5
                                        ; implicit-def: $vgpr4
	s_and_saveexec_b64 s[8:9], vcc
	s_xor_b64 s[8:9], exec, s[8:9]
; %bb.1912:
	v_bfe_u32 v4, v3, 20, 1
	s_mov_b32 s10, 0x407ffff
	v_add3_u32 v4, v3, v4, s10
	v_lshrrev_b32_e32 v5, 20, v4
	v_and_b32_e32 v4, 0xff00000, v4
	s_mov_b32 s10, 0x7f00000
	v_mov_b32_e32 v6, 0x7e
	v_cmp_ne_u32_e32 vcc, s10, v4
	v_cndmask_b32_e32 v4, v6, v5, vcc
; %bb.1913:
	s_andn2_saveexec_b64 s[8:9], s[8:9]
; %bb.1914:
	s_mov_b32 s10, 0x46800000
	v_add_f32_e64 v4, |v3|, s10
; %bb.1915:
	s_or_b64 exec, exec, s[8:9]
                                        ; implicit-def: $vgpr5
.LBB38_1916:
	s_andn2_saveexec_b64 s[2:3], s[2:3]
; %bb.1917:
	s_mov_b32 s8, 0x7f800000
	v_mov_b32_e32 v4, 0x7e
	v_mov_b32_e32 v6, 0x7f
	v_cmp_lt_u32_e32 vcc, s8, v5
	v_cndmask_b32_e32 v4, v4, v6, vcc
; %bb.1918:
	s_or_b64 exec, exec, s[2:3]
	v_lshrrev_b32_e32 v3, 24, v3
	s_movk_i32 s2, 0x80
	v_and_or_b32 v3, v3, s2, v4
	global_store_byte v[0:1], v3, off
.LBB38_1919:
	s_mov_b64 s[2:3], 0
.LBB38_1920:
	s_andn2_b64 vcc, exec, s[2:3]
	s_cbranch_vccnz .LBB38_1930
; %bb.1921:
	v_bfe_i32 v3, v2, 0, 8
	v_cvt_f32_i32_sdwa v3, sext(v3) dst_sel:DWORD dst_unused:UNUSED_PAD src0_sel:WORD_0
	s_mov_b32 s2, 0x47800000
                                        ; implicit-def: $vgpr4
	v_and_b32_e32 v5, 0x7fffffff, v3
	v_cmp_gt_u32_e32 vcc, s2, v5
	s_and_saveexec_b64 s[2:3], vcc
	s_xor_b64 s[2:3], exec, s[2:3]
	s_cbranch_execz .LBB38_1927
; %bb.1922:
	s_mov_b32 s8, 0x387fffff
	v_cmp_lt_u32_e32 vcc, s8, v5
                                        ; implicit-def: $vgpr4
	s_and_saveexec_b64 s[8:9], vcc
	s_xor_b64 s[8:9], exec, s[8:9]
; %bb.1923:
	v_bfe_u32 v4, v3, 21, 1
	s_mov_b32 s10, 0x80fffff
	v_add3_u32 v4, v3, v4, s10
	v_lshrrev_b32_e32 v4, 21, v4
; %bb.1924:
	s_andn2_saveexec_b64 s[8:9], s[8:9]
; %bb.1925:
	s_mov_b32 s10, 0x43000000
	v_add_f32_e64 v4, |v3|, s10
; %bb.1926:
	s_or_b64 exec, exec, s[8:9]
                                        ; implicit-def: $vgpr5
.LBB38_1927:
	s_andn2_saveexec_b64 s[2:3], s[2:3]
; %bb.1928:
	s_mov_b32 s8, 0x7f800000
	v_mov_b32_e32 v4, 0x7c
	v_mov_b32_e32 v6, 0x7f
	v_cmp_lt_u32_e32 vcc, s8, v5
	v_cndmask_b32_e32 v4, v4, v6, vcc
; %bb.1929:
	s_or_b64 exec, exec, s[2:3]
	v_lshrrev_b32_e32 v3, 24, v3
	s_movk_i32 s2, 0x80
	v_and_or_b32 v3, v3, s2, v4
	global_store_byte v[0:1], v3, off
.LBB38_1930:
	s_mov_b64 s[2:3], 0
.LBB38_1931:
	s_andn2_b64 vcc, exec, s[2:3]
	s_mov_b64 s[2:3], 0
	s_cbranch_vccnz .LBB38_1938
; %bb.1932:
	s_cmp_gt_i32 s16, 14
	s_mov_b64 s[8:9], -1
	s_cbranch_scc0 .LBB38_1936
; %bb.1933:
	s_cmp_eq_u32 s16, 15
	s_mov_b64 s[0:1], -1
	s_cbranch_scc0 .LBB38_1935
; %bb.1934:
	v_bfe_i32 v3, v2, 0, 8
	v_cvt_f32_i32_sdwa v3, sext(v3) dst_sel:DWORD dst_unused:UNUSED_PAD src0_sel:WORD_0
	s_movk_i32 s0, 0x7fff
	v_bfe_u32 v4, v3, 16, 1
	v_add3_u32 v3, v3, v4, s0
	global_store_short_d16_hi v[0:1], v3, off
	s_mov_b64 s[0:1], 0
.LBB38_1935:
	s_mov_b64 s[8:9], 0
.LBB38_1936:
	s_and_b64 vcc, exec, s[8:9]
	s_cbranch_vccz .LBB38_1938
; %bb.1937:
	s_cmp_lg_u32 s16, 11
	s_mov_b64 s[2:3], -1
	s_cselect_b64 s[0:1], -1, 0
.LBB38_1938:
	s_and_b64 vcc, exec, s[0:1]
	s_cbranch_vccnz .LBB38_2004
.LBB38_1939:
	s_mov_b64 s[0:1], 0
	s_branch .LBB38_1941
.LBB38_1940:
	s_mov_b64 s[0:1], 0
	s_mov_b64 s[2:3], 0
                                        ; implicit-def: $sgpr22
                                        ; implicit-def: $vgpr0_vgpr1
                                        ; implicit-def: $vgpr2
.LBB38_1941:
	s_and_b64 s[12:13], s[2:3], exec
	s_andn2_b64 s[2:3], s[6:7], exec
	s_and_b64 s[6:7], s[14:15], exec
	s_and_b64 s[0:1], s[0:1], exec
	s_or_b64 s[6:7], s[2:3], s[6:7]
.LBB38_1942:
	s_or_b64 exec, exec, s[4:5]
	s_and_saveexec_b64 s[2:3], s[6:7]
	s_cbranch_execz .LBB38_1945
; %bb.1943:
	; divergent unreachable
	s_or_b64 exec, exec, s[2:3]
	s_and_saveexec_b64 s[2:3], s[12:13]
	s_xor_b64 s[2:3], exec, s[2:3]
	s_cbranch_execnz .LBB38_1946
.LBB38_1944:
	s_or_b64 exec, exec, s[2:3]
	s_and_saveexec_b64 s[2:3], s[0:1]
	s_cbranch_execnz .LBB38_1947
	s_branch .LBB38_1984
.LBB38_1945:
	s_or_b64 exec, exec, s[2:3]
	s_and_saveexec_b64 s[2:3], s[12:13]
	s_xor_b64 s[2:3], exec, s[2:3]
	s_cbranch_execz .LBB38_1944
.LBB38_1946:
	s_waitcnt vmcnt(0)
	v_mov_b32_e32 v3, 0
	v_cmp_ne_u16_sdwa s[4:5], v2, v3 src0_sel:BYTE_0 src1_sel:DWORD
	v_cndmask_b32_e64 v3, 0, 1, s[4:5]
	global_store_byte v[0:1], v3, off
	s_or_b64 exec, exec, s[2:3]
	s_and_saveexec_b64 s[2:3], s[0:1]
	s_cbranch_execz .LBB38_1984
.LBB38_1947:
	s_sext_i32_i16 s2, s22
	s_cmp_lt_i32 s2, 5
	s_mov_b64 s[0:1], -1
	s_cbranch_scc1 .LBB38_1968
; %bb.1948:
	s_cmp_lt_i32 s2, 8
	s_cbranch_scc1 .LBB38_1958
; %bb.1949:
	s_cmp_lt_i32 s2, 9
	s_cbranch_scc1 .LBB38_1955
; %bb.1950:
	s_cmp_gt_i32 s2, 9
	s_cbranch_scc0 .LBB38_1952
; %bb.1951:
	s_waitcnt vmcnt(0)
	v_bfe_i32 v3, v2, 0, 8
	v_bfe_i32 v3, v3, 0, 16
	v_cvt_f64_i32_e32 v[3:4], v3
	v_mov_b32_e32 v5, 0
	v_mov_b32_e32 v6, v5
	s_mov_b64 s[0:1], 0
	global_store_dwordx4 v[0:1], v[3:6], off
.LBB38_1952:
	s_andn2_b64 vcc, exec, s[0:1]
	s_cbranch_vccnz .LBB38_1954
; %bb.1953:
	s_waitcnt vmcnt(0)
	v_bfe_i32 v3, v2, 0, 8
	v_cvt_f32_i32_sdwa v3, sext(v3) dst_sel:DWORD dst_unused:UNUSED_PAD src0_sel:WORD_0
	v_mov_b32_e32 v4, 0
	global_store_dwordx2 v[0:1], v[3:4], off
.LBB38_1954:
	s_mov_b64 s[0:1], 0
.LBB38_1955:
	s_andn2_b64 vcc, exec, s[0:1]
	s_cbranch_vccnz .LBB38_1957
; %bb.1956:
	s_waitcnt vmcnt(0)
	v_cvt_f16_i16_sdwa v3, sext(v2) dst_sel:DWORD dst_unused:UNUSED_PAD src0_sel:BYTE_0
	global_store_dword v[0:1], v3, off
.LBB38_1957:
	s_mov_b64 s[0:1], 0
.LBB38_1958:
	s_andn2_b64 vcc, exec, s[0:1]
	s_cbranch_vccnz .LBB38_1967
; %bb.1959:
	s_sext_i32_i16 s2, s22
	s_cmp_lt_i32 s2, 6
	s_mov_b64 s[0:1], -1
	s_cbranch_scc1 .LBB38_1965
; %bb.1960:
	s_cmp_gt_i32 s2, 6
	s_cbranch_scc0 .LBB38_1962
; %bb.1961:
	s_waitcnt vmcnt(0)
	v_bfe_i32 v3, v2, 0, 8
	v_bfe_i32 v3, v3, 0, 16
	v_cvt_f64_i32_e32 v[3:4], v3
	s_mov_b64 s[0:1], 0
	global_store_dwordx2 v[0:1], v[3:4], off
.LBB38_1962:
	s_andn2_b64 vcc, exec, s[0:1]
	s_cbranch_vccnz .LBB38_1964
; %bb.1963:
	s_waitcnt vmcnt(0)
	v_bfe_i32 v3, v2, 0, 8
	v_cvt_f32_i32_sdwa v3, sext(v3) dst_sel:DWORD dst_unused:UNUSED_PAD src0_sel:WORD_0
	global_store_dword v[0:1], v3, off
.LBB38_1964:
	s_mov_b64 s[0:1], 0
.LBB38_1965:
	s_andn2_b64 vcc, exec, s[0:1]
	s_cbranch_vccnz .LBB38_1967
; %bb.1966:
	s_waitcnt vmcnt(0)
	v_cvt_f16_i16_sdwa v3, sext(v2) dst_sel:DWORD dst_unused:UNUSED_PAD src0_sel:BYTE_0
	global_store_short v[0:1], v3, off
.LBB38_1967:
	s_mov_b64 s[0:1], 0
.LBB38_1968:
	s_andn2_b64 vcc, exec, s[0:1]
	s_cbranch_vccnz .LBB38_1984
; %bb.1969:
	s_sext_i32_i16 s2, s22
	s_cmp_lt_i32 s2, 2
	s_mov_b64 s[0:1], -1
	s_cbranch_scc1 .LBB38_1979
; %bb.1970:
	s_cmp_lt_i32 s2, 3
	s_cbranch_scc1 .LBB38_1976
; %bb.1971:
	s_cmp_gt_i32 s2, 3
	s_cbranch_scc0 .LBB38_1973
; %bb.1972:
	s_waitcnt vmcnt(0)
	v_bfe_i32 v3, v2, 0, 8
	v_ashrrev_i32_e32 v4, 31, v3
	global_store_dwordx2 v[0:1], v[3:4], off
	s_mov_b64 s[0:1], 0
.LBB38_1973:
	s_andn2_b64 vcc, exec, s[0:1]
	s_cbranch_vccnz .LBB38_1975
; %bb.1974:
	s_waitcnt vmcnt(0)
	v_bfe_i32 v3, v2, 0, 8
	global_store_dword v[0:1], v3, off
.LBB38_1975:
	s_mov_b64 s[0:1], 0
.LBB38_1976:
	s_andn2_b64 vcc, exec, s[0:1]
	s_cbranch_vccnz .LBB38_1978
; %bb.1977:
	s_waitcnt vmcnt(0)
	v_bfe_i32 v3, v2, 0, 8
	global_store_short v[0:1], v3, off
.LBB38_1978:
	s_mov_b64 s[0:1], 0
.LBB38_1979:
	s_andn2_b64 vcc, exec, s[0:1]
	s_cbranch_vccnz .LBB38_1984
; %bb.1980:
	s_sext_i32_i16 s0, s22
	s_cmp_gt_i32 s0, 0
	s_mov_b64 s[0:1], -1
	s_cbranch_scc0 .LBB38_1982
; %bb.1981:
	s_waitcnt vmcnt(0)
	global_store_byte v[0:1], v2, off
	s_mov_b64 s[0:1], 0
.LBB38_1982:
	s_andn2_b64 vcc, exec, s[0:1]
	s_cbranch_vccnz .LBB38_1984
; %bb.1983:
	s_waitcnt vmcnt(0)
	global_store_byte v[0:1], v2, off
	s_endpgm
.LBB38_1984:
	s_endpgm
.LBB38_1985:
	s_mov_b64 s[2:3], 0
	s_mov_b64 s[0:1], -1
	s_branch .LBB38_1941
.LBB38_1986:
	s_trap 2
	s_or_b64 s[14:15], s[14:15], exec
	s_cbranch_execz .LBB38_1455
	s_branch .LBB38_1456
.LBB38_1987:
	s_andn2_saveexec_b64 s[20:21], s[20:21]
	s_cbranch_execz .LBB38_1535
.LBB38_1988:
	s_mov_b32 s24, 0x46000000
	v_add_f32_e64 v8, |v7|, s24
	v_and_b32_e32 v8, 0xff, v8
	v_cmp_ne_u32_e32 vcc, 0, v8
	s_andn2_b64 s[18:19], s[18:19], exec
	s_and_b64 s[24:25], vcc, exec
	s_or_b64 s[18:19], s[18:19], s[24:25]
	s_or_b64 exec, exec, s[20:21]
	v_mov_b32_e32 v9, 0
	s_and_saveexec_b64 s[20:21], s[18:19]
	s_cbranch_execnz .LBB38_1536
	s_branch .LBB38_1537
.LBB38_1989:
	s_trap 2
	s_or_b64 s[14:15], s[14:15], exec
	s_cbranch_execz .LBB38_1583
	s_branch .LBB38_1584
.LBB38_1990:
	s_andn2_saveexec_b64 s[18:19], s[18:19]
	s_cbranch_execz .LBB38_1548
.LBB38_1991:
	s_mov_b32 s20, 0x42800000
	v_add_f32_e64 v8, |v7|, s20
	v_and_b32_e32 v8, 0xff, v8
	v_cmp_ne_u32_e32 vcc, 0, v8
	s_andn2_b64 s[16:17], s[16:17], exec
	s_and_b64 s[20:21], vcc, exec
	s_or_b64 s[16:17], s[16:17], s[20:21]
	s_or_b64 exec, exec, s[18:19]
	v_mov_b32_e32 v9, 0
	s_and_saveexec_b64 s[18:19], s[16:17]
	s_cbranch_execnz .LBB38_1549
	s_branch .LBB38_1550
.LBB38_1992:
	s_andn2_saveexec_b64 s[18:19], s[18:19]
	s_cbranch_execz .LBB38_1654
.LBB38_1993:
	s_mov_b32 s24, 0x46000000
	v_add_f32_e64 v7, |v6|, s24
	v_and_b32_e32 v7, 0xff, v7
	v_cmp_ne_u32_e32 vcc, 0, v7
	s_andn2_b64 s[16:17], s[16:17], exec
	s_and_b64 s[24:25], vcc, exec
	s_or_b64 s[16:17], s[16:17], s[24:25]
	s_or_b64 exec, exec, s[18:19]
	v_mov_b32_e32 v8, 0
	s_and_saveexec_b64 s[18:19], s[16:17]
	s_cbranch_execnz .LBB38_1655
	s_branch .LBB38_1656
.LBB38_1994:
	s_trap 2
	s_or_b64 s[14:15], s[14:15], exec
	s_cbranch_execz .LBB38_1702
	s_branch .LBB38_1703
.LBB38_1995:
	s_andn2_saveexec_b64 s[16:17], s[16:17]
	s_cbranch_execz .LBB38_1667
.LBB38_1996:
	s_mov_b32 s18, 0x42800000
	v_add_f32_e64 v7, |v6|, s18
	v_and_b32_e32 v7, 0xff, v7
	v_cmp_ne_u32_e32 vcc, 0, v7
	s_andn2_b64 s[12:13], s[12:13], exec
	s_and_b64 s[18:19], vcc, exec
	s_or_b64 s[12:13], s[12:13], s[18:19]
	s_or_b64 exec, exec, s[16:17]
	v_mov_b32_e32 v8, 0
	s_and_saveexec_b64 s[16:17], s[12:13]
	s_cbranch_execnz .LBB38_1668
	s_branch .LBB38_1669
.LBB38_1997:
	s_andn2_saveexec_b64 s[18:19], s[18:19]
	s_cbranch_execz .LBB38_1773
.LBB38_1998:
	s_mov_b32 s24, 0x46000000
	v_add_f32_e64 v6, |v5|, s24
	v_and_b32_e32 v6, 0xff, v6
	v_cmp_ne_u32_e32 vcc, 0, v6
	s_andn2_b64 s[16:17], s[16:17], exec
	s_and_b64 s[24:25], vcc, exec
	s_or_b64 s[16:17], s[16:17], s[24:25]
	s_or_b64 exec, exec, s[18:19]
	v_mov_b32_e32 v7, 0
	s_and_saveexec_b64 s[18:19], s[16:17]
	s_cbranch_execnz .LBB38_1774
	s_branch .LBB38_1775
.LBB38_1999:
	s_trap 2
	s_or_b64 s[14:15], s[14:15], exec
	s_cbranch_execz .LBB38_1821
	s_branch .LBB38_1822
.LBB38_2000:
	s_andn2_saveexec_b64 s[16:17], s[16:17]
	s_cbranch_execz .LBB38_1786
.LBB38_2001:
	s_mov_b32 s18, 0x42800000
	v_add_f32_e64 v6, |v5|, s18
	v_and_b32_e32 v6, 0xff, v6
	v_cmp_ne_u32_e32 vcc, 0, v6
	s_andn2_b64 s[12:13], s[12:13], exec
	s_and_b64 s[18:19], vcc, exec
	s_or_b64 s[12:13], s[12:13], s[18:19]
	s_or_b64 exec, exec, s[16:17]
	v_mov_b32_e32 v7, 0
	s_and_saveexec_b64 s[16:17], s[12:13]
	s_cbranch_execnz .LBB38_1787
	s_branch .LBB38_1788
.LBB38_2002:
	s_andn2_saveexec_b64 s[12:13], s[12:13]
	s_cbranch_execz .LBB38_1893
.LBB38_2003:
	s_mov_b32 s17, 0x46000000
	v_add_f32_e64 v4, |v3|, s17
	v_and_b32_e32 v4, 0xff, v4
	v_cmp_ne_u32_e32 vcc, 0, v4
	s_andn2_b64 s[10:11], s[10:11], exec
	s_and_b64 s[18:19], vcc, exec
	s_or_b64 s[10:11], s[10:11], s[18:19]
	s_or_b64 exec, exec, s[12:13]
	v_mov_b32_e32 v5, 0
	s_and_saveexec_b64 s[12:13], s[10:11]
	s_cbranch_execnz .LBB38_1894
	s_branch .LBB38_1895
.LBB38_2004:
	s_mov_b64 s[2:3], 0
	s_or_b64 s[14:15], s[14:15], exec
	s_trap 2
	s_branch .LBB38_1939
.LBB38_2005:
	s_andn2_saveexec_b64 s[10:11], s[10:11]
	s_cbranch_execz .LBB38_1905
.LBB38_2006:
	s_mov_b32 s12, 0x42800000
	v_add_f32_e64 v4, |v3|, s12
	v_and_b32_e32 v4, 0xff, v4
	v_cmp_ne_u32_e32 vcc, 0, v4
	s_andn2_b64 s[8:9], s[8:9], exec
	s_and_b64 s[12:13], vcc, exec
	s_or_b64 s[8:9], s[8:9], s[12:13]
	s_or_b64 exec, exec, s[10:11]
	v_mov_b32_e32 v5, 0
	s_and_saveexec_b64 s[10:11], s[8:9]
	s_cbranch_execnz .LBB38_1906
	s_branch .LBB38_1907
	.section	.rodata,"a",@progbits
	.p2align	6, 0x0
	.amdhsa_kernel _ZN2at6native32elementwise_kernel_manual_unrollILi128ELi4EZNS0_15gpu_kernel_implINS0_13BUnaryFunctorIaaaZZZNS0_18lshift_kernel_cudaERNS_18TensorIteratorBaseEENKUlvE_clEvENKUlvE0_clEvEUlaaE_EEEEvS5_RKT_EUlibE_EEviT1_
		.amdhsa_group_segment_fixed_size 0
		.amdhsa_private_segment_fixed_size 0
		.amdhsa_kernarg_size 40
		.amdhsa_user_sgpr_count 6
		.amdhsa_user_sgpr_private_segment_buffer 1
		.amdhsa_user_sgpr_dispatch_ptr 0
		.amdhsa_user_sgpr_queue_ptr 0
		.amdhsa_user_sgpr_kernarg_segment_ptr 1
		.amdhsa_user_sgpr_dispatch_id 0
		.amdhsa_user_sgpr_flat_scratch_init 0
		.amdhsa_user_sgpr_private_segment_size 0
		.amdhsa_uses_dynamic_stack 0
		.amdhsa_system_sgpr_private_segment_wavefront_offset 0
		.amdhsa_system_sgpr_workgroup_id_x 1
		.amdhsa_system_sgpr_workgroup_id_y 0
		.amdhsa_system_sgpr_workgroup_id_z 0
		.amdhsa_system_sgpr_workgroup_info 0
		.amdhsa_system_vgpr_workitem_id 0
		.amdhsa_next_free_vgpr 12
		.amdhsa_next_free_sgpr 50
		.amdhsa_reserve_vcc 1
		.amdhsa_reserve_flat_scratch 0
		.amdhsa_float_round_mode_32 0
		.amdhsa_float_round_mode_16_64 0
		.amdhsa_float_denorm_mode_32 3
		.amdhsa_float_denorm_mode_16_64 3
		.amdhsa_dx10_clamp 1
		.amdhsa_ieee_mode 1
		.amdhsa_fp16_overflow 0
		.amdhsa_exception_fp_ieee_invalid_op 0
		.amdhsa_exception_fp_denorm_src 0
		.amdhsa_exception_fp_ieee_div_zero 0
		.amdhsa_exception_fp_ieee_overflow 0
		.amdhsa_exception_fp_ieee_underflow 0
		.amdhsa_exception_fp_ieee_inexact 0
		.amdhsa_exception_int_div_zero 0
	.end_amdhsa_kernel
	.section	.text._ZN2at6native32elementwise_kernel_manual_unrollILi128ELi4EZNS0_15gpu_kernel_implINS0_13BUnaryFunctorIaaaZZZNS0_18lshift_kernel_cudaERNS_18TensorIteratorBaseEENKUlvE_clEvENKUlvE0_clEvEUlaaE_EEEEvS5_RKT_EUlibE_EEviT1_,"axG",@progbits,_ZN2at6native32elementwise_kernel_manual_unrollILi128ELi4EZNS0_15gpu_kernel_implINS0_13BUnaryFunctorIaaaZZZNS0_18lshift_kernel_cudaERNS_18TensorIteratorBaseEENKUlvE_clEvENKUlvE0_clEvEUlaaE_EEEEvS5_RKT_EUlibE_EEviT1_,comdat
.Lfunc_end38:
	.size	_ZN2at6native32elementwise_kernel_manual_unrollILi128ELi4EZNS0_15gpu_kernel_implINS0_13BUnaryFunctorIaaaZZZNS0_18lshift_kernel_cudaERNS_18TensorIteratorBaseEENKUlvE_clEvENKUlvE0_clEvEUlaaE_EEEEvS5_RKT_EUlibE_EEviT1_, .Lfunc_end38-_ZN2at6native32elementwise_kernel_manual_unrollILi128ELi4EZNS0_15gpu_kernel_implINS0_13BUnaryFunctorIaaaZZZNS0_18lshift_kernel_cudaERNS_18TensorIteratorBaseEENKUlvE_clEvENKUlvE0_clEvEUlaaE_EEEEvS5_RKT_EUlibE_EEviT1_
                                        ; -- End function
	.set _ZN2at6native32elementwise_kernel_manual_unrollILi128ELi4EZNS0_15gpu_kernel_implINS0_13BUnaryFunctorIaaaZZZNS0_18lshift_kernel_cudaERNS_18TensorIteratorBaseEENKUlvE_clEvENKUlvE0_clEvEUlaaE_EEEEvS5_RKT_EUlibE_EEviT1_.num_vgpr, 12
	.set _ZN2at6native32elementwise_kernel_manual_unrollILi128ELi4EZNS0_15gpu_kernel_implINS0_13BUnaryFunctorIaaaZZZNS0_18lshift_kernel_cudaERNS_18TensorIteratorBaseEENKUlvE_clEvENKUlvE0_clEvEUlaaE_EEEEvS5_RKT_EUlibE_EEviT1_.num_agpr, 0
	.set _ZN2at6native32elementwise_kernel_manual_unrollILi128ELi4EZNS0_15gpu_kernel_implINS0_13BUnaryFunctorIaaaZZZNS0_18lshift_kernel_cudaERNS_18TensorIteratorBaseEENKUlvE_clEvENKUlvE0_clEvEUlaaE_EEEEvS5_RKT_EUlibE_EEviT1_.numbered_sgpr, 50
	.set _ZN2at6native32elementwise_kernel_manual_unrollILi128ELi4EZNS0_15gpu_kernel_implINS0_13BUnaryFunctorIaaaZZZNS0_18lshift_kernel_cudaERNS_18TensorIteratorBaseEENKUlvE_clEvENKUlvE0_clEvEUlaaE_EEEEvS5_RKT_EUlibE_EEviT1_.num_named_barrier, 0
	.set _ZN2at6native32elementwise_kernel_manual_unrollILi128ELi4EZNS0_15gpu_kernel_implINS0_13BUnaryFunctorIaaaZZZNS0_18lshift_kernel_cudaERNS_18TensorIteratorBaseEENKUlvE_clEvENKUlvE0_clEvEUlaaE_EEEEvS5_RKT_EUlibE_EEviT1_.private_seg_size, 0
	.set _ZN2at6native32elementwise_kernel_manual_unrollILi128ELi4EZNS0_15gpu_kernel_implINS0_13BUnaryFunctorIaaaZZZNS0_18lshift_kernel_cudaERNS_18TensorIteratorBaseEENKUlvE_clEvENKUlvE0_clEvEUlaaE_EEEEvS5_RKT_EUlibE_EEviT1_.uses_vcc, 1
	.set _ZN2at6native32elementwise_kernel_manual_unrollILi128ELi4EZNS0_15gpu_kernel_implINS0_13BUnaryFunctorIaaaZZZNS0_18lshift_kernel_cudaERNS_18TensorIteratorBaseEENKUlvE_clEvENKUlvE0_clEvEUlaaE_EEEEvS5_RKT_EUlibE_EEviT1_.uses_flat_scratch, 0
	.set _ZN2at6native32elementwise_kernel_manual_unrollILi128ELi4EZNS0_15gpu_kernel_implINS0_13BUnaryFunctorIaaaZZZNS0_18lshift_kernel_cudaERNS_18TensorIteratorBaseEENKUlvE_clEvENKUlvE0_clEvEUlaaE_EEEEvS5_RKT_EUlibE_EEviT1_.has_dyn_sized_stack, 0
	.set _ZN2at6native32elementwise_kernel_manual_unrollILi128ELi4EZNS0_15gpu_kernel_implINS0_13BUnaryFunctorIaaaZZZNS0_18lshift_kernel_cudaERNS_18TensorIteratorBaseEENKUlvE_clEvENKUlvE0_clEvEUlaaE_EEEEvS5_RKT_EUlibE_EEviT1_.has_recursion, 0
	.set _ZN2at6native32elementwise_kernel_manual_unrollILi128ELi4EZNS0_15gpu_kernel_implINS0_13BUnaryFunctorIaaaZZZNS0_18lshift_kernel_cudaERNS_18TensorIteratorBaseEENKUlvE_clEvENKUlvE0_clEvEUlaaE_EEEEvS5_RKT_EUlibE_EEviT1_.has_indirect_call, 0
	.section	.AMDGPU.csdata,"",@progbits
; Kernel info:
; codeLenInByte = 31060
; TotalNumSgprs: 54
; NumVgprs: 12
; ScratchSize: 0
; MemoryBound: 1
; FloatMode: 240
; IeeeMode: 1
; LDSByteSize: 0 bytes/workgroup (compile time only)
; SGPRBlocks: 6
; VGPRBlocks: 2
; NumSGPRsForWavesPerEU: 54
; NumVGPRsForWavesPerEU: 12
; Occupancy: 10
; WaveLimiterHint : 0
; COMPUTE_PGM_RSRC2:SCRATCH_EN: 0
; COMPUTE_PGM_RSRC2:USER_SGPR: 6
; COMPUTE_PGM_RSRC2:TRAP_HANDLER: 0
; COMPUTE_PGM_RSRC2:TGID_X_EN: 1
; COMPUTE_PGM_RSRC2:TGID_Y_EN: 0
; COMPUTE_PGM_RSRC2:TGID_Z_EN: 0
; COMPUTE_PGM_RSRC2:TIDIG_COMP_CNT: 0
	.section	.text._ZN2at6native32elementwise_kernel_manual_unrollILi128ELi4EZNS0_15gpu_kernel_implINS0_13BUnaryFunctorIaaaZZZNS0_18lshift_kernel_cudaERNS_18TensorIteratorBaseEENKUlvE_clEvENKUlvE0_clEvEUlaaE_EEEEvS5_RKT_EUlibE0_EEviT1_,"axG",@progbits,_ZN2at6native32elementwise_kernel_manual_unrollILi128ELi4EZNS0_15gpu_kernel_implINS0_13BUnaryFunctorIaaaZZZNS0_18lshift_kernel_cudaERNS_18TensorIteratorBaseEENKUlvE_clEvENKUlvE0_clEvEUlaaE_EEEEvS5_RKT_EUlibE0_EEviT1_,comdat
	.globl	_ZN2at6native32elementwise_kernel_manual_unrollILi128ELi4EZNS0_15gpu_kernel_implINS0_13BUnaryFunctorIaaaZZZNS0_18lshift_kernel_cudaERNS_18TensorIteratorBaseEENKUlvE_clEvENKUlvE0_clEvEUlaaE_EEEEvS5_RKT_EUlibE0_EEviT1_ ; -- Begin function _ZN2at6native32elementwise_kernel_manual_unrollILi128ELi4EZNS0_15gpu_kernel_implINS0_13BUnaryFunctorIaaaZZZNS0_18lshift_kernel_cudaERNS_18TensorIteratorBaseEENKUlvE_clEvENKUlvE0_clEvEUlaaE_EEEEvS5_RKT_EUlibE0_EEviT1_
	.p2align	8
	.type	_ZN2at6native32elementwise_kernel_manual_unrollILi128ELi4EZNS0_15gpu_kernel_implINS0_13BUnaryFunctorIaaaZZZNS0_18lshift_kernel_cudaERNS_18TensorIteratorBaseEENKUlvE_clEvENKUlvE0_clEvEUlaaE_EEEEvS5_RKT_EUlibE0_EEviT1_,@function
_ZN2at6native32elementwise_kernel_manual_unrollILi128ELi4EZNS0_15gpu_kernel_implINS0_13BUnaryFunctorIaaaZZZNS0_18lshift_kernel_cudaERNS_18TensorIteratorBaseEENKUlvE_clEvENKUlvE0_clEvEUlaaE_EEEEvS5_RKT_EUlibE0_EEviT1_: ; @_ZN2at6native32elementwise_kernel_manual_unrollILi128ELi4EZNS0_15gpu_kernel_implINS0_13BUnaryFunctorIaaaZZZNS0_18lshift_kernel_cudaERNS_18TensorIteratorBaseEENKUlvE_clEvENKUlvE0_clEvEUlaaE_EEEEvS5_RKT_EUlibE0_EEviT1_
; %bb.0:
	s_load_dword s72, s[4:5], 0x0
	s_load_dword s33, s[4:5], 0x8
	s_add_u32 s34, s4, 8
	s_addc_u32 s35, s5, 0
	v_lshl_or_b32 v8, s6, 9, v0
	v_or_b32_e32 v15, 0x180, v8
	s_waitcnt lgkmcnt(0)
	s_add_i32 s74, s33, -1
	s_cmp_gt_u32 s74, 1
	v_cmp_le_i32_e32 vcc, s72, v15
	s_cselect_b64 s[40:41], -1, 0
	s_mov_b64 s[6:7], 0
	s_mov_b64 s[28:29], 0
	s_and_saveexec_b64 s[0:1], vcc
	s_xor_b64 s[42:43], exec, s[0:1]
	s_cbranch_execz .LBB39_1070
; %bb.1:
	v_mov_b32_e32 v0, 0
	global_load_ushort v1, v0, s[34:35] offset:345
	global_load_sbyte v2, v0, s[34:35] offset:347
	s_cmp_lg_u32 s33, 0
	s_load_dwordx4 s[36:39], s[34:35], 0x4
	s_load_dwordx2 s[46:47], s[34:35], 0x14
	s_load_dwordx4 s[28:31], s[34:35], 0xc4
	s_load_dwordx4 s[24:27], s[34:35], 0x148
	s_cselect_b64 s[52:53], -1, 0
	s_add_u32 s50, s34, 0xc4
	s_addc_u32 s51, s35, 0
	s_min_u32 s78, s74, 15
	s_cmp_gt_u32 s33, 1
	s_cselect_b64 s[48:49], -1, 0
	v_cmp_gt_i32_e32 vcc, s72, v8
	s_mov_b64 s[2:3], -1
	s_mov_b64 s[62:63], 0
	s_mov_b64 s[56:57], 0
	;; [unrolled: 1-line block ×3, first 2 shown]
	s_waitcnt vmcnt(1)
	v_readfirstlane_b32 s0, v1
	s_lshr_b32 s75, s0, 8
	s_and_b32 s76, s0, 0xff
	s_cmp_gt_u32 s76, 7
	s_waitcnt vmcnt(0)
	v_readfirstlane_b32 s77, v2
	s_cselect_b64 s[44:45], -1, 0
	s_and_saveexec_b64 s[58:59], vcc
	s_cbranch_execz .LBB39_262
; %bb.2:
	s_andn2_b64 vcc, exec, s[40:41]
	s_cbranch_vccnz .LBB39_7
; %bb.3:
	s_andn2_b64 vcc, exec, s[52:53]
	s_cbranch_vccnz .LBB39_8
; %bb.4:
	s_add_i32 s61, s78, 1
	s_cmp_eq_u32 s74, 2
	s_cbranch_scc1 .LBB39_9
; %bb.5:
	s_and_b32 s60, s61, 28
	v_mov_b32_e32 v2, 0
	s_mov_b32 s64, 0
	s_mov_b64 s[54:55], s[34:35]
	s_mov_b64 s[56:57], s[50:51]
	v_mov_b32_e32 v0, 0
	v_mov_b32_e32 v1, v8
.LBB39_6:                               ; =>This Inner Loop Header: Depth=1
	s_load_dwordx8 s[16:23], s[54:55], 0x4
	s_load_dwordx4 s[0:3], s[54:55], 0x24
	s_load_dwordx8 s[8:15], s[56:57], 0x0
	s_add_u32 s54, s54, 48
	s_addc_u32 s55, s55, 0
	s_waitcnt lgkmcnt(0)
	v_mul_hi_u32 v3, s17, v1
	s_add_i32 s64, s64, 4
	s_add_u32 s56, s56, 32
	s_addc_u32 s57, s57, 0
	v_add_u32_e32 v3, v1, v3
	v_lshrrev_b32_e32 v3, s18, v3
	v_mul_lo_u32 v4, v3, s16
	v_mul_hi_u32 v5, s20, v3
	s_cmp_lg_u32 s60, s64
	v_sub_u32_e32 v1, v1, v4
	v_add_u32_e32 v4, v3, v5
	v_mul_lo_u32 v5, v1, s8
	v_mul_lo_u32 v6, v1, s9
	v_lshrrev_b32_e32 v1, s21, v4
	v_mul_lo_u32 v4, v1, s19
	v_mul_hi_u32 v7, s23, v1
	v_sub_u32_e32 v3, v3, v4
	v_add_u32_e32 v4, v1, v7
	v_lshrrev_b32_e32 v4, s0, v4
	v_mul_hi_u32 v9, s2, v4
	v_mul_lo_u32 v10, v4, s22
	v_mul_lo_u32 v7, v3, s10
	;; [unrolled: 1-line block ×3, first 2 shown]
	v_sub_u32_e32 v10, v1, v10
	v_add_u32_e32 v1, v4, v9
	v_lshrrev_b32_e32 v1, s3, v1
	v_mul_lo_u32 v9, v1, s1
	v_mul_lo_u32 v11, v10, s12
	;; [unrolled: 1-line block ×3, first 2 shown]
	v_add3_u32 v0, v5, v0, v7
	v_sub_u32_e32 v4, v4, v9
	v_mul_lo_u32 v9, v4, s14
	v_mul_lo_u32 v4, v4, s15
	v_add3_u32 v2, v6, v2, v3
	v_add3_u32 v0, v11, v0, v9
	;; [unrolled: 1-line block ×3, first 2 shown]
	s_cbranch_scc1 .LBB39_6
	s_branch .LBB39_10
.LBB39_7:
                                        ; implicit-def: $vgpr0
                                        ; implicit-def: $vgpr2
	s_branch .LBB39_14
.LBB39_8:
	v_mov_b32_e32 v0, 0
	v_mov_b32_e32 v2, 0
	s_branch .LBB39_13
.LBB39_9:
	s_mov_b32 s60, 0
	v_mov_b32_e32 v0, 0
	v_mov_b32_e32 v2, 0
	;; [unrolled: 1-line block ×3, first 2 shown]
.LBB39_10:
	s_and_b32 s8, s61, 3
	s_cmp_eq_u32 s8, 0
	s_cbranch_scc1 .LBB39_13
; %bb.11:
	s_lshl_b32 s0, s60, 3
	s_add_u32 s0, s34, s0
	s_addc_u32 s1, s35, 0
	s_add_u32 s0, s0, 0xc4
	s_addc_u32 s1, s1, 0
	s_mul_i32 s2, s60, 12
	s_add_u32 s2, s34, s2
	s_addc_u32 s3, s35, 0
.LBB39_12:                              ; =>This Inner Loop Header: Depth=1
	s_load_dwordx2 s[10:11], s[2:3], 0x4
	s_load_dword s9, s[2:3], 0xc
	s_load_dwordx2 s[12:13], s[0:1], 0x0
	s_add_u32 s2, s2, 12
	s_addc_u32 s3, s3, 0
	s_waitcnt lgkmcnt(0)
	v_mul_hi_u32 v3, s11, v1
	s_add_u32 s0, s0, 8
	s_addc_u32 s1, s1, 0
	s_add_i32 s8, s8, -1
	v_add_u32_e32 v3, v1, v3
	v_lshrrev_b32_e32 v4, s9, v3
	v_mul_lo_u32 v3, v4, s10
	s_cmp_lg_u32 s8, 0
	v_sub_u32_e32 v3, v1, v3
	v_mad_u64_u32 v[0:1], s[10:11], v3, s12, v[0:1]
	v_mad_u64_u32 v[2:3], s[10:11], v3, s13, v[2:3]
	v_mov_b32_e32 v1, v4
	s_cbranch_scc1 .LBB39_12
.LBB39_13:
	s_cbranch_execnz .LBB39_16
.LBB39_14:
	s_waitcnt lgkmcnt(0)
	v_mul_hi_u32 v0, s37, v8
	s_andn2_b64 vcc, exec, s[48:49]
	v_add_u32_e32 v0, v8, v0
	v_lshrrev_b32_e32 v1, s38, v0
	v_mul_lo_u32 v0, v1, s36
	v_sub_u32_e32 v2, v8, v0
	v_mul_lo_u32 v0, v2, s28
	v_mul_lo_u32 v2, v2, s29
	s_cbranch_vccnz .LBB39_16
; %bb.15:
	v_mul_hi_u32 v3, s46, v1
	v_add_u32_e32 v3, v1, v3
	v_lshrrev_b32_e32 v3, s47, v3
	v_mul_lo_u32 v3, v3, s39
	v_sub_u32_e32 v3, v1, v3
	v_mad_u64_u32 v[0:1], s[0:1], v3, s30, v[0:1]
	v_mad_u64_u32 v[2:3], s[0:1], v3, s31, v[2:3]
.LBB39_16:
	s_waitcnt lgkmcnt(0)
	v_mov_b32_e32 v3, s27
	s_and_b32 s10, s77, 0xff
	v_add_co_u32_e32 v1, vcc, s26, v2
	s_cmp_lt_i32 s10, 11
	v_addc_co_u32_e32 v2, vcc, 0, v3, vcc
	s_cbranch_scc1 .LBB39_23
; %bb.17:
	s_and_b32 s11, 0xffff, s10
	s_cmp_gt_i32 s11, 25
	s_cbranch_scc0 .LBB39_32
; %bb.18:
	s_cmp_gt_i32 s11, 28
	s_cbranch_scc0 .LBB39_35
; %bb.19:
	;; [unrolled: 3-line block ×4, first 2 shown]
	s_cmp_eq_u32 s11, 46
	s_mov_b64 s[8:9], 0
	s_cbranch_scc0 .LBB39_41
; %bb.22:
	global_load_dword v3, v[1:2], off
	s_mov_b64 s[0:1], -1
	s_mov_b64 s[2:3], 0
	s_waitcnt vmcnt(0)
	v_lshlrev_b32_e32 v3, 16, v3
	v_cvt_i32_f32_e32 v3, v3
	s_branch .LBB39_43
.LBB39_23:
	s_mov_b64 s[2:3], 0
                                        ; implicit-def: $vgpr3
	s_mov_b64 s[0:1], 0
	s_cbranch_execnz .LBB39_212
.LBB39_24:
	s_andn2_b64 vcc, exec, s[0:1]
	s_cbranch_vccnz .LBB39_259
.LBB39_25:
	s_waitcnt vmcnt(0)
	v_lshlrev_b32_e32 v1, s76, v3
	v_cndmask_b32_e64 v2, v1, 0, s[44:45]
	v_mov_b32_e32 v1, s25
	s_and_b32 s14, s75, 0xff
	v_add_co_u32_e32 v0, vcc, s24, v0
	s_cmp_lt_i32 s14, 11
	v_addc_co_u32_e32 v1, vcc, 0, v1, vcc
	s_cbranch_scc1 .LBB39_33
; %bb.26:
	s_and_b32 s15, 0xffff, s14
	s_cmp_gt_i32 s15, 25
	s_cbranch_scc0 .LBB39_36
; %bb.27:
	s_cmp_gt_i32 s15, 28
	s_cbranch_scc0 .LBB39_38
; %bb.28:
	;; [unrolled: 3-line block ×4, first 2 shown]
	s_mov_b64 s[10:11], 0
	s_mov_b64 s[0:1], -1
	s_cmp_eq_u32 s15, 46
	s_mov_b64 s[8:9], 0
	s_cbranch_scc0 .LBB39_47
; %bb.31:
	v_bfe_i32 v3, v2, 0, 8
	v_cvt_f32_i32_sdwa v3, sext(v3) dst_sel:DWORD dst_unused:UNUSED_PAD src0_sel:WORD_0
	s_movk_i32 s0, 0x7fff
	s_mov_b64 s[8:9], -1
	v_bfe_u32 v4, v3, 16, 1
	v_add3_u32 v3, v3, v4, s0
	v_lshrrev_b32_e32 v3, 16, v3
	global_store_dword v[0:1], v3, off
	s_mov_b64 s[0:1], 0
	s_branch .LBB39_47
.LBB39_32:
	s_mov_b64 s[2:3], 0
	s_mov_b64 s[0:1], 0
                                        ; implicit-def: $vgpr3
	s_cbranch_execnz .LBB39_179
	s_branch .LBB39_211
.LBB39_33:
	s_mov_b64 s[0:1], 0
	s_mov_b64 s[8:9], 0
	s_cbranch_execnz .LBB39_116
.LBB39_34:
	s_andn2_b64 vcc, exec, s[8:9]
	s_cbranch_vccnz .LBB39_260
	s_branch .LBB39_154
.LBB39_35:
	s_mov_b64 s[8:9], -1
	s_mov_b64 s[2:3], 0
	s_mov_b64 s[0:1], 0
                                        ; implicit-def: $vgpr3
	s_branch .LBB39_162
.LBB39_36:
	s_mov_b64 s[10:11], -1
	s_mov_b64 s[0:1], 0
	s_mov_b64 s[8:9], 0
	s_branch .LBB39_74
.LBB39_37:
	s_mov_b64 s[8:9], -1
	s_mov_b64 s[2:3], 0
	s_mov_b64 s[0:1], 0
                                        ; implicit-def: $vgpr3
	s_branch .LBB39_157
.LBB39_38:
	s_mov_b64 s[10:11], -1
	s_mov_b64 s[0:1], 0
	s_mov_b64 s[8:9], 0
	s_branch .LBB39_57
.LBB39_39:
	s_mov_b64 s[8:9], -1
	s_mov_b64 s[2:3], 0
	s_branch .LBB39_42
.LBB39_40:
	s_mov_b64 s[10:11], -1
	s_mov_b64 s[0:1], 0
	s_mov_b64 s[8:9], 0
	s_branch .LBB39_53
.LBB39_41:
	s_mov_b64 s[2:3], -1
.LBB39_42:
	s_mov_b64 s[0:1], 0
                                        ; implicit-def: $vgpr3
.LBB39_43:
	s_and_b64 vcc, exec, s[8:9]
	s_cbranch_vccz .LBB39_156
; %bb.44:
	s_cmp_eq_u32 s11, 44
	s_cbranch_scc0 .LBB39_155
; %bb.45:
	global_load_ubyte v3, v[1:2], off
	s_mov_b64 s[0:1], -1
	s_mov_b64 s[2:3], 0
	s_waitcnt vmcnt(0)
	v_lshlrev_b32_e32 v4, 23, v3
	v_cvt_i32_f32_e32 v4, v4
	v_cmp_ne_u32_e32 vcc, 0, v3
	v_cndmask_b32_e32 v3, 0, v4, vcc
	s_branch .LBB39_156
.LBB39_46:
	s_mov_b64 s[10:11], -1
	s_mov_b64 s[0:1], 0
	s_mov_b64 s[8:9], 0
.LBB39_47:
	s_and_b64 vcc, exec, s[10:11]
	s_cbranch_vccz .LBB39_52
; %bb.48:
	s_cmp_eq_u32 s15, 44
	s_mov_b64 s[0:1], -1
	s_cbranch_scc0 .LBB39_52
; %bb.49:
	v_bfe_i32 v3, v2, 0, 8
	v_cvt_f32_i32_sdwa v3, sext(v3) dst_sel:DWORD dst_unused:UNUSED_PAD src0_sel:WORD_0
	s_movk_i32 s0, 0xff
	v_mov_b32_e32 v5, 0xff
	v_bfe_u32 v4, v3, 23, 8
	v_cmp_ne_u32_e32 vcc, s0, v4
	s_and_saveexec_b64 s[8:9], vcc
; %bb.50:
	s_mov_b32 s0, 0x3fffff
	v_lshrrev_b32_e32 v5, 23, v3
	v_and_b32_e32 v6, 0x400000, v3
	v_and_or_b32 v3, v3, s0, v4
	v_cmp_ne_u32_e32 vcc, 0, v6
	v_cmp_ne_u32_e64 s[0:1], 0, v3
	s_and_b64 s[0:1], vcc, s[0:1]
	v_cndmask_b32_e64 v3, 0, 1, s[0:1]
	v_add_u32_e32 v5, v5, v3
; %bb.51:
	s_or_b64 exec, exec, s[8:9]
	s_mov_b64 s[8:9], -1
	s_mov_b64 s[0:1], 0
	global_store_byte v[0:1], v5, off
.LBB39_52:
	s_mov_b64 s[10:11], 0
.LBB39_53:
	s_and_b64 vcc, exec, s[10:11]
	s_cbranch_vccz .LBB39_56
; %bb.54:
	s_cmp_eq_u32 s15, 29
	s_mov_b64 s[0:1], -1
	s_cbranch_scc0 .LBB39_56
; %bb.55:
	v_bfe_i32 v3, v2, 0, 8
	v_ashrrev_i32_e32 v4, 31, v3
	global_store_dwordx2 v[0:1], v[3:4], off
	s_mov_b64 s[8:9], -1
	s_mov_b64 s[0:1], 0
.LBB39_56:
	s_mov_b64 s[10:11], 0
.LBB39_57:
	s_and_b64 vcc, exec, s[10:11]
	s_cbranch_vccz .LBB39_73
; %bb.58:
	s_cmp_lt_i32 s15, 27
	s_mov_b64 s[8:9], -1
	s_cbranch_scc1 .LBB39_64
; %bb.59:
	s_cmp_gt_i32 s15, 27
	s_cbranch_scc0 .LBB39_61
; %bb.60:
	v_bfe_i32 v3, v2, 0, 8
	s_mov_b64 s[8:9], 0
	global_store_dword v[0:1], v3, off
.LBB39_61:
	s_andn2_b64 vcc, exec, s[8:9]
	s_cbranch_vccnz .LBB39_63
; %bb.62:
	v_bfe_i32 v3, v2, 0, 8
	global_store_short v[0:1], v3, off
.LBB39_63:
	s_mov_b64 s[8:9], 0
.LBB39_64:
	s_andn2_b64 vcc, exec, s[8:9]
	s_cbranch_vccnz .LBB39_72
; %bb.65:
	v_bfe_i32 v3, v2, 0, 8
	v_cvt_f32_i32_sdwa v3, sext(v3) dst_sel:DWORD dst_unused:UNUSED_PAD src0_sel:WORD_0
	s_mov_b32 s8, 0x43800000
	v_mov_b32_e32 v5, 0x80
	v_and_b32_e32 v4, 0x7fffffff, v3
	v_cmp_gt_u32_e32 vcc, s8, v4
	s_and_saveexec_b64 s[8:9], vcc
	s_cbranch_execz .LBB39_71
; %bb.66:
	s_mov_b32 s10, 0x3bffffff
	v_cmp_lt_u32_e32 vcc, s10, v4
	s_mov_b64 s[10:11], 0
                                        ; implicit-def: $vgpr4
	s_and_saveexec_b64 s[12:13], vcc
	s_xor_b64 s[12:13], exec, s[12:13]
	s_cbranch_execz .LBB39_303
; %bb.67:
	v_bfe_u32 v4, v3, 20, 1
	s_mov_b32 s16, 0x487ffff
	v_add3_u32 v4, v3, v4, s16
	s_mov_b64 s[10:11], exec
	v_lshrrev_b32_e32 v4, 20, v4
	s_andn2_saveexec_b64 s[12:13], s[12:13]
	s_cbranch_execnz .LBB39_304
.LBB39_68:
	s_or_b64 exec, exec, s[12:13]
	v_mov_b32_e32 v5, 0
	s_and_saveexec_b64 s[12:13], s[10:11]
.LBB39_69:
	v_lshrrev_b32_e32 v3, 24, v3
	s_movk_i32 s10, 0x80
	v_and_or_b32 v5, v3, s10, v4
.LBB39_70:
	s_or_b64 exec, exec, s[12:13]
.LBB39_71:
	s_or_b64 exec, exec, s[8:9]
	global_store_byte v[0:1], v5, off
.LBB39_72:
	s_mov_b64 s[8:9], -1
.LBB39_73:
	s_mov_b64 s[10:11], 0
.LBB39_74:
	s_and_b64 vcc, exec, s[10:11]
	s_cbranch_vccz .LBB39_115
; %bb.75:
	s_cmp_gt_i32 s15, 22
	s_mov_b64 s[10:11], -1
	s_cbranch_scc0 .LBB39_107
; %bb.76:
	s_cmp_lt_i32 s15, 24
	s_mov_b64 s[8:9], -1
	s_cbranch_scc1 .LBB39_96
; %bb.77:
	s_cmp_gt_i32 s15, 24
	s_cbranch_scc0 .LBB39_85
; %bb.78:
	v_bfe_i32 v3, v2, 0, 8
	v_cvt_f32_i32_sdwa v3, sext(v3) dst_sel:DWORD dst_unused:UNUSED_PAD src0_sel:WORD_0
	s_mov_b32 s8, 0x47800000
	v_mov_b32_e32 v5, 0x80
	v_and_b32_e32 v4, 0x7fffffff, v3
	v_cmp_gt_u32_e32 vcc, s8, v4
	s_and_saveexec_b64 s[8:9], vcc
	s_cbranch_execz .LBB39_84
; %bb.79:
	s_mov_b32 s10, 0x37ffffff
	v_cmp_lt_u32_e32 vcc, s10, v4
	s_mov_b64 s[10:11], 0
                                        ; implicit-def: $vgpr4
	s_and_saveexec_b64 s[12:13], vcc
	s_xor_b64 s[12:13], exec, s[12:13]
	s_cbranch_execz .LBB39_307
; %bb.80:
	v_bfe_u32 v4, v3, 21, 1
	s_mov_b32 s16, 0x88fffff
	v_add3_u32 v4, v3, v4, s16
	s_mov_b64 s[10:11], exec
	v_lshrrev_b32_e32 v4, 21, v4
	s_andn2_saveexec_b64 s[12:13], s[12:13]
	s_cbranch_execnz .LBB39_308
.LBB39_81:
	s_or_b64 exec, exec, s[12:13]
	v_mov_b32_e32 v5, 0
	s_and_saveexec_b64 s[12:13], s[10:11]
.LBB39_82:
	v_lshrrev_b32_e32 v3, 24, v3
	s_movk_i32 s10, 0x80
	v_and_or_b32 v5, v3, s10, v4
.LBB39_83:
	s_or_b64 exec, exec, s[12:13]
.LBB39_84:
	s_or_b64 exec, exec, s[8:9]
	s_mov_b64 s[8:9], 0
	global_store_byte v[0:1], v5, off
.LBB39_85:
	s_and_b64 vcc, exec, s[8:9]
	s_cbranch_vccz .LBB39_95
; %bb.86:
	v_bfe_i32 v3, v2, 0, 8
	v_cvt_f32_i32_sdwa v3, sext(v3) dst_sel:DWORD dst_unused:UNUSED_PAD src0_sel:WORD_0
	s_mov_b32 s8, 0x43f00000
                                        ; implicit-def: $vgpr4
	v_and_b32_e32 v5, 0x7fffffff, v3
	v_cmp_gt_u32_e32 vcc, s8, v5
	s_and_saveexec_b64 s[8:9], vcc
	s_xor_b64 s[8:9], exec, s[8:9]
	s_cbranch_execz .LBB39_92
; %bb.87:
	s_mov_b32 s10, 0x3c7fffff
	v_cmp_lt_u32_e32 vcc, s10, v5
                                        ; implicit-def: $vgpr4
	s_and_saveexec_b64 s[10:11], vcc
	s_xor_b64 s[10:11], exec, s[10:11]
; %bb.88:
	v_bfe_u32 v4, v3, 20, 1
	s_mov_b32 s12, 0x407ffff
	v_add3_u32 v4, v3, v4, s12
	v_lshrrev_b32_e32 v5, 20, v4
	v_and_b32_e32 v4, 0xff00000, v4
	s_mov_b32 s12, 0x7f00000
	v_mov_b32_e32 v6, 0x7e
	v_cmp_ne_u32_e32 vcc, s12, v4
	v_cndmask_b32_e32 v4, v6, v5, vcc
; %bb.89:
	s_andn2_saveexec_b64 s[10:11], s[10:11]
; %bb.90:
	s_mov_b32 s12, 0x46800000
	v_add_f32_e64 v4, |v3|, s12
; %bb.91:
	s_or_b64 exec, exec, s[10:11]
                                        ; implicit-def: $vgpr5
.LBB39_92:
	s_andn2_saveexec_b64 s[8:9], s[8:9]
; %bb.93:
	s_mov_b32 s10, 0x7f800000
	v_mov_b32_e32 v4, 0x7e
	v_mov_b32_e32 v6, 0x7f
	v_cmp_lt_u32_e32 vcc, s10, v5
	v_cndmask_b32_e32 v4, v4, v6, vcc
; %bb.94:
	s_or_b64 exec, exec, s[8:9]
	v_lshrrev_b32_e32 v3, 24, v3
	s_movk_i32 s8, 0x80
	v_and_or_b32 v3, v3, s8, v4
	global_store_byte v[0:1], v3, off
.LBB39_95:
	s_mov_b64 s[8:9], 0
.LBB39_96:
	s_andn2_b64 vcc, exec, s[8:9]
	s_cbranch_vccnz .LBB39_106
; %bb.97:
	v_bfe_i32 v3, v2, 0, 8
	v_cvt_f32_i32_sdwa v3, sext(v3) dst_sel:DWORD dst_unused:UNUSED_PAD src0_sel:WORD_0
	s_mov_b32 s8, 0x47800000
                                        ; implicit-def: $vgpr4
	v_and_b32_e32 v5, 0x7fffffff, v3
	v_cmp_gt_u32_e32 vcc, s8, v5
	s_and_saveexec_b64 s[8:9], vcc
	s_xor_b64 s[8:9], exec, s[8:9]
	s_cbranch_execz .LBB39_103
; %bb.98:
	s_mov_b32 s10, 0x387fffff
	v_cmp_lt_u32_e32 vcc, s10, v5
                                        ; implicit-def: $vgpr4
	s_and_saveexec_b64 s[10:11], vcc
	s_xor_b64 s[10:11], exec, s[10:11]
; %bb.99:
	v_bfe_u32 v4, v3, 21, 1
	s_mov_b32 s12, 0x80fffff
	v_add3_u32 v4, v3, v4, s12
	v_lshrrev_b32_e32 v4, 21, v4
; %bb.100:
	s_andn2_saveexec_b64 s[10:11], s[10:11]
; %bb.101:
	s_mov_b32 s12, 0x43000000
	v_add_f32_e64 v4, |v3|, s12
; %bb.102:
	s_or_b64 exec, exec, s[10:11]
                                        ; implicit-def: $vgpr5
.LBB39_103:
	s_andn2_saveexec_b64 s[8:9], s[8:9]
; %bb.104:
	s_mov_b32 s10, 0x7f800000
	v_mov_b32_e32 v4, 0x7c
	v_mov_b32_e32 v6, 0x7f
	v_cmp_lt_u32_e32 vcc, s10, v5
	v_cndmask_b32_e32 v4, v4, v6, vcc
; %bb.105:
	s_or_b64 exec, exec, s[8:9]
	v_lshrrev_b32_e32 v3, 24, v3
	s_movk_i32 s8, 0x80
	v_and_or_b32 v3, v3, s8, v4
	global_store_byte v[0:1], v3, off
.LBB39_106:
	s_mov_b64 s[10:11], 0
	s_mov_b64 s[8:9], -1
.LBB39_107:
	s_andn2_b64 vcc, exec, s[10:11]
	s_cbranch_vccnz .LBB39_115
; %bb.108:
	s_cmp_gt_i32 s15, 14
	s_mov_b64 s[10:11], -1
	s_cbranch_scc0 .LBB39_112
; %bb.109:
	s_cmp_eq_u32 s15, 15
	s_mov_b64 s[0:1], -1
	s_cbranch_scc0 .LBB39_111
; %bb.110:
	v_bfe_i32 v3, v2, 0, 8
	v_cvt_f32_i32_sdwa v3, sext(v3) dst_sel:DWORD dst_unused:UNUSED_PAD src0_sel:WORD_0
	s_movk_i32 s0, 0x7fff
	s_mov_b64 s[8:9], -1
	v_bfe_u32 v4, v3, 16, 1
	v_add3_u32 v3, v3, v4, s0
	global_store_short_d16_hi v[0:1], v3, off
	s_mov_b64 s[0:1], 0
.LBB39_111:
	s_mov_b64 s[10:11], 0
.LBB39_112:
	s_and_b64 vcc, exec, s[10:11]
	s_cbranch_vccz .LBB39_115
; %bb.113:
	s_cmp_eq_u32 s15, 11
	s_mov_b64 s[0:1], -1
	s_cbranch_scc0 .LBB39_115
; %bb.114:
	v_mov_b32_e32 v3, 0
	v_cmp_ne_u16_sdwa s[0:1], v2, v3 src0_sel:BYTE_0 src1_sel:DWORD
	v_cndmask_b32_e64 v3, 0, 1, s[0:1]
	s_mov_b64 s[8:9], -1
	s_mov_b64 s[0:1], 0
	global_store_byte v[0:1], v3, off
.LBB39_115:
	s_branch .LBB39_34
.LBB39_116:
	s_and_b32 s10, 0xffff, s14
	s_cmp_lt_i32 s10, 5
	s_mov_b64 s[8:9], -1
	s_cbranch_scc1 .LBB39_137
; %bb.117:
	s_cmp_lt_i32 s10, 8
	s_cbranch_scc1 .LBB39_127
; %bb.118:
	s_cmp_lt_i32 s10, 9
	s_cbranch_scc1 .LBB39_124
; %bb.119:
	s_cmp_gt_i32 s10, 9
	s_cbranch_scc0 .LBB39_121
; %bb.120:
	v_bfe_i32 v3, v2, 0, 8
	v_bfe_i32 v3, v3, 0, 16
	v_cvt_f64_i32_e32 v[3:4], v3
	v_mov_b32_e32 v5, 0
	v_mov_b32_e32 v6, v5
	s_mov_b64 s[8:9], 0
	global_store_dwordx4 v[0:1], v[3:6], off
.LBB39_121:
	s_andn2_b64 vcc, exec, s[8:9]
	s_cbranch_vccnz .LBB39_123
; %bb.122:
	v_bfe_i32 v3, v2, 0, 8
	v_cvt_f32_i32_sdwa v3, sext(v3) dst_sel:DWORD dst_unused:UNUSED_PAD src0_sel:WORD_0
	v_mov_b32_e32 v4, 0
	global_store_dwordx2 v[0:1], v[3:4], off
.LBB39_123:
	s_mov_b64 s[8:9], 0
.LBB39_124:
	s_andn2_b64 vcc, exec, s[8:9]
	s_cbranch_vccnz .LBB39_126
; %bb.125:
	v_cvt_f16_i16_sdwa v3, sext(v2) dst_sel:DWORD dst_unused:UNUSED_PAD src0_sel:BYTE_0
	global_store_dword v[0:1], v3, off
.LBB39_126:
	s_mov_b64 s[8:9], 0
.LBB39_127:
	s_andn2_b64 vcc, exec, s[8:9]
	s_cbranch_vccnz .LBB39_136
; %bb.128:
	s_cmp_lt_i32 s10, 6
	s_mov_b64 s[8:9], -1
	s_cbranch_scc1 .LBB39_134
; %bb.129:
	s_cmp_gt_i32 s10, 6
	s_cbranch_scc0 .LBB39_131
; %bb.130:
	v_bfe_i32 v3, v2, 0, 8
	v_bfe_i32 v3, v3, 0, 16
	v_cvt_f64_i32_e32 v[3:4], v3
	s_mov_b64 s[8:9], 0
	global_store_dwordx2 v[0:1], v[3:4], off
.LBB39_131:
	s_andn2_b64 vcc, exec, s[8:9]
	s_cbranch_vccnz .LBB39_133
; %bb.132:
	v_bfe_i32 v3, v2, 0, 8
	v_cvt_f32_i32_sdwa v3, sext(v3) dst_sel:DWORD dst_unused:UNUSED_PAD src0_sel:WORD_0
	global_store_dword v[0:1], v3, off
.LBB39_133:
	s_mov_b64 s[8:9], 0
.LBB39_134:
	s_andn2_b64 vcc, exec, s[8:9]
	s_cbranch_vccnz .LBB39_136
; %bb.135:
	v_cvt_f16_i16_sdwa v3, sext(v2) dst_sel:DWORD dst_unused:UNUSED_PAD src0_sel:BYTE_0
	global_store_short v[0:1], v3, off
.LBB39_136:
	s_mov_b64 s[8:9], 0
.LBB39_137:
	s_andn2_b64 vcc, exec, s[8:9]
	s_cbranch_vccnz .LBB39_153
; %bb.138:
	s_cmp_lt_i32 s10, 2
	s_mov_b64 s[8:9], -1
	s_cbranch_scc1 .LBB39_148
; %bb.139:
	s_cmp_lt_i32 s10, 3
	s_cbranch_scc1 .LBB39_145
; %bb.140:
	s_cmp_gt_i32 s10, 3
	s_cbranch_scc0 .LBB39_142
; %bb.141:
	v_bfe_i32 v3, v2, 0, 8
	v_ashrrev_i32_e32 v4, 31, v3
	global_store_dwordx2 v[0:1], v[3:4], off
	s_mov_b64 s[8:9], 0
.LBB39_142:
	s_andn2_b64 vcc, exec, s[8:9]
	s_cbranch_vccnz .LBB39_144
; %bb.143:
	v_bfe_i32 v3, v2, 0, 8
	global_store_dword v[0:1], v3, off
.LBB39_144:
	s_mov_b64 s[8:9], 0
.LBB39_145:
	s_andn2_b64 vcc, exec, s[8:9]
	s_cbranch_vccnz .LBB39_147
; %bb.146:
	v_bfe_i32 v3, v2, 0, 8
	global_store_short v[0:1], v3, off
.LBB39_147:
	s_mov_b64 s[8:9], 0
.LBB39_148:
	s_andn2_b64 vcc, exec, s[8:9]
	s_cbranch_vccnz .LBB39_153
; %bb.149:
	s_cmp_gt_i32 s10, 0
	s_mov_b64 s[8:9], -1
	s_cbranch_scc0 .LBB39_151
; %bb.150:
	global_store_byte v[0:1], v2, off
	s_mov_b64 s[8:9], 0
.LBB39_151:
	s_andn2_b64 vcc, exec, s[8:9]
	s_cbranch_vccnz .LBB39_153
; %bb.152:
	global_store_byte v[0:1], v2, off
.LBB39_153:
.LBB39_154:
	v_add_u32_e32 v8, 0x80, v8
	s_mov_b64 s[8:9], -1
	s_branch .LBB39_261
.LBB39_155:
	s_mov_b64 s[2:3], -1
                                        ; implicit-def: $vgpr3
.LBB39_156:
	s_mov_b64 s[8:9], 0
.LBB39_157:
	s_and_b64 vcc, exec, s[8:9]
	s_cbranch_vccz .LBB39_161
; %bb.158:
	s_cmp_eq_u32 s11, 29
	s_cbranch_scc0 .LBB39_160
; %bb.159:
	global_load_dwordx2 v[3:4], v[1:2], off
	s_mov_b64 s[0:1], -1
	s_mov_b64 s[2:3], 0
	s_branch .LBB39_161
.LBB39_160:
	s_mov_b64 s[2:3], -1
                                        ; implicit-def: $vgpr3
.LBB39_161:
	s_mov_b64 s[8:9], 0
.LBB39_162:
	s_and_b64 vcc, exec, s[8:9]
	s_cbranch_vccz .LBB39_178
; %bb.163:
	s_cmp_lt_i32 s11, 27
	s_cbranch_scc1 .LBB39_166
; %bb.164:
	s_cmp_gt_i32 s11, 27
	s_cbranch_scc0 .LBB39_167
; %bb.165:
	global_load_dword v3, v[1:2], off
	s_mov_b64 s[0:1], 0
	s_branch .LBB39_168
.LBB39_166:
	s_mov_b64 s[0:1], -1
                                        ; implicit-def: $vgpr3
	s_branch .LBB39_171
.LBB39_167:
	s_mov_b64 s[0:1], -1
                                        ; implicit-def: $vgpr3
.LBB39_168:
	s_andn2_b64 vcc, exec, s[0:1]
	s_cbranch_vccnz .LBB39_170
; %bb.169:
	global_load_ushort v3, v[1:2], off
.LBB39_170:
	s_mov_b64 s[0:1], 0
.LBB39_171:
	s_andn2_b64 vcc, exec, s[0:1]
	s_cbranch_vccnz .LBB39_177
; %bb.172:
	global_load_ubyte v4, v[1:2], off
	s_movk_i32 s0, 0x7f
	s_mov_b64 s[8:9], 0
	s_waitcnt vmcnt(0)
	v_cmp_lt_i16_e32 vcc, s0, v4
	s_and_saveexec_b64 s[0:1], vcc
	s_xor_b64 s[0:1], exec, s[0:1]
	s_cbranch_execz .LBB39_188
; %bb.173:
	s_movk_i32 s8, 0x80
	v_cmp_ne_u16_e32 vcc, s8, v4
	s_and_b64 s[8:9], vcc, exec
	s_andn2_saveexec_b64 s[0:1], s[0:1]
	s_cbranch_execnz .LBB39_189
.LBB39_174:
	s_or_b64 exec, exec, s[0:1]
	v_mov_b32_e32 v3, 0
	s_and_saveexec_b64 s[0:1], s[8:9]
	s_cbranch_execz .LBB39_176
.LBB39_175:
	v_lshlrev_b32_e32 v3, 24, v4
	v_and_b32_e32 v4, 0xffff, v4
	v_and_b32_e32 v5, 7, v4
	v_ffbh_u32_e32 v7, v5
	v_min_u32_e32 v7, 32, v7
	v_subrev_u32_e32 v9, 28, v7
	v_bfe_u32 v6, v4, 3, 4
	v_lshlrev_b32_e32 v4, v9, v4
	v_sub_u32_e32 v7, 29, v7
	v_and_b32_e32 v4, 7, v4
	v_cmp_eq_u32_e32 vcc, 0, v6
	v_cndmask_b32_e32 v6, v6, v7, vcc
	v_cndmask_b32_e32 v4, v5, v4, vcc
	v_mov_b32_e32 v5, 0x3b800000
	v_lshlrev_b32_e32 v4, 20, v4
	v_and_b32_e32 v3, 0x80000000, v3
	v_lshl_add_u32 v5, v6, 23, v5
	v_or3_b32 v3, v3, v5, v4
	v_cvt_i32_f32_e32 v3, v3
.LBB39_176:
	s_or_b64 exec, exec, s[0:1]
.LBB39_177:
	s_mov_b64 s[0:1], -1
.LBB39_178:
	s_branch .LBB39_211
.LBB39_179:
	s_cmp_gt_i32 s11, 22
	s_cbranch_scc0 .LBB39_187
; %bb.180:
	s_cmp_lt_i32 s11, 24
	s_cbranch_scc1 .LBB39_190
; %bb.181:
	s_cmp_gt_i32 s11, 24
	s_cbranch_scc0 .LBB39_191
; %bb.182:
	global_load_ubyte v4, v[1:2], off
	s_movk_i32 s0, 0x7f
	s_mov_b64 s[8:9], 0
	s_waitcnt vmcnt(0)
	v_cmp_lt_i16_e32 vcc, s0, v4
	s_and_saveexec_b64 s[0:1], vcc
	s_xor_b64 s[0:1], exec, s[0:1]
	s_cbranch_execz .LBB39_203
; %bb.183:
	s_movk_i32 s8, 0x80
	v_cmp_ne_u16_e32 vcc, s8, v4
	s_and_b64 s[8:9], vcc, exec
	s_andn2_saveexec_b64 s[0:1], s[0:1]
	s_cbranch_execnz .LBB39_204
.LBB39_184:
	s_or_b64 exec, exec, s[0:1]
	v_mov_b32_e32 v3, 0
	s_and_saveexec_b64 s[0:1], s[8:9]
	s_cbranch_execz .LBB39_186
.LBB39_185:
	v_lshlrev_b32_e32 v3, 24, v4
	v_and_b32_e32 v4, 0xffff, v4
	v_and_b32_e32 v5, 3, v4
	v_ffbh_u32_e32 v7, v5
	v_min_u32_e32 v7, 32, v7
	v_subrev_u32_e32 v9, 29, v7
	v_bfe_u32 v6, v4, 2, 5
	v_lshlrev_b32_e32 v4, v9, v4
	v_sub_u32_e32 v7, 30, v7
	v_and_b32_e32 v4, 3, v4
	v_cmp_eq_u32_e32 vcc, 0, v6
	v_cndmask_b32_e32 v6, v6, v7, vcc
	v_cndmask_b32_e32 v4, v5, v4, vcc
	v_mov_b32_e32 v5, 0x37800000
	v_lshlrev_b32_e32 v4, 21, v4
	v_and_b32_e32 v3, 0x80000000, v3
	v_lshl_add_u32 v5, v6, 23, v5
	v_or3_b32 v3, v3, v5, v4
	v_cvt_i32_f32_e32 v3, v3
.LBB39_186:
	s_or_b64 exec, exec, s[0:1]
	s_mov_b64 s[0:1], 0
	s_branch .LBB39_192
.LBB39_187:
	s_mov_b64 s[8:9], -1
                                        ; implicit-def: $vgpr3
	s_branch .LBB39_198
.LBB39_188:
	s_andn2_saveexec_b64 s[0:1], s[0:1]
	s_cbranch_execz .LBB39_174
.LBB39_189:
	v_cmp_ne_u16_e32 vcc, 0, v4
	s_andn2_b64 s[8:9], s[8:9], exec
	s_and_b64 s[12:13], vcc, exec
	s_or_b64 s[8:9], s[8:9], s[12:13]
	s_or_b64 exec, exec, s[0:1]
	v_mov_b32_e32 v3, 0
	s_and_saveexec_b64 s[0:1], s[8:9]
	s_cbranch_execnz .LBB39_175
	s_branch .LBB39_176
.LBB39_190:
	s_mov_b64 s[0:1], -1
                                        ; implicit-def: $vgpr3
	s_branch .LBB39_195
.LBB39_191:
	s_mov_b64 s[0:1], -1
                                        ; implicit-def: $vgpr3
.LBB39_192:
	s_and_b64 vcc, exec, s[0:1]
	s_cbranch_vccz .LBB39_194
; %bb.193:
	global_load_ubyte v3, v[1:2], off
	s_mov_b32 s0, 0x7f800000
	s_waitcnt vmcnt(0)
	v_lshlrev_b32_e32 v3, 24, v3
	v_and_b32_e32 v4, 0x7f000000, v3
	v_ffbh_u32_e32 v5, v4
	v_min_u32_e32 v5, 32, v5
	v_sub_u32_e64 v5, v5, 4 clamp
	v_lshlrev_b32_e32 v7, v5, v4
	v_lshlrev_b32_e32 v5, 23, v5
	v_lshrrev_b32_e32 v7, 4, v7
	v_add_u32_e32 v6, 0x1000000, v4
	v_sub_u32_e32 v5, v7, v5
	v_ashrrev_i32_e32 v6, 8, v6
	v_add_u32_e32 v5, 0x3c000000, v5
	v_and_or_b32 v5, v6, s0, v5
	v_cmp_ne_u32_e32 vcc, 0, v4
	v_cndmask_b32_e32 v4, 0, v5, vcc
	s_brev_b32 s0, 1
	v_and_or_b32 v3, v3, s0, v4
	v_cvt_i32_f32_e32 v3, v3
.LBB39_194:
	s_mov_b64 s[0:1], 0
.LBB39_195:
	s_andn2_b64 vcc, exec, s[0:1]
	s_cbranch_vccnz .LBB39_197
; %bb.196:
	global_load_ubyte v3, v[1:2], off
	s_movk_i32 s0, 0x7f00
	s_brev_b32 s1, 16
	s_waitcnt vmcnt(0)
	v_lshlrev_b16_e32 v4, 8, v3
	v_lshlrev_b32_e32 v3, 25, v3
	v_lshrrev_b32_e32 v5, 4, v3
	v_and_or_b32 v6, v4, s0, 0.5
	v_or_b32_e32 v5, 0x70000000, v5
	v_add_f32_e32 v6, -0.5, v6
	v_mul_f32_e32 v5, 0x7800000, v5
	v_cmp_gt_u32_e32 vcc, s1, v3
	v_bfe_i32 v4, v4, 0, 16
	v_cndmask_b32_e32 v3, v5, v6, vcc
	s_brev_b32 s0, 1
	v_and_or_b32 v3, v4, s0, v3
	v_cvt_i32_f32_e32 v3, v3
.LBB39_197:
	s_mov_b64 s[8:9], 0
	s_mov_b64 s[0:1], -1
.LBB39_198:
	s_andn2_b64 vcc, exec, s[8:9]
	s_cbranch_vccnz .LBB39_211
; %bb.199:
	s_cmp_gt_i32 s11, 14
	s_cbranch_scc0 .LBB39_202
; %bb.200:
	s_cmp_eq_u32 s11, 15
	s_cbranch_scc0 .LBB39_205
; %bb.201:
	global_load_ushort v3, v[1:2], off
	s_mov_b64 s[0:1], -1
	s_mov_b64 s[2:3], 0
	s_waitcnt vmcnt(0)
	v_lshlrev_b32_e32 v3, 16, v3
	v_cvt_i32_f32_e32 v3, v3
	s_branch .LBB39_206
.LBB39_202:
	s_mov_b64 s[8:9], -1
                                        ; implicit-def: $vgpr3
	s_branch .LBB39_207
.LBB39_203:
	s_andn2_saveexec_b64 s[0:1], s[0:1]
	s_cbranch_execz .LBB39_184
.LBB39_204:
	v_cmp_ne_u16_e32 vcc, 0, v4
	s_andn2_b64 s[8:9], s[8:9], exec
	s_and_b64 s[12:13], vcc, exec
	s_or_b64 s[8:9], s[8:9], s[12:13]
	s_or_b64 exec, exec, s[0:1]
	v_mov_b32_e32 v3, 0
	s_and_saveexec_b64 s[0:1], s[8:9]
	s_cbranch_execnz .LBB39_185
	s_branch .LBB39_186
.LBB39_205:
	s_mov_b64 s[2:3], -1
                                        ; implicit-def: $vgpr3
.LBB39_206:
	s_mov_b64 s[8:9], 0
.LBB39_207:
	s_and_b64 vcc, exec, s[8:9]
	s_cbranch_vccz .LBB39_211
; %bb.208:
	s_cmp_eq_u32 s11, 11
	s_cbranch_scc0 .LBB39_210
; %bb.209:
	global_load_ubyte v3, v[1:2], off
	s_mov_b64 s[0:1], -1
	s_mov_b64 s[2:3], 0
	s_waitcnt vmcnt(0)
	v_cmp_ne_u16_e32 vcc, 0, v3
	v_cndmask_b32_e64 v3, 0, 1, vcc
	s_branch .LBB39_211
.LBB39_210:
	s_mov_b64 s[2:3], -1
                                        ; implicit-def: $vgpr3
.LBB39_211:
	s_branch .LBB39_24
.LBB39_212:
	s_and_b32 s8, 0xffff, s10
	s_cmp_lt_i32 s8, 5
	s_cbranch_scc1 .LBB39_217
; %bb.213:
	s_cmp_lt_i32 s8, 8
	s_cbranch_scc1 .LBB39_218
; %bb.214:
	;; [unrolled: 3-line block ×3, first 2 shown]
	s_cmp_gt_i32 s8, 9
	s_cbranch_scc0 .LBB39_220
; %bb.216:
	global_load_dwordx2 v[3:4], v[1:2], off
	s_mov_b64 s[0:1], 0
	s_waitcnt vmcnt(0)
	v_cvt_i32_f64_e32 v3, v[3:4]
	s_branch .LBB39_221
.LBB39_217:
                                        ; implicit-def: $vgpr3
	s_branch .LBB39_239
.LBB39_218:
	s_mov_b64 s[0:1], -1
                                        ; implicit-def: $vgpr3
	s_branch .LBB39_227
.LBB39_219:
	s_mov_b64 s[0:1], -1
                                        ; implicit-def: $vgpr3
	s_branch .LBB39_224
.LBB39_220:
	s_mov_b64 s[0:1], -1
                                        ; implicit-def: $vgpr3
.LBB39_221:
	s_andn2_b64 vcc, exec, s[0:1]
	s_cbranch_vccnz .LBB39_223
; %bb.222:
	global_load_dword v3, v[1:2], off
	s_waitcnt vmcnt(0)
	v_cvt_i32_f32_e32 v3, v3
.LBB39_223:
	s_mov_b64 s[0:1], 0
.LBB39_224:
	s_andn2_b64 vcc, exec, s[0:1]
	s_cbranch_vccnz .LBB39_226
; %bb.225:
	global_load_dword v3, v[1:2], off
	s_waitcnt vmcnt(0)
	v_cvt_i16_f16_e32 v3, v3
.LBB39_226:
	s_mov_b64 s[0:1], 0
.LBB39_227:
	s_andn2_b64 vcc, exec, s[0:1]
	s_cbranch_vccnz .LBB39_238
; %bb.228:
	s_cmp_lt_i32 s8, 6
	s_cbranch_scc1 .LBB39_231
; %bb.229:
	s_cmp_gt_i32 s8, 6
	s_cbranch_scc0 .LBB39_232
; %bb.230:
	global_load_dwordx2 v[3:4], v[1:2], off
	s_mov_b64 s[0:1], 0
	s_waitcnt vmcnt(0)
	v_cvt_i32_f64_e32 v3, v[3:4]
	s_branch .LBB39_233
.LBB39_231:
	s_mov_b64 s[0:1], -1
                                        ; implicit-def: $vgpr3
	s_branch .LBB39_236
.LBB39_232:
	s_mov_b64 s[0:1], -1
                                        ; implicit-def: $vgpr3
.LBB39_233:
	s_andn2_b64 vcc, exec, s[0:1]
	s_cbranch_vccnz .LBB39_235
; %bb.234:
	global_load_dword v3, v[1:2], off
	s_waitcnt vmcnt(0)
	v_cvt_i32_f32_e32 v3, v3
.LBB39_235:
	s_mov_b64 s[0:1], 0
.LBB39_236:
	s_andn2_b64 vcc, exec, s[0:1]
	s_cbranch_vccnz .LBB39_238
; %bb.237:
	global_load_ushort v3, v[1:2], off
	s_waitcnt vmcnt(0)
	v_cvt_i16_f16_e32 v3, v3
.LBB39_238:
	s_cbranch_execnz .LBB39_258
.LBB39_239:
	s_cmp_lt_i32 s8, 2
	s_cbranch_scc1 .LBB39_243
; %bb.240:
	s_cmp_lt_i32 s8, 3
	s_cbranch_scc1 .LBB39_244
; %bb.241:
	s_cmp_gt_i32 s8, 3
	s_cbranch_scc0 .LBB39_245
; %bb.242:
	global_load_dwordx2 v[3:4], v[1:2], off
	s_mov_b64 s[0:1], 0
	s_branch .LBB39_246
.LBB39_243:
	s_mov_b64 s[0:1], -1
                                        ; implicit-def: $vgpr3
	s_branch .LBB39_252
.LBB39_244:
	s_mov_b64 s[0:1], -1
                                        ; implicit-def: $vgpr3
	s_branch .LBB39_249
.LBB39_245:
	s_mov_b64 s[0:1], -1
                                        ; implicit-def: $vgpr3
.LBB39_246:
	s_andn2_b64 vcc, exec, s[0:1]
	s_cbranch_vccnz .LBB39_248
; %bb.247:
	global_load_dword v3, v[1:2], off
.LBB39_248:
	s_mov_b64 s[0:1], 0
.LBB39_249:
	s_andn2_b64 vcc, exec, s[0:1]
	s_cbranch_vccnz .LBB39_251
; %bb.250:
	global_load_ushort v3, v[1:2], off
.LBB39_251:
	s_mov_b64 s[0:1], 0
.LBB39_252:
	s_andn2_b64 vcc, exec, s[0:1]
	s_cbranch_vccnz .LBB39_258
; %bb.253:
	s_cmp_gt_i32 s8, 0
	s_cbranch_scc0 .LBB39_255
; %bb.254:
	global_load_ubyte v3, v[1:2], off
	s_mov_b64 s[0:1], 0
	s_branch .LBB39_256
.LBB39_255:
	s_mov_b64 s[0:1], -1
                                        ; implicit-def: $vgpr3
.LBB39_256:
	s_andn2_b64 vcc, exec, s[0:1]
	s_cbranch_vccnz .LBB39_258
; %bb.257:
	global_load_ubyte v3, v[1:2], off
.LBB39_258:
	s_branch .LBB39_25
.LBB39_259:
	s_mov_b64 s[0:1], 0
.LBB39_260:
	s_mov_b64 s[8:9], 0
                                        ; implicit-def: $vgpr8
.LBB39_261:
	s_and_b64 s[54:55], s[0:1], exec
	s_and_b64 s[56:57], s[2:3], exec
	s_orn2_b64 s[2:3], s[8:9], exec
.LBB39_262:
	s_or_b64 exec, exec, s[58:59]
	s_mov_b64 s[10:11], 0
	s_mov_b64 s[0:1], 0
                                        ; implicit-def: $sgpr14
                                        ; implicit-def: $vgpr1_vgpr2
                                        ; implicit-def: $vgpr0
                                        ; implicit-def: $vgpr3
	s_and_saveexec_b64 s[58:59], s[2:3]
	s_cbranch_execz .LBB39_269
; %bb.263:
	v_cmp_gt_i32_e32 vcc, s72, v8
	s_mov_b64 s[0:1], -1
	s_mov_b64 s[60:61], s[56:57]
	s_mov_b64 s[62:63], s[54:55]
	s_and_saveexec_b64 s[64:65], vcc
	s_cbranch_execz .LBB39_534
; %bb.264:
	s_andn2_b64 vcc, exec, s[40:41]
	s_cbranch_vccnz .LBB39_272
; %bb.265:
	s_andn2_b64 vcc, exec, s[52:53]
	s_cbranch_vccnz .LBB39_273
; %bb.266:
	s_add_i32 s67, s78, 1
	s_cmp_eq_u32 s74, 2
	s_cbranch_scc1 .LBB39_274
; %bb.267:
	s_and_b32 s66, s67, 28
	v_mov_b32_e32 v2, 0
	s_mov_b32 s68, 0
	s_mov_b64 s[60:61], s[34:35]
	s_mov_b64 s[62:63], s[50:51]
	v_mov_b32_e32 v0, 0
	v_mov_b32_e32 v1, v8
.LBB39_268:                             ; =>This Inner Loop Header: Depth=1
	s_load_dwordx8 s[16:23], s[60:61], 0x4
	s_load_dwordx4 s[0:3], s[60:61], 0x24
	s_load_dwordx8 s[8:15], s[62:63], 0x0
	s_add_u32 s60, s60, 48
	s_addc_u32 s61, s61, 0
	s_waitcnt vmcnt(0) lgkmcnt(0)
	v_mul_hi_u32 v3, s17, v1
	s_add_i32 s68, s68, 4
	s_add_u32 s62, s62, 32
	s_addc_u32 s63, s63, 0
	v_add_u32_e32 v3, v1, v3
	v_lshrrev_b32_e32 v3, s18, v3
	v_mul_lo_u32 v4, v3, s16
	v_mul_hi_u32 v5, s20, v3
	s_cmp_eq_u32 s66, s68
	v_sub_u32_e32 v1, v1, v4
	v_add_u32_e32 v4, v3, v5
	v_mul_lo_u32 v5, v1, s8
	v_mul_lo_u32 v6, v1, s9
	v_lshrrev_b32_e32 v1, s21, v4
	v_mul_lo_u32 v4, v1, s19
	v_mul_hi_u32 v7, s23, v1
	v_sub_u32_e32 v3, v3, v4
	v_add_u32_e32 v4, v1, v7
	v_lshrrev_b32_e32 v4, s0, v4
	v_mul_hi_u32 v9, s2, v4
	v_mul_lo_u32 v10, v4, s22
	v_mul_lo_u32 v7, v3, s10
	;; [unrolled: 1-line block ×3, first 2 shown]
	v_sub_u32_e32 v10, v1, v10
	v_add_u32_e32 v1, v4, v9
	v_lshrrev_b32_e32 v1, s3, v1
	v_mul_lo_u32 v9, v1, s1
	v_mul_lo_u32 v11, v10, s12
	;; [unrolled: 1-line block ×3, first 2 shown]
	v_add3_u32 v0, v5, v0, v7
	v_sub_u32_e32 v4, v4, v9
	v_mul_lo_u32 v9, v4, s14
	v_mul_lo_u32 v4, v4, s15
	v_add3_u32 v2, v6, v2, v3
	v_add3_u32 v0, v11, v0, v9
	;; [unrolled: 1-line block ×3, first 2 shown]
	s_cbranch_scc0 .LBB39_268
	s_branch .LBB39_275
.LBB39_269:
	s_or_b64 exec, exec, s[58:59]
	s_mov_b64 s[2:3], 0
	s_and_saveexec_b64 s[8:9], s[56:57]
	s_cbranch_execnz .LBB39_902
.LBB39_270:
	s_or_b64 exec, exec, s[8:9]
	s_and_saveexec_b64 s[8:9], s[62:63]
	s_xor_b64 s[8:9], exec, s[8:9]
	s_cbranch_execz .LBB39_903
.LBB39_271:
	global_load_ubyte v3, v[1:2], off
	s_or_b64 s[0:1], s[0:1], exec
	s_waitcnt vmcnt(0)
	v_cmp_ne_u16_e32 vcc, 0, v3
	v_cndmask_b32_e64 v3, 0, 1, vcc
	s_or_b64 exec, exec, s[8:9]
	s_and_saveexec_b64 s[8:9], s[10:11]
	s_cbranch_execz .LBB39_949
	s_branch .LBB39_904
.LBB39_272:
                                        ; implicit-def: $vgpr0
                                        ; implicit-def: $vgpr2
	s_andn2_b64 vcc, exec, s[0:1]
	s_cbranch_vccz .LBB39_279
	s_branch .LBB39_281
.LBB39_273:
	v_mov_b32_e32 v0, 0
	v_mov_b32_e32 v2, 0
	s_branch .LBB39_278
.LBB39_274:
	s_mov_b32 s66, 0
	v_mov_b32_e32 v0, 0
	v_mov_b32_e32 v2, 0
	v_mov_b32_e32 v1, v8
.LBB39_275:
	s_and_b32 s8, s67, 3
	s_cmp_eq_u32 s8, 0
	s_cbranch_scc1 .LBB39_278
; %bb.276:
	s_lshl_b32 s0, s66, 3
	s_add_u32 s0, s34, s0
	s_addc_u32 s1, s35, 0
	s_add_u32 s0, s0, 0xc4
	s_addc_u32 s1, s1, 0
	s_mul_i32 s2, s66, 12
	s_add_u32 s2, s34, s2
	s_addc_u32 s3, s35, 0
.LBB39_277:                             ; =>This Inner Loop Header: Depth=1
	s_load_dwordx2 s[10:11], s[2:3], 0x4
	s_load_dword s9, s[2:3], 0xc
	s_load_dwordx2 s[12:13], s[0:1], 0x0
	s_add_u32 s2, s2, 12
	s_addc_u32 s3, s3, 0
	s_waitcnt vmcnt(0) lgkmcnt(0)
	v_mul_hi_u32 v3, s11, v1
	s_add_u32 s0, s0, 8
	s_addc_u32 s1, s1, 0
	s_add_i32 s8, s8, -1
	v_add_u32_e32 v3, v1, v3
	v_lshrrev_b32_e32 v4, s9, v3
	v_mul_lo_u32 v3, v4, s10
	s_cmp_lg_u32 s8, 0
	v_sub_u32_e32 v3, v1, v3
	v_mad_u64_u32 v[0:1], s[10:11], v3, s12, v[0:1]
	v_mad_u64_u32 v[2:3], s[10:11], v3, s13, v[2:3]
	v_mov_b32_e32 v1, v4
	s_cbranch_scc1 .LBB39_277
.LBB39_278:
	s_cbranch_execnz .LBB39_281
.LBB39_279:
	s_waitcnt lgkmcnt(0)
	v_mul_hi_u32 v0, s37, v8
	s_andn2_b64 vcc, exec, s[48:49]
	v_add_u32_e32 v0, v8, v0
	v_lshrrev_b32_e32 v1, s38, v0
	v_mul_lo_u32 v0, v1, s36
	v_sub_u32_e32 v2, v8, v0
	v_mul_lo_u32 v0, v2, s28
	v_mul_lo_u32 v2, v2, s29
	s_cbranch_vccnz .LBB39_281
; %bb.280:
	s_waitcnt vmcnt(0)
	v_mul_hi_u32 v3, s46, v1
	v_add_u32_e32 v3, v1, v3
	v_lshrrev_b32_e32 v3, s47, v3
	v_mul_lo_u32 v3, v3, s39
	v_sub_u32_e32 v3, v1, v3
	v_mad_u64_u32 v[0:1], s[0:1], v3, s30, v[0:1]
	v_mad_u64_u32 v[2:3], s[0:1], v3, s31, v[2:3]
.LBB39_281:
	s_waitcnt vmcnt(0) lgkmcnt(0)
	v_mov_b32_e32 v3, s27
	s_and_b32 s10, s77, 0xff
	v_add_co_u32_e32 v1, vcc, s26, v2
	s_cmp_lt_i32 s10, 11
	v_addc_co_u32_e32 v2, vcc, 0, v3, vcc
	s_cbranch_scc1 .LBB39_288
; %bb.282:
	s_and_b32 s11, 0xffff, s10
	s_cmp_gt_i32 s11, 25
	s_cbranch_scc0 .LBB39_297
; %bb.283:
	s_cmp_gt_i32 s11, 28
	s_cbranch_scc0 .LBB39_299
; %bb.284:
	s_cmp_gt_i32 s11, 43
	s_cbranch_scc0 .LBB39_301
; %bb.285:
	s_cmp_gt_i32 s11, 45
	s_cbranch_scc0 .LBB39_305
; %bb.286:
	s_cmp_eq_u32 s11, 46
	s_mov_b64 s[8:9], 0
	s_cbranch_scc0 .LBB39_309
; %bb.287:
	global_load_dword v3, v[1:2], off
	s_mov_b64 s[0:1], -1
	s_mov_b64 s[2:3], 0
	s_waitcnt vmcnt(0)
	v_lshlrev_b32_e32 v3, 16, v3
	v_cvt_i32_f32_e32 v3, v3
	s_branch .LBB39_310
.LBB39_288:
	s_mov_b64 s[0:1], 0
                                        ; implicit-def: $vgpr3
	s_mov_b64 s[2:3], s[56:57]
	s_cbranch_execnz .LBB39_483
.LBB39_289:
	s_andn2_b64 vcc, exec, s[0:1]
	s_cbranch_vccnz .LBB39_531
.LBB39_290:
	s_waitcnt vmcnt(0)
	v_lshlrev_b32_e32 v1, s76, v3
	v_cndmask_b32_e64 v2, v1, 0, s[44:45]
	v_mov_b32_e32 v1, s25
	s_and_b32 s14, s75, 0xff
	v_add_co_u32_e32 v0, vcc, s24, v0
	s_cmp_lt_i32 s14, 11
	v_addc_co_u32_e32 v1, vcc, 0, v1, vcc
	s_cbranch_scc1 .LBB39_298
; %bb.291:
	s_and_b32 s15, 0xffff, s14
	s_cmp_gt_i32 s15, 25
	s_cbranch_scc0 .LBB39_300
; %bb.292:
	s_cmp_gt_i32 s15, 28
	s_cbranch_scc0 .LBB39_302
; %bb.293:
	;; [unrolled: 3-line block ×4, first 2 shown]
	s_mov_b64 s[10:11], 0
	s_mov_b64 s[0:1], -1
	s_cmp_eq_u32 s15, 46
	s_mov_b64 s[8:9], 0
	s_cbranch_scc0 .LBB39_314
; %bb.296:
	v_bfe_i32 v3, v2, 0, 8
	v_cvt_f32_i32_sdwa v3, sext(v3) dst_sel:DWORD dst_unused:UNUSED_PAD src0_sel:WORD_0
	s_movk_i32 s0, 0x7fff
	s_mov_b64 s[8:9], -1
	v_bfe_u32 v4, v3, 16, 1
	v_add3_u32 v3, v3, v4, s0
	v_lshrrev_b32_e32 v3, 16, v3
	global_store_dword v[0:1], v3, off
	s_mov_b64 s[0:1], 0
	s_branch .LBB39_314
.LBB39_297:
	s_mov_b64 s[8:9], -1
	s_mov_b64 s[0:1], 0
	s_mov_b64 s[2:3], s[56:57]
                                        ; implicit-def: $vgpr3
	s_branch .LBB39_449
.LBB39_298:
	s_mov_b64 s[10:11], -1
	s_mov_b64 s[8:9], 0
	s_mov_b64 s[0:1], s[54:55]
	s_branch .LBB39_383
.LBB39_299:
	s_mov_b64 s[8:9], -1
	s_mov_b64 s[0:1], 0
	s_mov_b64 s[2:3], s[56:57]
                                        ; implicit-def: $vgpr3
	s_branch .LBB39_432
.LBB39_300:
	s_mov_b64 s[10:11], -1
	s_mov_b64 s[8:9], 0
	s_mov_b64 s[0:1], s[54:55]
	s_branch .LBB39_341
.LBB39_301:
	s_mov_b64 s[8:9], -1
	s_mov_b64 s[0:1], 0
	s_mov_b64 s[2:3], s[56:57]
                                        ; implicit-def: $vgpr3
	s_branch .LBB39_427
.LBB39_302:
	s_mov_b64 s[10:11], -1
	s_mov_b64 s[8:9], 0
	s_mov_b64 s[0:1], s[54:55]
	s_branch .LBB39_324
.LBB39_303:
	s_andn2_saveexec_b64 s[12:13], s[12:13]
	s_cbranch_execz .LBB39_68
.LBB39_304:
	s_mov_b32 s16, 0x46000000
	v_add_f32_e64 v4, |v3|, s16
	v_and_b32_e32 v4, 0xff, v4
	v_cmp_ne_u32_e32 vcc, 0, v4
	s_andn2_b64 s[10:11], s[10:11], exec
	s_and_b64 s[16:17], vcc, exec
	s_or_b64 s[10:11], s[10:11], s[16:17]
	s_or_b64 exec, exec, s[12:13]
	v_mov_b32_e32 v5, 0
	s_and_saveexec_b64 s[12:13], s[10:11]
	s_cbranch_execnz .LBB39_69
	s_branch .LBB39_70
.LBB39_305:
	s_mov_b64 s[8:9], -1
	s_mov_b64 s[0:1], 0
	s_mov_b64 s[2:3], s[56:57]
                                        ; implicit-def: $vgpr3
	s_branch .LBB39_310
.LBB39_306:
	s_mov_b64 s[10:11], -1
	s_mov_b64 s[8:9], 0
	s_mov_b64 s[0:1], s[54:55]
	s_branch .LBB39_320
.LBB39_307:
	s_andn2_saveexec_b64 s[12:13], s[12:13]
	s_cbranch_execz .LBB39_81
.LBB39_308:
	s_mov_b32 s16, 0x42800000
	v_add_f32_e64 v4, |v3|, s16
	v_and_b32_e32 v4, 0xff, v4
	v_cmp_ne_u32_e32 vcc, 0, v4
	s_andn2_b64 s[10:11], s[10:11], exec
	s_and_b64 s[16:17], vcc, exec
	s_or_b64 s[10:11], s[10:11], s[16:17]
	s_or_b64 exec, exec, s[12:13]
	v_mov_b32_e32 v5, 0
	s_and_saveexec_b64 s[12:13], s[10:11]
	s_cbranch_execnz .LBB39_82
	s_branch .LBB39_83
.LBB39_309:
	s_mov_b64 s[2:3], -1
                                        ; implicit-def: $vgpr3
	s_mov_b64 s[0:1], 0
.LBB39_310:
	s_and_b64 vcc, exec, s[8:9]
	s_cbranch_vccz .LBB39_426
; %bb.311:
	s_cmp_eq_u32 s11, 44
	s_cbranch_scc0 .LBB39_425
; %bb.312:
	global_load_ubyte v3, v[1:2], off
	s_mov_b64 s[0:1], -1
	s_mov_b64 s[2:3], 0
	s_waitcnt vmcnt(0)
	v_lshlrev_b32_e32 v4, 23, v3
	v_cvt_i32_f32_e32 v4, v4
	v_cmp_ne_u32_e32 vcc, 0, v3
	v_cndmask_b32_e32 v3, 0, v4, vcc
	s_branch .LBB39_426
.LBB39_313:
	s_mov_b64 s[10:11], -1
	s_mov_b64 s[8:9], 0
	s_mov_b64 s[0:1], s[54:55]
.LBB39_314:
	s_and_b64 vcc, exec, s[10:11]
	s_cbranch_vccz .LBB39_319
; %bb.315:
	s_cmp_eq_u32 s15, 44
	s_mov_b64 s[0:1], -1
	s_cbranch_scc0 .LBB39_319
; %bb.316:
	v_bfe_i32 v3, v2, 0, 8
	v_cvt_f32_i32_sdwa v3, sext(v3) dst_sel:DWORD dst_unused:UNUSED_PAD src0_sel:WORD_0
	s_movk_i32 s0, 0xff
	v_mov_b32_e32 v5, 0xff
	v_bfe_u32 v4, v3, 23, 8
	v_cmp_ne_u32_e32 vcc, s0, v4
	s_and_saveexec_b64 s[8:9], vcc
; %bb.317:
	s_mov_b32 s0, 0x3fffff
	v_lshrrev_b32_e32 v5, 23, v3
	v_and_b32_e32 v6, 0x400000, v3
	v_and_or_b32 v3, v3, s0, v4
	v_cmp_ne_u32_e32 vcc, 0, v6
	v_cmp_ne_u32_e64 s[0:1], 0, v3
	s_and_b64 s[0:1], vcc, s[0:1]
	v_cndmask_b32_e64 v3, 0, 1, s[0:1]
	v_add_u32_e32 v5, v5, v3
; %bb.318:
	s_or_b64 exec, exec, s[8:9]
	s_mov_b64 s[8:9], -1
	s_mov_b64 s[0:1], 0
	global_store_byte v[0:1], v5, off
.LBB39_319:
	s_mov_b64 s[10:11], 0
.LBB39_320:
	s_and_b64 vcc, exec, s[10:11]
	s_cbranch_vccz .LBB39_323
; %bb.321:
	s_cmp_eq_u32 s15, 29
	s_mov_b64 s[0:1], -1
	s_cbranch_scc0 .LBB39_323
; %bb.322:
	v_bfe_i32 v3, v2, 0, 8
	v_ashrrev_i32_e32 v4, 31, v3
	global_store_dwordx2 v[0:1], v[3:4], off
	s_mov_b64 s[8:9], -1
	s_mov_b64 s[0:1], 0
.LBB39_323:
	s_mov_b64 s[10:11], 0
.LBB39_324:
	s_and_b64 vcc, exec, s[10:11]
	s_cbranch_vccz .LBB39_340
; %bb.325:
	s_cmp_lt_i32 s15, 27
	s_mov_b64 s[8:9], -1
	s_cbranch_scc1 .LBB39_331
; %bb.326:
	s_cmp_gt_i32 s15, 27
	s_cbranch_scc0 .LBB39_328
; %bb.327:
	v_bfe_i32 v3, v2, 0, 8
	s_mov_b64 s[8:9], 0
	global_store_dword v[0:1], v3, off
.LBB39_328:
	s_andn2_b64 vcc, exec, s[8:9]
	s_cbranch_vccnz .LBB39_330
; %bb.329:
	v_bfe_i32 v3, v2, 0, 8
	global_store_short v[0:1], v3, off
.LBB39_330:
	s_mov_b64 s[8:9], 0
.LBB39_331:
	s_andn2_b64 vcc, exec, s[8:9]
	s_cbranch_vccnz .LBB39_339
; %bb.332:
	v_bfe_i32 v3, v2, 0, 8
	v_cvt_f32_i32_sdwa v3, sext(v3) dst_sel:DWORD dst_unused:UNUSED_PAD src0_sel:WORD_0
	s_mov_b32 s8, 0x43800000
	v_mov_b32_e32 v5, 0x80
	v_and_b32_e32 v4, 0x7fffffff, v3
	v_cmp_gt_u32_e32 vcc, s8, v4
	s_and_saveexec_b64 s[8:9], vcc
	s_cbranch_execz .LBB39_338
; %bb.333:
	s_mov_b32 s10, 0x3bffffff
	v_cmp_lt_u32_e32 vcc, s10, v4
	s_mov_b64 s[10:11], 0
                                        ; implicit-def: $vgpr4
	s_and_saveexec_b64 s[12:13], vcc
	s_xor_b64 s[12:13], exec, s[12:13]
	s_cbranch_execz .LBB39_562
; %bb.334:
	v_bfe_u32 v4, v3, 20, 1
	s_mov_b32 s16, 0x487ffff
	v_add3_u32 v4, v3, v4, s16
	s_mov_b64 s[10:11], exec
	v_lshrrev_b32_e32 v4, 20, v4
	s_andn2_saveexec_b64 s[12:13], s[12:13]
	s_cbranch_execnz .LBB39_563
.LBB39_335:
	s_or_b64 exec, exec, s[12:13]
	v_mov_b32_e32 v5, 0
	s_and_saveexec_b64 s[12:13], s[10:11]
.LBB39_336:
	v_lshrrev_b32_e32 v3, 24, v3
	s_movk_i32 s10, 0x80
	v_and_or_b32 v5, v3, s10, v4
.LBB39_337:
	s_or_b64 exec, exec, s[12:13]
.LBB39_338:
	s_or_b64 exec, exec, s[8:9]
	global_store_byte v[0:1], v5, off
.LBB39_339:
	s_mov_b64 s[8:9], -1
.LBB39_340:
	s_mov_b64 s[10:11], 0
.LBB39_341:
	s_and_b64 vcc, exec, s[10:11]
	s_cbranch_vccz .LBB39_382
; %bb.342:
	s_cmp_gt_i32 s15, 22
	s_mov_b64 s[10:11], -1
	s_cbranch_scc0 .LBB39_374
; %bb.343:
	s_cmp_lt_i32 s15, 24
	s_mov_b64 s[8:9], -1
	s_cbranch_scc1 .LBB39_363
; %bb.344:
	s_cmp_gt_i32 s15, 24
	s_cbranch_scc0 .LBB39_352
; %bb.345:
	v_bfe_i32 v3, v2, 0, 8
	v_cvt_f32_i32_sdwa v3, sext(v3) dst_sel:DWORD dst_unused:UNUSED_PAD src0_sel:WORD_0
	s_mov_b32 s8, 0x47800000
	v_mov_b32_e32 v5, 0x80
	v_and_b32_e32 v4, 0x7fffffff, v3
	v_cmp_gt_u32_e32 vcc, s8, v4
	s_and_saveexec_b64 s[8:9], vcc
	s_cbranch_execz .LBB39_351
; %bb.346:
	s_mov_b32 s10, 0x37ffffff
	v_cmp_lt_u32_e32 vcc, s10, v4
	s_mov_b64 s[10:11], 0
                                        ; implicit-def: $vgpr4
	s_and_saveexec_b64 s[12:13], vcc
	s_xor_b64 s[12:13], exec, s[12:13]
	s_cbranch_execz .LBB39_565
; %bb.347:
	v_bfe_u32 v4, v3, 21, 1
	s_mov_b32 s16, 0x88fffff
	v_add3_u32 v4, v3, v4, s16
	s_mov_b64 s[10:11], exec
	v_lshrrev_b32_e32 v4, 21, v4
	s_andn2_saveexec_b64 s[12:13], s[12:13]
	s_cbranch_execnz .LBB39_566
.LBB39_348:
	s_or_b64 exec, exec, s[12:13]
	v_mov_b32_e32 v5, 0
	s_and_saveexec_b64 s[12:13], s[10:11]
.LBB39_349:
	v_lshrrev_b32_e32 v3, 24, v3
	s_movk_i32 s10, 0x80
	v_and_or_b32 v5, v3, s10, v4
.LBB39_350:
	s_or_b64 exec, exec, s[12:13]
.LBB39_351:
	s_or_b64 exec, exec, s[8:9]
	s_mov_b64 s[8:9], 0
	global_store_byte v[0:1], v5, off
.LBB39_352:
	s_and_b64 vcc, exec, s[8:9]
	s_cbranch_vccz .LBB39_362
; %bb.353:
	v_bfe_i32 v3, v2, 0, 8
	v_cvt_f32_i32_sdwa v3, sext(v3) dst_sel:DWORD dst_unused:UNUSED_PAD src0_sel:WORD_0
	s_mov_b32 s8, 0x43f00000
                                        ; implicit-def: $vgpr4
	v_and_b32_e32 v5, 0x7fffffff, v3
	v_cmp_gt_u32_e32 vcc, s8, v5
	s_and_saveexec_b64 s[8:9], vcc
	s_xor_b64 s[8:9], exec, s[8:9]
	s_cbranch_execz .LBB39_359
; %bb.354:
	s_mov_b32 s10, 0x3c7fffff
	v_cmp_lt_u32_e32 vcc, s10, v5
                                        ; implicit-def: $vgpr4
	s_and_saveexec_b64 s[10:11], vcc
	s_xor_b64 s[10:11], exec, s[10:11]
; %bb.355:
	v_bfe_u32 v4, v3, 20, 1
	s_mov_b32 s12, 0x407ffff
	v_add3_u32 v4, v3, v4, s12
	v_lshrrev_b32_e32 v5, 20, v4
	v_and_b32_e32 v4, 0xff00000, v4
	s_mov_b32 s12, 0x7f00000
	v_mov_b32_e32 v6, 0x7e
	v_cmp_ne_u32_e32 vcc, s12, v4
	v_cndmask_b32_e32 v4, v6, v5, vcc
; %bb.356:
	s_andn2_saveexec_b64 s[10:11], s[10:11]
; %bb.357:
	s_mov_b32 s12, 0x46800000
	v_add_f32_e64 v4, |v3|, s12
; %bb.358:
	s_or_b64 exec, exec, s[10:11]
                                        ; implicit-def: $vgpr5
.LBB39_359:
	s_andn2_saveexec_b64 s[8:9], s[8:9]
; %bb.360:
	s_mov_b32 s10, 0x7f800000
	v_mov_b32_e32 v4, 0x7e
	v_mov_b32_e32 v6, 0x7f
	v_cmp_lt_u32_e32 vcc, s10, v5
	v_cndmask_b32_e32 v4, v4, v6, vcc
; %bb.361:
	s_or_b64 exec, exec, s[8:9]
	v_lshrrev_b32_e32 v3, 24, v3
	s_movk_i32 s8, 0x80
	v_and_or_b32 v3, v3, s8, v4
	global_store_byte v[0:1], v3, off
.LBB39_362:
	s_mov_b64 s[8:9], 0
.LBB39_363:
	s_andn2_b64 vcc, exec, s[8:9]
	s_cbranch_vccnz .LBB39_373
; %bb.364:
	v_bfe_i32 v3, v2, 0, 8
	v_cvt_f32_i32_sdwa v3, sext(v3) dst_sel:DWORD dst_unused:UNUSED_PAD src0_sel:WORD_0
	s_mov_b32 s8, 0x47800000
                                        ; implicit-def: $vgpr4
	v_and_b32_e32 v5, 0x7fffffff, v3
	v_cmp_gt_u32_e32 vcc, s8, v5
	s_and_saveexec_b64 s[8:9], vcc
	s_xor_b64 s[8:9], exec, s[8:9]
	s_cbranch_execz .LBB39_370
; %bb.365:
	s_mov_b32 s10, 0x387fffff
	v_cmp_lt_u32_e32 vcc, s10, v5
                                        ; implicit-def: $vgpr4
	s_and_saveexec_b64 s[10:11], vcc
	s_xor_b64 s[10:11], exec, s[10:11]
; %bb.366:
	v_bfe_u32 v4, v3, 21, 1
	s_mov_b32 s12, 0x80fffff
	v_add3_u32 v4, v3, v4, s12
	v_lshrrev_b32_e32 v4, 21, v4
; %bb.367:
	s_andn2_saveexec_b64 s[10:11], s[10:11]
; %bb.368:
	s_mov_b32 s12, 0x43000000
	v_add_f32_e64 v4, |v3|, s12
; %bb.369:
	s_or_b64 exec, exec, s[10:11]
                                        ; implicit-def: $vgpr5
.LBB39_370:
	s_andn2_saveexec_b64 s[8:9], s[8:9]
; %bb.371:
	s_mov_b32 s10, 0x7f800000
	v_mov_b32_e32 v4, 0x7c
	v_mov_b32_e32 v6, 0x7f
	v_cmp_lt_u32_e32 vcc, s10, v5
	v_cndmask_b32_e32 v4, v4, v6, vcc
; %bb.372:
	s_or_b64 exec, exec, s[8:9]
	v_lshrrev_b32_e32 v3, 24, v3
	s_movk_i32 s8, 0x80
	v_and_or_b32 v3, v3, s8, v4
	global_store_byte v[0:1], v3, off
.LBB39_373:
	s_mov_b64 s[10:11], 0
	s_mov_b64 s[8:9], -1
.LBB39_374:
	s_andn2_b64 vcc, exec, s[10:11]
	s_cbranch_vccnz .LBB39_382
; %bb.375:
	s_cmp_gt_i32 s15, 14
	s_mov_b64 s[10:11], -1
	s_cbranch_scc0 .LBB39_379
; %bb.376:
	s_cmp_eq_u32 s15, 15
	s_mov_b64 s[0:1], -1
	s_cbranch_scc0 .LBB39_378
; %bb.377:
	v_bfe_i32 v3, v2, 0, 8
	v_cvt_f32_i32_sdwa v3, sext(v3) dst_sel:DWORD dst_unused:UNUSED_PAD src0_sel:WORD_0
	s_movk_i32 s0, 0x7fff
	s_mov_b64 s[8:9], -1
	v_bfe_u32 v4, v3, 16, 1
	v_add3_u32 v3, v3, v4, s0
	global_store_short_d16_hi v[0:1], v3, off
	s_mov_b64 s[0:1], 0
.LBB39_378:
	s_mov_b64 s[10:11], 0
.LBB39_379:
	s_and_b64 vcc, exec, s[10:11]
	s_cbranch_vccz .LBB39_382
; %bb.380:
	s_cmp_eq_u32 s15, 11
	s_mov_b64 s[0:1], -1
	s_cbranch_scc0 .LBB39_382
; %bb.381:
	v_mov_b32_e32 v3, 0
	v_cmp_ne_u16_sdwa s[0:1], v2, v3 src0_sel:BYTE_0 src1_sel:DWORD
	v_cndmask_b32_e64 v3, 0, 1, s[0:1]
	s_mov_b64 s[8:9], -1
	s_mov_b64 s[0:1], 0
	global_store_byte v[0:1], v3, off
.LBB39_382:
	s_mov_b64 s[10:11], 0
.LBB39_383:
	s_and_b64 vcc, exec, s[10:11]
	s_cbranch_vccz .LBB39_422
; %bb.384:
	s_and_b32 s10, 0xffff, s14
	s_cmp_lt_i32 s10, 5
	s_mov_b64 s[8:9], -1
	s_cbranch_scc1 .LBB39_405
; %bb.385:
	s_cmp_lt_i32 s10, 8
	s_cbranch_scc1 .LBB39_395
; %bb.386:
	s_cmp_lt_i32 s10, 9
	s_cbranch_scc1 .LBB39_392
; %bb.387:
	s_cmp_gt_i32 s10, 9
	s_cbranch_scc0 .LBB39_389
; %bb.388:
	v_bfe_i32 v3, v2, 0, 8
	v_bfe_i32 v3, v3, 0, 16
	v_cvt_f64_i32_e32 v[3:4], v3
	v_mov_b32_e32 v5, 0
	v_mov_b32_e32 v6, v5
	s_mov_b64 s[8:9], 0
	global_store_dwordx4 v[0:1], v[3:6], off
.LBB39_389:
	s_andn2_b64 vcc, exec, s[8:9]
	s_cbranch_vccnz .LBB39_391
; %bb.390:
	v_bfe_i32 v3, v2, 0, 8
	v_cvt_f32_i32_sdwa v3, sext(v3) dst_sel:DWORD dst_unused:UNUSED_PAD src0_sel:WORD_0
	v_mov_b32_e32 v4, 0
	global_store_dwordx2 v[0:1], v[3:4], off
.LBB39_391:
	s_mov_b64 s[8:9], 0
.LBB39_392:
	s_andn2_b64 vcc, exec, s[8:9]
	s_cbranch_vccnz .LBB39_394
; %bb.393:
	v_cvt_f16_i16_sdwa v3, sext(v2) dst_sel:DWORD dst_unused:UNUSED_PAD src0_sel:BYTE_0
	global_store_dword v[0:1], v3, off
.LBB39_394:
	s_mov_b64 s[8:9], 0
.LBB39_395:
	s_andn2_b64 vcc, exec, s[8:9]
	s_cbranch_vccnz .LBB39_404
; %bb.396:
	s_cmp_lt_i32 s10, 6
	s_mov_b64 s[8:9], -1
	s_cbranch_scc1 .LBB39_402
; %bb.397:
	s_cmp_gt_i32 s10, 6
	s_cbranch_scc0 .LBB39_399
; %bb.398:
	v_bfe_i32 v3, v2, 0, 8
	v_bfe_i32 v3, v3, 0, 16
	v_cvt_f64_i32_e32 v[3:4], v3
	s_mov_b64 s[8:9], 0
	global_store_dwordx2 v[0:1], v[3:4], off
.LBB39_399:
	s_andn2_b64 vcc, exec, s[8:9]
	s_cbranch_vccnz .LBB39_401
; %bb.400:
	v_bfe_i32 v3, v2, 0, 8
	v_cvt_f32_i32_sdwa v3, sext(v3) dst_sel:DWORD dst_unused:UNUSED_PAD src0_sel:WORD_0
	global_store_dword v[0:1], v3, off
.LBB39_401:
	s_mov_b64 s[8:9], 0
.LBB39_402:
	s_andn2_b64 vcc, exec, s[8:9]
	s_cbranch_vccnz .LBB39_404
; %bb.403:
	v_cvt_f16_i16_sdwa v3, sext(v2) dst_sel:DWORD dst_unused:UNUSED_PAD src0_sel:BYTE_0
	global_store_short v[0:1], v3, off
.LBB39_404:
	s_mov_b64 s[8:9], 0
.LBB39_405:
	s_andn2_b64 vcc, exec, s[8:9]
	s_cbranch_vccnz .LBB39_421
; %bb.406:
	s_cmp_lt_i32 s10, 2
	s_mov_b64 s[8:9], -1
	s_cbranch_scc1 .LBB39_416
; %bb.407:
	s_cmp_lt_i32 s10, 3
	s_cbranch_scc1 .LBB39_413
; %bb.408:
	s_cmp_gt_i32 s10, 3
	s_cbranch_scc0 .LBB39_410
; %bb.409:
	v_bfe_i32 v3, v2, 0, 8
	v_ashrrev_i32_e32 v4, 31, v3
	s_mov_b64 s[8:9], 0
	global_store_dwordx2 v[0:1], v[3:4], off
.LBB39_410:
	s_andn2_b64 vcc, exec, s[8:9]
	s_cbranch_vccnz .LBB39_412
; %bb.411:
	v_bfe_i32 v3, v2, 0, 8
	global_store_dword v[0:1], v3, off
.LBB39_412:
	s_mov_b64 s[8:9], 0
.LBB39_413:
	s_andn2_b64 vcc, exec, s[8:9]
	s_cbranch_vccnz .LBB39_415
; %bb.414:
	v_bfe_i32 v3, v2, 0, 8
	global_store_short v[0:1], v3, off
.LBB39_415:
	s_mov_b64 s[8:9], 0
.LBB39_416:
	s_andn2_b64 vcc, exec, s[8:9]
	s_cbranch_vccnz .LBB39_421
; %bb.417:
	s_cmp_gt_i32 s10, 0
	s_mov_b64 s[8:9], -1
	s_cbranch_scc0 .LBB39_419
; %bb.418:
	s_mov_b64 s[8:9], 0
	global_store_byte v[0:1], v2, off
.LBB39_419:
	s_andn2_b64 vcc, exec, s[8:9]
	s_cbranch_vccnz .LBB39_421
; %bb.420:
	global_store_byte v[0:1], v2, off
.LBB39_421:
	s_mov_b64 s[8:9], -1
.LBB39_422:
	s_andn2_b64 vcc, exec, s[8:9]
	s_cbranch_vccnz .LBB39_424
; %bb.423:
	v_add_u32_e32 v8, 0x80, v8
	s_mov_b64 s[8:9], -1
	s_branch .LBB39_533
.LBB39_424:
	s_mov_b64 s[8:9], 0
	s_branch .LBB39_532
.LBB39_425:
	s_mov_b64 s[2:3], -1
                                        ; implicit-def: $vgpr3
.LBB39_426:
	s_mov_b64 s[8:9], 0
.LBB39_427:
	s_and_b64 vcc, exec, s[8:9]
	s_cbranch_vccz .LBB39_431
; %bb.428:
	s_cmp_eq_u32 s11, 29
	s_cbranch_scc0 .LBB39_430
; %bb.429:
	global_load_dwordx2 v[3:4], v[1:2], off
	s_mov_b64 s[0:1], -1
	s_mov_b64 s[2:3], 0
	s_branch .LBB39_431
.LBB39_430:
	s_mov_b64 s[2:3], -1
                                        ; implicit-def: $vgpr3
.LBB39_431:
	s_mov_b64 s[8:9], 0
.LBB39_432:
	s_and_b64 vcc, exec, s[8:9]
	s_cbranch_vccz .LBB39_448
; %bb.433:
	s_cmp_lt_i32 s11, 27
	s_cbranch_scc1 .LBB39_436
; %bb.434:
	s_cmp_gt_i32 s11, 27
	s_cbranch_scc0 .LBB39_437
; %bb.435:
	global_load_dword v3, v[1:2], off
	s_mov_b64 s[0:1], 0
	s_branch .LBB39_438
.LBB39_436:
	s_mov_b64 s[0:1], -1
                                        ; implicit-def: $vgpr3
	s_branch .LBB39_441
.LBB39_437:
	s_mov_b64 s[0:1], -1
                                        ; implicit-def: $vgpr3
.LBB39_438:
	s_andn2_b64 vcc, exec, s[0:1]
	s_cbranch_vccnz .LBB39_440
; %bb.439:
	global_load_ushort v3, v[1:2], off
.LBB39_440:
	s_mov_b64 s[0:1], 0
.LBB39_441:
	s_andn2_b64 vcc, exec, s[0:1]
	s_cbranch_vccnz .LBB39_447
; %bb.442:
	global_load_ubyte v4, v[1:2], off
	s_movk_i32 s0, 0x7f
	s_mov_b64 s[8:9], 0
	s_waitcnt vmcnt(0)
	v_cmp_lt_i16_e32 vcc, s0, v4
	s_and_saveexec_b64 s[0:1], vcc
	s_xor_b64 s[0:1], exec, s[0:1]
	s_cbranch_execz .LBB39_459
; %bb.443:
	s_movk_i32 s8, 0x80
	v_cmp_ne_u16_e32 vcc, s8, v4
	s_and_b64 s[8:9], vcc, exec
	s_andn2_saveexec_b64 s[0:1], s[0:1]
	s_cbranch_execnz .LBB39_460
.LBB39_444:
	s_or_b64 exec, exec, s[0:1]
	v_mov_b32_e32 v3, 0
	s_and_saveexec_b64 s[0:1], s[8:9]
	s_cbranch_execz .LBB39_446
.LBB39_445:
	v_lshlrev_b32_e32 v3, 24, v4
	v_and_b32_e32 v4, 0xffff, v4
	v_and_b32_e32 v5, 7, v4
	v_ffbh_u32_e32 v7, v5
	v_min_u32_e32 v7, 32, v7
	v_subrev_u32_e32 v9, 28, v7
	v_bfe_u32 v6, v4, 3, 4
	v_lshlrev_b32_e32 v4, v9, v4
	v_sub_u32_e32 v7, 29, v7
	v_and_b32_e32 v4, 7, v4
	v_cmp_eq_u32_e32 vcc, 0, v6
	v_cndmask_b32_e32 v6, v6, v7, vcc
	v_cndmask_b32_e32 v4, v5, v4, vcc
	v_mov_b32_e32 v5, 0x3b800000
	v_lshlrev_b32_e32 v4, 20, v4
	v_and_b32_e32 v3, 0x80000000, v3
	v_lshl_add_u32 v5, v6, 23, v5
	v_or3_b32 v3, v3, v5, v4
	v_cvt_i32_f32_e32 v3, v3
.LBB39_446:
	s_or_b64 exec, exec, s[0:1]
.LBB39_447:
	s_mov_b64 s[0:1], -1
.LBB39_448:
	s_mov_b64 s[8:9], 0
.LBB39_449:
	s_and_b64 vcc, exec, s[8:9]
	s_cbranch_vccz .LBB39_482
; %bb.450:
	s_cmp_gt_i32 s11, 22
	s_cbranch_scc0 .LBB39_458
; %bb.451:
	s_cmp_lt_i32 s11, 24
	s_cbranch_scc1 .LBB39_461
; %bb.452:
	s_cmp_gt_i32 s11, 24
	s_cbranch_scc0 .LBB39_462
; %bb.453:
	global_load_ubyte v4, v[1:2], off
	s_movk_i32 s0, 0x7f
	s_mov_b64 s[8:9], 0
	s_waitcnt vmcnt(0)
	v_cmp_lt_i16_e32 vcc, s0, v4
	s_and_saveexec_b64 s[0:1], vcc
	s_xor_b64 s[0:1], exec, s[0:1]
	s_cbranch_execz .LBB39_474
; %bb.454:
	s_movk_i32 s8, 0x80
	v_cmp_ne_u16_e32 vcc, s8, v4
	s_and_b64 s[8:9], vcc, exec
	s_andn2_saveexec_b64 s[0:1], s[0:1]
	s_cbranch_execnz .LBB39_475
.LBB39_455:
	s_or_b64 exec, exec, s[0:1]
	v_mov_b32_e32 v3, 0
	s_and_saveexec_b64 s[0:1], s[8:9]
	s_cbranch_execz .LBB39_457
.LBB39_456:
	v_lshlrev_b32_e32 v3, 24, v4
	v_and_b32_e32 v4, 0xffff, v4
	v_and_b32_e32 v5, 3, v4
	v_ffbh_u32_e32 v7, v5
	v_min_u32_e32 v7, 32, v7
	v_subrev_u32_e32 v9, 29, v7
	v_bfe_u32 v6, v4, 2, 5
	v_lshlrev_b32_e32 v4, v9, v4
	v_sub_u32_e32 v7, 30, v7
	v_and_b32_e32 v4, 3, v4
	v_cmp_eq_u32_e32 vcc, 0, v6
	v_cndmask_b32_e32 v6, v6, v7, vcc
	v_cndmask_b32_e32 v4, v5, v4, vcc
	v_mov_b32_e32 v5, 0x37800000
	v_lshlrev_b32_e32 v4, 21, v4
	v_and_b32_e32 v3, 0x80000000, v3
	v_lshl_add_u32 v5, v6, 23, v5
	v_or3_b32 v3, v3, v5, v4
	v_cvt_i32_f32_e32 v3, v3
.LBB39_457:
	s_or_b64 exec, exec, s[0:1]
	s_mov_b64 s[0:1], 0
	s_branch .LBB39_463
.LBB39_458:
	s_mov_b64 s[8:9], -1
                                        ; implicit-def: $vgpr3
	s_branch .LBB39_469
.LBB39_459:
	s_andn2_saveexec_b64 s[0:1], s[0:1]
	s_cbranch_execz .LBB39_444
.LBB39_460:
	v_cmp_ne_u16_e32 vcc, 0, v4
	s_andn2_b64 s[8:9], s[8:9], exec
	s_and_b64 s[12:13], vcc, exec
	s_or_b64 s[8:9], s[8:9], s[12:13]
	s_or_b64 exec, exec, s[0:1]
	v_mov_b32_e32 v3, 0
	s_and_saveexec_b64 s[0:1], s[8:9]
	s_cbranch_execnz .LBB39_445
	s_branch .LBB39_446
.LBB39_461:
	s_mov_b64 s[0:1], -1
                                        ; implicit-def: $vgpr3
	s_branch .LBB39_466
.LBB39_462:
	s_mov_b64 s[0:1], -1
                                        ; implicit-def: $vgpr3
.LBB39_463:
	s_and_b64 vcc, exec, s[0:1]
	s_cbranch_vccz .LBB39_465
; %bb.464:
	global_load_ubyte v3, v[1:2], off
	s_mov_b32 s0, 0x7f800000
	s_waitcnt vmcnt(0)
	v_lshlrev_b32_e32 v3, 24, v3
	v_and_b32_e32 v4, 0x7f000000, v3
	v_ffbh_u32_e32 v5, v4
	v_min_u32_e32 v5, 32, v5
	v_sub_u32_e64 v5, v5, 4 clamp
	v_lshlrev_b32_e32 v7, v5, v4
	v_lshlrev_b32_e32 v5, 23, v5
	v_lshrrev_b32_e32 v7, 4, v7
	v_add_u32_e32 v6, 0x1000000, v4
	v_sub_u32_e32 v5, v7, v5
	v_ashrrev_i32_e32 v6, 8, v6
	v_add_u32_e32 v5, 0x3c000000, v5
	v_and_or_b32 v5, v6, s0, v5
	v_cmp_ne_u32_e32 vcc, 0, v4
	v_cndmask_b32_e32 v4, 0, v5, vcc
	s_brev_b32 s0, 1
	v_and_or_b32 v3, v3, s0, v4
	v_cvt_i32_f32_e32 v3, v3
.LBB39_465:
	s_mov_b64 s[0:1], 0
.LBB39_466:
	s_andn2_b64 vcc, exec, s[0:1]
	s_cbranch_vccnz .LBB39_468
; %bb.467:
	global_load_ubyte v3, v[1:2], off
	s_movk_i32 s0, 0x7f00
	s_brev_b32 s1, 16
	s_waitcnt vmcnt(0)
	v_lshlrev_b16_e32 v4, 8, v3
	v_lshlrev_b32_e32 v3, 25, v3
	v_lshrrev_b32_e32 v5, 4, v3
	v_and_or_b32 v6, v4, s0, 0.5
	v_or_b32_e32 v5, 0x70000000, v5
	v_add_f32_e32 v6, -0.5, v6
	v_mul_f32_e32 v5, 0x7800000, v5
	v_cmp_gt_u32_e32 vcc, s1, v3
	v_bfe_i32 v4, v4, 0, 16
	v_cndmask_b32_e32 v3, v5, v6, vcc
	s_brev_b32 s0, 1
	v_and_or_b32 v3, v4, s0, v3
	v_cvt_i32_f32_e32 v3, v3
.LBB39_468:
	s_mov_b64 s[8:9], 0
	s_mov_b64 s[0:1], -1
.LBB39_469:
	s_andn2_b64 vcc, exec, s[8:9]
	s_cbranch_vccnz .LBB39_482
; %bb.470:
	s_cmp_gt_i32 s11, 14
	s_cbranch_scc0 .LBB39_473
; %bb.471:
	s_cmp_eq_u32 s11, 15
	s_cbranch_scc0 .LBB39_476
; %bb.472:
	global_load_ushort v3, v[1:2], off
	s_mov_b64 s[0:1], -1
	s_mov_b64 s[2:3], 0
	s_waitcnt vmcnt(0)
	v_lshlrev_b32_e32 v3, 16, v3
	v_cvt_i32_f32_e32 v3, v3
	s_branch .LBB39_477
.LBB39_473:
	s_mov_b64 s[8:9], -1
                                        ; implicit-def: $vgpr3
	s_branch .LBB39_478
.LBB39_474:
	s_andn2_saveexec_b64 s[0:1], s[0:1]
	s_cbranch_execz .LBB39_455
.LBB39_475:
	v_cmp_ne_u16_e32 vcc, 0, v4
	s_andn2_b64 s[8:9], s[8:9], exec
	s_and_b64 s[12:13], vcc, exec
	s_or_b64 s[8:9], s[8:9], s[12:13]
	s_or_b64 exec, exec, s[0:1]
	v_mov_b32_e32 v3, 0
	s_and_saveexec_b64 s[0:1], s[8:9]
	s_cbranch_execnz .LBB39_456
	s_branch .LBB39_457
.LBB39_476:
	s_mov_b64 s[2:3], -1
                                        ; implicit-def: $vgpr3
.LBB39_477:
	s_mov_b64 s[8:9], 0
.LBB39_478:
	s_and_b64 vcc, exec, s[8:9]
	s_cbranch_vccz .LBB39_482
; %bb.479:
	s_cmp_eq_u32 s11, 11
	s_cbranch_scc0 .LBB39_481
; %bb.480:
	global_load_ubyte v3, v[1:2], off
	s_mov_b64 s[0:1], -1
	s_mov_b64 s[2:3], 0
	s_waitcnt vmcnt(0)
	v_cmp_ne_u16_e32 vcc, 0, v3
	v_cndmask_b32_e64 v3, 0, 1, vcc
	s_branch .LBB39_482
.LBB39_481:
	s_mov_b64 s[2:3], -1
                                        ; implicit-def: $vgpr3
.LBB39_482:
	s_branch .LBB39_289
.LBB39_483:
	s_and_b32 s8, 0xffff, s10
	s_cmp_lt_i32 s8, 5
	s_cbranch_scc1 .LBB39_488
; %bb.484:
	s_cmp_lt_i32 s8, 8
	s_cbranch_scc1 .LBB39_489
; %bb.485:
	;; [unrolled: 3-line block ×3, first 2 shown]
	s_cmp_gt_i32 s8, 9
	s_cbranch_scc0 .LBB39_491
; %bb.487:
	global_load_dwordx2 v[3:4], v[1:2], off
	s_mov_b64 s[0:1], 0
	s_waitcnt vmcnt(0)
	v_cvt_i32_f64_e32 v3, v[3:4]
	s_branch .LBB39_492
.LBB39_488:
	s_mov_b64 s[0:1], -1
                                        ; implicit-def: $vgpr3
	s_branch .LBB39_510
.LBB39_489:
	s_mov_b64 s[0:1], -1
                                        ; implicit-def: $vgpr3
	s_branch .LBB39_498
.LBB39_490:
	s_mov_b64 s[0:1], -1
                                        ; implicit-def: $vgpr3
	s_branch .LBB39_495
.LBB39_491:
	s_mov_b64 s[0:1], -1
                                        ; implicit-def: $vgpr3
.LBB39_492:
	s_andn2_b64 vcc, exec, s[0:1]
	s_cbranch_vccnz .LBB39_494
; %bb.493:
	global_load_dword v3, v[1:2], off
	s_waitcnt vmcnt(0)
	v_cvt_i32_f32_e32 v3, v3
.LBB39_494:
	s_mov_b64 s[0:1], 0
.LBB39_495:
	s_andn2_b64 vcc, exec, s[0:1]
	s_cbranch_vccnz .LBB39_497
; %bb.496:
	global_load_dword v3, v[1:2], off
	s_waitcnt vmcnt(0)
	v_cvt_i16_f16_e32 v3, v3
.LBB39_497:
	s_mov_b64 s[0:1], 0
.LBB39_498:
	s_andn2_b64 vcc, exec, s[0:1]
	s_cbranch_vccnz .LBB39_509
; %bb.499:
	s_cmp_lt_i32 s8, 6
	s_cbranch_scc1 .LBB39_502
; %bb.500:
	s_cmp_gt_i32 s8, 6
	s_cbranch_scc0 .LBB39_503
; %bb.501:
	global_load_dwordx2 v[3:4], v[1:2], off
	s_mov_b64 s[0:1], 0
	s_waitcnt vmcnt(0)
	v_cvt_i32_f64_e32 v3, v[3:4]
	s_branch .LBB39_504
.LBB39_502:
	s_mov_b64 s[0:1], -1
                                        ; implicit-def: $vgpr3
	s_branch .LBB39_507
.LBB39_503:
	s_mov_b64 s[0:1], -1
                                        ; implicit-def: $vgpr3
.LBB39_504:
	s_andn2_b64 vcc, exec, s[0:1]
	s_cbranch_vccnz .LBB39_506
; %bb.505:
	global_load_dword v3, v[1:2], off
	s_waitcnt vmcnt(0)
	v_cvt_i32_f32_e32 v3, v3
.LBB39_506:
	s_mov_b64 s[0:1], 0
.LBB39_507:
	s_andn2_b64 vcc, exec, s[0:1]
	s_cbranch_vccnz .LBB39_509
; %bb.508:
	global_load_ushort v3, v[1:2], off
	s_waitcnt vmcnt(0)
	v_cvt_i16_f16_e32 v3, v3
.LBB39_509:
	s_mov_b64 s[0:1], 0
.LBB39_510:
	s_andn2_b64 vcc, exec, s[0:1]
	s_cbranch_vccnz .LBB39_530
; %bb.511:
	s_cmp_lt_i32 s8, 2
	s_cbranch_scc1 .LBB39_515
; %bb.512:
	s_cmp_lt_i32 s8, 3
	s_cbranch_scc1 .LBB39_516
; %bb.513:
	s_cmp_gt_i32 s8, 3
	s_cbranch_scc0 .LBB39_517
; %bb.514:
	global_load_dwordx2 v[3:4], v[1:2], off
	s_mov_b64 s[0:1], 0
	s_branch .LBB39_518
.LBB39_515:
	s_mov_b64 s[0:1], -1
                                        ; implicit-def: $vgpr3
	s_branch .LBB39_524
.LBB39_516:
	s_mov_b64 s[0:1], -1
                                        ; implicit-def: $vgpr3
	s_branch .LBB39_521
.LBB39_517:
	s_mov_b64 s[0:1], -1
                                        ; implicit-def: $vgpr3
.LBB39_518:
	s_andn2_b64 vcc, exec, s[0:1]
	s_cbranch_vccnz .LBB39_520
; %bb.519:
	global_load_dword v3, v[1:2], off
.LBB39_520:
	s_mov_b64 s[0:1], 0
.LBB39_521:
	s_andn2_b64 vcc, exec, s[0:1]
	s_cbranch_vccnz .LBB39_523
; %bb.522:
	global_load_ushort v3, v[1:2], off
.LBB39_523:
	s_mov_b64 s[0:1], 0
.LBB39_524:
	s_andn2_b64 vcc, exec, s[0:1]
	s_cbranch_vccnz .LBB39_530
; %bb.525:
	s_cmp_gt_i32 s8, 0
	s_cbranch_scc0 .LBB39_527
; %bb.526:
	global_load_ubyte v3, v[1:2], off
	s_mov_b64 s[0:1], 0
	s_branch .LBB39_528
.LBB39_527:
	s_mov_b64 s[0:1], -1
                                        ; implicit-def: $vgpr3
.LBB39_528:
	s_andn2_b64 vcc, exec, s[0:1]
	s_cbranch_vccnz .LBB39_530
; %bb.529:
	global_load_ubyte v3, v[1:2], off
.LBB39_530:
	s_branch .LBB39_290
.LBB39_531:
	s_mov_b64 s[8:9], 0
	s_mov_b64 s[0:1], s[54:55]
.LBB39_532:
                                        ; implicit-def: $vgpr8
.LBB39_533:
	s_andn2_b64 s[10:11], s[54:55], exec
	s_and_b64 s[0:1], s[0:1], exec
	s_or_b64 s[62:63], s[10:11], s[0:1]
	s_andn2_b64 s[0:1], s[56:57], exec
	s_and_b64 s[2:3], s[2:3], exec
	s_or_b64 s[60:61], s[0:1], s[2:3]
	s_orn2_b64 s[0:1], s[8:9], exec
.LBB39_534:
	s_or_b64 exec, exec, s[64:65]
	s_mov_b64 s[2:3], 0
	s_mov_b64 s[8:9], 0
	;; [unrolled: 1-line block ×3, first 2 shown]
                                        ; implicit-def: $sgpr14
                                        ; implicit-def: $vgpr1_vgpr2
                                        ; implicit-def: $vgpr0
                                        ; implicit-def: $vgpr3
	s_and_saveexec_b64 s[64:65], s[0:1]
	s_cbranch_execz .LBB39_901
; %bb.535:
	v_cmp_gt_i32_e32 vcc, s72, v8
	s_mov_b64 s[2:3], -1
	s_mov_b64 s[68:69], s[60:61]
	s_mov_b64 s[70:71], s[62:63]
	s_and_saveexec_b64 s[66:67], vcc
	s_cbranch_execz .LBB39_805
; %bb.536:
	s_andn2_b64 vcc, exec, s[40:41]
	s_cbranch_vccnz .LBB39_541
; %bb.537:
	s_andn2_b64 vcc, exec, s[52:53]
	s_cbranch_vccnz .LBB39_542
; %bb.538:
	s_add_i32 s79, s78, 1
	s_cmp_eq_u32 s74, 2
	s_cbranch_scc1 .LBB39_543
; %bb.539:
	s_and_b32 s73, s79, 28
	v_mov_b32_e32 v2, 0
	s_mov_b32 s80, 0
	s_mov_b64 s[68:69], s[34:35]
	s_mov_b64 s[70:71], s[50:51]
	v_mov_b32_e32 v0, 0
	v_mov_b32_e32 v1, v8
.LBB39_540:                             ; =>This Inner Loop Header: Depth=1
	s_load_dwordx8 s[16:23], s[68:69], 0x4
	s_load_dwordx4 s[0:3], s[68:69], 0x24
	s_load_dwordx8 s[8:15], s[70:71], 0x0
	s_add_u32 s68, s68, 48
	s_addc_u32 s69, s69, 0
	s_waitcnt vmcnt(0) lgkmcnt(0)
	v_mul_hi_u32 v3, s17, v1
	s_add_i32 s80, s80, 4
	s_add_u32 s70, s70, 32
	s_addc_u32 s71, s71, 0
	v_add_u32_e32 v3, v1, v3
	v_lshrrev_b32_e32 v3, s18, v3
	v_mul_lo_u32 v4, v3, s16
	v_mul_hi_u32 v5, s20, v3
	s_cmp_eq_u32 s73, s80
	v_sub_u32_e32 v1, v1, v4
	v_add_u32_e32 v4, v3, v5
	v_mul_lo_u32 v5, v1, s8
	v_mul_lo_u32 v6, v1, s9
	v_lshrrev_b32_e32 v1, s21, v4
	v_mul_lo_u32 v4, v1, s19
	v_mul_hi_u32 v7, s23, v1
	v_sub_u32_e32 v3, v3, v4
	v_add_u32_e32 v4, v1, v7
	v_lshrrev_b32_e32 v4, s0, v4
	v_mul_hi_u32 v9, s2, v4
	v_mul_lo_u32 v10, v4, s22
	v_mul_lo_u32 v7, v3, s10
	;; [unrolled: 1-line block ×3, first 2 shown]
	v_sub_u32_e32 v10, v1, v10
	v_add_u32_e32 v1, v4, v9
	v_lshrrev_b32_e32 v1, s3, v1
	v_mul_lo_u32 v9, v1, s1
	v_mul_lo_u32 v11, v10, s12
	;; [unrolled: 1-line block ×3, first 2 shown]
	v_add3_u32 v0, v5, v0, v7
	v_sub_u32_e32 v4, v4, v9
	v_mul_lo_u32 v9, v4, s14
	v_mul_lo_u32 v4, v4, s15
	v_add3_u32 v2, v6, v2, v3
	v_add3_u32 v0, v11, v0, v9
	;; [unrolled: 1-line block ×3, first 2 shown]
	s_cbranch_scc0 .LBB39_540
	s_branch .LBB39_544
.LBB39_541:
	s_mov_b64 s[0:1], -1
                                        ; implicit-def: $vgpr0
                                        ; implicit-def: $vgpr2
	s_branch .LBB39_548
.LBB39_542:
	v_mov_b32_e32 v0, 0
	v_mov_b32_e32 v2, 0
	s_branch .LBB39_547
.LBB39_543:
	s_mov_b32 s73, 0
	v_mov_b32_e32 v0, 0
	v_mov_b32_e32 v2, 0
	;; [unrolled: 1-line block ×3, first 2 shown]
.LBB39_544:
	s_and_b32 s8, s79, 3
	s_cmp_eq_u32 s8, 0
	s_cbranch_scc1 .LBB39_547
; %bb.545:
	s_lshl_b32 s0, s73, 3
	s_add_u32 s0, s34, s0
	s_addc_u32 s1, s35, 0
	s_add_u32 s0, s0, 0xc4
	s_addc_u32 s1, s1, 0
	s_mul_i32 s2, s73, 12
	s_add_u32 s2, s34, s2
	s_addc_u32 s3, s35, 0
.LBB39_546:                             ; =>This Inner Loop Header: Depth=1
	s_load_dwordx2 s[10:11], s[2:3], 0x4
	s_load_dword s9, s[2:3], 0xc
	s_load_dwordx2 s[12:13], s[0:1], 0x0
	s_add_u32 s2, s2, 12
	s_addc_u32 s3, s3, 0
	s_waitcnt vmcnt(0) lgkmcnt(0)
	v_mul_hi_u32 v3, s11, v1
	s_add_u32 s0, s0, 8
	s_addc_u32 s1, s1, 0
	s_add_i32 s8, s8, -1
	v_add_u32_e32 v3, v1, v3
	v_lshrrev_b32_e32 v4, s9, v3
	v_mul_lo_u32 v3, v4, s10
	s_cmp_lg_u32 s8, 0
	v_sub_u32_e32 v3, v1, v3
	v_mad_u64_u32 v[0:1], s[10:11], v3, s12, v[0:1]
	v_mad_u64_u32 v[2:3], s[10:11], v3, s13, v[2:3]
	v_mov_b32_e32 v1, v4
	s_cbranch_scc1 .LBB39_546
.LBB39_547:
	s_mov_b64 s[0:1], 0
.LBB39_548:
	s_andn2_b64 vcc, exec, s[0:1]
	s_cbranch_vccnz .LBB39_551
; %bb.549:
	s_waitcnt lgkmcnt(0)
	v_mul_hi_u32 v0, s37, v8
	s_andn2_b64 vcc, exec, s[48:49]
	v_add_u32_e32 v0, v8, v0
	v_lshrrev_b32_e32 v1, s38, v0
	v_mul_lo_u32 v0, v1, s36
	v_sub_u32_e32 v2, v8, v0
	v_mul_lo_u32 v0, v2, s28
	v_mul_lo_u32 v2, v2, s29
	s_cbranch_vccnz .LBB39_551
; %bb.550:
	s_waitcnt vmcnt(0)
	v_mul_hi_u32 v3, s46, v1
	v_add_u32_e32 v3, v1, v3
	v_lshrrev_b32_e32 v3, s47, v3
	v_mul_lo_u32 v3, v3, s39
	v_sub_u32_e32 v3, v1, v3
	v_mad_u64_u32 v[0:1], s[0:1], v3, s30, v[0:1]
	v_mad_u64_u32 v[2:3], s[0:1], v3, s31, v[2:3]
.LBB39_551:
	s_waitcnt vmcnt(0) lgkmcnt(0)
	v_mov_b32_e32 v3, s27
	s_and_b32 s10, s77, 0xff
	v_add_co_u32_e32 v1, vcc, s26, v2
	s_cmp_lt_i32 s10, 11
	v_addc_co_u32_e32 v2, vcc, 0, v3, vcc
	s_cbranch_scc1 .LBB39_558
; %bb.552:
	s_and_b32 s11, 0xffff, s10
	s_cmp_gt_i32 s11, 25
	s_cbranch_scc0 .LBB39_559
; %bb.553:
	s_cmp_gt_i32 s11, 28
	s_cbranch_scc0 .LBB39_560
; %bb.554:
	;; [unrolled: 3-line block ×4, first 2 shown]
	s_cmp_eq_u32 s11, 46
	s_mov_b64 s[8:9], 0
	s_cbranch_scc0 .LBB39_567
; %bb.557:
	global_load_dword v3, v[1:2], off
	s_mov_b64 s[0:1], -1
	s_mov_b64 s[2:3], 0
	s_waitcnt vmcnt(0)
	v_lshlrev_b32_e32 v3, 16, v3
	v_cvt_i32_f32_e32 v3, v3
	s_branch .LBB39_568
.LBB39_558:
	s_mov_b64 s[8:9], -1
	s_mov_b64 s[0:1], 0
                                        ; implicit-def: $vgpr3
	s_mov_b64 s[2:3], s[60:61]
	s_branch .LBB39_629
.LBB39_559:
	s_mov_b64 s[8:9], -1
	s_mov_b64 s[0:1], 0
	s_mov_b64 s[2:3], s[60:61]
                                        ; implicit-def: $vgpr3
	s_branch .LBB39_595
.LBB39_560:
	s_mov_b64 s[8:9], -1
	s_mov_b64 s[0:1], 0
	s_mov_b64 s[2:3], s[60:61]
                                        ; implicit-def: $vgpr3
	s_branch .LBB39_578
.LBB39_561:
	s_mov_b64 s[8:9], -1
	s_mov_b64 s[0:1], 0
	s_mov_b64 s[2:3], s[60:61]
                                        ; implicit-def: $vgpr3
	s_branch .LBB39_573
.LBB39_562:
	s_andn2_saveexec_b64 s[12:13], s[12:13]
	s_cbranch_execz .LBB39_335
.LBB39_563:
	s_mov_b32 s16, 0x46000000
	v_add_f32_e64 v4, |v3|, s16
	v_and_b32_e32 v4, 0xff, v4
	v_cmp_ne_u32_e32 vcc, 0, v4
	s_andn2_b64 s[10:11], s[10:11], exec
	s_and_b64 s[16:17], vcc, exec
	s_or_b64 s[10:11], s[10:11], s[16:17]
	s_or_b64 exec, exec, s[12:13]
	v_mov_b32_e32 v5, 0
	s_and_saveexec_b64 s[12:13], s[10:11]
	s_cbranch_execnz .LBB39_336
	s_branch .LBB39_337
.LBB39_564:
	s_mov_b64 s[8:9], -1
	s_mov_b64 s[0:1], 0
	s_mov_b64 s[2:3], s[60:61]
                                        ; implicit-def: $vgpr3
	s_branch .LBB39_568
.LBB39_565:
	s_andn2_saveexec_b64 s[12:13], s[12:13]
	s_cbranch_execz .LBB39_348
.LBB39_566:
	s_mov_b32 s16, 0x42800000
	v_add_f32_e64 v4, |v3|, s16
	v_and_b32_e32 v4, 0xff, v4
	v_cmp_ne_u32_e32 vcc, 0, v4
	s_andn2_b64 s[10:11], s[10:11], exec
	s_and_b64 s[16:17], vcc, exec
	s_or_b64 s[10:11], s[10:11], s[16:17]
	s_or_b64 exec, exec, s[12:13]
	v_mov_b32_e32 v5, 0
	s_and_saveexec_b64 s[12:13], s[10:11]
	s_cbranch_execnz .LBB39_349
	s_branch .LBB39_350
.LBB39_567:
	s_mov_b64 s[2:3], -1
                                        ; implicit-def: $vgpr3
	s_mov_b64 s[0:1], 0
.LBB39_568:
	s_and_b64 vcc, exec, s[8:9]
	s_cbranch_vccz .LBB39_572
; %bb.569:
	s_cmp_eq_u32 s11, 44
	s_cbranch_scc0 .LBB39_571
; %bb.570:
	global_load_ubyte v3, v[1:2], off
	s_mov_b64 s[0:1], -1
	s_mov_b64 s[2:3], 0
	s_waitcnt vmcnt(0)
	v_lshlrev_b32_e32 v4, 23, v3
	v_cvt_i32_f32_e32 v4, v4
	v_cmp_ne_u32_e32 vcc, 0, v3
	v_cndmask_b32_e32 v3, 0, v4, vcc
	s_branch .LBB39_572
.LBB39_571:
	s_mov_b64 s[2:3], -1
                                        ; implicit-def: $vgpr3
.LBB39_572:
	s_mov_b64 s[8:9], 0
.LBB39_573:
	s_and_b64 vcc, exec, s[8:9]
	s_cbranch_vccz .LBB39_577
; %bb.574:
	s_cmp_eq_u32 s11, 29
	s_cbranch_scc0 .LBB39_576
; %bb.575:
	global_load_dwordx2 v[3:4], v[1:2], off
	s_mov_b64 s[0:1], -1
	s_mov_b64 s[2:3], 0
	s_branch .LBB39_577
.LBB39_576:
	s_mov_b64 s[2:3], -1
                                        ; implicit-def: $vgpr3
.LBB39_577:
	s_mov_b64 s[8:9], 0
.LBB39_578:
	s_and_b64 vcc, exec, s[8:9]
	s_cbranch_vccz .LBB39_594
; %bb.579:
	s_cmp_lt_i32 s11, 27
	s_cbranch_scc1 .LBB39_582
; %bb.580:
	s_cmp_gt_i32 s11, 27
	s_cbranch_scc0 .LBB39_583
; %bb.581:
	global_load_dword v3, v[1:2], off
	s_mov_b64 s[0:1], 0
	s_branch .LBB39_584
.LBB39_582:
	s_mov_b64 s[0:1], -1
                                        ; implicit-def: $vgpr3
	s_branch .LBB39_587
.LBB39_583:
	s_mov_b64 s[0:1], -1
                                        ; implicit-def: $vgpr3
.LBB39_584:
	s_andn2_b64 vcc, exec, s[0:1]
	s_cbranch_vccnz .LBB39_586
; %bb.585:
	global_load_ushort v3, v[1:2], off
.LBB39_586:
	s_mov_b64 s[0:1], 0
.LBB39_587:
	s_andn2_b64 vcc, exec, s[0:1]
	s_cbranch_vccnz .LBB39_593
; %bb.588:
	global_load_ubyte v4, v[1:2], off
	s_movk_i32 s0, 0x7f
	s_mov_b64 s[8:9], 0
	s_waitcnt vmcnt(0)
	v_cmp_lt_i16_e32 vcc, s0, v4
	s_and_saveexec_b64 s[0:1], vcc
	s_xor_b64 s[0:1], exec, s[0:1]
	s_cbranch_execz .LBB39_605
; %bb.589:
	s_movk_i32 s8, 0x80
	v_cmp_ne_u16_e32 vcc, s8, v4
	s_and_b64 s[8:9], vcc, exec
	s_andn2_saveexec_b64 s[0:1], s[0:1]
	s_cbranch_execnz .LBB39_606
.LBB39_590:
	s_or_b64 exec, exec, s[0:1]
	v_mov_b32_e32 v3, 0
	s_and_saveexec_b64 s[0:1], s[8:9]
	s_cbranch_execz .LBB39_592
.LBB39_591:
	v_lshlrev_b32_e32 v3, 24, v4
	v_and_b32_e32 v4, 0xffff, v4
	v_and_b32_e32 v5, 7, v4
	v_ffbh_u32_e32 v7, v5
	v_min_u32_e32 v7, 32, v7
	v_subrev_u32_e32 v9, 28, v7
	v_bfe_u32 v6, v4, 3, 4
	v_lshlrev_b32_e32 v4, v9, v4
	v_sub_u32_e32 v7, 29, v7
	v_and_b32_e32 v4, 7, v4
	v_cmp_eq_u32_e32 vcc, 0, v6
	v_cndmask_b32_e32 v6, v6, v7, vcc
	v_cndmask_b32_e32 v4, v5, v4, vcc
	v_mov_b32_e32 v5, 0x3b800000
	v_lshlrev_b32_e32 v4, 20, v4
	v_and_b32_e32 v3, 0x80000000, v3
	v_lshl_add_u32 v5, v6, 23, v5
	v_or3_b32 v3, v3, v5, v4
	v_cvt_i32_f32_e32 v3, v3
.LBB39_592:
	s_or_b64 exec, exec, s[0:1]
.LBB39_593:
	s_mov_b64 s[0:1], -1
.LBB39_594:
	s_mov_b64 s[8:9], 0
.LBB39_595:
	s_and_b64 vcc, exec, s[8:9]
	s_cbranch_vccz .LBB39_628
; %bb.596:
	s_cmp_gt_i32 s11, 22
	s_cbranch_scc0 .LBB39_604
; %bb.597:
	s_cmp_lt_i32 s11, 24
	s_cbranch_scc1 .LBB39_607
; %bb.598:
	s_cmp_gt_i32 s11, 24
	s_cbranch_scc0 .LBB39_608
; %bb.599:
	global_load_ubyte v4, v[1:2], off
	s_movk_i32 s0, 0x7f
	s_mov_b64 s[8:9], 0
	s_waitcnt vmcnt(0)
	v_cmp_lt_i16_e32 vcc, s0, v4
	s_and_saveexec_b64 s[0:1], vcc
	s_xor_b64 s[0:1], exec, s[0:1]
	s_cbranch_execz .LBB39_620
; %bb.600:
	s_movk_i32 s8, 0x80
	v_cmp_ne_u16_e32 vcc, s8, v4
	s_and_b64 s[8:9], vcc, exec
	s_andn2_saveexec_b64 s[0:1], s[0:1]
	s_cbranch_execnz .LBB39_621
.LBB39_601:
	s_or_b64 exec, exec, s[0:1]
	v_mov_b32_e32 v3, 0
	s_and_saveexec_b64 s[0:1], s[8:9]
	s_cbranch_execz .LBB39_603
.LBB39_602:
	v_lshlrev_b32_e32 v3, 24, v4
	v_and_b32_e32 v4, 0xffff, v4
	v_and_b32_e32 v5, 3, v4
	v_ffbh_u32_e32 v7, v5
	v_min_u32_e32 v7, 32, v7
	v_subrev_u32_e32 v9, 29, v7
	v_bfe_u32 v6, v4, 2, 5
	v_lshlrev_b32_e32 v4, v9, v4
	v_sub_u32_e32 v7, 30, v7
	v_and_b32_e32 v4, 3, v4
	v_cmp_eq_u32_e32 vcc, 0, v6
	v_cndmask_b32_e32 v6, v6, v7, vcc
	v_cndmask_b32_e32 v4, v5, v4, vcc
	v_mov_b32_e32 v5, 0x37800000
	v_lshlrev_b32_e32 v4, 21, v4
	v_and_b32_e32 v3, 0x80000000, v3
	v_lshl_add_u32 v5, v6, 23, v5
	v_or3_b32 v3, v3, v5, v4
	v_cvt_i32_f32_e32 v3, v3
.LBB39_603:
	s_or_b64 exec, exec, s[0:1]
	s_mov_b64 s[0:1], 0
	s_branch .LBB39_609
.LBB39_604:
	s_mov_b64 s[8:9], -1
                                        ; implicit-def: $vgpr3
	s_branch .LBB39_615
.LBB39_605:
	s_andn2_saveexec_b64 s[0:1], s[0:1]
	s_cbranch_execz .LBB39_590
.LBB39_606:
	v_cmp_ne_u16_e32 vcc, 0, v4
	s_andn2_b64 s[8:9], s[8:9], exec
	s_and_b64 s[12:13], vcc, exec
	s_or_b64 s[8:9], s[8:9], s[12:13]
	s_or_b64 exec, exec, s[0:1]
	v_mov_b32_e32 v3, 0
	s_and_saveexec_b64 s[0:1], s[8:9]
	s_cbranch_execnz .LBB39_591
	s_branch .LBB39_592
.LBB39_607:
	s_mov_b64 s[0:1], -1
                                        ; implicit-def: $vgpr3
	s_branch .LBB39_612
.LBB39_608:
	s_mov_b64 s[0:1], -1
                                        ; implicit-def: $vgpr3
.LBB39_609:
	s_and_b64 vcc, exec, s[0:1]
	s_cbranch_vccz .LBB39_611
; %bb.610:
	global_load_ubyte v3, v[1:2], off
	s_mov_b32 s0, 0x7f800000
	s_waitcnt vmcnt(0)
	v_lshlrev_b32_e32 v3, 24, v3
	v_and_b32_e32 v4, 0x7f000000, v3
	v_ffbh_u32_e32 v5, v4
	v_min_u32_e32 v5, 32, v5
	v_sub_u32_e64 v5, v5, 4 clamp
	v_lshlrev_b32_e32 v7, v5, v4
	v_lshlrev_b32_e32 v5, 23, v5
	v_lshrrev_b32_e32 v7, 4, v7
	v_add_u32_e32 v6, 0x1000000, v4
	v_sub_u32_e32 v5, v7, v5
	v_ashrrev_i32_e32 v6, 8, v6
	v_add_u32_e32 v5, 0x3c000000, v5
	v_and_or_b32 v5, v6, s0, v5
	v_cmp_ne_u32_e32 vcc, 0, v4
	v_cndmask_b32_e32 v4, 0, v5, vcc
	s_brev_b32 s0, 1
	v_and_or_b32 v3, v3, s0, v4
	v_cvt_i32_f32_e32 v3, v3
.LBB39_611:
	s_mov_b64 s[0:1], 0
.LBB39_612:
	s_andn2_b64 vcc, exec, s[0:1]
	s_cbranch_vccnz .LBB39_614
; %bb.613:
	global_load_ubyte v3, v[1:2], off
	s_movk_i32 s0, 0x7f00
	s_brev_b32 s1, 16
	s_waitcnt vmcnt(0)
	v_lshlrev_b16_e32 v4, 8, v3
	v_lshlrev_b32_e32 v3, 25, v3
	v_lshrrev_b32_e32 v5, 4, v3
	v_and_or_b32 v6, v4, s0, 0.5
	v_or_b32_e32 v5, 0x70000000, v5
	v_add_f32_e32 v6, -0.5, v6
	v_mul_f32_e32 v5, 0x7800000, v5
	v_cmp_gt_u32_e32 vcc, s1, v3
	v_bfe_i32 v4, v4, 0, 16
	v_cndmask_b32_e32 v3, v5, v6, vcc
	s_brev_b32 s0, 1
	v_and_or_b32 v3, v4, s0, v3
	v_cvt_i32_f32_e32 v3, v3
.LBB39_614:
	s_mov_b64 s[8:9], 0
	s_mov_b64 s[0:1], -1
.LBB39_615:
	s_andn2_b64 vcc, exec, s[8:9]
	s_cbranch_vccnz .LBB39_628
; %bb.616:
	s_cmp_gt_i32 s11, 14
	s_cbranch_scc0 .LBB39_619
; %bb.617:
	s_cmp_eq_u32 s11, 15
	s_cbranch_scc0 .LBB39_622
; %bb.618:
	global_load_ushort v3, v[1:2], off
	s_mov_b64 s[0:1], -1
	s_mov_b64 s[2:3], 0
	s_waitcnt vmcnt(0)
	v_lshlrev_b32_e32 v3, 16, v3
	v_cvt_i32_f32_e32 v3, v3
	s_branch .LBB39_623
.LBB39_619:
	s_mov_b64 s[8:9], -1
                                        ; implicit-def: $vgpr3
	s_branch .LBB39_624
.LBB39_620:
	s_andn2_saveexec_b64 s[0:1], s[0:1]
	s_cbranch_execz .LBB39_601
.LBB39_621:
	v_cmp_ne_u16_e32 vcc, 0, v4
	s_andn2_b64 s[8:9], s[8:9], exec
	s_and_b64 s[12:13], vcc, exec
	s_or_b64 s[8:9], s[8:9], s[12:13]
	s_or_b64 exec, exec, s[0:1]
	v_mov_b32_e32 v3, 0
	s_and_saveexec_b64 s[0:1], s[8:9]
	s_cbranch_execnz .LBB39_602
	s_branch .LBB39_603
.LBB39_622:
	s_mov_b64 s[2:3], -1
                                        ; implicit-def: $vgpr3
.LBB39_623:
	s_mov_b64 s[8:9], 0
.LBB39_624:
	s_and_b64 vcc, exec, s[8:9]
	s_cbranch_vccz .LBB39_628
; %bb.625:
	s_cmp_eq_u32 s11, 11
	s_cbranch_scc0 .LBB39_627
; %bb.626:
	global_load_ubyte v3, v[1:2], off
	s_mov_b64 s[0:1], -1
	s_mov_b64 s[2:3], 0
	s_waitcnt vmcnt(0)
	v_cmp_ne_u16_e32 vcc, 0, v3
	v_cndmask_b32_e64 v3, 0, 1, vcc
	s_branch .LBB39_628
.LBB39_627:
	s_mov_b64 s[2:3], -1
                                        ; implicit-def: $vgpr3
.LBB39_628:
	s_mov_b64 s[8:9], 0
.LBB39_629:
	s_and_b64 vcc, exec, s[8:9]
	s_cbranch_vccz .LBB39_678
; %bb.630:
	s_and_b32 s8, 0xffff, s10
	s_cmp_lt_i32 s8, 5
	s_cbranch_scc1 .LBB39_635
; %bb.631:
	s_cmp_lt_i32 s8, 8
	s_cbranch_scc1 .LBB39_636
; %bb.632:
	;; [unrolled: 3-line block ×3, first 2 shown]
	s_cmp_gt_i32 s8, 9
	s_cbranch_scc0 .LBB39_638
; %bb.634:
	global_load_dwordx2 v[3:4], v[1:2], off
	s_mov_b64 s[0:1], 0
	s_waitcnt vmcnt(0)
	v_cvt_i32_f64_e32 v3, v[3:4]
	s_branch .LBB39_639
.LBB39_635:
	s_mov_b64 s[0:1], -1
                                        ; implicit-def: $vgpr3
	s_branch .LBB39_657
.LBB39_636:
	s_mov_b64 s[0:1], -1
                                        ; implicit-def: $vgpr3
	s_branch .LBB39_645
.LBB39_637:
	s_mov_b64 s[0:1], -1
                                        ; implicit-def: $vgpr3
	s_branch .LBB39_642
.LBB39_638:
	s_mov_b64 s[0:1], -1
                                        ; implicit-def: $vgpr3
.LBB39_639:
	s_andn2_b64 vcc, exec, s[0:1]
	s_cbranch_vccnz .LBB39_641
; %bb.640:
	global_load_dword v3, v[1:2], off
	s_waitcnt vmcnt(0)
	v_cvt_i32_f32_e32 v3, v3
.LBB39_641:
	s_mov_b64 s[0:1], 0
.LBB39_642:
	s_andn2_b64 vcc, exec, s[0:1]
	s_cbranch_vccnz .LBB39_644
; %bb.643:
	global_load_dword v3, v[1:2], off
	s_waitcnt vmcnt(0)
	v_cvt_i16_f16_e32 v3, v3
.LBB39_644:
	s_mov_b64 s[0:1], 0
.LBB39_645:
	s_andn2_b64 vcc, exec, s[0:1]
	s_cbranch_vccnz .LBB39_656
; %bb.646:
	s_cmp_lt_i32 s8, 6
	s_cbranch_scc1 .LBB39_649
; %bb.647:
	s_cmp_gt_i32 s8, 6
	s_cbranch_scc0 .LBB39_650
; %bb.648:
	global_load_dwordx2 v[3:4], v[1:2], off
	s_mov_b64 s[0:1], 0
	s_waitcnt vmcnt(0)
	v_cvt_i32_f64_e32 v3, v[3:4]
	s_branch .LBB39_651
.LBB39_649:
	s_mov_b64 s[0:1], -1
                                        ; implicit-def: $vgpr3
	s_branch .LBB39_654
.LBB39_650:
	s_mov_b64 s[0:1], -1
                                        ; implicit-def: $vgpr3
.LBB39_651:
	s_andn2_b64 vcc, exec, s[0:1]
	s_cbranch_vccnz .LBB39_653
; %bb.652:
	global_load_dword v3, v[1:2], off
	s_waitcnt vmcnt(0)
	v_cvt_i32_f32_e32 v3, v3
.LBB39_653:
	s_mov_b64 s[0:1], 0
.LBB39_654:
	s_andn2_b64 vcc, exec, s[0:1]
	s_cbranch_vccnz .LBB39_656
; %bb.655:
	global_load_ushort v3, v[1:2], off
	s_waitcnt vmcnt(0)
	v_cvt_i16_f16_e32 v3, v3
.LBB39_656:
	s_mov_b64 s[0:1], 0
.LBB39_657:
	s_andn2_b64 vcc, exec, s[0:1]
	s_cbranch_vccnz .LBB39_677
; %bb.658:
	s_cmp_lt_i32 s8, 2
	s_cbranch_scc1 .LBB39_662
; %bb.659:
	s_cmp_lt_i32 s8, 3
	s_cbranch_scc1 .LBB39_663
; %bb.660:
	s_cmp_gt_i32 s8, 3
	s_cbranch_scc0 .LBB39_664
; %bb.661:
	global_load_dwordx2 v[3:4], v[1:2], off
	s_mov_b64 s[0:1], 0
	s_branch .LBB39_665
.LBB39_662:
	s_mov_b64 s[0:1], -1
                                        ; implicit-def: $vgpr3
	s_branch .LBB39_671
.LBB39_663:
	s_mov_b64 s[0:1], -1
                                        ; implicit-def: $vgpr3
	s_branch .LBB39_668
.LBB39_664:
	s_mov_b64 s[0:1], -1
                                        ; implicit-def: $vgpr3
.LBB39_665:
	s_andn2_b64 vcc, exec, s[0:1]
	s_cbranch_vccnz .LBB39_667
; %bb.666:
	global_load_dword v3, v[1:2], off
.LBB39_667:
	s_mov_b64 s[0:1], 0
.LBB39_668:
	s_andn2_b64 vcc, exec, s[0:1]
	s_cbranch_vccnz .LBB39_670
; %bb.669:
	global_load_ushort v3, v[1:2], off
.LBB39_670:
	s_mov_b64 s[0:1], 0
.LBB39_671:
	s_andn2_b64 vcc, exec, s[0:1]
	s_cbranch_vccnz .LBB39_677
; %bb.672:
	s_cmp_gt_i32 s8, 0
	s_cbranch_scc0 .LBB39_674
; %bb.673:
	global_load_ubyte v3, v[1:2], off
	s_mov_b64 s[0:1], 0
	s_branch .LBB39_675
.LBB39_674:
	s_mov_b64 s[0:1], -1
                                        ; implicit-def: $vgpr3
.LBB39_675:
	s_andn2_b64 vcc, exec, s[0:1]
	s_cbranch_vccnz .LBB39_677
; %bb.676:
	global_load_ubyte v3, v[1:2], off
.LBB39_677:
	s_mov_b64 s[0:1], -1
.LBB39_678:
	s_andn2_b64 vcc, exec, s[0:1]
	s_cbranch_vccnz .LBB39_686
; %bb.679:
	s_waitcnt vmcnt(0)
	v_lshlrev_b32_e32 v1, s76, v3
	v_cndmask_b32_e64 v2, v1, 0, s[44:45]
	v_mov_b32_e32 v1, s25
	s_and_b32 s14, s75, 0xff
	v_add_co_u32_e32 v0, vcc, s24, v0
	s_cmp_lt_i32 s14, 11
	v_addc_co_u32_e32 v1, vcc, 0, v1, vcc
	s_cbranch_scc1 .LBB39_687
; %bb.680:
	s_and_b32 s15, 0xffff, s14
	s_cmp_gt_i32 s15, 25
	s_cbranch_scc0 .LBB39_688
; %bb.681:
	s_cmp_gt_i32 s15, 28
	s_cbranch_scc0 .LBB39_689
; %bb.682:
	;; [unrolled: 3-line block ×4, first 2 shown]
	s_mov_b64 s[10:11], 0
	s_mov_b64 s[0:1], -1
	s_cmp_eq_u32 s15, 46
	s_mov_b64 s[8:9], 0
	s_cbranch_scc0 .LBB39_692
; %bb.685:
	v_bfe_i32 v3, v2, 0, 8
	v_cvt_f32_i32_sdwa v3, sext(v3) dst_sel:DWORD dst_unused:UNUSED_PAD src0_sel:WORD_0
	s_movk_i32 s0, 0x7fff
	s_mov_b64 s[8:9], -1
	v_bfe_u32 v4, v3, 16, 1
	v_add3_u32 v3, v3, v4, s0
	v_lshrrev_b32_e32 v3, 16, v3
	global_store_dword v[0:1], v3, off
	s_mov_b64 s[0:1], 0
	s_branch .LBB39_692
.LBB39_686:
	s_mov_b64 s[8:9], 0
	s_mov_b64 s[0:1], s[62:63]
	s_branch .LBB39_803
.LBB39_687:
	s_mov_b64 s[10:11], -1
	s_mov_b64 s[8:9], 0
	s_mov_b64 s[0:1], s[62:63]
	s_branch .LBB39_761
.LBB39_688:
	s_mov_b64 s[10:11], -1
	s_mov_b64 s[8:9], 0
	s_mov_b64 s[0:1], s[62:63]
	s_branch .LBB39_719
.LBB39_689:
	s_mov_b64 s[10:11], -1
	s_mov_b64 s[8:9], 0
	s_mov_b64 s[0:1], s[62:63]
	s_branch .LBB39_702
.LBB39_690:
	s_mov_b64 s[10:11], -1
	s_mov_b64 s[8:9], 0
	s_mov_b64 s[0:1], s[62:63]
	s_branch .LBB39_698
.LBB39_691:
	s_mov_b64 s[10:11], -1
	s_mov_b64 s[8:9], 0
	s_mov_b64 s[0:1], s[62:63]
.LBB39_692:
	s_and_b64 vcc, exec, s[10:11]
	s_cbranch_vccz .LBB39_697
; %bb.693:
	s_cmp_eq_u32 s15, 44
	s_mov_b64 s[0:1], -1
	s_cbranch_scc0 .LBB39_697
; %bb.694:
	v_bfe_i32 v3, v2, 0, 8
	v_cvt_f32_i32_sdwa v3, sext(v3) dst_sel:DWORD dst_unused:UNUSED_PAD src0_sel:WORD_0
	s_movk_i32 s0, 0xff
	v_mov_b32_e32 v5, 0xff
	v_bfe_u32 v4, v3, 23, 8
	v_cmp_ne_u32_e32 vcc, s0, v4
	s_and_saveexec_b64 s[8:9], vcc
; %bb.695:
	s_mov_b32 s0, 0x3fffff
	v_lshrrev_b32_e32 v5, 23, v3
	v_and_b32_e32 v6, 0x400000, v3
	v_and_or_b32 v3, v3, s0, v4
	v_cmp_ne_u32_e32 vcc, 0, v6
	v_cmp_ne_u32_e64 s[0:1], 0, v3
	s_and_b64 s[0:1], vcc, s[0:1]
	v_cndmask_b32_e64 v3, 0, 1, s[0:1]
	v_add_u32_e32 v5, v5, v3
; %bb.696:
	s_or_b64 exec, exec, s[8:9]
	s_mov_b64 s[8:9], -1
	s_mov_b64 s[0:1], 0
	global_store_byte v[0:1], v5, off
.LBB39_697:
	s_mov_b64 s[10:11], 0
.LBB39_698:
	s_and_b64 vcc, exec, s[10:11]
	s_cbranch_vccz .LBB39_701
; %bb.699:
	s_cmp_eq_u32 s15, 29
	s_mov_b64 s[0:1], -1
	s_cbranch_scc0 .LBB39_701
; %bb.700:
	v_bfe_i32 v3, v2, 0, 8
	v_ashrrev_i32_e32 v4, 31, v3
	global_store_dwordx2 v[0:1], v[3:4], off
	s_mov_b64 s[8:9], -1
	s_mov_b64 s[0:1], 0
.LBB39_701:
	s_mov_b64 s[10:11], 0
.LBB39_702:
	s_and_b64 vcc, exec, s[10:11]
	s_cbranch_vccz .LBB39_718
; %bb.703:
	s_cmp_lt_i32 s15, 27
	s_mov_b64 s[8:9], -1
	s_cbranch_scc1 .LBB39_709
; %bb.704:
	s_cmp_gt_i32 s15, 27
	s_cbranch_scc0 .LBB39_706
; %bb.705:
	v_bfe_i32 v3, v2, 0, 8
	s_mov_b64 s[8:9], 0
	global_store_dword v[0:1], v3, off
.LBB39_706:
	s_andn2_b64 vcc, exec, s[8:9]
	s_cbranch_vccnz .LBB39_708
; %bb.707:
	v_bfe_i32 v3, v2, 0, 8
	global_store_short v[0:1], v3, off
.LBB39_708:
	s_mov_b64 s[8:9], 0
.LBB39_709:
	s_andn2_b64 vcc, exec, s[8:9]
	s_cbranch_vccnz .LBB39_717
; %bb.710:
	v_bfe_i32 v3, v2, 0, 8
	v_cvt_f32_i32_sdwa v3, sext(v3) dst_sel:DWORD dst_unused:UNUSED_PAD src0_sel:WORD_0
	s_mov_b32 s8, 0x43800000
	v_mov_b32_e32 v5, 0x80
	v_and_b32_e32 v4, 0x7fffffff, v3
	v_cmp_gt_u32_e32 vcc, s8, v4
	s_and_saveexec_b64 s[8:9], vcc
	s_cbranch_execz .LBB39_716
; %bb.711:
	s_mov_b32 s10, 0x3bffffff
	v_cmp_lt_u32_e32 vcc, s10, v4
	s_mov_b64 s[10:11], 0
                                        ; implicit-def: $vgpr4
	s_and_saveexec_b64 s[12:13], vcc
	s_xor_b64 s[12:13], exec, s[12:13]
	s_cbranch_execz .LBB39_833
; %bb.712:
	v_bfe_u32 v4, v3, 20, 1
	s_mov_b32 s16, 0x487ffff
	v_add3_u32 v4, v3, v4, s16
	s_mov_b64 s[10:11], exec
	v_lshrrev_b32_e32 v4, 20, v4
	s_andn2_saveexec_b64 s[12:13], s[12:13]
	s_cbranch_execnz .LBB39_834
.LBB39_713:
	s_or_b64 exec, exec, s[12:13]
	v_mov_b32_e32 v5, 0
	s_and_saveexec_b64 s[12:13], s[10:11]
.LBB39_714:
	v_lshrrev_b32_e32 v3, 24, v3
	s_movk_i32 s10, 0x80
	v_and_or_b32 v5, v3, s10, v4
.LBB39_715:
	s_or_b64 exec, exec, s[12:13]
.LBB39_716:
	s_or_b64 exec, exec, s[8:9]
	global_store_byte v[0:1], v5, off
.LBB39_717:
	s_mov_b64 s[8:9], -1
.LBB39_718:
	s_mov_b64 s[10:11], 0
.LBB39_719:
	s_and_b64 vcc, exec, s[10:11]
	s_cbranch_vccz .LBB39_760
; %bb.720:
	s_cmp_gt_i32 s15, 22
	s_mov_b64 s[10:11], -1
	s_cbranch_scc0 .LBB39_752
; %bb.721:
	s_cmp_lt_i32 s15, 24
	s_mov_b64 s[8:9], -1
	s_cbranch_scc1 .LBB39_741
; %bb.722:
	s_cmp_gt_i32 s15, 24
	s_cbranch_scc0 .LBB39_730
; %bb.723:
	v_bfe_i32 v3, v2, 0, 8
	v_cvt_f32_i32_sdwa v3, sext(v3) dst_sel:DWORD dst_unused:UNUSED_PAD src0_sel:WORD_0
	s_mov_b32 s8, 0x47800000
	v_mov_b32_e32 v5, 0x80
	v_and_b32_e32 v4, 0x7fffffff, v3
	v_cmp_gt_u32_e32 vcc, s8, v4
	s_and_saveexec_b64 s[8:9], vcc
	s_cbranch_execz .LBB39_729
; %bb.724:
	s_mov_b32 s10, 0x37ffffff
	v_cmp_lt_u32_e32 vcc, s10, v4
	s_mov_b64 s[10:11], 0
                                        ; implicit-def: $vgpr4
	s_and_saveexec_b64 s[12:13], vcc
	s_xor_b64 s[12:13], exec, s[12:13]
	s_cbranch_execz .LBB39_836
; %bb.725:
	v_bfe_u32 v4, v3, 21, 1
	s_mov_b32 s16, 0x88fffff
	v_add3_u32 v4, v3, v4, s16
	s_mov_b64 s[10:11], exec
	v_lshrrev_b32_e32 v4, 21, v4
	s_andn2_saveexec_b64 s[12:13], s[12:13]
	s_cbranch_execnz .LBB39_837
.LBB39_726:
	s_or_b64 exec, exec, s[12:13]
	v_mov_b32_e32 v5, 0
	s_and_saveexec_b64 s[12:13], s[10:11]
.LBB39_727:
	v_lshrrev_b32_e32 v3, 24, v3
	s_movk_i32 s10, 0x80
	v_and_or_b32 v5, v3, s10, v4
.LBB39_728:
	s_or_b64 exec, exec, s[12:13]
.LBB39_729:
	s_or_b64 exec, exec, s[8:9]
	s_mov_b64 s[8:9], 0
	global_store_byte v[0:1], v5, off
.LBB39_730:
	s_and_b64 vcc, exec, s[8:9]
	s_cbranch_vccz .LBB39_740
; %bb.731:
	v_bfe_i32 v3, v2, 0, 8
	v_cvt_f32_i32_sdwa v3, sext(v3) dst_sel:DWORD dst_unused:UNUSED_PAD src0_sel:WORD_0
	s_mov_b32 s8, 0x43f00000
                                        ; implicit-def: $vgpr4
	v_and_b32_e32 v5, 0x7fffffff, v3
	v_cmp_gt_u32_e32 vcc, s8, v5
	s_and_saveexec_b64 s[8:9], vcc
	s_xor_b64 s[8:9], exec, s[8:9]
	s_cbranch_execz .LBB39_737
; %bb.732:
	s_mov_b32 s10, 0x3c7fffff
	v_cmp_lt_u32_e32 vcc, s10, v5
                                        ; implicit-def: $vgpr4
	s_and_saveexec_b64 s[10:11], vcc
	s_xor_b64 s[10:11], exec, s[10:11]
; %bb.733:
	v_bfe_u32 v4, v3, 20, 1
	s_mov_b32 s12, 0x407ffff
	v_add3_u32 v4, v3, v4, s12
	v_lshrrev_b32_e32 v5, 20, v4
	v_and_b32_e32 v4, 0xff00000, v4
	s_mov_b32 s12, 0x7f00000
	v_mov_b32_e32 v6, 0x7e
	v_cmp_ne_u32_e32 vcc, s12, v4
	v_cndmask_b32_e32 v4, v6, v5, vcc
; %bb.734:
	s_andn2_saveexec_b64 s[10:11], s[10:11]
; %bb.735:
	s_mov_b32 s12, 0x46800000
	v_add_f32_e64 v4, |v3|, s12
; %bb.736:
	s_or_b64 exec, exec, s[10:11]
                                        ; implicit-def: $vgpr5
.LBB39_737:
	s_andn2_saveexec_b64 s[8:9], s[8:9]
; %bb.738:
	s_mov_b32 s10, 0x7f800000
	v_mov_b32_e32 v4, 0x7e
	v_mov_b32_e32 v6, 0x7f
	v_cmp_lt_u32_e32 vcc, s10, v5
	v_cndmask_b32_e32 v4, v4, v6, vcc
; %bb.739:
	s_or_b64 exec, exec, s[8:9]
	v_lshrrev_b32_e32 v3, 24, v3
	s_movk_i32 s8, 0x80
	v_and_or_b32 v3, v3, s8, v4
	global_store_byte v[0:1], v3, off
.LBB39_740:
	s_mov_b64 s[8:9], 0
.LBB39_741:
	s_andn2_b64 vcc, exec, s[8:9]
	s_cbranch_vccnz .LBB39_751
; %bb.742:
	v_bfe_i32 v3, v2, 0, 8
	v_cvt_f32_i32_sdwa v3, sext(v3) dst_sel:DWORD dst_unused:UNUSED_PAD src0_sel:WORD_0
	s_mov_b32 s8, 0x47800000
                                        ; implicit-def: $vgpr4
	v_and_b32_e32 v5, 0x7fffffff, v3
	v_cmp_gt_u32_e32 vcc, s8, v5
	s_and_saveexec_b64 s[8:9], vcc
	s_xor_b64 s[8:9], exec, s[8:9]
	s_cbranch_execz .LBB39_748
; %bb.743:
	s_mov_b32 s10, 0x387fffff
	v_cmp_lt_u32_e32 vcc, s10, v5
                                        ; implicit-def: $vgpr4
	s_and_saveexec_b64 s[10:11], vcc
	s_xor_b64 s[10:11], exec, s[10:11]
; %bb.744:
	v_bfe_u32 v4, v3, 21, 1
	s_mov_b32 s12, 0x80fffff
	v_add3_u32 v4, v3, v4, s12
	v_lshrrev_b32_e32 v4, 21, v4
; %bb.745:
	s_andn2_saveexec_b64 s[10:11], s[10:11]
; %bb.746:
	s_mov_b32 s12, 0x43000000
	v_add_f32_e64 v4, |v3|, s12
; %bb.747:
	s_or_b64 exec, exec, s[10:11]
                                        ; implicit-def: $vgpr5
.LBB39_748:
	s_andn2_saveexec_b64 s[8:9], s[8:9]
; %bb.749:
	s_mov_b32 s10, 0x7f800000
	v_mov_b32_e32 v4, 0x7c
	v_mov_b32_e32 v6, 0x7f
	v_cmp_lt_u32_e32 vcc, s10, v5
	v_cndmask_b32_e32 v4, v4, v6, vcc
; %bb.750:
	s_or_b64 exec, exec, s[8:9]
	v_lshrrev_b32_e32 v3, 24, v3
	s_movk_i32 s8, 0x80
	v_and_or_b32 v3, v3, s8, v4
	global_store_byte v[0:1], v3, off
.LBB39_751:
	s_mov_b64 s[10:11], 0
	s_mov_b64 s[8:9], -1
.LBB39_752:
	s_andn2_b64 vcc, exec, s[10:11]
	s_cbranch_vccnz .LBB39_760
; %bb.753:
	s_cmp_gt_i32 s15, 14
	s_mov_b64 s[10:11], -1
	s_cbranch_scc0 .LBB39_757
; %bb.754:
	s_cmp_eq_u32 s15, 15
	s_mov_b64 s[0:1], -1
	s_cbranch_scc0 .LBB39_756
; %bb.755:
	v_bfe_i32 v3, v2, 0, 8
	v_cvt_f32_i32_sdwa v3, sext(v3) dst_sel:DWORD dst_unused:UNUSED_PAD src0_sel:WORD_0
	s_movk_i32 s0, 0x7fff
	s_mov_b64 s[8:9], -1
	v_bfe_u32 v4, v3, 16, 1
	v_add3_u32 v3, v3, v4, s0
	global_store_short_d16_hi v[0:1], v3, off
	s_mov_b64 s[0:1], 0
.LBB39_756:
	s_mov_b64 s[10:11], 0
.LBB39_757:
	s_and_b64 vcc, exec, s[10:11]
	s_cbranch_vccz .LBB39_760
; %bb.758:
	s_cmp_eq_u32 s15, 11
	s_mov_b64 s[0:1], -1
	s_cbranch_scc0 .LBB39_760
; %bb.759:
	v_mov_b32_e32 v3, 0
	v_cmp_ne_u16_sdwa s[0:1], v2, v3 src0_sel:BYTE_0 src1_sel:DWORD
	v_cndmask_b32_e64 v3, 0, 1, s[0:1]
	s_mov_b64 s[8:9], -1
	s_mov_b64 s[0:1], 0
	global_store_byte v[0:1], v3, off
.LBB39_760:
	s_mov_b64 s[10:11], 0
.LBB39_761:
	s_and_b64 vcc, exec, s[10:11]
	s_cbranch_vccz .LBB39_800
; %bb.762:
	s_and_b32 s10, 0xffff, s14
	s_cmp_lt_i32 s10, 5
	s_mov_b64 s[8:9], -1
	s_cbranch_scc1 .LBB39_783
; %bb.763:
	s_cmp_lt_i32 s10, 8
	s_cbranch_scc1 .LBB39_773
; %bb.764:
	s_cmp_lt_i32 s10, 9
	s_cbranch_scc1 .LBB39_770
; %bb.765:
	s_cmp_gt_i32 s10, 9
	s_cbranch_scc0 .LBB39_767
; %bb.766:
	v_bfe_i32 v3, v2, 0, 8
	v_bfe_i32 v3, v3, 0, 16
	v_cvt_f64_i32_e32 v[3:4], v3
	v_mov_b32_e32 v5, 0
	v_mov_b32_e32 v6, v5
	s_mov_b64 s[8:9], 0
	global_store_dwordx4 v[0:1], v[3:6], off
.LBB39_767:
	s_andn2_b64 vcc, exec, s[8:9]
	s_cbranch_vccnz .LBB39_769
; %bb.768:
	v_bfe_i32 v3, v2, 0, 8
	v_cvt_f32_i32_sdwa v3, sext(v3) dst_sel:DWORD dst_unused:UNUSED_PAD src0_sel:WORD_0
	v_mov_b32_e32 v4, 0
	global_store_dwordx2 v[0:1], v[3:4], off
.LBB39_769:
	s_mov_b64 s[8:9], 0
.LBB39_770:
	s_andn2_b64 vcc, exec, s[8:9]
	s_cbranch_vccnz .LBB39_772
; %bb.771:
	v_cvt_f16_i16_sdwa v3, sext(v2) dst_sel:DWORD dst_unused:UNUSED_PAD src0_sel:BYTE_0
	global_store_dword v[0:1], v3, off
.LBB39_772:
	s_mov_b64 s[8:9], 0
.LBB39_773:
	s_andn2_b64 vcc, exec, s[8:9]
	s_cbranch_vccnz .LBB39_782
; %bb.774:
	s_cmp_lt_i32 s10, 6
	s_mov_b64 s[8:9], -1
	s_cbranch_scc1 .LBB39_780
; %bb.775:
	s_cmp_gt_i32 s10, 6
	s_cbranch_scc0 .LBB39_777
; %bb.776:
	v_bfe_i32 v3, v2, 0, 8
	v_bfe_i32 v3, v3, 0, 16
	v_cvt_f64_i32_e32 v[3:4], v3
	s_mov_b64 s[8:9], 0
	global_store_dwordx2 v[0:1], v[3:4], off
.LBB39_777:
	s_andn2_b64 vcc, exec, s[8:9]
	s_cbranch_vccnz .LBB39_779
; %bb.778:
	v_bfe_i32 v3, v2, 0, 8
	v_cvt_f32_i32_sdwa v3, sext(v3) dst_sel:DWORD dst_unused:UNUSED_PAD src0_sel:WORD_0
	global_store_dword v[0:1], v3, off
.LBB39_779:
	s_mov_b64 s[8:9], 0
.LBB39_780:
	s_andn2_b64 vcc, exec, s[8:9]
	s_cbranch_vccnz .LBB39_782
; %bb.781:
	v_cvt_f16_i16_sdwa v3, sext(v2) dst_sel:DWORD dst_unused:UNUSED_PAD src0_sel:BYTE_0
	global_store_short v[0:1], v3, off
.LBB39_782:
	s_mov_b64 s[8:9], 0
.LBB39_783:
	s_andn2_b64 vcc, exec, s[8:9]
	s_cbranch_vccnz .LBB39_799
; %bb.784:
	s_cmp_lt_i32 s10, 2
	s_mov_b64 s[8:9], -1
	s_cbranch_scc1 .LBB39_794
; %bb.785:
	s_cmp_lt_i32 s10, 3
	s_cbranch_scc1 .LBB39_791
; %bb.786:
	s_cmp_gt_i32 s10, 3
	s_cbranch_scc0 .LBB39_788
; %bb.787:
	v_bfe_i32 v3, v2, 0, 8
	v_ashrrev_i32_e32 v4, 31, v3
	s_mov_b64 s[8:9], 0
	global_store_dwordx2 v[0:1], v[3:4], off
.LBB39_788:
	s_andn2_b64 vcc, exec, s[8:9]
	s_cbranch_vccnz .LBB39_790
; %bb.789:
	v_bfe_i32 v3, v2, 0, 8
	global_store_dword v[0:1], v3, off
.LBB39_790:
	s_mov_b64 s[8:9], 0
.LBB39_791:
	s_andn2_b64 vcc, exec, s[8:9]
	s_cbranch_vccnz .LBB39_793
; %bb.792:
	v_bfe_i32 v3, v2, 0, 8
	global_store_short v[0:1], v3, off
.LBB39_793:
	s_mov_b64 s[8:9], 0
.LBB39_794:
	s_andn2_b64 vcc, exec, s[8:9]
	s_cbranch_vccnz .LBB39_799
; %bb.795:
	s_cmp_gt_i32 s10, 0
	s_mov_b64 s[8:9], -1
	s_cbranch_scc0 .LBB39_797
; %bb.796:
	s_mov_b64 s[8:9], 0
	global_store_byte v[0:1], v2, off
.LBB39_797:
	s_andn2_b64 vcc, exec, s[8:9]
	s_cbranch_vccnz .LBB39_799
; %bb.798:
	global_store_byte v[0:1], v2, off
.LBB39_799:
	s_mov_b64 s[8:9], -1
.LBB39_800:
	s_andn2_b64 vcc, exec, s[8:9]
	s_cbranch_vccnz .LBB39_802
; %bb.801:
	v_add_u32_e32 v8, 0x80, v8
	s_mov_b64 s[8:9], -1
	s_branch .LBB39_804
.LBB39_802:
	s_mov_b64 s[8:9], 0
.LBB39_803:
                                        ; implicit-def: $vgpr8
.LBB39_804:
	s_andn2_b64 s[10:11], s[62:63], exec
	s_and_b64 s[0:1], s[0:1], exec
	s_or_b64 s[70:71], s[10:11], s[0:1]
	s_andn2_b64 s[0:1], s[60:61], exec
	s_and_b64 s[2:3], s[2:3], exec
	s_or_b64 s[68:69], s[0:1], s[2:3]
	s_orn2_b64 s[2:3], s[8:9], exec
.LBB39_805:
	s_or_b64 exec, exec, s[66:67]
	s_mov_b64 s[0:1], 0
	s_mov_b64 s[8:9], 0
	;; [unrolled: 1-line block ×3, first 2 shown]
                                        ; implicit-def: $sgpr14
                                        ; implicit-def: $vgpr1_vgpr2
                                        ; implicit-def: $vgpr0
                                        ; implicit-def: $vgpr3
	s_and_saveexec_b64 s[66:67], s[2:3]
	s_cbranch_execz .LBB39_900
; %bb.806:
	v_cmp_gt_i32_e32 vcc, s72, v8
	s_mov_b64 s[2:3], 0
	s_mov_b64 s[12:13], s[68:69]
                                        ; implicit-def: $sgpr14
                                        ; implicit-def: $vgpr1_vgpr2
                                        ; implicit-def: $vgpr0
                                        ; implicit-def: $vgpr3
	s_and_saveexec_b64 s[72:73], vcc
	s_cbranch_execz .LBB39_899
; %bb.807:
	s_andn2_b64 vcc, exec, s[40:41]
	s_cbranch_vccnz .LBB39_812
; %bb.808:
	s_andn2_b64 vcc, exec, s[52:53]
	s_cbranch_vccnz .LBB39_813
; %bb.809:
	s_add_i32 s79, s78, 1
	s_cmp_eq_u32 s74, 2
	s_cbranch_scc1 .LBB39_814
; %bb.810:
	s_and_b32 s78, s79, 28
	v_mov_b32_e32 v2, 0
	s_mov_b32 s80, 0
	s_mov_b64 s[52:53], s[34:35]
	v_mov_b32_e32 v0, 0
	v_mov_b32_e32 v1, v8
.LBB39_811:                             ; =>This Inner Loop Header: Depth=1
	s_load_dwordx8 s[16:23], s[52:53], 0x4
	s_load_dwordx4 s[0:3], s[52:53], 0x24
	s_load_dwordx8 s[8:15], s[50:51], 0x0
	s_add_u32 s52, s52, 48
	s_addc_u32 s53, s53, 0
	s_waitcnt vmcnt(0) lgkmcnt(0)
	v_mul_hi_u32 v3, s17, v1
	s_add_i32 s80, s80, 4
	s_add_u32 s50, s50, 32
	s_addc_u32 s51, s51, 0
	v_add_u32_e32 v3, v1, v3
	v_lshrrev_b32_e32 v3, s18, v3
	v_mul_lo_u32 v4, v3, s16
	v_mul_hi_u32 v5, s20, v3
	s_cmp_eq_u32 s78, s80
	v_sub_u32_e32 v1, v1, v4
	v_add_u32_e32 v4, v3, v5
	v_mul_lo_u32 v5, v1, s8
	v_mul_lo_u32 v6, v1, s9
	v_lshrrev_b32_e32 v1, s21, v4
	v_mul_lo_u32 v4, v1, s19
	v_mul_hi_u32 v7, s23, v1
	v_sub_u32_e32 v3, v3, v4
	v_add_u32_e32 v4, v1, v7
	v_lshrrev_b32_e32 v4, s0, v4
	v_mul_hi_u32 v9, s2, v4
	v_mul_lo_u32 v10, v4, s22
	v_mul_lo_u32 v7, v3, s10
	;; [unrolled: 1-line block ×3, first 2 shown]
	v_sub_u32_e32 v10, v1, v10
	v_add_u32_e32 v1, v4, v9
	v_lshrrev_b32_e32 v1, s3, v1
	v_mul_lo_u32 v9, v1, s1
	v_mul_lo_u32 v11, v10, s12
	;; [unrolled: 1-line block ×3, first 2 shown]
	v_add3_u32 v0, v5, v0, v7
	v_sub_u32_e32 v4, v4, v9
	v_mul_lo_u32 v9, v4, s14
	v_mul_lo_u32 v4, v4, s15
	v_add3_u32 v2, v6, v2, v3
	v_add3_u32 v0, v11, v0, v9
	;; [unrolled: 1-line block ×3, first 2 shown]
	s_cbranch_scc0 .LBB39_811
	s_branch .LBB39_815
.LBB39_812:
	s_mov_b64 s[0:1], -1
                                        ; implicit-def: $vgpr0
                                        ; implicit-def: $vgpr2
	s_branch .LBB39_819
.LBB39_813:
	v_mov_b32_e32 v0, 0
	v_mov_b32_e32 v2, 0
	s_branch .LBB39_818
.LBB39_814:
	s_mov_b32 s78, 0
	v_mov_b32_e32 v0, 0
	v_mov_b32_e32 v2, 0
	;; [unrolled: 1-line block ×3, first 2 shown]
.LBB39_815:
	s_and_b32 s8, s79, 3
	s_cmp_eq_u32 s8, 0
	s_cbranch_scc1 .LBB39_818
; %bb.816:
	s_lshl_b32 s0, s78, 3
	s_add_u32 s0, s34, s0
	s_addc_u32 s1, s35, 0
	s_add_u32 s0, s0, 0xc4
	s_addc_u32 s1, s1, 0
	s_mul_i32 s2, s78, 12
	s_add_u32 s2, s34, s2
	s_addc_u32 s3, s35, 0
.LBB39_817:                             ; =>This Inner Loop Header: Depth=1
	s_load_dwordx2 s[10:11], s[2:3], 0x4
	s_load_dword s9, s[2:3], 0xc
	s_load_dwordx2 s[12:13], s[0:1], 0x0
	s_add_u32 s2, s2, 12
	s_addc_u32 s3, s3, 0
	s_waitcnt vmcnt(0) lgkmcnt(0)
	v_mul_hi_u32 v3, s11, v1
	s_add_u32 s0, s0, 8
	s_addc_u32 s1, s1, 0
	s_add_i32 s8, s8, -1
	v_add_u32_e32 v3, v1, v3
	v_lshrrev_b32_e32 v4, s9, v3
	v_mul_lo_u32 v3, v4, s10
	s_cmp_lg_u32 s8, 0
	v_sub_u32_e32 v3, v1, v3
	v_mad_u64_u32 v[0:1], s[10:11], v3, s12, v[0:1]
	v_mad_u64_u32 v[2:3], s[10:11], v3, s13, v[2:3]
	v_mov_b32_e32 v1, v4
	s_cbranch_scc1 .LBB39_817
.LBB39_818:
	s_mov_b64 s[0:1], 0
.LBB39_819:
	s_andn2_b64 vcc, exec, s[0:1]
	s_cbranch_vccnz .LBB39_822
; %bb.820:
	s_waitcnt lgkmcnt(0)
	v_mul_hi_u32 v0, s37, v8
	s_andn2_b64 vcc, exec, s[48:49]
	v_add_u32_e32 v0, v8, v0
	v_lshrrev_b32_e32 v1, s38, v0
	v_mul_lo_u32 v0, v1, s36
	v_sub_u32_e32 v2, v8, v0
	v_mul_lo_u32 v0, v2, s28
	v_mul_lo_u32 v2, v2, s29
	s_cbranch_vccnz .LBB39_822
; %bb.821:
	s_waitcnt vmcnt(0)
	v_mul_hi_u32 v3, s46, v1
	v_add_u32_e32 v3, v1, v3
	v_lshrrev_b32_e32 v3, s47, v3
	v_mul_lo_u32 v3, v3, s39
	v_sub_u32_e32 v3, v1, v3
	v_mad_u64_u32 v[0:1], s[0:1], v3, s30, v[0:1]
	v_mad_u64_u32 v[2:3], s[0:1], v3, s31, v[2:3]
.LBB39_822:
	s_waitcnt vmcnt(0) lgkmcnt(0)
	v_mov_b32_e32 v3, s27
	s_and_b32 s14, s77, 0xff
	v_add_co_u32_e32 v1, vcc, s26, v2
	s_cmp_lt_i32 s14, 11
	v_addc_co_u32_e32 v2, vcc, 0, v3, vcc
	s_cbranch_scc1 .LBB39_829
; %bb.823:
	s_and_b32 s12, 0xffff, s14
	s_cmp_gt_i32 s12, 25
	s_mov_b64 s[2:3], 0
	s_cbranch_scc0 .LBB39_830
; %bb.824:
	s_cmp_gt_i32 s12, 28
	s_cbranch_scc0 .LBB39_831
; %bb.825:
	s_cmp_gt_i32 s12, 43
	;; [unrolled: 3-line block ×3, first 2 shown]
	s_cbranch_scc0 .LBB39_835
; %bb.827:
	s_cmp_eq_u32 s12, 46
	s_mov_b64 s[10:11], 0
	s_cbranch_scc0 .LBB39_838
; %bb.828:
	global_load_dword v3, v[1:2], off
	s_mov_b64 s[0:1], 0
	s_mov_b64 s[8:9], -1
	s_waitcnt vmcnt(0)
	v_lshlrev_b32_e32 v3, 16, v3
	v_cvt_i32_f32_e32 v3, v3
	s_branch .LBB39_839
.LBB39_829:
	s_mov_b64 s[12:13], -1
	s_mov_b64 s[8:9], 0
	s_mov_b64 s[2:3], 0
	;; [unrolled: 1-line block ×3, first 2 shown]
                                        ; implicit-def: $vgpr3
	s_branch .LBB39_898
.LBB39_830:
	s_mov_b64 s[10:11], -1
	s_mov_b64 s[8:9], 0
	s_mov_b64 s[0:1], s[68:69]
                                        ; implicit-def: $vgpr3
	s_branch .LBB39_866
.LBB39_831:
	s_mov_b64 s[10:11], -1
	s_mov_b64 s[8:9], 0
	s_mov_b64 s[0:1], s[68:69]
                                        ; implicit-def: $vgpr3
	s_branch .LBB39_849
.LBB39_832:
	s_mov_b64 s[10:11], -1
	s_mov_b64 s[8:9], 0
	s_mov_b64 s[0:1], s[68:69]
                                        ; implicit-def: $vgpr3
	s_branch .LBB39_844
.LBB39_833:
	s_andn2_saveexec_b64 s[12:13], s[12:13]
	s_cbranch_execz .LBB39_713
.LBB39_834:
	s_mov_b32 s16, 0x46000000
	v_add_f32_e64 v4, |v3|, s16
	v_and_b32_e32 v4, 0xff, v4
	v_cmp_ne_u32_e32 vcc, 0, v4
	s_andn2_b64 s[10:11], s[10:11], exec
	s_and_b64 s[16:17], vcc, exec
	s_or_b64 s[10:11], s[10:11], s[16:17]
	s_or_b64 exec, exec, s[12:13]
	v_mov_b32_e32 v5, 0
	s_and_saveexec_b64 s[12:13], s[10:11]
	s_cbranch_execnz .LBB39_714
	s_branch .LBB39_715
.LBB39_835:
	s_mov_b64 s[10:11], -1
	s_mov_b64 s[8:9], 0
	s_mov_b64 s[0:1], s[68:69]
                                        ; implicit-def: $vgpr3
	s_branch .LBB39_839
.LBB39_836:
	s_andn2_saveexec_b64 s[12:13], s[12:13]
	s_cbranch_execz .LBB39_726
.LBB39_837:
	s_mov_b32 s16, 0x42800000
	v_add_f32_e64 v4, |v3|, s16
	v_and_b32_e32 v4, 0xff, v4
	v_cmp_ne_u32_e32 vcc, 0, v4
	s_andn2_b64 s[10:11], s[10:11], exec
	s_and_b64 s[16:17], vcc, exec
	s_or_b64 s[10:11], s[10:11], s[16:17]
	s_or_b64 exec, exec, s[12:13]
	v_mov_b32_e32 v5, 0
	s_and_saveexec_b64 s[12:13], s[10:11]
	s_cbranch_execnz .LBB39_727
	s_branch .LBB39_728
.LBB39_838:
	s_mov_b64 s[0:1], -1
                                        ; implicit-def: $vgpr3
	s_mov_b64 s[8:9], 0
.LBB39_839:
	s_and_b64 vcc, exec, s[10:11]
	s_cbranch_vccz .LBB39_843
; %bb.840:
	s_cmp_eq_u32 s12, 44
	s_cbranch_scc0 .LBB39_842
; %bb.841:
	global_load_ubyte v3, v[1:2], off
	s_mov_b64 s[0:1], 0
	s_mov_b64 s[8:9], -1
	s_waitcnt vmcnt(0)
	v_lshlrev_b32_e32 v4, 23, v3
	v_cvt_i32_f32_e32 v4, v4
	v_cmp_ne_u32_e32 vcc, 0, v3
	v_cndmask_b32_e32 v3, 0, v4, vcc
	s_branch .LBB39_843
.LBB39_842:
	s_mov_b64 s[0:1], -1
                                        ; implicit-def: $vgpr3
.LBB39_843:
	s_mov_b64 s[10:11], 0
.LBB39_844:
	s_and_b64 vcc, exec, s[10:11]
	s_cbranch_vccz .LBB39_848
; %bb.845:
	s_cmp_eq_u32 s12, 29
	s_cbranch_scc0 .LBB39_847
; %bb.846:
	global_load_dwordx2 v[3:4], v[1:2], off
	s_mov_b64 s[0:1], 0
	s_mov_b64 s[8:9], -1
	s_branch .LBB39_848
.LBB39_847:
	s_mov_b64 s[0:1], -1
                                        ; implicit-def: $vgpr3
.LBB39_848:
	s_mov_b64 s[10:11], 0
.LBB39_849:
	s_and_b64 vcc, exec, s[10:11]
	s_cbranch_vccz .LBB39_865
; %bb.850:
	s_cmp_lt_i32 s12, 27
	s_cbranch_scc1 .LBB39_853
; %bb.851:
	s_cmp_gt_i32 s12, 27
	s_cbranch_scc0 .LBB39_854
; %bb.852:
	global_load_dword v3, v[1:2], off
	s_mov_b64 s[8:9], 0
	s_branch .LBB39_855
.LBB39_853:
	s_mov_b64 s[8:9], -1
                                        ; implicit-def: $vgpr3
	s_branch .LBB39_858
.LBB39_854:
	s_mov_b64 s[8:9], -1
                                        ; implicit-def: $vgpr3
.LBB39_855:
	s_andn2_b64 vcc, exec, s[8:9]
	s_cbranch_vccnz .LBB39_857
; %bb.856:
	global_load_ushort v3, v[1:2], off
.LBB39_857:
	s_mov_b64 s[8:9], 0
.LBB39_858:
	s_andn2_b64 vcc, exec, s[8:9]
	s_cbranch_vccnz .LBB39_864
; %bb.859:
	global_load_ubyte v4, v[1:2], off
	s_movk_i32 s8, 0x7f
	s_mov_b64 s[10:11], 0
	s_waitcnt vmcnt(0)
	v_cmp_lt_i16_e32 vcc, s8, v4
	s_and_saveexec_b64 s[8:9], vcc
	s_xor_b64 s[8:9], exec, s[8:9]
	s_cbranch_execz .LBB39_876
; %bb.860:
	s_movk_i32 s10, 0x80
	v_cmp_ne_u16_e32 vcc, s10, v4
	s_and_b64 s[10:11], vcc, exec
	s_andn2_saveexec_b64 s[8:9], s[8:9]
	s_cbranch_execnz .LBB39_877
.LBB39_861:
	s_or_b64 exec, exec, s[8:9]
	v_mov_b32_e32 v3, 0
	s_and_saveexec_b64 s[8:9], s[10:11]
	s_cbranch_execz .LBB39_863
.LBB39_862:
	v_lshlrev_b32_e32 v3, 24, v4
	v_and_b32_e32 v4, 0xffff, v4
	v_and_b32_e32 v5, 7, v4
	v_ffbh_u32_e32 v7, v5
	v_min_u32_e32 v7, 32, v7
	v_subrev_u32_e32 v8, 28, v7
	v_bfe_u32 v6, v4, 3, 4
	v_lshlrev_b32_e32 v4, v8, v4
	v_sub_u32_e32 v7, 29, v7
	v_and_b32_e32 v4, 7, v4
	v_cmp_eq_u32_e32 vcc, 0, v6
	v_cndmask_b32_e32 v6, v6, v7, vcc
	v_cndmask_b32_e32 v4, v5, v4, vcc
	v_mov_b32_e32 v5, 0x3b800000
	v_lshlrev_b32_e32 v4, 20, v4
	v_and_b32_e32 v3, 0x80000000, v3
	v_lshl_add_u32 v5, v6, 23, v5
	v_or3_b32 v3, v3, v5, v4
	v_cvt_i32_f32_e32 v3, v3
.LBB39_863:
	s_or_b64 exec, exec, s[8:9]
.LBB39_864:
	s_mov_b64 s[8:9], -1
.LBB39_865:
	s_mov_b64 s[10:11], 0
.LBB39_866:
	s_and_b64 vcc, exec, s[10:11]
	s_cbranch_vccz .LBB39_897
; %bb.867:
	s_cmp_gt_i32 s12, 22
	s_cbranch_scc0 .LBB39_875
; %bb.868:
	s_cmp_lt_i32 s12, 24
	s_cbranch_scc1 .LBB39_878
; %bb.869:
	s_cmp_gt_i32 s12, 24
	s_cbranch_scc0 .LBB39_879
; %bb.870:
	global_load_ubyte v4, v[1:2], off
	s_movk_i32 s2, 0x7f
	s_mov_b64 s[8:9], 0
	s_waitcnt vmcnt(0)
	v_cmp_lt_i16_e32 vcc, s2, v4
	s_and_saveexec_b64 s[2:3], vcc
	s_xor_b64 s[2:3], exec, s[2:3]
	s_cbranch_execz .LBB39_891
; %bb.871:
	s_movk_i32 s8, 0x80
	v_cmp_ne_u16_e32 vcc, s8, v4
	s_and_b64 s[8:9], vcc, exec
	s_andn2_saveexec_b64 s[2:3], s[2:3]
	s_cbranch_execnz .LBB39_892
.LBB39_872:
	s_or_b64 exec, exec, s[2:3]
	v_mov_b32_e32 v3, 0
	s_and_saveexec_b64 s[2:3], s[8:9]
	s_cbranch_execz .LBB39_874
.LBB39_873:
	v_lshlrev_b32_e32 v3, 24, v4
	v_and_b32_e32 v4, 0xffff, v4
	v_and_b32_e32 v5, 3, v4
	v_ffbh_u32_e32 v7, v5
	v_min_u32_e32 v7, 32, v7
	v_subrev_u32_e32 v8, 29, v7
	v_bfe_u32 v6, v4, 2, 5
	v_lshlrev_b32_e32 v4, v8, v4
	v_sub_u32_e32 v7, 30, v7
	v_and_b32_e32 v4, 3, v4
	v_cmp_eq_u32_e32 vcc, 0, v6
	v_cndmask_b32_e32 v6, v6, v7, vcc
	v_cndmask_b32_e32 v4, v5, v4, vcc
	v_mov_b32_e32 v5, 0x37800000
	v_lshlrev_b32_e32 v4, 21, v4
	v_and_b32_e32 v3, 0x80000000, v3
	v_lshl_add_u32 v5, v6, 23, v5
	v_or3_b32 v3, v3, v5, v4
	v_cvt_i32_f32_e32 v3, v3
.LBB39_874:
	s_or_b64 exec, exec, s[2:3]
	s_mov_b64 s[2:3], 0
	s_branch .LBB39_880
.LBB39_875:
	s_mov_b64 s[2:3], -1
                                        ; implicit-def: $vgpr3
	s_branch .LBB39_886
.LBB39_876:
	s_andn2_saveexec_b64 s[8:9], s[8:9]
	s_cbranch_execz .LBB39_861
.LBB39_877:
	v_cmp_ne_u16_e32 vcc, 0, v4
	s_andn2_b64 s[10:11], s[10:11], exec
	s_and_b64 s[16:17], vcc, exec
	s_or_b64 s[10:11], s[10:11], s[16:17]
	s_or_b64 exec, exec, s[8:9]
	v_mov_b32_e32 v3, 0
	s_and_saveexec_b64 s[8:9], s[10:11]
	s_cbranch_execnz .LBB39_862
	s_branch .LBB39_863
.LBB39_878:
	s_mov_b64 s[2:3], -1
                                        ; implicit-def: $vgpr3
	s_branch .LBB39_883
.LBB39_879:
	s_mov_b64 s[2:3], -1
                                        ; implicit-def: $vgpr3
.LBB39_880:
	s_and_b64 vcc, exec, s[2:3]
	s_cbranch_vccz .LBB39_882
; %bb.881:
	global_load_ubyte v3, v[1:2], off
	s_mov_b32 s2, 0x7f800000
	s_waitcnt vmcnt(0)
	v_lshlrev_b32_e32 v3, 24, v3
	v_and_b32_e32 v4, 0x7f000000, v3
	v_ffbh_u32_e32 v5, v4
	v_min_u32_e32 v5, 32, v5
	v_sub_u32_e64 v5, v5, 4 clamp
	v_lshlrev_b32_e32 v7, v5, v4
	v_lshlrev_b32_e32 v5, 23, v5
	v_lshrrev_b32_e32 v7, 4, v7
	v_add_u32_e32 v6, 0x1000000, v4
	v_sub_u32_e32 v5, v7, v5
	v_ashrrev_i32_e32 v6, 8, v6
	v_add_u32_e32 v5, 0x3c000000, v5
	v_and_or_b32 v5, v6, s2, v5
	v_cmp_ne_u32_e32 vcc, 0, v4
	v_cndmask_b32_e32 v4, 0, v5, vcc
	s_brev_b32 s2, 1
	v_and_or_b32 v3, v3, s2, v4
	v_cvt_i32_f32_e32 v3, v3
.LBB39_882:
	s_mov_b64 s[2:3], 0
.LBB39_883:
	s_andn2_b64 vcc, exec, s[2:3]
	s_cbranch_vccnz .LBB39_885
; %bb.884:
	global_load_ubyte v3, v[1:2], off
	s_movk_i32 s2, 0x7f00
	s_brev_b32 s3, 16
	s_waitcnt vmcnt(0)
	v_lshlrev_b16_e32 v4, 8, v3
	v_lshlrev_b32_e32 v3, 25, v3
	v_lshrrev_b32_e32 v5, 4, v3
	v_and_or_b32 v6, v4, s2, 0.5
	v_or_b32_e32 v5, 0x70000000, v5
	v_add_f32_e32 v6, -0.5, v6
	v_mul_f32_e32 v5, 0x7800000, v5
	v_cmp_gt_u32_e32 vcc, s3, v3
	v_bfe_i32 v4, v4, 0, 16
	v_cndmask_b32_e32 v3, v5, v6, vcc
	s_brev_b32 s2, 1
	v_and_or_b32 v3, v4, s2, v3
	v_cvt_i32_f32_e32 v3, v3
.LBB39_885:
	s_mov_b64 s[2:3], 0
	s_mov_b64 s[8:9], -1
.LBB39_886:
	s_andn2_b64 vcc, exec, s[2:3]
	s_mov_b64 s[2:3], 0
	s_cbranch_vccnz .LBB39_897
; %bb.887:
	s_cmp_gt_i32 s12, 14
	s_cbranch_scc0 .LBB39_890
; %bb.888:
	s_cmp_eq_u32 s12, 15
	s_cbranch_scc0 .LBB39_893
; %bb.889:
	global_load_ushort v3, v[1:2], off
	s_mov_b64 s[0:1], 0
	s_mov_b64 s[8:9], -1
	s_waitcnt vmcnt(0)
	v_lshlrev_b32_e32 v3, 16, v3
	v_cvt_i32_f32_e32 v3, v3
	s_branch .LBB39_894
.LBB39_890:
	s_mov_b64 s[10:11], -1
                                        ; implicit-def: $vgpr3
	s_branch .LBB39_895
.LBB39_891:
	s_andn2_saveexec_b64 s[2:3], s[2:3]
	s_cbranch_execz .LBB39_872
.LBB39_892:
	v_cmp_ne_u16_e32 vcc, 0, v4
	s_andn2_b64 s[8:9], s[8:9], exec
	s_and_b64 s[10:11], vcc, exec
	s_or_b64 s[8:9], s[8:9], s[10:11]
	s_or_b64 exec, exec, s[2:3]
	v_mov_b32_e32 v3, 0
	s_and_saveexec_b64 s[2:3], s[8:9]
	s_cbranch_execnz .LBB39_873
	s_branch .LBB39_874
.LBB39_893:
	s_mov_b64 s[0:1], -1
                                        ; implicit-def: $vgpr3
.LBB39_894:
	s_mov_b64 s[10:11], 0
.LBB39_895:
	s_and_b64 vcc, exec, s[10:11]
	s_cbranch_vccz .LBB39_897
; %bb.896:
	s_cmp_lg_u32 s12, 11
	s_cselect_b64 s[10:11], -1, 0
	s_andn2_b64 s[0:1], s[0:1], exec
	s_and_b64 s[10:11], s[10:11], exec
	s_mov_b64 s[2:3], -1
	s_or_b64 s[0:1], s[0:1], s[10:11]
.LBB39_897:
	s_mov_b64 s[12:13], 0
.LBB39_898:
	s_and_b64 s[10:11], s[8:9], exec
	s_and_b64 s[8:9], s[12:13], exec
	s_andn2_b64 s[12:13], s[68:69], exec
	s_and_b64 s[0:1], s[0:1], exec
	s_and_b64 s[2:3], s[2:3], exec
	s_or_b64 s[12:13], s[12:13], s[0:1]
.LBB39_899:
	s_or_b64 exec, exec, s[72:73]
	s_and_b64 s[0:1], s[2:3], exec
	s_andn2_b64 s[2:3], s[68:69], exec
	s_and_b64 s[12:13], s[12:13], exec
	s_and_b64 s[10:11], s[10:11], exec
	s_and_b64 s[8:9], s[8:9], exec
	s_or_b64 s[68:69], s[2:3], s[12:13]
.LBB39_900:
	s_or_b64 exec, exec, s[66:67]
	s_andn2_b64 s[2:3], s[62:63], exec
	s_and_b64 s[12:13], s[70:71], exec
	s_or_b64 s[62:63], s[2:3], s[12:13]
	s_and_b64 s[2:3], s[0:1], exec
	s_andn2_b64 s[0:1], s[60:61], exec
	s_and_b64 s[12:13], s[68:69], exec
	s_and_b64 s[10:11], s[10:11], exec
	;; [unrolled: 1-line block ×3, first 2 shown]
	s_or_b64 s[60:61], s[0:1], s[12:13]
.LBB39_901:
	s_or_b64 exec, exec, s[64:65]
	s_andn2_b64 s[0:1], s[54:55], exec
	s_and_b64 s[12:13], s[62:63], exec
	s_or_b64 s[54:55], s[0:1], s[12:13]
	s_and_b64 s[0:1], s[10:11], exec
	s_and_b64 s[10:11], s[8:9], exec
	;; [unrolled: 1-line block ×3, first 2 shown]
	s_andn2_b64 s[2:3], s[56:57], exec
	s_and_b64 s[8:9], s[60:61], exec
	s_or_b64 s[56:57], s[2:3], s[8:9]
	s_or_b64 exec, exec, s[58:59]
	s_mov_b64 s[2:3], 0
	s_and_saveexec_b64 s[8:9], s[56:57]
	s_cbranch_execz .LBB39_270
.LBB39_902:
	s_mov_b64 s[2:3], exec
	s_andn2_b64 s[62:63], s[62:63], exec
	s_trap 2
	s_or_b64 exec, exec, s[8:9]
	s_and_saveexec_b64 s[8:9], s[62:63]
	s_xor_b64 s[8:9], exec, s[8:9]
	s_cbranch_execnz .LBB39_271
.LBB39_903:
	s_or_b64 exec, exec, s[8:9]
	s_and_saveexec_b64 s[8:9], s[10:11]
	s_cbranch_execz .LBB39_949
.LBB39_904:
	s_sext_i32_i16 s10, s14
	s_cmp_lt_i32 s10, 5
	s_cbranch_scc1 .LBB39_909
; %bb.905:
	s_cmp_lt_i32 s10, 8
	s_cbranch_scc1 .LBB39_910
; %bb.906:
	;; [unrolled: 3-line block ×3, first 2 shown]
	s_cmp_gt_i32 s10, 9
	s_cbranch_scc0 .LBB39_912
; %bb.908:
	global_load_dwordx2 v[3:4], v[1:2], off
	s_mov_b64 s[10:11], 0
	s_waitcnt vmcnt(0)
	v_cvt_i32_f64_e32 v3, v[3:4]
	s_branch .LBB39_913
.LBB39_909:
                                        ; implicit-def: $vgpr3
	s_branch .LBB39_930
.LBB39_910:
                                        ; implicit-def: $vgpr3
	s_branch .LBB39_919
.LBB39_911:
	s_mov_b64 s[10:11], -1
                                        ; implicit-def: $vgpr3
	s_branch .LBB39_916
.LBB39_912:
	s_mov_b64 s[10:11], -1
                                        ; implicit-def: $vgpr3
.LBB39_913:
	s_andn2_b64 vcc, exec, s[10:11]
	s_cbranch_vccnz .LBB39_915
; %bb.914:
	global_load_dword v3, v[1:2], off
	s_waitcnt vmcnt(0)
	v_cvt_i32_f32_e32 v3, v3
.LBB39_915:
	s_mov_b64 s[10:11], 0
.LBB39_916:
	s_andn2_b64 vcc, exec, s[10:11]
	s_cbranch_vccnz .LBB39_918
; %bb.917:
	global_load_dword v3, v[1:2], off
	s_waitcnt vmcnt(0)
	v_cvt_i16_f16_e32 v3, v3
.LBB39_918:
	s_cbranch_execnz .LBB39_929
.LBB39_919:
	s_sext_i32_i16 s10, s14
	s_cmp_lt_i32 s10, 6
	s_cbranch_scc1 .LBB39_922
; %bb.920:
	s_cmp_gt_i32 s10, 6
	s_cbranch_scc0 .LBB39_923
; %bb.921:
	global_load_dwordx2 v[3:4], v[1:2], off
	s_mov_b64 s[10:11], 0
	s_waitcnt vmcnt(0)
	v_cvt_i32_f64_e32 v3, v[3:4]
	s_branch .LBB39_924
.LBB39_922:
	s_mov_b64 s[10:11], -1
                                        ; implicit-def: $vgpr3
	s_branch .LBB39_927
.LBB39_923:
	s_mov_b64 s[10:11], -1
                                        ; implicit-def: $vgpr3
.LBB39_924:
	s_andn2_b64 vcc, exec, s[10:11]
	s_cbranch_vccnz .LBB39_926
; %bb.925:
	global_load_dword v3, v[1:2], off
	s_waitcnt vmcnt(0)
	v_cvt_i32_f32_e32 v3, v3
.LBB39_926:
	s_mov_b64 s[10:11], 0
.LBB39_927:
	s_andn2_b64 vcc, exec, s[10:11]
	s_cbranch_vccnz .LBB39_929
; %bb.928:
	global_load_ushort v3, v[1:2], off
	s_waitcnt vmcnt(0)
	v_cvt_i16_f16_e32 v3, v3
.LBB39_929:
	s_cbranch_execnz .LBB39_948
.LBB39_930:
	s_sext_i32_i16 s10, s14
	s_cmp_lt_i32 s10, 2
	s_cbranch_scc1 .LBB39_934
; %bb.931:
	s_cmp_lt_i32 s10, 3
	s_cbranch_scc1 .LBB39_935
; %bb.932:
	s_cmp_gt_i32 s10, 3
	s_cbranch_scc0 .LBB39_936
; %bb.933:
	global_load_dwordx2 v[3:4], v[1:2], off
	s_mov_b64 s[10:11], 0
	s_branch .LBB39_937
.LBB39_934:
                                        ; implicit-def: $vgpr3
	s_branch .LBB39_943
.LBB39_935:
	s_mov_b64 s[10:11], -1
                                        ; implicit-def: $vgpr3
	s_branch .LBB39_940
.LBB39_936:
	s_mov_b64 s[10:11], -1
                                        ; implicit-def: $vgpr3
.LBB39_937:
	s_andn2_b64 vcc, exec, s[10:11]
	s_cbranch_vccnz .LBB39_939
; %bb.938:
	global_load_dword v3, v[1:2], off
.LBB39_939:
	s_mov_b64 s[10:11], 0
.LBB39_940:
	s_andn2_b64 vcc, exec, s[10:11]
	s_cbranch_vccnz .LBB39_942
; %bb.941:
	global_load_ushort v3, v[1:2], off
.LBB39_942:
	s_cbranch_execnz .LBB39_948
.LBB39_943:
	s_sext_i32_i16 s10, s14
	s_cmp_gt_i32 s10, 0
	s_cbranch_scc0 .LBB39_945
; %bb.944:
	global_load_ubyte v3, v[1:2], off
	s_mov_b64 s[10:11], 0
	s_branch .LBB39_946
.LBB39_945:
	s_mov_b64 s[10:11], -1
                                        ; implicit-def: $vgpr3
.LBB39_946:
	s_andn2_b64 vcc, exec, s[10:11]
	s_cbranch_vccnz .LBB39_948
; %bb.947:
	global_load_ubyte v3, v[1:2], off
.LBB39_948:
	s_or_b64 s[0:1], s[0:1], exec
.LBB39_949:
	s_or_b64 exec, exec, s[8:9]
	s_mov_b64 s[12:13], 0
	s_mov_b64 s[10:11], 0
                                        ; implicit-def: $sgpr18
                                        ; implicit-def: $vgpr1_vgpr2
                                        ; implicit-def: $vgpr4
	s_and_saveexec_b64 s[8:9], s[0:1]
	s_cbranch_execz .LBB39_957
; %bb.950:
	s_waitcnt vmcnt(0)
	v_lshlrev_b32_e32 v1, s76, v3
	v_cndmask_b32_e64 v4, v1, 0, s[44:45]
	s_waitcnt lgkmcnt(0)
	v_mov_b32_e32 v2, s25
	s_and_b32 s18, s75, 0xff
	v_add_co_u32_e32 v1, vcc, s24, v0
	s_cmp_lt_i32 s18, 11
	v_addc_co_u32_e32 v2, vcc, 0, v2, vcc
	s_cbranch_scc1 .LBB39_960
; %bb.951:
	s_and_b32 s19, 0xffff, s18
	s_mov_b64 s[12:13], -1
	s_cmp_gt_i32 s19, 25
	s_mov_b64 s[0:1], s[54:55]
	s_cbranch_scc0 .LBB39_988
; %bb.952:
	s_mov_b64 s[10:11], -1
	s_cmp_gt_i32 s19, 28
	s_mov_b64 s[0:1], s[54:55]
	s_cbranch_scc0 .LBB39_972
; %bb.953:
	s_cmp_gt_i32 s19, 43
	s_mov_b64 s[0:1], s[54:55]
	s_cbranch_scc0 .LBB39_968
; %bb.954:
	;; [unrolled: 4-line block ×3, first 2 shown]
	s_cmp_eq_u32 s19, 46
	s_mov_b64 s[0:1], -1
	s_cbranch_scc0 .LBB39_961
; %bb.956:
	v_bfe_i32 v0, v4, 0, 8
	v_cvt_f32_i32_sdwa v0, sext(v0) dst_sel:DWORD dst_unused:UNUSED_PAD src0_sel:WORD_0
	s_movk_i32 s0, 0x7fff
	s_mov_b64 s[10:11], 0
	v_bfe_u32 v3, v0, 16, 1
	v_add3_u32 v0, v0, v3, s0
	v_lshrrev_b32_e32 v0, 16, v0
	global_store_dword v[1:2], v0, off
	s_mov_b64 s[0:1], 0
	s_branch .LBB39_962
.LBB39_957:
	s_or_b64 exec, exec, s[8:9]
	s_and_saveexec_b64 s[0:1], s[54:55]
	s_cbranch_execnz .LBB39_1030
.LBB39_958:
	s_or_b64 exec, exec, s[0:1]
	s_and_saveexec_b64 s[0:1], s[12:13]
	s_xor_b64 s[0:1], exec, s[0:1]
	s_cbranch_execz .LBB39_1031
.LBB39_959:
	v_mov_b32_e32 v0, 0
	s_waitcnt vmcnt(0)
	v_cmp_ne_u16_sdwa s[8:9], v4, v0 src0_sel:BYTE_0 src1_sel:DWORD
	v_cndmask_b32_e64 v0, 0, 1, s[8:9]
	global_store_byte v[1:2], v0, off
	s_or_b64 exec, exec, s[0:1]
	s_and_saveexec_b64 s[0:1], s[10:11]
	s_xor_b64 s[0:1], exec, s[0:1]
	s_cbranch_execz .LBB39_1069
	s_branch .LBB39_1032
.LBB39_960:
	s_mov_b64 s[10:11], -1
	s_mov_b64 s[0:1], s[54:55]
	s_branch .LBB39_1029
.LBB39_961:
	s_mov_b64 s[10:11], 0
.LBB39_962:
	s_and_b64 vcc, exec, s[10:11]
	s_cbranch_vccz .LBB39_967
; %bb.963:
	s_cmp_eq_u32 s19, 44
	s_mov_b64 s[0:1], -1
	s_cbranch_scc0 .LBB39_967
; %bb.964:
	v_bfe_i32 v0, v4, 0, 8
	v_cvt_f32_i32_sdwa v0, sext(v0) dst_sel:DWORD dst_unused:UNUSED_PAD src0_sel:WORD_0
	s_movk_i32 s0, 0xff
	v_mov_b32_e32 v5, 0xff
	v_bfe_u32 v3, v0, 23, 8
	v_cmp_ne_u32_e32 vcc, s0, v3
	s_and_saveexec_b64 s[10:11], vcc
; %bb.965:
	s_mov_b32 s0, 0x3fffff
	v_lshrrev_b32_e32 v5, 23, v0
	v_and_b32_e32 v6, 0x400000, v0
	v_and_or_b32 v0, v0, s0, v3
	v_cmp_ne_u32_e32 vcc, 0, v6
	v_cmp_ne_u32_e64 s[0:1], 0, v0
	s_and_b64 s[0:1], vcc, s[0:1]
	v_cndmask_b32_e64 v0, 0, 1, s[0:1]
	v_add_u32_e32 v5, v5, v0
; %bb.966:
	s_or_b64 exec, exec, s[10:11]
	s_mov_b64 s[0:1], 0
	global_store_byte v[1:2], v5, off
.LBB39_967:
	s_mov_b64 s[10:11], 0
.LBB39_968:
	s_and_b64 vcc, exec, s[10:11]
	s_cbranch_vccz .LBB39_971
; %bb.969:
	s_cmp_eq_u32 s19, 29
	s_mov_b64 s[0:1], -1
	s_cbranch_scc0 .LBB39_971
; %bb.970:
	v_bfe_i32 v5, v4, 0, 8
	v_ashrrev_i32_e32 v6, 31, v5
	global_store_dwordx2 v[1:2], v[5:6], off
	s_mov_b64 s[0:1], 0
.LBB39_971:
	s_mov_b64 s[10:11], 0
.LBB39_972:
	s_and_b64 vcc, exec, s[10:11]
	s_cbranch_vccz .LBB39_987
; %bb.973:
	s_cmp_lt_i32 s19, 27
	s_mov_b64 s[10:11], -1
	s_cbranch_scc1 .LBB39_979
; %bb.974:
	s_cmp_gt_i32 s19, 27
	s_cbranch_scc0 .LBB39_976
; %bb.975:
	v_bfe_i32 v0, v4, 0, 8
	s_mov_b64 s[10:11], 0
	global_store_dword v[1:2], v0, off
.LBB39_976:
	s_andn2_b64 vcc, exec, s[10:11]
	s_cbranch_vccnz .LBB39_978
; %bb.977:
	v_bfe_i32 v0, v4, 0, 8
	global_store_short v[1:2], v0, off
.LBB39_978:
	s_mov_b64 s[10:11], 0
.LBB39_979:
	s_andn2_b64 vcc, exec, s[10:11]
	s_cbranch_vccnz .LBB39_987
; %bb.980:
	v_bfe_i32 v0, v4, 0, 8
	v_cvt_f32_i32_sdwa v0, sext(v0) dst_sel:DWORD dst_unused:UNUSED_PAD src0_sel:WORD_0
	s_mov_b32 s10, 0x43800000
	v_mov_b32_e32 v5, 0x80
	v_and_b32_e32 v3, 0x7fffffff, v0
	v_cmp_gt_u32_e32 vcc, s10, v3
	s_and_saveexec_b64 s[10:11], vcc
	s_cbranch_execz .LBB39_986
; %bb.981:
	s_mov_b32 s12, 0x3bffffff
	v_cmp_lt_u32_e32 vcc, s12, v3
	s_mov_b64 s[12:13], 0
                                        ; implicit-def: $vgpr3
	s_and_saveexec_b64 s[14:15], vcc
	s_xor_b64 s[14:15], exec, s[14:15]
	s_cbranch_execz .LBB39_1140
; %bb.982:
	v_bfe_u32 v3, v0, 20, 1
	s_mov_b32 s16, 0x487ffff
	v_add3_u32 v3, v0, v3, s16
	s_mov_b64 s[12:13], exec
	v_lshrrev_b32_e32 v3, 20, v3
	s_andn2_saveexec_b64 s[14:15], s[14:15]
	s_cbranch_execnz .LBB39_1141
.LBB39_983:
	s_or_b64 exec, exec, s[14:15]
	v_mov_b32_e32 v5, 0
	s_and_saveexec_b64 s[14:15], s[12:13]
.LBB39_984:
	v_lshrrev_b32_e32 v0, 24, v0
	s_movk_i32 s12, 0x80
	v_and_or_b32 v5, v0, s12, v3
.LBB39_985:
	s_or_b64 exec, exec, s[14:15]
.LBB39_986:
	s_or_b64 exec, exec, s[10:11]
	global_store_byte v[1:2], v5, off
.LBB39_987:
	s_mov_b64 s[12:13], 0
.LBB39_988:
	s_mov_b64 s[10:11], 0
	s_and_b64 vcc, exec, s[12:13]
	s_cbranch_vccz .LBB39_1028
; %bb.989:
	s_cmp_gt_i32 s19, 22
	s_mov_b64 s[12:13], -1
	s_cbranch_scc0 .LBB39_1021
; %bb.990:
	s_cmp_lt_i32 s19, 24
	s_cbranch_scc1 .LBB39_1010
; %bb.991:
	s_cmp_gt_i32 s19, 24
	s_cbranch_scc0 .LBB39_999
; %bb.992:
	v_bfe_i32 v0, v4, 0, 8
	v_cvt_f32_i32_sdwa v0, sext(v0) dst_sel:DWORD dst_unused:UNUSED_PAD src0_sel:WORD_0
	s_mov_b32 s12, 0x47800000
	v_mov_b32_e32 v5, 0x80
	v_and_b32_e32 v3, 0x7fffffff, v0
	v_cmp_gt_u32_e32 vcc, s12, v3
	s_and_saveexec_b64 s[12:13], vcc
	s_cbranch_execz .LBB39_998
; %bb.993:
	s_mov_b32 s14, 0x37ffffff
	v_cmp_lt_u32_e32 vcc, s14, v3
	s_mov_b64 s[14:15], 0
                                        ; implicit-def: $vgpr3
	s_and_saveexec_b64 s[16:17], vcc
	s_xor_b64 s[16:17], exec, s[16:17]
	s_cbranch_execz .LBB39_1260
; %bb.994:
	v_bfe_u32 v3, v0, 21, 1
	s_mov_b32 s20, 0x88fffff
	v_add3_u32 v3, v0, v3, s20
	s_mov_b64 s[14:15], exec
	v_lshrrev_b32_e32 v3, 21, v3
	s_andn2_saveexec_b64 s[16:17], s[16:17]
	s_cbranch_execnz .LBB39_1261
.LBB39_995:
	s_or_b64 exec, exec, s[16:17]
	v_mov_b32_e32 v5, 0
	s_and_saveexec_b64 s[16:17], s[14:15]
.LBB39_996:
	v_lshrrev_b32_e32 v0, 24, v0
	s_movk_i32 s14, 0x80
	v_and_or_b32 v5, v0, s14, v3
.LBB39_997:
	s_or_b64 exec, exec, s[16:17]
.LBB39_998:
	s_or_b64 exec, exec, s[12:13]
	s_mov_b64 s[12:13], 0
	global_store_byte v[1:2], v5, off
.LBB39_999:
	s_and_b64 vcc, exec, s[12:13]
	s_cbranch_vccz .LBB39_1009
; %bb.1000:
	v_bfe_i32 v0, v4, 0, 8
	v_cvt_f32_i32_sdwa v0, sext(v0) dst_sel:DWORD dst_unused:UNUSED_PAD src0_sel:WORD_0
	s_mov_b32 s12, 0x43f00000
                                        ; implicit-def: $vgpr3
	v_and_b32_e32 v5, 0x7fffffff, v0
	v_cmp_gt_u32_e32 vcc, s12, v5
	s_and_saveexec_b64 s[12:13], vcc
	s_xor_b64 s[12:13], exec, s[12:13]
	s_cbranch_execz .LBB39_1006
; %bb.1001:
	s_mov_b32 s14, 0x3c7fffff
	v_cmp_lt_u32_e32 vcc, s14, v5
                                        ; implicit-def: $vgpr3
	s_and_saveexec_b64 s[14:15], vcc
	s_xor_b64 s[14:15], exec, s[14:15]
; %bb.1002:
	v_bfe_u32 v3, v0, 20, 1
	s_mov_b32 s16, 0x407ffff
	v_add3_u32 v3, v0, v3, s16
	v_lshrrev_b32_e32 v5, 20, v3
	v_and_b32_e32 v3, 0xff00000, v3
	s_mov_b32 s16, 0x7f00000
	v_mov_b32_e32 v6, 0x7e
	v_cmp_ne_u32_e32 vcc, s16, v3
	v_cndmask_b32_e32 v3, v6, v5, vcc
; %bb.1003:
	s_andn2_saveexec_b64 s[14:15], s[14:15]
; %bb.1004:
	s_mov_b32 s16, 0x46800000
	v_add_f32_e64 v3, |v0|, s16
; %bb.1005:
	s_or_b64 exec, exec, s[14:15]
                                        ; implicit-def: $vgpr5
.LBB39_1006:
	s_andn2_saveexec_b64 s[12:13], s[12:13]
; %bb.1007:
	s_mov_b32 s14, 0x7f800000
	v_mov_b32_e32 v3, 0x7e
	v_mov_b32_e32 v6, 0x7f
	v_cmp_lt_u32_e32 vcc, s14, v5
	v_cndmask_b32_e32 v3, v3, v6, vcc
; %bb.1008:
	s_or_b64 exec, exec, s[12:13]
	v_lshrrev_b32_e32 v0, 24, v0
	s_movk_i32 s12, 0x80
	v_and_or_b32 v0, v0, s12, v3
	global_store_byte v[1:2], v0, off
.LBB39_1009:
	s_mov_b64 s[12:13], 0
.LBB39_1010:
	s_andn2_b64 vcc, exec, s[12:13]
	s_cbranch_vccnz .LBB39_1020
; %bb.1011:
	v_bfe_i32 v0, v4, 0, 8
	v_cvt_f32_i32_sdwa v0, sext(v0) dst_sel:DWORD dst_unused:UNUSED_PAD src0_sel:WORD_0
	s_mov_b32 s12, 0x47800000
                                        ; implicit-def: $vgpr3
	v_and_b32_e32 v5, 0x7fffffff, v0
	v_cmp_gt_u32_e32 vcc, s12, v5
	s_and_saveexec_b64 s[12:13], vcc
	s_xor_b64 s[12:13], exec, s[12:13]
	s_cbranch_execz .LBB39_1017
; %bb.1012:
	s_mov_b32 s14, 0x387fffff
	v_cmp_lt_u32_e32 vcc, s14, v5
                                        ; implicit-def: $vgpr3
	s_and_saveexec_b64 s[14:15], vcc
	s_xor_b64 s[14:15], exec, s[14:15]
; %bb.1013:
	v_bfe_u32 v3, v0, 21, 1
	s_mov_b32 s16, 0x80fffff
	v_add3_u32 v3, v0, v3, s16
	v_lshrrev_b32_e32 v3, 21, v3
; %bb.1014:
	s_andn2_saveexec_b64 s[14:15], s[14:15]
; %bb.1015:
	s_mov_b32 s16, 0x43000000
	v_add_f32_e64 v3, |v0|, s16
; %bb.1016:
	s_or_b64 exec, exec, s[14:15]
                                        ; implicit-def: $vgpr5
.LBB39_1017:
	s_andn2_saveexec_b64 s[12:13], s[12:13]
; %bb.1018:
	s_mov_b32 s14, 0x7f800000
	v_mov_b32_e32 v3, 0x7c
	v_mov_b32_e32 v6, 0x7f
	v_cmp_lt_u32_e32 vcc, s14, v5
	v_cndmask_b32_e32 v3, v3, v6, vcc
; %bb.1019:
	s_or_b64 exec, exec, s[12:13]
	v_lshrrev_b32_e32 v0, 24, v0
	s_movk_i32 s12, 0x80
	v_and_or_b32 v0, v0, s12, v3
	global_store_byte v[1:2], v0, off
.LBB39_1020:
	s_mov_b64 s[12:13], 0
.LBB39_1021:
	s_andn2_b64 vcc, exec, s[12:13]
	s_mov_b64 s[12:13], 0
	s_cbranch_vccnz .LBB39_1029
; %bb.1022:
	s_cmp_gt_i32 s19, 14
	s_mov_b64 s[14:15], -1
	s_cbranch_scc0 .LBB39_1026
; %bb.1023:
	s_cmp_eq_u32 s19, 15
	s_mov_b64 s[0:1], -1
	s_cbranch_scc0 .LBB39_1025
; %bb.1024:
	v_bfe_i32 v0, v4, 0, 8
	v_cvt_f32_i32_sdwa v0, sext(v0) dst_sel:DWORD dst_unused:UNUSED_PAD src0_sel:WORD_0
	s_movk_i32 s0, 0x7fff
	v_bfe_u32 v3, v0, 16, 1
	v_add3_u32 v0, v0, v3, s0
	global_store_short_d16_hi v[1:2], v0, off
	s_mov_b64 s[0:1], 0
.LBB39_1025:
	s_mov_b64 s[14:15], 0
.LBB39_1026:
	s_and_b64 vcc, exec, s[14:15]
	s_cbranch_vccz .LBB39_1029
; %bb.1027:
	s_cmp_lg_u32 s19, 11
	s_cselect_b64 s[14:15], -1, 0
	s_andn2_b64 s[0:1], s[0:1], exec
	s_and_b64 s[14:15], s[14:15], exec
	s_mov_b64 s[12:13], -1
	s_or_b64 s[0:1], s[0:1], s[14:15]
	s_branch .LBB39_1029
.LBB39_1028:
	s_mov_b64 s[12:13], 0
.LBB39_1029:
	s_andn2_b64 s[14:15], s[54:55], exec
	s_and_b64 s[0:1], s[0:1], exec
	s_and_b64 s[10:11], s[10:11], exec
	;; [unrolled: 1-line block ×3, first 2 shown]
	s_or_b64 s[54:55], s[14:15], s[0:1]
	s_or_b64 exec, exec, s[8:9]
	s_and_saveexec_b64 s[0:1], s[54:55]
	s_cbranch_execz .LBB39_958
.LBB39_1030:
	s_or_b64 s[2:3], s[2:3], exec
	s_andn2_b64 s[12:13], s[12:13], exec
	s_trap 2
	s_or_b64 exec, exec, s[0:1]
	s_and_saveexec_b64 s[0:1], s[12:13]
	s_xor_b64 s[0:1], exec, s[0:1]
	s_cbranch_execnz .LBB39_959
.LBB39_1031:
	s_or_b64 exec, exec, s[0:1]
	s_and_saveexec_b64 s[0:1], s[10:11]
	s_xor_b64 s[0:1], exec, s[0:1]
	s_cbranch_execz .LBB39_1069
.LBB39_1032:
	s_sext_i32_i16 s10, s18
	s_cmp_lt_i32 s10, 5
	s_mov_b64 s[8:9], -1
	s_cbranch_scc1 .LBB39_1053
; %bb.1033:
	s_cmp_lt_i32 s10, 8
	s_cbranch_scc1 .LBB39_1043
; %bb.1034:
	s_cmp_lt_i32 s10, 9
	s_cbranch_scc1 .LBB39_1040
; %bb.1035:
	s_cmp_gt_i32 s10, 9
	s_cbranch_scc0 .LBB39_1037
; %bb.1036:
	s_waitcnt vmcnt(0)
	v_bfe_i32 v0, v4, 0, 8
	v_bfe_i32 v0, v0, 0, 16
	v_cvt_f64_i32_e32 v[5:6], v0
	v_mov_b32_e32 v7, 0
	v_mov_b32_e32 v8, v7
	s_mov_b64 s[8:9], 0
	global_store_dwordx4 v[1:2], v[5:8], off
.LBB39_1037:
	s_andn2_b64 vcc, exec, s[8:9]
	s_cbranch_vccnz .LBB39_1039
; %bb.1038:
	s_waitcnt vmcnt(0)
	v_bfe_i32 v0, v4, 0, 8
	v_cvt_f32_i32_sdwa v5, sext(v0) dst_sel:DWORD dst_unused:UNUSED_PAD src0_sel:WORD_0
	v_mov_b32_e32 v6, 0
	global_store_dwordx2 v[1:2], v[5:6], off
.LBB39_1039:
	s_mov_b64 s[8:9], 0
.LBB39_1040:
	s_andn2_b64 vcc, exec, s[8:9]
	s_cbranch_vccnz .LBB39_1042
; %bb.1041:
	s_waitcnt vmcnt(0)
	v_cvt_f16_i16_sdwa v0, sext(v4) dst_sel:DWORD dst_unused:UNUSED_PAD src0_sel:BYTE_0
	global_store_dword v[1:2], v0, off
.LBB39_1042:
	s_mov_b64 s[8:9], 0
.LBB39_1043:
	s_andn2_b64 vcc, exec, s[8:9]
	s_cbranch_vccnz .LBB39_1052
; %bb.1044:
	s_sext_i32_i16 s10, s18
	s_cmp_lt_i32 s10, 6
	s_mov_b64 s[8:9], -1
	s_cbranch_scc1 .LBB39_1050
; %bb.1045:
	s_cmp_gt_i32 s10, 6
	s_cbranch_scc0 .LBB39_1047
; %bb.1046:
	s_waitcnt vmcnt(0)
	v_bfe_i32 v0, v4, 0, 8
	v_bfe_i32 v0, v0, 0, 16
	v_cvt_f64_i32_e32 v[5:6], v0
	s_mov_b64 s[8:9], 0
	global_store_dwordx2 v[1:2], v[5:6], off
.LBB39_1047:
	s_andn2_b64 vcc, exec, s[8:9]
	s_cbranch_vccnz .LBB39_1049
; %bb.1048:
	s_waitcnt vmcnt(0)
	v_bfe_i32 v0, v4, 0, 8
	v_cvt_f32_i32_sdwa v0, sext(v0) dst_sel:DWORD dst_unused:UNUSED_PAD src0_sel:WORD_0
	global_store_dword v[1:2], v0, off
.LBB39_1049:
	s_mov_b64 s[8:9], 0
.LBB39_1050:
	s_andn2_b64 vcc, exec, s[8:9]
	s_cbranch_vccnz .LBB39_1052
; %bb.1051:
	s_waitcnt vmcnt(0)
	v_cvt_f16_i16_sdwa v0, sext(v4) dst_sel:DWORD dst_unused:UNUSED_PAD src0_sel:BYTE_0
	global_store_short v[1:2], v0, off
.LBB39_1052:
	s_mov_b64 s[8:9], 0
.LBB39_1053:
	s_andn2_b64 vcc, exec, s[8:9]
	s_cbranch_vccnz .LBB39_1069
; %bb.1054:
	s_sext_i32_i16 s10, s18
	s_cmp_lt_i32 s10, 2
	s_mov_b64 s[8:9], -1
	s_cbranch_scc1 .LBB39_1064
; %bb.1055:
	s_cmp_lt_i32 s10, 3
	s_cbranch_scc1 .LBB39_1061
; %bb.1056:
	s_cmp_gt_i32 s10, 3
	s_cbranch_scc0 .LBB39_1058
; %bb.1057:
	s_waitcnt vmcnt(0)
	v_bfe_i32 v5, v4, 0, 8
	v_ashrrev_i32_e32 v6, 31, v5
	s_mov_b64 s[8:9], 0
	global_store_dwordx2 v[1:2], v[5:6], off
.LBB39_1058:
	s_andn2_b64 vcc, exec, s[8:9]
	s_cbranch_vccnz .LBB39_1060
; %bb.1059:
	s_waitcnt vmcnt(0)
	v_bfe_i32 v0, v4, 0, 8
	global_store_dword v[1:2], v0, off
.LBB39_1060:
	s_mov_b64 s[8:9], 0
.LBB39_1061:
	s_andn2_b64 vcc, exec, s[8:9]
	s_cbranch_vccnz .LBB39_1063
; %bb.1062:
	s_waitcnt vmcnt(0)
	v_bfe_i32 v0, v4, 0, 8
	global_store_short v[1:2], v0, off
.LBB39_1063:
	s_mov_b64 s[8:9], 0
.LBB39_1064:
	s_andn2_b64 vcc, exec, s[8:9]
	s_cbranch_vccnz .LBB39_1069
; %bb.1065:
	s_sext_i32_i16 s8, s18
	s_cmp_gt_i32 s8, 0
	s_mov_b64 s[8:9], -1
	s_cbranch_scc0 .LBB39_1067
; %bb.1066:
	s_mov_b64 s[8:9], 0
	s_waitcnt vmcnt(0)
	global_store_byte v[1:2], v4, off
.LBB39_1067:
	s_andn2_b64 vcc, exec, s[8:9]
	s_cbranch_vccnz .LBB39_1069
; %bb.1068:
	s_waitcnt vmcnt(0)
	global_store_byte v[1:2], v4, off
.LBB39_1069:
	s_or_b64 exec, exec, s[0:1]
	s_waitcnt lgkmcnt(0)
	s_and_b64 s[28:29], s[2:3], exec
                                        ; implicit-def: $vgpr15
                                        ; implicit-def: $vgpr8
.LBB39_1070:
	s_or_saveexec_b64 s[30:31], s[42:43]
	s_mov_b64 s[0:1], 0
                                        ; implicit-def: $vgpr0_vgpr1
                                        ; implicit-def: $sgpr16
                                        ; implicit-def: $vgpr2
	s_xor_b64 exec, exec, s[30:31]
	s_cbranch_execz .LBB39_2057
; %bb.1071:
	v_cndmask_b32_e64 v0, 0, 1, s[40:41]
	v_cmp_ne_u32_e64 s[0:1], 1, v0
	s_andn2_b64 vcc, exec, s[40:41]
	s_cbranch_vccnz .LBB39_1077
; %bb.1072:
	s_cmp_lg_u32 s33, 0
	s_mov_b32 s36, 0
	s_cbranch_scc0 .LBB39_1078
; %bb.1073:
	s_min_u32 s37, s74, 15
	s_add_i32 s37, s37, 1
	s_cmp_eq_u32 s74, 2
	s_cbranch_scc1 .LBB39_1079
; %bb.1074:
	s_and_b32 s36, s37, 28
	s_add_u32 s2, s34, 0xc4
	s_addc_u32 s3, s35, 0
	v_mov_b32_e32 v13, 0
	s_mov_b32 s38, 0
	s_mov_b64 s[6:7], s[34:35]
	v_mov_b32_e32 v6, 0
	v_mov_b32_e32 v0, v8
.LBB39_1075:                            ; =>This Inner Loop Header: Depth=1
	s_load_dwordx8 s[16:23], s[6:7], 0x4
	s_load_dwordx4 s[24:27], s[6:7], 0x24
	s_load_dwordx8 s[8:15], s[2:3], 0x0
	s_add_u32 s6, s6, 48
	s_addc_u32 s7, s7, 0
	s_waitcnt lgkmcnt(0)
	v_mul_hi_u32 v1, s17, v0
	s_add_i32 s38, s38, 4
	s_add_u32 s2, s2, 32
	s_addc_u32 s3, s3, 0
	v_add_u32_e32 v1, v0, v1
	v_lshrrev_b32_e32 v1, s18, v1
	v_mul_lo_u32 v2, v1, s16
	s_waitcnt vmcnt(0)
	v_mul_hi_u32 v3, s20, v1
	s_cmp_lg_u32 s36, s38
	v_sub_u32_e32 v0, v0, v2
	v_add_u32_e32 v2, v1, v3
	v_mul_lo_u32 v3, v0, s8
	v_mul_lo_u32 v4, v0, s9
	v_lshrrev_b32_e32 v0, s21, v2
	v_mul_lo_u32 v2, v0, s19
	v_mul_hi_u32 v5, s23, v0
	v_sub_u32_e32 v1, v1, v2
	v_add_u32_e32 v2, v0, v5
	v_lshrrev_b32_e32 v2, s24, v2
	v_mul_hi_u32 v7, s26, v2
	v_mul_lo_u32 v9, v2, s22
	v_mul_lo_u32 v5, v1, s10
	;; [unrolled: 1-line block ×3, first 2 shown]
	v_sub_u32_e32 v9, v0, v9
	v_add_u32_e32 v0, v2, v7
	v_lshrrev_b32_e32 v0, s27, v0
	v_mul_lo_u32 v7, v0, s25
	v_mul_lo_u32 v10, v9, s12
	;; [unrolled: 1-line block ×3, first 2 shown]
	v_add3_u32 v3, v3, v6, v5
	v_sub_u32_e32 v2, v2, v7
	v_mul_lo_u32 v7, v2, s14
	v_mul_lo_u32 v2, v2, s15
	v_add3_u32 v1, v4, v13, v1
	v_add3_u32 v6, v10, v3, v7
	;; [unrolled: 1-line block ×3, first 2 shown]
	s_cbranch_scc1 .LBB39_1075
; %bb.1076:
	s_and_b32 s8, s37, 3
	s_cmp_eq_u32 s8, 0
	s_cbranch_scc0 .LBB39_1080
	s_branch .LBB39_1082
.LBB39_1077:
                                        ; implicit-def: $vgpr6
                                        ; implicit-def: $vgpr13
	s_branch .LBB39_1083
.LBB39_1078:
	v_mov_b32_e32 v6, 0
	v_mov_b32_e32 v13, 0
	s_branch .LBB39_1082
.LBB39_1079:
	v_mov_b32_e32 v6, 0
	v_mov_b32_e32 v13, 0
	;; [unrolled: 1-line block ×3, first 2 shown]
	s_and_b32 s8, s37, 3
	s_cmp_eq_u32 s8, 0
	s_cbranch_scc1 .LBB39_1082
.LBB39_1080:
	s_lshl_b32 s2, s36, 3
	s_add_u32 s2, s34, s2
	s_addc_u32 s3, s35, 0
	s_add_u32 s2, s2, 0xc4
	s_addc_u32 s3, s3, 0
	s_mul_i32 s6, s36, 12
	s_add_u32 s6, s34, s6
	s_addc_u32 s7, s35, 0
.LBB39_1081:                            ; =>This Inner Loop Header: Depth=1
	s_load_dwordx2 s[10:11], s[6:7], 0x4
	s_load_dword s9, s[6:7], 0xc
	s_load_dwordx2 s[12:13], s[2:3], 0x0
	s_add_u32 s6, s6, 12
	s_addc_u32 s7, s7, 0
	s_waitcnt lgkmcnt(0)
	v_mul_hi_u32 v1, s11, v0
	s_add_u32 s2, s2, 8
	s_addc_u32 s3, s3, 0
	s_add_i32 s8, s8, -1
	v_add_u32_e32 v1, v0, v1
	v_lshrrev_b32_e32 v1, s9, v1
	v_mul_lo_u32 v2, v1, s10
	s_cmp_lg_u32 s8, 0
	v_sub_u32_e32 v0, v0, v2
	v_mad_u64_u32 v[6:7], s[10:11], v0, s12, v[6:7]
	v_mad_u64_u32 v[13:14], s[10:11], v0, s13, v[13:14]
	v_mov_b32_e32 v0, v1
	s_cbranch_scc1 .LBB39_1081
.LBB39_1082:
	s_cbranch_execnz .LBB39_1085
.LBB39_1083:
	s_load_dwordx4 s[8:11], s[34:35], 0x4
	s_load_dwordx2 s[2:3], s[34:35], 0xc4
	s_cmp_lt_u32 s33, 2
	s_waitcnt lgkmcnt(0)
	v_mul_hi_u32 v0, s9, v8
	v_add_u32_e32 v0, v8, v0
	v_lshrrev_b32_e32 v0, s10, v0
	v_mul_lo_u32 v1, v0, s8
	v_sub_u32_e32 v1, v8, v1
	v_mul_lo_u32 v6, v1, s2
	v_mul_lo_u32 v13, v1, s3
	s_cbranch_scc1 .LBB39_1085
; %bb.1084:
	s_load_dwordx4 s[8:11], s[34:35], 0x10
	s_load_dwordx2 s[2:3], s[34:35], 0xcc
	s_waitcnt lgkmcnt(0)
	v_mul_hi_u32 v1, s9, v0
	v_add_u32_e32 v1, v0, v1
	v_lshrrev_b32_e32 v1, s10, v1
	v_mul_lo_u32 v1, v1, s8
	v_sub_u32_e32 v0, v0, v1
	v_mad_u64_u32 v[6:7], s[6:7], v0, s2, v[6:7]
	v_mad_u64_u32 v[13:14], s[2:3], v0, s3, v[13:14]
.LBB39_1085:
	s_and_b64 vcc, exec, s[0:1]
	v_add_u32_e32 v0, 0x80, v8
	s_cbranch_vccnz .LBB39_1091
; %bb.1086:
	s_cmp_lg_u32 s33, 0
	s_mov_b32 s36, 0
	s_cbranch_scc0 .LBB39_1092
; %bb.1087:
	s_min_u32 s37, s74, 15
	s_add_i32 s37, s37, 1
	s_cmp_eq_u32 s74, 2
	s_cbranch_scc1 .LBB39_1093
; %bb.1088:
	s_and_b32 s36, s37, 28
	s_add_u32 s2, s34, 0xc4
	s_addc_u32 s3, s35, 0
	v_mov_b32_e32 v11, 0
	s_mov_b32 s38, 0
	s_mov_b64 s[6:7], s[34:35]
	s_waitcnt vmcnt(0)
	v_mov_b32_e32 v4, 0
	v_mov_b32_e32 v1, v0
.LBB39_1089:                            ; =>This Inner Loop Header: Depth=1
	s_load_dwordx8 s[16:23], s[6:7], 0x4
	s_load_dwordx4 s[24:27], s[6:7], 0x24
	s_load_dwordx8 s[8:15], s[2:3], 0x0
	s_add_u32 s6, s6, 48
	s_addc_u32 s7, s7, 0
	s_waitcnt lgkmcnt(0)
	v_mul_hi_u32 v2, s17, v1
	s_add_i32 s38, s38, 4
	s_add_u32 s2, s2, 32
	s_addc_u32 s3, s3, 0
	v_add_u32_e32 v2, v1, v2
	v_lshrrev_b32_e32 v2, s18, v2
	v_mul_lo_u32 v3, v2, s16
	v_mul_hi_u32 v5, s20, v2
	s_cmp_lg_u32 s36, s38
	v_sub_u32_e32 v1, v1, v3
	v_add_u32_e32 v3, v2, v5
	v_mul_lo_u32 v5, v1, s8
	v_mul_lo_u32 v7, v1, s9
	v_lshrrev_b32_e32 v1, s21, v3
	v_mul_lo_u32 v3, v1, s19
	v_mul_hi_u32 v9, s23, v1
	v_sub_u32_e32 v2, v2, v3
	v_add_u32_e32 v3, v1, v9
	v_lshrrev_b32_e32 v3, s24, v3
	v_mul_hi_u32 v10, s26, v3
	v_mul_lo_u32 v12, v3, s22
	v_mul_lo_u32 v9, v2, s10
	;; [unrolled: 1-line block ×3, first 2 shown]
	v_sub_u32_e32 v12, v1, v12
	v_add_u32_e32 v1, v3, v10
	v_lshrrev_b32_e32 v1, s27, v1
	v_mul_lo_u32 v10, v1, s25
	v_mul_lo_u32 v14, v12, s12
	;; [unrolled: 1-line block ×3, first 2 shown]
	v_add3_u32 v4, v5, v4, v9
	v_sub_u32_e32 v3, v3, v10
	v_mul_lo_u32 v10, v3, s14
	v_mul_lo_u32 v3, v3, s15
	v_add3_u32 v2, v7, v11, v2
	v_add3_u32 v4, v14, v4, v10
	;; [unrolled: 1-line block ×3, first 2 shown]
	s_cbranch_scc1 .LBB39_1089
; %bb.1090:
	s_and_b32 s8, s37, 3
	s_cmp_eq_u32 s8, 0
	s_cbranch_scc0 .LBB39_1094
	s_branch .LBB39_1096
.LBB39_1091:
                                        ; implicit-def: $vgpr4
                                        ; implicit-def: $vgpr11
	s_branch .LBB39_1097
.LBB39_1092:
	s_waitcnt vmcnt(0)
	v_mov_b32_e32 v4, 0
	v_mov_b32_e32 v11, 0
	s_branch .LBB39_1096
.LBB39_1093:
	s_waitcnt vmcnt(0)
	v_mov_b32_e32 v4, 0
	v_mov_b32_e32 v11, 0
	;; [unrolled: 1-line block ×3, first 2 shown]
	s_and_b32 s8, s37, 3
	s_cmp_eq_u32 s8, 0
	s_cbranch_scc1 .LBB39_1096
.LBB39_1094:
	s_lshl_b32 s2, s36, 3
	s_add_u32 s2, s34, s2
	s_addc_u32 s3, s35, 0
	s_add_u32 s2, s2, 0xc4
	s_addc_u32 s3, s3, 0
	s_mul_i32 s6, s36, 12
	s_add_u32 s6, s34, s6
	s_addc_u32 s7, s35, 0
.LBB39_1095:                            ; =>This Inner Loop Header: Depth=1
	s_load_dwordx2 s[10:11], s[6:7], 0x4
	s_load_dword s9, s[6:7], 0xc
	s_load_dwordx2 s[12:13], s[2:3], 0x0
	s_add_u32 s6, s6, 12
	s_addc_u32 s7, s7, 0
	s_waitcnt lgkmcnt(0)
	v_mul_hi_u32 v2, s11, v1
	s_add_u32 s2, s2, 8
	s_addc_u32 s3, s3, 0
	s_add_i32 s8, s8, -1
	v_add_u32_e32 v2, v1, v2
	v_lshrrev_b32_e32 v2, s9, v2
	v_mul_lo_u32 v3, v2, s10
	s_cmp_lg_u32 s8, 0
	v_sub_u32_e32 v1, v1, v3
	v_mad_u64_u32 v[4:5], s[10:11], v1, s12, v[4:5]
	v_mad_u64_u32 v[11:12], s[10:11], v1, s13, v[11:12]
	v_mov_b32_e32 v1, v2
	s_cbranch_scc1 .LBB39_1095
.LBB39_1096:
	s_cbranch_execnz .LBB39_1099
.LBB39_1097:
	s_load_dwordx4 s[8:11], s[34:35], 0x4
	s_load_dwordx2 s[2:3], s[34:35], 0xc4
	s_cmp_lt_u32 s33, 2
	s_waitcnt lgkmcnt(0)
	v_mul_hi_u32 v1, s9, v0
	v_add_u32_e32 v1, v0, v1
	v_lshrrev_b32_e32 v1, s10, v1
	v_mul_lo_u32 v2, v1, s8
	v_sub_u32_e32 v0, v0, v2
	s_waitcnt vmcnt(0)
	v_mul_lo_u32 v4, v0, s2
	v_mul_lo_u32 v11, v0, s3
	s_cbranch_scc1 .LBB39_1099
; %bb.1098:
	s_load_dwordx4 s[8:11], s[34:35], 0x10
	s_load_dwordx2 s[2:3], s[34:35], 0xcc
	s_waitcnt lgkmcnt(0)
	v_mul_hi_u32 v0, s9, v1
	v_add_u32_e32 v0, v1, v0
	v_lshrrev_b32_e32 v0, s10, v0
	v_mul_lo_u32 v0, v0, s8
	v_sub_u32_e32 v0, v1, v0
	v_mad_u64_u32 v[4:5], s[6:7], v0, s2, v[4:5]
	v_mad_u64_u32 v[11:12], s[2:3], v0, s3, v[11:12]
.LBB39_1099:
	s_and_b64 vcc, exec, s[0:1]
	v_add_u32_e32 v0, 0x100, v8
	s_cbranch_vccnz .LBB39_1105
; %bb.1100:
	s_cmp_lg_u32 s33, 0
	s_mov_b32 s36, 0
	s_cbranch_scc0 .LBB39_1106
; %bb.1101:
	s_min_u32 s37, s74, 15
	s_add_i32 s37, s37, 1
	s_cmp_eq_u32 s74, 2
	s_cbranch_scc1 .LBB39_1107
; %bb.1102:
	s_and_b32 s36, s37, 28
	s_add_u32 s2, s34, 0xc4
	s_addc_u32 s3, s35, 0
	v_mov_b32_e32 v9, 0
	s_mov_b32 s38, 0
	s_mov_b64 s[6:7], s[34:35]
	v_mov_b32_e32 v2, 0
	v_mov_b32_e32 v1, v0
.LBB39_1103:                            ; =>This Inner Loop Header: Depth=1
	s_load_dwordx8 s[16:23], s[6:7], 0x4
	s_load_dwordx4 s[24:27], s[6:7], 0x24
	s_load_dwordx8 s[8:15], s[2:3], 0x0
	s_add_u32 s6, s6, 48
	s_addc_u32 s7, s7, 0
	s_waitcnt vmcnt(0) lgkmcnt(0)
	v_mul_hi_u32 v3, s17, v1
	s_add_i32 s38, s38, 4
	s_add_u32 s2, s2, 32
	s_addc_u32 s3, s3, 0
	v_add_u32_e32 v3, v1, v3
	v_lshrrev_b32_e32 v3, s18, v3
	v_mul_lo_u32 v5, v3, s16
	v_mul_hi_u32 v7, s20, v3
	s_cmp_lg_u32 s36, s38
	v_sub_u32_e32 v1, v1, v5
	v_add_u32_e32 v5, v3, v7
	v_mul_lo_u32 v7, v1, s8
	v_mul_lo_u32 v8, v1, s9
	v_lshrrev_b32_e32 v1, s21, v5
	v_mul_lo_u32 v5, v1, s19
	v_mul_hi_u32 v10, s23, v1
	v_sub_u32_e32 v3, v3, v5
	v_add_u32_e32 v5, v1, v10
	v_lshrrev_b32_e32 v5, s24, v5
	v_mul_hi_u32 v12, s26, v5
	v_mul_lo_u32 v14, v5, s22
	v_mul_lo_u32 v10, v3, s10
	;; [unrolled: 1-line block ×3, first 2 shown]
	v_sub_u32_e32 v14, v1, v14
	v_add_u32_e32 v1, v5, v12
	v_lshrrev_b32_e32 v1, s27, v1
	v_mul_lo_u32 v12, v1, s25
	v_mul_lo_u32 v16, v14, s12
	;; [unrolled: 1-line block ×3, first 2 shown]
	v_add3_u32 v2, v7, v2, v10
	v_sub_u32_e32 v5, v5, v12
	v_mul_lo_u32 v12, v5, s14
	v_mul_lo_u32 v5, v5, s15
	v_add3_u32 v3, v8, v9, v3
	v_add3_u32 v2, v16, v2, v12
	;; [unrolled: 1-line block ×3, first 2 shown]
	s_cbranch_scc1 .LBB39_1103
; %bb.1104:
	s_and_b32 s8, s37, 3
	s_cmp_eq_u32 s8, 0
	s_cbranch_scc0 .LBB39_1108
	s_branch .LBB39_1110
.LBB39_1105:
                                        ; implicit-def: $vgpr2
                                        ; implicit-def: $vgpr9
	s_branch .LBB39_1111
.LBB39_1106:
	v_mov_b32_e32 v2, 0
	v_mov_b32_e32 v9, 0
	s_branch .LBB39_1110
.LBB39_1107:
	v_mov_b32_e32 v2, 0
	v_mov_b32_e32 v9, 0
	;; [unrolled: 1-line block ×3, first 2 shown]
	s_and_b32 s8, s37, 3
	s_cmp_eq_u32 s8, 0
	s_cbranch_scc1 .LBB39_1110
.LBB39_1108:
	s_lshl_b32 s2, s36, 3
	s_add_u32 s2, s34, s2
	s_addc_u32 s3, s35, 0
	s_add_u32 s2, s2, 0xc4
	s_addc_u32 s3, s3, 0
	s_mul_i32 s6, s36, 12
	s_add_u32 s6, s34, s6
	s_addc_u32 s7, s35, 0
.LBB39_1109:                            ; =>This Inner Loop Header: Depth=1
	s_load_dwordx2 s[10:11], s[6:7], 0x4
	s_load_dword s9, s[6:7], 0xc
	s_load_dwordx2 s[12:13], s[2:3], 0x0
	s_add_u32 s6, s6, 12
	s_addc_u32 s7, s7, 0
	s_waitcnt vmcnt(0) lgkmcnt(0)
	v_mul_hi_u32 v3, s11, v1
	s_add_u32 s2, s2, 8
	s_addc_u32 s3, s3, 0
	s_add_i32 s8, s8, -1
	v_add_u32_e32 v3, v1, v3
	v_lshrrev_b32_e32 v5, s9, v3
	v_mul_lo_u32 v3, v5, s10
	s_cmp_lg_u32 s8, 0
	v_sub_u32_e32 v1, v1, v3
	v_mad_u64_u32 v[2:3], s[10:11], v1, s12, v[2:3]
	v_mad_u64_u32 v[9:10], s[10:11], v1, s13, v[9:10]
	v_mov_b32_e32 v1, v5
	s_cbranch_scc1 .LBB39_1109
.LBB39_1110:
	s_cbranch_execnz .LBB39_1113
.LBB39_1111:
	s_load_dwordx4 s[8:11], s[34:35], 0x4
	s_load_dwordx2 s[2:3], s[34:35], 0xc4
	s_cmp_lt_u32 s33, 2
	s_waitcnt lgkmcnt(0)
	v_mul_hi_u32 v1, s9, v0
	v_add_u32_e32 v1, v0, v1
	v_lshrrev_b32_e32 v1, s10, v1
	v_mul_lo_u32 v2, v1, s8
	v_sub_u32_e32 v0, v0, v2
	v_mul_lo_u32 v2, v0, s2
	v_mul_lo_u32 v9, v0, s3
	s_cbranch_scc1 .LBB39_1113
; %bb.1112:
	s_load_dwordx4 s[8:11], s[34:35], 0x10
	s_load_dwordx2 s[2:3], s[34:35], 0xcc
	s_waitcnt lgkmcnt(0)
	v_mul_hi_u32 v0, s9, v1
	v_add_u32_e32 v0, v1, v0
	v_lshrrev_b32_e32 v0, s10, v0
	v_mul_lo_u32 v0, v0, s8
	v_sub_u32_e32 v0, v1, v0
	s_waitcnt vmcnt(0)
	v_mad_u64_u32 v[2:3], s[6:7], v0, s2, v[2:3]
	v_mad_u64_u32 v[9:10], s[2:3], v0, s3, v[9:10]
.LBB39_1113:
	s_and_b64 vcc, exec, s[0:1]
	s_cbranch_vccnz .LBB39_1119
; %bb.1114:
	s_cmp_lg_u32 s33, 0
	s_mov_b32 s26, 0
	s_cbranch_scc0 .LBB39_1120
; %bb.1115:
	s_min_u32 s27, s74, 15
	s_add_i32 s27, s27, 1
	s_cmp_eq_u32 s74, 2
	s_cbranch_scc1 .LBB39_1121
; %bb.1116:
	s_and_b32 s26, s27, 28
	s_add_u32 s6, s34, 0xc4
	s_addc_u32 s7, s35, 0
	v_mov_b32_e32 v7, 0
	s_mov_b32 s36, 0
	s_mov_b64 s[24:25], s[34:35]
	v_mov_b32_e32 v0, 0
	v_mov_b32_e32 v1, v15
.LBB39_1117:                            ; =>This Inner Loop Header: Depth=1
	s_load_dwordx8 s[16:23], s[24:25], 0x4
	s_load_dwordx4 s[0:3], s[24:25], 0x24
	s_load_dwordx8 s[8:15], s[6:7], 0x0
	s_add_u32 s24, s24, 48
	s_addc_u32 s25, s25, 0
	s_waitcnt vmcnt(0) lgkmcnt(0)
	v_mul_hi_u32 v3, s17, v1
	s_add_i32 s36, s36, 4
	s_add_u32 s6, s6, 32
	s_addc_u32 s7, s7, 0
	v_add_u32_e32 v3, v1, v3
	v_lshrrev_b32_e32 v3, s18, v3
	v_mul_lo_u32 v5, v3, s16
	v_mul_hi_u32 v8, s20, v3
	s_cmp_lg_u32 s26, s36
	v_sub_u32_e32 v1, v1, v5
	v_add_u32_e32 v5, v3, v8
	v_mul_lo_u32 v8, v1, s8
	v_mul_lo_u32 v10, v1, s9
	v_lshrrev_b32_e32 v1, s21, v5
	v_mul_lo_u32 v5, v1, s19
	v_mul_hi_u32 v12, s23, v1
	v_sub_u32_e32 v3, v3, v5
	v_add_u32_e32 v5, v1, v12
	v_lshrrev_b32_e32 v5, s0, v5
	v_mul_hi_u32 v14, s2, v5
	v_mul_lo_u32 v16, v5, s22
	v_mul_lo_u32 v12, v3, s10
	;; [unrolled: 1-line block ×3, first 2 shown]
	v_sub_u32_e32 v16, v1, v16
	v_add_u32_e32 v1, v5, v14
	v_lshrrev_b32_e32 v1, s3, v1
	v_mul_lo_u32 v14, v1, s1
	v_mul_lo_u32 v17, v16, s12
	;; [unrolled: 1-line block ×3, first 2 shown]
	v_add3_u32 v0, v8, v0, v12
	v_sub_u32_e32 v5, v5, v14
	v_mul_lo_u32 v14, v5, s14
	v_mul_lo_u32 v5, v5, s15
	v_add3_u32 v3, v10, v7, v3
	v_add3_u32 v0, v17, v0, v14
	;; [unrolled: 1-line block ×3, first 2 shown]
	s_cbranch_scc1 .LBB39_1117
; %bb.1118:
	s_and_b32 s6, s27, 3
	s_cmp_eq_u32 s6, 0
	s_cbranch_scc0 .LBB39_1122
	s_branch .LBB39_1124
.LBB39_1119:
                                        ; implicit-def: $vgpr0
                                        ; implicit-def: $vgpr7
	s_branch .LBB39_1125
.LBB39_1120:
	v_mov_b32_e32 v0, 0
	v_mov_b32_e32 v7, 0
	s_branch .LBB39_1124
.LBB39_1121:
	v_mov_b32_e32 v0, 0
	v_mov_b32_e32 v7, 0
	;; [unrolled: 1-line block ×3, first 2 shown]
	s_and_b32 s6, s27, 3
	s_cmp_eq_u32 s6, 0
	s_cbranch_scc1 .LBB39_1124
.LBB39_1122:
	s_lshl_b32 s0, s26, 3
	s_add_u32 s0, s34, s0
	s_addc_u32 s1, s35, 0
	s_add_u32 s0, s0, 0xc4
	s_addc_u32 s1, s1, 0
	s_mul_i32 s2, s26, 12
	s_add_u32 s2, s34, s2
	s_addc_u32 s3, s35, 0
.LBB39_1123:                            ; =>This Inner Loop Header: Depth=1
	s_load_dwordx2 s[8:9], s[2:3], 0x4
	s_load_dword s7, s[2:3], 0xc
	s_load_dwordx2 s[10:11], s[0:1], 0x0
	s_add_u32 s2, s2, 12
	s_addc_u32 s3, s3, 0
	s_waitcnt vmcnt(0) lgkmcnt(0)
	v_mul_hi_u32 v3, s9, v1
	s_add_u32 s0, s0, 8
	s_addc_u32 s1, s1, 0
	s_add_i32 s6, s6, -1
	v_add_u32_e32 v3, v1, v3
	v_lshrrev_b32_e32 v3, s7, v3
	v_mul_lo_u32 v5, v3, s8
	s_cmp_lg_u32 s6, 0
	v_sub_u32_e32 v5, v1, v5
	v_mad_u64_u32 v[0:1], s[8:9], v5, s10, v[0:1]
	v_mad_u64_u32 v[7:8], s[8:9], v5, s11, v[7:8]
	v_mov_b32_e32 v1, v3
	s_cbranch_scc1 .LBB39_1123
.LBB39_1124:
	s_cbranch_execnz .LBB39_1127
.LBB39_1125:
	s_load_dwordx4 s[0:3], s[34:35], 0x4
	s_load_dwordx2 s[6:7], s[34:35], 0xc4
	s_cmp_lt_u32 s33, 2
	s_waitcnt lgkmcnt(0)
	v_mul_hi_u32 v0, s1, v15
	v_add_u32_e32 v0, v15, v0
	v_lshrrev_b32_e32 v1, s2, v0
	v_mul_lo_u32 v0, v1, s0
	s_waitcnt vmcnt(0)
	v_sub_u32_e32 v3, v15, v0
	v_mul_lo_u32 v0, v3, s6
	v_mul_lo_u32 v7, v3, s7
	s_cbranch_scc1 .LBB39_1127
; %bb.1126:
	s_load_dwordx4 s[0:3], s[34:35], 0x10
	s_load_dwordx2 s[6:7], s[34:35], 0xcc
	s_waitcnt lgkmcnt(0)
	v_mul_hi_u32 v3, s1, v1
	v_add_u32_e32 v3, v1, v3
	v_lshrrev_b32_e32 v3, s2, v3
	v_mul_lo_u32 v3, v3, s0
	v_sub_u32_e32 v3, v1, v3
	v_mad_u64_u32 v[0:1], s[0:1], v3, s6, v[0:1]
	v_mad_u64_u32 v[7:8], s[0:1], v3, s7, v[7:8]
.LBB39_1127:
	s_load_dword s16, s[4:5], 0x160
	s_load_dwordx4 s[8:11], s[34:35], 0x148
	s_waitcnt lgkmcnt(0)
	s_lshr_b32 s12, s16, 24
	v_mov_b32_e32 v1, s11
	v_add_co_u32_e32 v15, vcc, s10, v13
	s_cmp_lt_i32 s12, 11
	v_addc_co_u32_e32 v16, vcc, 0, v1, vcc
	s_cbranch_scc1 .LBB39_1134
; %bb.1128:
	s_and_b32 s13, 0xffff, s12
	s_cmp_gt_i32 s13, 25
	s_mov_b64 s[4:5], 0
	s_cbranch_scc0 .LBB39_1136
; %bb.1129:
	s_cmp_gt_i32 s13, 28
	s_cbranch_scc0 .LBB39_1137
; %bb.1130:
	s_cmp_gt_i32 s13, 43
	;; [unrolled: 3-line block ×3, first 2 shown]
	s_cbranch_scc0 .LBB39_1139
; %bb.1132:
	s_cmp_eq_u32 s13, 46
	s_mov_b64 s[2:3], 0
	s_cbranch_scc0 .LBB39_1142
; %bb.1133:
	global_load_dword v1, v[15:16], off
	s_mov_b64 s[0:1], 0
	s_mov_b64 s[6:7], -1
	s_waitcnt vmcnt(0)
	v_lshlrev_b32_e32 v1, 16, v1
	v_cvt_i32_f32_e32 v13, v1
	s_branch .LBB39_1143
.LBB39_1134:
	s_mov_b64 s[6:7], 0
                                        ; implicit-def: $vgpr13
	s_mov_b64 s[2:3], s[28:29]
	s_cbranch_execnz .LBB39_1201
.LBB39_1135:
	s_andn2_b64 vcc, exec, s[6:7]
	s_cbranch_vccz .LBB39_1246
	s_branch .LBB39_2055
.LBB39_1136:
	s_mov_b64 s[6:7], 0
	s_mov_b64 s[0:1], 0
                                        ; implicit-def: $vgpr13
	s_cbranch_execnz .LBB39_1168
	s_branch .LBB39_1197
.LBB39_1137:
	s_mov_b64 s[6:7], 0
	s_mov_b64 s[0:1], 0
                                        ; implicit-def: $vgpr13
	s_cbranch_execz .LBB39_1167
	s_branch .LBB39_1152
.LBB39_1138:
	s_mov_b64 s[6:7], 0
	s_mov_b64 s[0:1], 0
                                        ; implicit-def: $vgpr13
	s_cbranch_execnz .LBB39_1148
	s_branch .LBB39_1151
.LBB39_1139:
	s_mov_b64 s[2:3], -1
	s_mov_b64 s[6:7], 0
	s_mov_b64 s[0:1], 0
                                        ; implicit-def: $vgpr13
	s_branch .LBB39_1143
.LBB39_1140:
	s_andn2_saveexec_b64 s[14:15], s[14:15]
	s_cbranch_execz .LBB39_983
.LBB39_1141:
	s_mov_b32 s16, 0x46000000
	v_add_f32_e64 v3, |v0|, s16
	v_and_b32_e32 v3, 0xff, v3
	v_cmp_ne_u32_e32 vcc, 0, v3
	s_andn2_b64 s[12:13], s[12:13], exec
	s_and_b64 s[16:17], vcc, exec
	s_or_b64 s[12:13], s[12:13], s[16:17]
	s_or_b64 exec, exec, s[14:15]
	v_mov_b32_e32 v5, 0
	s_and_saveexec_b64 s[14:15], s[12:13]
	s_cbranch_execnz .LBB39_984
	s_branch .LBB39_985
.LBB39_1142:
	s_mov_b64 s[0:1], -1
                                        ; implicit-def: $vgpr13
	s_mov_b64 s[6:7], 0
.LBB39_1143:
	s_and_b64 vcc, exec, s[2:3]
	s_cbranch_vccz .LBB39_1146
; %bb.1144:
	s_cmp_eq_u32 s13, 44
	s_cbranch_scc0 .LBB39_1147
; %bb.1145:
	global_load_ubyte v1, v[15:16], off
	s_mov_b64 s[0:1], 0
	s_mov_b64 s[6:7], -1
	s_waitcnt vmcnt(0)
	v_lshlrev_b32_e32 v3, 23, v1
	v_cvt_i32_f32_e32 v3, v3
	v_cmp_ne_u32_e32 vcc, 0, v1
	v_cndmask_b32_e32 v13, 0, v3, vcc
.LBB39_1146:
	s_branch .LBB39_1151
.LBB39_1147:
	s_mov_b64 s[0:1], -1
                                        ; implicit-def: $vgpr13
	s_branch .LBB39_1151
.LBB39_1148:
	s_cmp_eq_u32 s13, 29
	s_cbranch_scc0 .LBB39_1150
; %bb.1149:
	global_load_dwordx2 v[13:14], v[15:16], off
	s_mov_b64 s[0:1], 0
	s_mov_b64 s[6:7], -1
	s_branch .LBB39_1151
.LBB39_1150:
	s_mov_b64 s[0:1], -1
                                        ; implicit-def: $vgpr13
.LBB39_1151:
	s_branch .LBB39_1167
.LBB39_1152:
	s_cmp_lt_i32 s13, 27
	s_cbranch_scc1 .LBB39_1155
; %bb.1153:
	s_cmp_gt_i32 s13, 27
	s_cbranch_scc0 .LBB39_1156
; %bb.1154:
	global_load_dword v13, v[15:16], off
	s_mov_b64 s[2:3], 0
	s_branch .LBB39_1157
.LBB39_1155:
	s_mov_b64 s[2:3], -1
                                        ; implicit-def: $vgpr13
	s_branch .LBB39_1160
.LBB39_1156:
	s_mov_b64 s[2:3], -1
                                        ; implicit-def: $vgpr13
.LBB39_1157:
	s_andn2_b64 vcc, exec, s[2:3]
	s_cbranch_vccnz .LBB39_1159
; %bb.1158:
	global_load_ushort v13, v[15:16], off
.LBB39_1159:
	s_mov_b64 s[2:3], 0
.LBB39_1160:
	s_andn2_b64 vcc, exec, s[2:3]
	s_cbranch_vccnz .LBB39_1166
; %bb.1161:
	global_load_ubyte v1, v[15:16], off
	s_movk_i32 s2, 0x7f
	s_mov_b64 s[6:7], 0
	s_waitcnt vmcnt(0)
	v_cmp_lt_i16_e32 vcc, s2, v1
	s_and_saveexec_b64 s[2:3], vcc
	s_xor_b64 s[2:3], exec, s[2:3]
	s_cbranch_execz .LBB39_1177
; %bb.1162:
	s_movk_i32 s6, 0x80
	v_cmp_ne_u16_e32 vcc, s6, v1
	s_and_b64 s[6:7], vcc, exec
	s_andn2_saveexec_b64 s[2:3], s[2:3]
	s_cbranch_execnz .LBB39_1178
.LBB39_1163:
	s_or_b64 exec, exec, s[2:3]
	v_mov_b32_e32 v13, 0
	s_and_saveexec_b64 s[2:3], s[6:7]
	s_cbranch_execz .LBB39_1165
.LBB39_1164:
	v_lshlrev_b32_e32 v3, 24, v1
	v_and_b32_e32 v1, 0xffff, v1
	v_and_b32_e32 v5, 7, v1
	v_ffbh_u32_e32 v10, v5
	v_min_u32_e32 v10, 32, v10
	v_subrev_u32_e32 v12, 28, v10
	v_bfe_u32 v8, v1, 3, 4
	v_lshlrev_b32_e32 v1, v12, v1
	v_sub_u32_e32 v10, 29, v10
	v_and_b32_e32 v1, 7, v1
	v_cmp_eq_u32_e32 vcc, 0, v8
	v_cndmask_b32_e32 v8, v8, v10, vcc
	v_cndmask_b32_e32 v1, v5, v1, vcc
	v_mov_b32_e32 v5, 0x3b800000
	v_lshlrev_b32_e32 v1, 20, v1
	v_and_b32_e32 v3, 0x80000000, v3
	v_lshl_add_u32 v5, v8, 23, v5
	v_or3_b32 v1, v3, v5, v1
	v_cvt_i32_f32_e32 v13, v1
.LBB39_1165:
	s_or_b64 exec, exec, s[2:3]
.LBB39_1166:
	s_mov_b64 s[6:7], -1
.LBB39_1167:
	s_branch .LBB39_1197
.LBB39_1168:
	s_cmp_gt_i32 s13, 22
	s_cbranch_scc0 .LBB39_1176
; %bb.1169:
	s_cmp_lt_i32 s13, 24
	s_cbranch_scc1 .LBB39_1179
; %bb.1170:
	s_cmp_gt_i32 s13, 24
	s_cbranch_scc0 .LBB39_1180
; %bb.1171:
	global_load_ubyte v1, v[15:16], off
	s_movk_i32 s2, 0x7f
	s_waitcnt vmcnt(0)
	v_cmp_lt_i16_e32 vcc, s2, v1
	s_and_saveexec_b64 s[2:3], vcc
	s_xor_b64 s[2:3], exec, s[2:3]
	s_cbranch_execz .LBB39_1191
; %bb.1172:
	s_movk_i32 s4, 0x80
	v_cmp_ne_u16_e32 vcc, s4, v1
	s_and_b64 s[4:5], vcc, exec
	s_andn2_saveexec_b64 s[2:3], s[2:3]
	s_cbranch_execnz .LBB39_1192
.LBB39_1173:
	s_or_b64 exec, exec, s[2:3]
	v_mov_b32_e32 v13, 0
	s_and_saveexec_b64 s[2:3], s[4:5]
	s_cbranch_execz .LBB39_1175
.LBB39_1174:
	v_lshlrev_b32_e32 v3, 24, v1
	v_and_b32_e32 v1, 0xffff, v1
	v_and_b32_e32 v5, 3, v1
	v_ffbh_u32_e32 v10, v5
	v_min_u32_e32 v10, 32, v10
	v_subrev_u32_e32 v12, 29, v10
	v_bfe_u32 v8, v1, 2, 5
	v_lshlrev_b32_e32 v1, v12, v1
	v_sub_u32_e32 v10, 30, v10
	v_and_b32_e32 v1, 3, v1
	v_cmp_eq_u32_e32 vcc, 0, v8
	v_cndmask_b32_e32 v8, v8, v10, vcc
	v_cndmask_b32_e32 v1, v5, v1, vcc
	v_mov_b32_e32 v5, 0x37800000
	v_lshlrev_b32_e32 v1, 21, v1
	v_and_b32_e32 v3, 0x80000000, v3
	v_lshl_add_u32 v5, v8, 23, v5
	v_or3_b32 v1, v3, v5, v1
	v_cvt_i32_f32_e32 v13, v1
.LBB39_1175:
	s_or_b64 exec, exec, s[2:3]
	s_mov_b64 s[2:3], 0
	s_branch .LBB39_1181
.LBB39_1176:
                                        ; implicit-def: $vgpr13
	s_mov_b64 s[4:5], 0
	s_branch .LBB39_1187
.LBB39_1177:
	s_andn2_saveexec_b64 s[2:3], s[2:3]
	s_cbranch_execz .LBB39_1163
.LBB39_1178:
	v_cmp_ne_u16_e32 vcc, 0, v1
	s_andn2_b64 s[6:7], s[6:7], exec
	s_and_b64 s[14:15], vcc, exec
	s_or_b64 s[6:7], s[6:7], s[14:15]
	s_or_b64 exec, exec, s[2:3]
	v_mov_b32_e32 v13, 0
	s_and_saveexec_b64 s[2:3], s[6:7]
	s_cbranch_execnz .LBB39_1164
	s_branch .LBB39_1165
.LBB39_1179:
	s_mov_b64 s[2:3], -1
                                        ; implicit-def: $vgpr13
	s_branch .LBB39_1184
.LBB39_1180:
	s_mov_b64 s[2:3], -1
                                        ; implicit-def: $vgpr13
.LBB39_1181:
	s_and_b64 vcc, exec, s[2:3]
	s_cbranch_vccz .LBB39_1183
; %bb.1182:
	global_load_ubyte v1, v[15:16], off
	s_mov_b32 s2, 0x7f800000
	s_waitcnt vmcnt(0)
	v_lshlrev_b32_e32 v1, 24, v1
	v_and_b32_e32 v3, 0x7f000000, v1
	v_ffbh_u32_e32 v5, v3
	v_min_u32_e32 v5, 32, v5
	v_sub_u32_e64 v5, v5, 4 clamp
	v_lshlrev_b32_e32 v10, v5, v3
	v_lshlrev_b32_e32 v5, 23, v5
	v_lshrrev_b32_e32 v10, 4, v10
	v_add_u32_e32 v8, 0x1000000, v3
	v_sub_u32_e32 v5, v10, v5
	v_ashrrev_i32_e32 v8, 8, v8
	v_add_u32_e32 v5, 0x3c000000, v5
	v_and_or_b32 v5, v8, s2, v5
	v_cmp_ne_u32_e32 vcc, 0, v3
	v_cndmask_b32_e32 v3, 0, v5, vcc
	s_brev_b32 s2, 1
	v_and_or_b32 v1, v1, s2, v3
	v_cvt_i32_f32_e32 v13, v1
.LBB39_1183:
	s_mov_b64 s[2:3], 0
.LBB39_1184:
	s_andn2_b64 vcc, exec, s[2:3]
	s_cbranch_vccnz .LBB39_1186
; %bb.1185:
	global_load_ubyte v1, v[15:16], off
	s_movk_i32 s2, 0x7f00
	s_brev_b32 s3, 16
	s_waitcnt vmcnt(0)
	v_lshlrev_b16_e32 v3, 8, v1
	v_lshlrev_b32_e32 v1, 25, v1
	v_lshrrev_b32_e32 v5, 4, v1
	v_and_or_b32 v8, v3, s2, 0.5
	v_or_b32_e32 v5, 0x70000000, v5
	v_add_f32_e32 v8, -0.5, v8
	v_mul_f32_e32 v5, 0x7800000, v5
	v_cmp_gt_u32_e32 vcc, s3, v1
	v_bfe_i32 v3, v3, 0, 16
	v_cndmask_b32_e32 v1, v5, v8, vcc
	s_brev_b32 s2, 1
	v_and_or_b32 v1, v3, s2, v1
	v_cvt_i32_f32_e32 v13, v1
.LBB39_1186:
	s_mov_b64 s[6:7], -1
	s_mov_b64 s[4:5], 0
	s_cbranch_execnz .LBB39_1197
.LBB39_1187:
	s_cmp_gt_i32 s13, 14
	s_cbranch_scc0 .LBB39_1190
; %bb.1188:
	s_cmp_eq_u32 s13, 15
	s_cbranch_scc0 .LBB39_1193
; %bb.1189:
	global_load_ushort v1, v[15:16], off
	s_mov_b64 s[0:1], 0
	s_mov_b64 s[6:7], -1
	s_waitcnt vmcnt(0)
	v_lshlrev_b32_e32 v1, 16, v1
	v_cvt_i32_f32_e32 v13, v1
	s_branch .LBB39_1194
.LBB39_1190:
	s_mov_b64 s[2:3], -1
                                        ; implicit-def: $vgpr13
	s_branch .LBB39_1195
.LBB39_1191:
	s_andn2_saveexec_b64 s[2:3], s[2:3]
	s_cbranch_execz .LBB39_1173
.LBB39_1192:
	v_cmp_ne_u16_e32 vcc, 0, v1
	s_andn2_b64 s[4:5], s[4:5], exec
	s_and_b64 s[6:7], vcc, exec
	s_or_b64 s[4:5], s[4:5], s[6:7]
	s_or_b64 exec, exec, s[2:3]
	v_mov_b32_e32 v13, 0
	s_and_saveexec_b64 s[2:3], s[4:5]
	s_cbranch_execnz .LBB39_1174
	s_branch .LBB39_1175
.LBB39_1193:
	s_mov_b64 s[0:1], -1
                                        ; implicit-def: $vgpr13
.LBB39_1194:
	s_mov_b64 s[2:3], 0
.LBB39_1195:
	s_and_b64 vcc, exec, s[2:3]
	s_cbranch_vccz .LBB39_1197
; %bb.1196:
	s_cmp_lg_u32 s13, 11
	s_mov_b64 s[4:5], -1
	s_cselect_b64 s[0:1], -1, 0
.LBB39_1197:
	s_and_b64 vcc, exec, s[0:1]
	s_mov_b64 s[2:3], s[28:29]
	s_cbranch_vccnz .LBB39_1258
; %bb.1198:
	s_andn2_b64 vcc, exec, s[4:5]
	s_cbranch_vccnz .LBB39_1200
.LBB39_1199:
	global_load_ubyte v1, v[15:16], off
	s_mov_b64 s[6:7], -1
	s_waitcnt vmcnt(0)
	v_cmp_ne_u16_e32 vcc, 0, v1
	v_cndmask_b32_e64 v13, 0, 1, vcc
.LBB39_1200:
	s_branch .LBB39_1135
.LBB39_1201:
	s_and_b32 s4, 0xffff, s12
	s_cmp_lt_i32 s4, 5
	s_cbranch_scc1 .LBB39_1206
; %bb.1202:
	s_cmp_lt_i32 s4, 8
	s_cbranch_scc1 .LBB39_1207
; %bb.1203:
	;; [unrolled: 3-line block ×3, first 2 shown]
	s_cmp_gt_i32 s4, 9
	s_cbranch_scc0 .LBB39_1209
; %bb.1205:
	global_load_dwordx2 v[12:13], v[15:16], off
	s_mov_b64 s[0:1], 0
	s_waitcnt vmcnt(0)
	v_cvt_i32_f64_e32 v13, v[12:13]
	s_branch .LBB39_1210
.LBB39_1206:
                                        ; implicit-def: $vgpr13
	s_branch .LBB39_1227
.LBB39_1207:
                                        ; implicit-def: $vgpr13
	s_branch .LBB39_1216
.LBB39_1208:
	s_mov_b64 s[0:1], -1
                                        ; implicit-def: $vgpr13
	s_branch .LBB39_1213
.LBB39_1209:
	s_mov_b64 s[0:1], -1
                                        ; implicit-def: $vgpr13
.LBB39_1210:
	s_andn2_b64 vcc, exec, s[0:1]
	s_cbranch_vccnz .LBB39_1212
; %bb.1211:
	global_load_dword v1, v[15:16], off
	s_waitcnt vmcnt(0)
	v_cvt_i32_f32_e32 v13, v1
.LBB39_1212:
	s_mov_b64 s[0:1], 0
.LBB39_1213:
	s_andn2_b64 vcc, exec, s[0:1]
	s_cbranch_vccnz .LBB39_1215
; %bb.1214:
	global_load_dword v1, v[15:16], off
	s_waitcnt vmcnt(0)
	v_cvt_i16_f16_e32 v13, v1
.LBB39_1215:
	s_cbranch_execnz .LBB39_1226
.LBB39_1216:
	s_cmp_lt_i32 s4, 6
	s_cbranch_scc1 .LBB39_1219
; %bb.1217:
	s_cmp_gt_i32 s4, 6
	s_cbranch_scc0 .LBB39_1220
; %bb.1218:
	global_load_dwordx2 v[12:13], v[15:16], off
	s_mov_b64 s[0:1], 0
	s_waitcnt vmcnt(0)
	v_cvt_i32_f64_e32 v13, v[12:13]
	s_branch .LBB39_1221
.LBB39_1219:
	s_mov_b64 s[0:1], -1
                                        ; implicit-def: $vgpr13
	s_branch .LBB39_1224
.LBB39_1220:
	s_mov_b64 s[0:1], -1
                                        ; implicit-def: $vgpr13
.LBB39_1221:
	s_andn2_b64 vcc, exec, s[0:1]
	s_cbranch_vccnz .LBB39_1223
; %bb.1222:
	global_load_dword v1, v[15:16], off
	s_waitcnt vmcnt(0)
	v_cvt_i32_f32_e32 v13, v1
.LBB39_1223:
	s_mov_b64 s[0:1], 0
.LBB39_1224:
	s_andn2_b64 vcc, exec, s[0:1]
	s_cbranch_vccnz .LBB39_1226
; %bb.1225:
	global_load_ushort v1, v[15:16], off
	s_waitcnt vmcnt(0)
	v_cvt_i16_f16_e32 v13, v1
.LBB39_1226:
	s_cbranch_execnz .LBB39_1245
.LBB39_1227:
	s_cmp_lt_i32 s4, 2
	s_cbranch_scc1 .LBB39_1231
; %bb.1228:
	s_cmp_lt_i32 s4, 3
	s_cbranch_scc1 .LBB39_1232
; %bb.1229:
	s_cmp_gt_i32 s4, 3
	s_cbranch_scc0 .LBB39_1233
; %bb.1230:
	global_load_dwordx2 v[13:14], v[15:16], off
	s_mov_b64 s[0:1], 0
	s_branch .LBB39_1234
.LBB39_1231:
                                        ; implicit-def: $vgpr13
	s_branch .LBB39_1240
.LBB39_1232:
	s_mov_b64 s[0:1], -1
                                        ; implicit-def: $vgpr13
	s_branch .LBB39_1237
.LBB39_1233:
	s_mov_b64 s[0:1], -1
                                        ; implicit-def: $vgpr13
.LBB39_1234:
	s_andn2_b64 vcc, exec, s[0:1]
	s_cbranch_vccnz .LBB39_1236
; %bb.1235:
	global_load_dword v13, v[15:16], off
.LBB39_1236:
	s_mov_b64 s[0:1], 0
.LBB39_1237:
	s_andn2_b64 vcc, exec, s[0:1]
	s_cbranch_vccnz .LBB39_1239
; %bb.1238:
	global_load_ushort v13, v[15:16], off
.LBB39_1239:
	s_cbranch_execnz .LBB39_1245
.LBB39_1240:
	s_cmp_gt_i32 s4, 0
	s_cbranch_scc0 .LBB39_1242
; %bb.1241:
	global_load_ubyte v13, v[15:16], off
	s_mov_b64 s[0:1], 0
	s_branch .LBB39_1243
.LBB39_1242:
	s_mov_b64 s[0:1], -1
                                        ; implicit-def: $vgpr13
.LBB39_1243:
	s_andn2_b64 vcc, exec, s[0:1]
	s_cbranch_vccnz .LBB39_1245
; %bb.1244:
	global_load_ubyte v13, v[15:16], off
.LBB39_1245:
.LBB39_1246:
	v_mov_b32_e32 v1, s11
	s_and_b32 s14, 0xffff, s12
	s_waitcnt vmcnt(0)
	v_add_co_u32_e32 v14, vcc, s10, v11
	s_cmp_lt_i32 s14, 11
	v_addc_co_u32_e32 v15, vcc, 0, v1, vcc
	s_cbranch_scc1 .LBB39_1253
; %bb.1247:
	s_cmp_gt_i32 s14, 25
	s_mov_b64 s[4:5], 0
	s_cbranch_scc0 .LBB39_1255
; %bb.1248:
	s_cmp_gt_i32 s14, 28
	s_cbranch_scc0 .LBB39_1256
; %bb.1249:
	s_cmp_gt_i32 s14, 43
	;; [unrolled: 3-line block ×3, first 2 shown]
	s_cbranch_scc0 .LBB39_1259
; %bb.1251:
	s_cmp_eq_u32 s14, 46
	s_mov_b64 s[12:13], 0
	s_cbranch_scc0 .LBB39_1262
; %bb.1252:
	global_load_dword v1, v[14:15], off
	s_mov_b64 s[0:1], 0
	s_mov_b64 s[6:7], -1
	s_waitcnt vmcnt(0)
	v_lshlrev_b32_e32 v1, 16, v1
	v_cvt_i32_f32_e32 v11, v1
	s_branch .LBB39_1263
.LBB39_1253:
	s_mov_b64 s[6:7], 0
                                        ; implicit-def: $vgpr11
	s_cbranch_execnz .LBB39_1324
.LBB39_1254:
	s_andn2_b64 vcc, exec, s[6:7]
	s_cbranch_vccnz .LBB39_2055
	s_branch .LBB39_1371
.LBB39_1255:
	s_mov_b64 s[6:7], 0
	s_mov_b64 s[0:1], 0
                                        ; implicit-def: $vgpr11
	s_cbranch_execnz .LBB39_1290
	s_branch .LBB39_1320
.LBB39_1256:
	s_mov_b64 s[12:13], -1
	s_mov_b64 s[6:7], 0
	s_mov_b64 s[0:1], 0
                                        ; implicit-def: $vgpr11
	s_branch .LBB39_1273
.LBB39_1257:
	s_mov_b64 s[12:13], -1
	s_mov_b64 s[6:7], 0
	s_mov_b64 s[0:1], 0
                                        ; implicit-def: $vgpr11
	s_branch .LBB39_1268
.LBB39_1258:
	s_or_b64 s[2:3], s[28:29], exec
	s_trap 2
	s_cbranch_execz .LBB39_1199
	s_branch .LBB39_1200
.LBB39_1259:
	s_mov_b64 s[12:13], -1
	s_mov_b64 s[6:7], 0
	s_mov_b64 s[0:1], 0
                                        ; implicit-def: $vgpr11
	s_branch .LBB39_1263
.LBB39_1260:
	s_andn2_saveexec_b64 s[16:17], s[16:17]
	s_cbranch_execz .LBB39_995
.LBB39_1261:
	s_mov_b32 s20, 0x42800000
	v_add_f32_e64 v3, |v0|, s20
	v_and_b32_e32 v3, 0xff, v3
	v_cmp_ne_u32_e32 vcc, 0, v3
	s_andn2_b64 s[14:15], s[14:15], exec
	s_and_b64 s[20:21], vcc, exec
	s_or_b64 s[14:15], s[14:15], s[20:21]
	s_or_b64 exec, exec, s[16:17]
	v_mov_b32_e32 v5, 0
	s_and_saveexec_b64 s[16:17], s[14:15]
	s_cbranch_execnz .LBB39_996
	s_branch .LBB39_997
.LBB39_1262:
	s_mov_b64 s[0:1], -1
                                        ; implicit-def: $vgpr11
	s_mov_b64 s[6:7], 0
.LBB39_1263:
	s_and_b64 vcc, exec, s[12:13]
	s_cbranch_vccz .LBB39_1267
; %bb.1264:
	s_cmp_eq_u32 s14, 44
	s_cbranch_scc0 .LBB39_1266
; %bb.1265:
	global_load_ubyte v1, v[14:15], off
	s_mov_b64 s[0:1], 0
	s_mov_b64 s[6:7], -1
	s_waitcnt vmcnt(0)
	v_lshlrev_b32_e32 v3, 23, v1
	v_cvt_i32_f32_e32 v3, v3
	v_cmp_ne_u32_e32 vcc, 0, v1
	v_cndmask_b32_e32 v11, 0, v3, vcc
	s_branch .LBB39_1267
.LBB39_1266:
	s_mov_b64 s[0:1], -1
                                        ; implicit-def: $vgpr11
.LBB39_1267:
	s_mov_b64 s[12:13], 0
.LBB39_1268:
	s_and_b64 vcc, exec, s[12:13]
	s_cbranch_vccz .LBB39_1272
; %bb.1269:
	s_cmp_eq_u32 s14, 29
	s_cbranch_scc0 .LBB39_1271
; %bb.1270:
	global_load_dwordx2 v[11:12], v[14:15], off
	s_mov_b64 s[0:1], 0
	s_mov_b64 s[6:7], -1
	s_branch .LBB39_1272
.LBB39_1271:
	s_mov_b64 s[0:1], -1
                                        ; implicit-def: $vgpr11
.LBB39_1272:
	s_mov_b64 s[12:13], 0
.LBB39_1273:
	s_and_b64 vcc, exec, s[12:13]
	s_cbranch_vccz .LBB39_1289
; %bb.1274:
	s_cmp_lt_i32 s14, 27
	s_cbranch_scc1 .LBB39_1277
; %bb.1275:
	s_cmp_gt_i32 s14, 27
	s_cbranch_scc0 .LBB39_1278
; %bb.1276:
	global_load_dword v11, v[14:15], off
	s_mov_b64 s[6:7], 0
	s_branch .LBB39_1279
.LBB39_1277:
	s_mov_b64 s[6:7], -1
                                        ; implicit-def: $vgpr11
	s_branch .LBB39_1282
.LBB39_1278:
	s_mov_b64 s[6:7], -1
                                        ; implicit-def: $vgpr11
.LBB39_1279:
	s_andn2_b64 vcc, exec, s[6:7]
	s_cbranch_vccnz .LBB39_1281
; %bb.1280:
	global_load_ushort v11, v[14:15], off
.LBB39_1281:
	s_mov_b64 s[6:7], 0
.LBB39_1282:
	s_andn2_b64 vcc, exec, s[6:7]
	s_cbranch_vccnz .LBB39_1288
; %bb.1283:
	global_load_ubyte v1, v[14:15], off
	s_movk_i32 s6, 0x7f
	s_mov_b64 s[12:13], 0
	s_waitcnt vmcnt(0)
	v_cmp_lt_i16_e32 vcc, s6, v1
	s_and_saveexec_b64 s[6:7], vcc
	s_xor_b64 s[6:7], exec, s[6:7]
	s_cbranch_execz .LBB39_1299
; %bb.1284:
	s_movk_i32 s12, 0x80
	v_cmp_ne_u16_e32 vcc, s12, v1
	s_and_b64 s[12:13], vcc, exec
	s_andn2_saveexec_b64 s[6:7], s[6:7]
	s_cbranch_execnz .LBB39_1300
.LBB39_1285:
	s_or_b64 exec, exec, s[6:7]
	v_mov_b32_e32 v11, 0
	s_and_saveexec_b64 s[6:7], s[12:13]
	s_cbranch_execz .LBB39_1287
.LBB39_1286:
	v_lshlrev_b32_e32 v3, 24, v1
	v_and_b32_e32 v1, 0xffff, v1
	v_and_b32_e32 v5, 7, v1
	v_ffbh_u32_e32 v10, v5
	v_min_u32_e32 v10, 32, v10
	v_subrev_u32_e32 v11, 28, v10
	v_bfe_u32 v8, v1, 3, 4
	v_lshlrev_b32_e32 v1, v11, v1
	v_sub_u32_e32 v10, 29, v10
	v_and_b32_e32 v1, 7, v1
	v_cmp_eq_u32_e32 vcc, 0, v8
	v_cndmask_b32_e32 v8, v8, v10, vcc
	v_cndmask_b32_e32 v1, v5, v1, vcc
	v_mov_b32_e32 v5, 0x3b800000
	v_lshlrev_b32_e32 v1, 20, v1
	v_and_b32_e32 v3, 0x80000000, v3
	v_lshl_add_u32 v5, v8, 23, v5
	v_or3_b32 v1, v3, v5, v1
	v_cvt_i32_f32_e32 v11, v1
.LBB39_1287:
	s_or_b64 exec, exec, s[6:7]
.LBB39_1288:
	s_mov_b64 s[6:7], -1
.LBB39_1289:
	s_branch .LBB39_1320
.LBB39_1290:
	s_cmp_gt_i32 s14, 22
	s_cbranch_scc0 .LBB39_1298
; %bb.1291:
	s_cmp_lt_i32 s14, 24
	s_cbranch_scc1 .LBB39_1301
; %bb.1292:
	s_cmp_gt_i32 s14, 24
	s_cbranch_scc0 .LBB39_1302
; %bb.1293:
	global_load_ubyte v1, v[14:15], off
	s_movk_i32 s4, 0x7f
	s_mov_b64 s[6:7], 0
	s_waitcnt vmcnt(0)
	v_cmp_lt_i16_e32 vcc, s4, v1
	s_and_saveexec_b64 s[4:5], vcc
	s_xor_b64 s[4:5], exec, s[4:5]
	s_cbranch_execz .LBB39_1314
; %bb.1294:
	s_movk_i32 s6, 0x80
	v_cmp_ne_u16_e32 vcc, s6, v1
	s_and_b64 s[6:7], vcc, exec
	s_andn2_saveexec_b64 s[4:5], s[4:5]
	s_cbranch_execnz .LBB39_1315
.LBB39_1295:
	s_or_b64 exec, exec, s[4:5]
	v_mov_b32_e32 v11, 0
	s_and_saveexec_b64 s[4:5], s[6:7]
	s_cbranch_execz .LBB39_1297
.LBB39_1296:
	v_lshlrev_b32_e32 v3, 24, v1
	v_and_b32_e32 v1, 0xffff, v1
	v_and_b32_e32 v5, 3, v1
	v_ffbh_u32_e32 v10, v5
	v_min_u32_e32 v10, 32, v10
	v_subrev_u32_e32 v11, 29, v10
	v_bfe_u32 v8, v1, 2, 5
	v_lshlrev_b32_e32 v1, v11, v1
	v_sub_u32_e32 v10, 30, v10
	v_and_b32_e32 v1, 3, v1
	v_cmp_eq_u32_e32 vcc, 0, v8
	v_cndmask_b32_e32 v8, v8, v10, vcc
	v_cndmask_b32_e32 v1, v5, v1, vcc
	v_mov_b32_e32 v5, 0x37800000
	v_lshlrev_b32_e32 v1, 21, v1
	v_and_b32_e32 v3, 0x80000000, v3
	v_lshl_add_u32 v5, v8, 23, v5
	v_or3_b32 v1, v3, v5, v1
	v_cvt_i32_f32_e32 v11, v1
.LBB39_1297:
	s_or_b64 exec, exec, s[4:5]
	s_mov_b64 s[4:5], 0
	s_branch .LBB39_1303
.LBB39_1298:
	s_mov_b64 s[4:5], -1
                                        ; implicit-def: $vgpr11
	s_branch .LBB39_1309
.LBB39_1299:
	s_andn2_saveexec_b64 s[6:7], s[6:7]
	s_cbranch_execz .LBB39_1285
.LBB39_1300:
	v_cmp_ne_u16_e32 vcc, 0, v1
	s_andn2_b64 s[12:13], s[12:13], exec
	s_and_b64 s[18:19], vcc, exec
	s_or_b64 s[12:13], s[12:13], s[18:19]
	s_or_b64 exec, exec, s[6:7]
	v_mov_b32_e32 v11, 0
	s_and_saveexec_b64 s[6:7], s[12:13]
	s_cbranch_execnz .LBB39_1286
	s_branch .LBB39_1287
.LBB39_1301:
	s_mov_b64 s[4:5], -1
                                        ; implicit-def: $vgpr11
	s_branch .LBB39_1306
.LBB39_1302:
	s_mov_b64 s[4:5], -1
                                        ; implicit-def: $vgpr11
.LBB39_1303:
	s_and_b64 vcc, exec, s[4:5]
	s_cbranch_vccz .LBB39_1305
; %bb.1304:
	global_load_ubyte v1, v[14:15], off
	s_mov_b32 s4, 0x7f800000
	s_waitcnt vmcnt(0)
	v_lshlrev_b32_e32 v1, 24, v1
	v_and_b32_e32 v3, 0x7f000000, v1
	v_ffbh_u32_e32 v5, v3
	v_min_u32_e32 v5, 32, v5
	v_sub_u32_e64 v5, v5, 4 clamp
	v_lshlrev_b32_e32 v10, v5, v3
	v_lshlrev_b32_e32 v5, 23, v5
	v_lshrrev_b32_e32 v10, 4, v10
	v_add_u32_e32 v8, 0x1000000, v3
	v_sub_u32_e32 v5, v10, v5
	v_ashrrev_i32_e32 v8, 8, v8
	v_add_u32_e32 v5, 0x3c000000, v5
	v_and_or_b32 v5, v8, s4, v5
	v_cmp_ne_u32_e32 vcc, 0, v3
	v_cndmask_b32_e32 v3, 0, v5, vcc
	s_brev_b32 s4, 1
	v_and_or_b32 v1, v1, s4, v3
	v_cvt_i32_f32_e32 v11, v1
.LBB39_1305:
	s_mov_b64 s[4:5], 0
.LBB39_1306:
	s_andn2_b64 vcc, exec, s[4:5]
	s_cbranch_vccnz .LBB39_1308
; %bb.1307:
	global_load_ubyte v1, v[14:15], off
	s_movk_i32 s4, 0x7f00
	s_brev_b32 s5, 16
	s_waitcnt vmcnt(0)
	v_lshlrev_b16_e32 v3, 8, v1
	v_lshlrev_b32_e32 v1, 25, v1
	v_lshrrev_b32_e32 v5, 4, v1
	v_and_or_b32 v8, v3, s4, 0.5
	v_or_b32_e32 v5, 0x70000000, v5
	v_add_f32_e32 v8, -0.5, v8
	v_mul_f32_e32 v5, 0x7800000, v5
	v_cmp_gt_u32_e32 vcc, s5, v1
	v_bfe_i32 v3, v3, 0, 16
	v_cndmask_b32_e32 v1, v5, v8, vcc
	s_brev_b32 s4, 1
	v_and_or_b32 v1, v3, s4, v1
	v_cvt_i32_f32_e32 v11, v1
.LBB39_1308:
	s_mov_b64 s[4:5], 0
	s_mov_b64 s[6:7], -1
.LBB39_1309:
	s_andn2_b64 vcc, exec, s[4:5]
	s_mov_b64 s[4:5], 0
	s_cbranch_vccnz .LBB39_1320
; %bb.1310:
	s_cmp_gt_i32 s14, 14
	s_cbranch_scc0 .LBB39_1313
; %bb.1311:
	s_cmp_eq_u32 s14, 15
	s_cbranch_scc0 .LBB39_1316
; %bb.1312:
	global_load_ushort v1, v[14:15], off
	s_mov_b64 s[0:1], 0
	s_mov_b64 s[6:7], -1
	s_waitcnt vmcnt(0)
	v_lshlrev_b32_e32 v1, 16, v1
	v_cvt_i32_f32_e32 v11, v1
	s_branch .LBB39_1317
.LBB39_1313:
	s_mov_b64 s[12:13], -1
                                        ; implicit-def: $vgpr11
	s_branch .LBB39_1318
.LBB39_1314:
	s_andn2_saveexec_b64 s[4:5], s[4:5]
	s_cbranch_execz .LBB39_1295
.LBB39_1315:
	v_cmp_ne_u16_e32 vcc, 0, v1
	s_andn2_b64 s[6:7], s[6:7], exec
	s_and_b64 s[12:13], vcc, exec
	s_or_b64 s[6:7], s[6:7], s[12:13]
	s_or_b64 exec, exec, s[4:5]
	v_mov_b32_e32 v11, 0
	s_and_saveexec_b64 s[4:5], s[6:7]
	s_cbranch_execnz .LBB39_1296
	s_branch .LBB39_1297
.LBB39_1316:
	s_mov_b64 s[0:1], -1
                                        ; implicit-def: $vgpr11
.LBB39_1317:
	s_mov_b64 s[12:13], 0
.LBB39_1318:
	s_and_b64 vcc, exec, s[12:13]
	s_cbranch_vccz .LBB39_1320
; %bb.1319:
	s_cmp_lg_u32 s14, 11
	s_mov_b64 s[4:5], -1
	s_cselect_b64 s[0:1], -1, 0
.LBB39_1320:
	s_and_b64 vcc, exec, s[0:1]
	s_cbranch_vccnz .LBB39_1383
; %bb.1321:
	s_andn2_b64 vcc, exec, s[4:5]
	s_cbranch_vccnz .LBB39_1323
.LBB39_1322:
	global_load_ubyte v1, v[14:15], off
	s_mov_b64 s[6:7], -1
	s_waitcnt vmcnt(0)
	v_cmp_ne_u16_e32 vcc, 0, v1
	v_cndmask_b32_e64 v11, 0, 1, vcc
.LBB39_1323:
	s_branch .LBB39_1254
.LBB39_1324:
	s_cmp_lt_i32 s14, 5
	s_cbranch_scc1 .LBB39_1329
; %bb.1325:
	s_cmp_lt_i32 s14, 8
	s_cbranch_scc1 .LBB39_1330
; %bb.1326:
	;; [unrolled: 3-line block ×3, first 2 shown]
	s_cmp_gt_i32 s14, 9
	s_cbranch_scc0 .LBB39_1332
; %bb.1328:
	global_load_dwordx2 v[10:11], v[14:15], off
	s_mov_b64 s[0:1], 0
	s_waitcnt vmcnt(0)
	v_cvt_i32_f64_e32 v11, v[10:11]
	s_branch .LBB39_1333
.LBB39_1329:
                                        ; implicit-def: $vgpr11
	s_branch .LBB39_1351
.LBB39_1330:
	s_mov_b64 s[0:1], -1
                                        ; implicit-def: $vgpr11
	s_branch .LBB39_1339
.LBB39_1331:
	s_mov_b64 s[0:1], -1
                                        ; implicit-def: $vgpr11
	s_branch .LBB39_1336
.LBB39_1332:
	s_mov_b64 s[0:1], -1
                                        ; implicit-def: $vgpr11
.LBB39_1333:
	s_andn2_b64 vcc, exec, s[0:1]
	s_cbranch_vccnz .LBB39_1335
; %bb.1334:
	global_load_dword v1, v[14:15], off
	s_waitcnt vmcnt(0)
	v_cvt_i32_f32_e32 v11, v1
.LBB39_1335:
	s_mov_b64 s[0:1], 0
.LBB39_1336:
	s_andn2_b64 vcc, exec, s[0:1]
	s_cbranch_vccnz .LBB39_1338
; %bb.1337:
	global_load_dword v1, v[14:15], off
	s_waitcnt vmcnt(0)
	v_cvt_i16_f16_e32 v11, v1
.LBB39_1338:
	s_mov_b64 s[0:1], 0
.LBB39_1339:
	s_andn2_b64 vcc, exec, s[0:1]
	s_cbranch_vccnz .LBB39_1350
; %bb.1340:
	s_cmp_lt_i32 s14, 6
	s_cbranch_scc1 .LBB39_1343
; %bb.1341:
	s_cmp_gt_i32 s14, 6
	s_cbranch_scc0 .LBB39_1344
; %bb.1342:
	global_load_dwordx2 v[10:11], v[14:15], off
	s_mov_b64 s[0:1], 0
	s_waitcnt vmcnt(0)
	v_cvt_i32_f64_e32 v11, v[10:11]
	s_branch .LBB39_1345
.LBB39_1343:
	s_mov_b64 s[0:1], -1
                                        ; implicit-def: $vgpr11
	s_branch .LBB39_1348
.LBB39_1344:
	s_mov_b64 s[0:1], -1
                                        ; implicit-def: $vgpr11
.LBB39_1345:
	s_andn2_b64 vcc, exec, s[0:1]
	s_cbranch_vccnz .LBB39_1347
; %bb.1346:
	global_load_dword v1, v[14:15], off
	s_waitcnt vmcnt(0)
	v_cvt_i32_f32_e32 v11, v1
.LBB39_1347:
	s_mov_b64 s[0:1], 0
.LBB39_1348:
	s_andn2_b64 vcc, exec, s[0:1]
	s_cbranch_vccnz .LBB39_1350
; %bb.1349:
	global_load_ushort v1, v[14:15], off
	s_waitcnt vmcnt(0)
	v_cvt_i16_f16_e32 v11, v1
.LBB39_1350:
	s_cbranch_execnz .LBB39_1370
.LBB39_1351:
	s_cmp_lt_i32 s14, 2
	s_cbranch_scc1 .LBB39_1355
; %bb.1352:
	s_cmp_lt_i32 s14, 3
	s_cbranch_scc1 .LBB39_1356
; %bb.1353:
	s_cmp_gt_i32 s14, 3
	s_cbranch_scc0 .LBB39_1357
; %bb.1354:
	global_load_dwordx2 v[11:12], v[14:15], off
	s_mov_b64 s[0:1], 0
	s_branch .LBB39_1358
.LBB39_1355:
	s_mov_b64 s[0:1], -1
                                        ; implicit-def: $vgpr11
	s_branch .LBB39_1364
.LBB39_1356:
	s_mov_b64 s[0:1], -1
                                        ; implicit-def: $vgpr11
	s_branch .LBB39_1361
.LBB39_1357:
	s_mov_b64 s[0:1], -1
                                        ; implicit-def: $vgpr11
.LBB39_1358:
	s_andn2_b64 vcc, exec, s[0:1]
	s_cbranch_vccnz .LBB39_1360
; %bb.1359:
	global_load_dword v11, v[14:15], off
.LBB39_1360:
	s_mov_b64 s[0:1], 0
.LBB39_1361:
	s_andn2_b64 vcc, exec, s[0:1]
	s_cbranch_vccnz .LBB39_1363
; %bb.1362:
	global_load_ushort v11, v[14:15], off
.LBB39_1363:
	s_mov_b64 s[0:1], 0
.LBB39_1364:
	s_andn2_b64 vcc, exec, s[0:1]
	s_cbranch_vccnz .LBB39_1370
; %bb.1365:
	s_cmp_gt_i32 s14, 0
	s_cbranch_scc0 .LBB39_1367
; %bb.1366:
	global_load_ubyte v11, v[14:15], off
	s_mov_b64 s[0:1], 0
	s_branch .LBB39_1368
.LBB39_1367:
	s_mov_b64 s[0:1], -1
                                        ; implicit-def: $vgpr11
.LBB39_1368:
	s_andn2_b64 vcc, exec, s[0:1]
	s_cbranch_vccnz .LBB39_1370
; %bb.1369:
	global_load_ubyte v11, v[14:15], off
.LBB39_1370:
.LBB39_1371:
	v_mov_b32_e32 v1, s11
	v_add_co_u32_e32 v14, vcc, s10, v9
	s_cmp_lt_i32 s14, 11
	v_addc_co_u32_e32 v15, vcc, 0, v1, vcc
	s_cbranch_scc1 .LBB39_1378
; %bb.1372:
	s_cmp_gt_i32 s14, 25
	s_mov_b64 s[4:5], 0
	s_cbranch_scc0 .LBB39_1380
; %bb.1373:
	s_cmp_gt_i32 s14, 28
	s_cbranch_scc0 .LBB39_1381
; %bb.1374:
	s_cmp_gt_i32 s14, 43
	;; [unrolled: 3-line block ×3, first 2 shown]
	s_cbranch_scc0 .LBB39_1384
; %bb.1376:
	s_cmp_eq_u32 s14, 46
	s_mov_b64 s[12:13], 0
	s_cbranch_scc0 .LBB39_1385
; %bb.1377:
	global_load_dword v1, v[14:15], off
	s_mov_b64 s[0:1], 0
	s_mov_b64 s[6:7], -1
	s_waitcnt vmcnt(0)
	v_lshlrev_b32_e32 v1, 16, v1
	v_cvt_i32_f32_e32 v9, v1
	s_branch .LBB39_1386
.LBB39_1378:
	s_mov_b64 s[6:7], 0
                                        ; implicit-def: $vgpr9
	s_cbranch_execnz .LBB39_1448
.LBB39_1379:
	s_andn2_b64 vcc, exec, s[6:7]
	s_cbranch_vccnz .LBB39_2055
	s_branch .LBB39_1496
.LBB39_1380:
	s_mov_b64 s[12:13], -1
	s_mov_b64 s[6:7], 0
	s_mov_b64 s[0:1], 0
                                        ; implicit-def: $vgpr9
	s_branch .LBB39_1413
.LBB39_1381:
	s_mov_b64 s[12:13], -1
	s_mov_b64 s[6:7], 0
	s_mov_b64 s[0:1], 0
                                        ; implicit-def: $vgpr9
	s_branch .LBB39_1396
.LBB39_1382:
	s_mov_b64 s[12:13], -1
	s_mov_b64 s[6:7], 0
	s_mov_b64 s[0:1], 0
                                        ; implicit-def: $vgpr9
	s_branch .LBB39_1391
.LBB39_1383:
	s_trap 2
	s_or_b64 s[2:3], s[2:3], exec
	s_cbranch_execz .LBB39_1322
	s_branch .LBB39_1323
.LBB39_1384:
	s_mov_b64 s[12:13], -1
	s_mov_b64 s[6:7], 0
	s_mov_b64 s[0:1], 0
                                        ; implicit-def: $vgpr9
	s_branch .LBB39_1386
.LBB39_1385:
	s_mov_b64 s[0:1], -1
                                        ; implicit-def: $vgpr9
	s_mov_b64 s[6:7], 0
.LBB39_1386:
	s_and_b64 vcc, exec, s[12:13]
	s_cbranch_vccz .LBB39_1390
; %bb.1387:
	s_cmp_eq_u32 s14, 44
	s_cbranch_scc0 .LBB39_1389
; %bb.1388:
	global_load_ubyte v1, v[14:15], off
	s_mov_b64 s[0:1], 0
	s_mov_b64 s[6:7], -1
	s_waitcnt vmcnt(0)
	v_lshlrev_b32_e32 v3, 23, v1
	v_cvt_i32_f32_e32 v3, v3
	v_cmp_ne_u32_e32 vcc, 0, v1
	v_cndmask_b32_e32 v9, 0, v3, vcc
	s_branch .LBB39_1390
.LBB39_1389:
	s_mov_b64 s[0:1], -1
                                        ; implicit-def: $vgpr9
.LBB39_1390:
	s_mov_b64 s[12:13], 0
.LBB39_1391:
	s_and_b64 vcc, exec, s[12:13]
	s_cbranch_vccz .LBB39_1395
; %bb.1392:
	s_cmp_eq_u32 s14, 29
	s_cbranch_scc0 .LBB39_1394
; %bb.1393:
	global_load_dwordx2 v[9:10], v[14:15], off
	s_mov_b64 s[0:1], 0
	s_mov_b64 s[6:7], -1
	s_branch .LBB39_1395
.LBB39_1394:
	s_mov_b64 s[0:1], -1
                                        ; implicit-def: $vgpr9
.LBB39_1395:
	s_mov_b64 s[12:13], 0
.LBB39_1396:
	s_and_b64 vcc, exec, s[12:13]
	s_cbranch_vccz .LBB39_1412
; %bb.1397:
	s_cmp_lt_i32 s14, 27
	s_cbranch_scc1 .LBB39_1400
; %bb.1398:
	s_cmp_gt_i32 s14, 27
	s_cbranch_scc0 .LBB39_1401
; %bb.1399:
	global_load_dword v9, v[14:15], off
	s_mov_b64 s[6:7], 0
	s_branch .LBB39_1402
.LBB39_1400:
	s_mov_b64 s[6:7], -1
                                        ; implicit-def: $vgpr9
	s_branch .LBB39_1405
.LBB39_1401:
	s_mov_b64 s[6:7], -1
                                        ; implicit-def: $vgpr9
.LBB39_1402:
	s_andn2_b64 vcc, exec, s[6:7]
	s_cbranch_vccnz .LBB39_1404
; %bb.1403:
	global_load_ushort v9, v[14:15], off
.LBB39_1404:
	s_mov_b64 s[6:7], 0
.LBB39_1405:
	s_andn2_b64 vcc, exec, s[6:7]
	s_cbranch_vccnz .LBB39_1411
; %bb.1406:
	global_load_ubyte v1, v[14:15], off
	s_movk_i32 s6, 0x7f
	s_mov_b64 s[12:13], 0
	s_waitcnt vmcnt(0)
	v_cmp_lt_i16_e32 vcc, s6, v1
	s_and_saveexec_b64 s[6:7], vcc
	s_xor_b64 s[6:7], exec, s[6:7]
	s_cbranch_execz .LBB39_1423
; %bb.1407:
	s_movk_i32 s12, 0x80
	v_cmp_ne_u16_e32 vcc, s12, v1
	s_and_b64 s[12:13], vcc, exec
	s_andn2_saveexec_b64 s[6:7], s[6:7]
	s_cbranch_execnz .LBB39_1424
.LBB39_1408:
	s_or_b64 exec, exec, s[6:7]
	v_mov_b32_e32 v9, 0
	s_and_saveexec_b64 s[6:7], s[12:13]
	s_cbranch_execz .LBB39_1410
.LBB39_1409:
	v_lshlrev_b32_e32 v3, 24, v1
	v_and_b32_e32 v1, 0xffff, v1
	v_and_b32_e32 v5, 7, v1
	v_ffbh_u32_e32 v9, v5
	v_min_u32_e32 v9, 32, v9
	v_subrev_u32_e32 v10, 28, v9
	v_bfe_u32 v8, v1, 3, 4
	v_lshlrev_b32_e32 v1, v10, v1
	v_sub_u32_e32 v9, 29, v9
	v_and_b32_e32 v1, 7, v1
	v_cmp_eq_u32_e32 vcc, 0, v8
	v_cndmask_b32_e32 v8, v8, v9, vcc
	v_cndmask_b32_e32 v1, v5, v1, vcc
	v_mov_b32_e32 v5, 0x3b800000
	v_lshlrev_b32_e32 v1, 20, v1
	v_and_b32_e32 v3, 0x80000000, v3
	v_lshl_add_u32 v5, v8, 23, v5
	v_or3_b32 v1, v3, v5, v1
	v_cvt_i32_f32_e32 v9, v1
.LBB39_1410:
	s_or_b64 exec, exec, s[6:7]
.LBB39_1411:
	s_mov_b64 s[6:7], -1
.LBB39_1412:
	s_mov_b64 s[12:13], 0
.LBB39_1413:
	s_and_b64 vcc, exec, s[12:13]
	s_cbranch_vccz .LBB39_1444
; %bb.1414:
	s_cmp_gt_i32 s14, 22
	s_cbranch_scc0 .LBB39_1422
; %bb.1415:
	s_cmp_lt_i32 s14, 24
	s_cbranch_scc1 .LBB39_1425
; %bb.1416:
	s_cmp_gt_i32 s14, 24
	s_cbranch_scc0 .LBB39_1426
; %bb.1417:
	global_load_ubyte v1, v[14:15], off
	s_movk_i32 s4, 0x7f
	s_mov_b64 s[6:7], 0
	s_waitcnt vmcnt(0)
	v_cmp_lt_i16_e32 vcc, s4, v1
	s_and_saveexec_b64 s[4:5], vcc
	s_xor_b64 s[4:5], exec, s[4:5]
	s_cbranch_execz .LBB39_1438
; %bb.1418:
	s_movk_i32 s6, 0x80
	v_cmp_ne_u16_e32 vcc, s6, v1
	s_and_b64 s[6:7], vcc, exec
	s_andn2_saveexec_b64 s[4:5], s[4:5]
	s_cbranch_execnz .LBB39_1439
.LBB39_1419:
	s_or_b64 exec, exec, s[4:5]
	v_mov_b32_e32 v9, 0
	s_and_saveexec_b64 s[4:5], s[6:7]
	s_cbranch_execz .LBB39_1421
.LBB39_1420:
	v_lshlrev_b32_e32 v3, 24, v1
	v_and_b32_e32 v1, 0xffff, v1
	v_and_b32_e32 v5, 3, v1
	v_ffbh_u32_e32 v9, v5
	v_min_u32_e32 v9, 32, v9
	v_subrev_u32_e32 v10, 29, v9
	v_bfe_u32 v8, v1, 2, 5
	v_lshlrev_b32_e32 v1, v10, v1
	v_sub_u32_e32 v9, 30, v9
	v_and_b32_e32 v1, 3, v1
	v_cmp_eq_u32_e32 vcc, 0, v8
	v_cndmask_b32_e32 v8, v8, v9, vcc
	v_cndmask_b32_e32 v1, v5, v1, vcc
	v_mov_b32_e32 v5, 0x37800000
	v_lshlrev_b32_e32 v1, 21, v1
	v_and_b32_e32 v3, 0x80000000, v3
	v_lshl_add_u32 v5, v8, 23, v5
	v_or3_b32 v1, v3, v5, v1
	v_cvt_i32_f32_e32 v9, v1
.LBB39_1421:
	s_or_b64 exec, exec, s[4:5]
	s_mov_b64 s[4:5], 0
	s_branch .LBB39_1427
.LBB39_1422:
	s_mov_b64 s[4:5], -1
                                        ; implicit-def: $vgpr9
	s_branch .LBB39_1433
.LBB39_1423:
	s_andn2_saveexec_b64 s[6:7], s[6:7]
	s_cbranch_execz .LBB39_1408
.LBB39_1424:
	v_cmp_ne_u16_e32 vcc, 0, v1
	s_andn2_b64 s[12:13], s[12:13], exec
	s_and_b64 s[18:19], vcc, exec
	s_or_b64 s[12:13], s[12:13], s[18:19]
	s_or_b64 exec, exec, s[6:7]
	v_mov_b32_e32 v9, 0
	s_and_saveexec_b64 s[6:7], s[12:13]
	s_cbranch_execnz .LBB39_1409
	s_branch .LBB39_1410
.LBB39_1425:
	s_mov_b64 s[4:5], -1
                                        ; implicit-def: $vgpr9
	s_branch .LBB39_1430
.LBB39_1426:
	s_mov_b64 s[4:5], -1
                                        ; implicit-def: $vgpr9
.LBB39_1427:
	s_and_b64 vcc, exec, s[4:5]
	s_cbranch_vccz .LBB39_1429
; %bb.1428:
	global_load_ubyte v1, v[14:15], off
	s_mov_b32 s4, 0x7f800000
	s_waitcnt vmcnt(0)
	v_lshlrev_b32_e32 v1, 24, v1
	v_and_b32_e32 v3, 0x7f000000, v1
	v_ffbh_u32_e32 v5, v3
	v_min_u32_e32 v5, 32, v5
	v_sub_u32_e64 v5, v5, 4 clamp
	v_lshlrev_b32_e32 v9, v5, v3
	v_lshlrev_b32_e32 v5, 23, v5
	v_lshrrev_b32_e32 v9, 4, v9
	v_add_u32_e32 v8, 0x1000000, v3
	v_sub_u32_e32 v5, v9, v5
	v_ashrrev_i32_e32 v8, 8, v8
	v_add_u32_e32 v5, 0x3c000000, v5
	v_and_or_b32 v5, v8, s4, v5
	v_cmp_ne_u32_e32 vcc, 0, v3
	v_cndmask_b32_e32 v3, 0, v5, vcc
	s_brev_b32 s4, 1
	v_and_or_b32 v1, v1, s4, v3
	v_cvt_i32_f32_e32 v9, v1
.LBB39_1429:
	s_mov_b64 s[4:5], 0
.LBB39_1430:
	s_andn2_b64 vcc, exec, s[4:5]
	s_cbranch_vccnz .LBB39_1432
; %bb.1431:
	global_load_ubyte v1, v[14:15], off
	s_movk_i32 s4, 0x7f00
	s_brev_b32 s5, 16
	s_waitcnt vmcnt(0)
	v_lshlrev_b16_e32 v3, 8, v1
	v_lshlrev_b32_e32 v1, 25, v1
	v_lshrrev_b32_e32 v5, 4, v1
	v_and_or_b32 v8, v3, s4, 0.5
	v_or_b32_e32 v5, 0x70000000, v5
	v_add_f32_e32 v8, -0.5, v8
	v_mul_f32_e32 v5, 0x7800000, v5
	v_cmp_gt_u32_e32 vcc, s5, v1
	v_bfe_i32 v3, v3, 0, 16
	v_cndmask_b32_e32 v1, v5, v8, vcc
	s_brev_b32 s4, 1
	v_and_or_b32 v1, v3, s4, v1
	v_cvt_i32_f32_e32 v9, v1
.LBB39_1432:
	s_mov_b64 s[4:5], 0
	s_mov_b64 s[6:7], -1
.LBB39_1433:
	s_andn2_b64 vcc, exec, s[4:5]
	s_mov_b64 s[4:5], 0
	s_cbranch_vccnz .LBB39_1444
; %bb.1434:
	s_cmp_gt_i32 s14, 14
	s_cbranch_scc0 .LBB39_1437
; %bb.1435:
	s_cmp_eq_u32 s14, 15
	s_cbranch_scc0 .LBB39_1440
; %bb.1436:
	global_load_ushort v1, v[14:15], off
	s_mov_b64 s[0:1], 0
	s_mov_b64 s[6:7], -1
	s_waitcnt vmcnt(0)
	v_lshlrev_b32_e32 v1, 16, v1
	v_cvt_i32_f32_e32 v9, v1
	s_branch .LBB39_1441
.LBB39_1437:
	s_mov_b64 s[12:13], -1
                                        ; implicit-def: $vgpr9
	s_branch .LBB39_1442
.LBB39_1438:
	s_andn2_saveexec_b64 s[4:5], s[4:5]
	s_cbranch_execz .LBB39_1419
.LBB39_1439:
	v_cmp_ne_u16_e32 vcc, 0, v1
	s_andn2_b64 s[6:7], s[6:7], exec
	s_and_b64 s[12:13], vcc, exec
	s_or_b64 s[6:7], s[6:7], s[12:13]
	s_or_b64 exec, exec, s[4:5]
	v_mov_b32_e32 v9, 0
	s_and_saveexec_b64 s[4:5], s[6:7]
	s_cbranch_execnz .LBB39_1420
	s_branch .LBB39_1421
.LBB39_1440:
	s_mov_b64 s[0:1], -1
                                        ; implicit-def: $vgpr9
.LBB39_1441:
	s_mov_b64 s[12:13], 0
.LBB39_1442:
	s_and_b64 vcc, exec, s[12:13]
	s_cbranch_vccz .LBB39_1444
; %bb.1443:
	s_cmp_lg_u32 s14, 11
	s_mov_b64 s[4:5], -1
	s_cselect_b64 s[0:1], -1, 0
.LBB39_1444:
	s_and_b64 vcc, exec, s[0:1]
	s_cbranch_vccnz .LBB39_1507
; %bb.1445:
	s_andn2_b64 vcc, exec, s[4:5]
	s_cbranch_vccnz .LBB39_1447
.LBB39_1446:
	global_load_ubyte v1, v[14:15], off
	s_mov_b64 s[6:7], -1
	s_waitcnt vmcnt(0)
	v_cmp_ne_u16_e32 vcc, 0, v1
	v_cndmask_b32_e64 v9, 0, 1, vcc
.LBB39_1447:
	s_branch .LBB39_1379
.LBB39_1448:
	s_cmp_lt_i32 s14, 5
	s_cbranch_scc1 .LBB39_1453
; %bb.1449:
	s_cmp_lt_i32 s14, 8
	s_cbranch_scc1 .LBB39_1454
; %bb.1450:
	;; [unrolled: 3-line block ×3, first 2 shown]
	s_cmp_gt_i32 s14, 9
	s_cbranch_scc0 .LBB39_1456
; %bb.1452:
	global_load_dwordx2 v[8:9], v[14:15], off
	s_mov_b64 s[0:1], 0
	s_waitcnt vmcnt(0)
	v_cvt_i32_f64_e32 v9, v[8:9]
	s_branch .LBB39_1457
.LBB39_1453:
	s_mov_b64 s[0:1], -1
                                        ; implicit-def: $vgpr9
	s_branch .LBB39_1475
.LBB39_1454:
	s_mov_b64 s[0:1], -1
                                        ; implicit-def: $vgpr9
	s_branch .LBB39_1463
.LBB39_1455:
	s_mov_b64 s[0:1], -1
                                        ; implicit-def: $vgpr9
	s_branch .LBB39_1460
.LBB39_1456:
	s_mov_b64 s[0:1], -1
                                        ; implicit-def: $vgpr9
.LBB39_1457:
	s_andn2_b64 vcc, exec, s[0:1]
	s_cbranch_vccnz .LBB39_1459
; %bb.1458:
	global_load_dword v1, v[14:15], off
	s_waitcnt vmcnt(0)
	v_cvt_i32_f32_e32 v9, v1
.LBB39_1459:
	s_mov_b64 s[0:1], 0
.LBB39_1460:
	s_andn2_b64 vcc, exec, s[0:1]
	s_cbranch_vccnz .LBB39_1462
; %bb.1461:
	global_load_dword v1, v[14:15], off
	s_waitcnt vmcnt(0)
	v_cvt_i16_f16_e32 v9, v1
.LBB39_1462:
	s_mov_b64 s[0:1], 0
.LBB39_1463:
	s_andn2_b64 vcc, exec, s[0:1]
	s_cbranch_vccnz .LBB39_1474
; %bb.1464:
	s_cmp_lt_i32 s14, 6
	s_cbranch_scc1 .LBB39_1467
; %bb.1465:
	s_cmp_gt_i32 s14, 6
	s_cbranch_scc0 .LBB39_1468
; %bb.1466:
	global_load_dwordx2 v[8:9], v[14:15], off
	s_mov_b64 s[0:1], 0
	s_waitcnt vmcnt(0)
	v_cvt_i32_f64_e32 v9, v[8:9]
	s_branch .LBB39_1469
.LBB39_1467:
	s_mov_b64 s[0:1], -1
                                        ; implicit-def: $vgpr9
	s_branch .LBB39_1472
.LBB39_1468:
	s_mov_b64 s[0:1], -1
                                        ; implicit-def: $vgpr9
.LBB39_1469:
	s_andn2_b64 vcc, exec, s[0:1]
	s_cbranch_vccnz .LBB39_1471
; %bb.1470:
	global_load_dword v1, v[14:15], off
	s_waitcnt vmcnt(0)
	v_cvt_i32_f32_e32 v9, v1
.LBB39_1471:
	s_mov_b64 s[0:1], 0
.LBB39_1472:
	s_andn2_b64 vcc, exec, s[0:1]
	s_cbranch_vccnz .LBB39_1474
; %bb.1473:
	global_load_ushort v1, v[14:15], off
	s_waitcnt vmcnt(0)
	v_cvt_i16_f16_e32 v9, v1
.LBB39_1474:
	s_mov_b64 s[0:1], 0
.LBB39_1475:
	s_andn2_b64 vcc, exec, s[0:1]
	s_cbranch_vccnz .LBB39_1495
; %bb.1476:
	s_cmp_lt_i32 s14, 2
	s_cbranch_scc1 .LBB39_1480
; %bb.1477:
	s_cmp_lt_i32 s14, 3
	s_cbranch_scc1 .LBB39_1481
; %bb.1478:
	s_cmp_gt_i32 s14, 3
	s_cbranch_scc0 .LBB39_1482
; %bb.1479:
	global_load_dwordx2 v[9:10], v[14:15], off
	s_mov_b64 s[0:1], 0
	s_branch .LBB39_1483
.LBB39_1480:
	s_mov_b64 s[0:1], -1
                                        ; implicit-def: $vgpr9
	s_branch .LBB39_1489
.LBB39_1481:
	s_mov_b64 s[0:1], -1
                                        ; implicit-def: $vgpr9
	s_branch .LBB39_1486
.LBB39_1482:
	s_mov_b64 s[0:1], -1
                                        ; implicit-def: $vgpr9
.LBB39_1483:
	s_andn2_b64 vcc, exec, s[0:1]
	s_cbranch_vccnz .LBB39_1485
; %bb.1484:
	global_load_dword v9, v[14:15], off
.LBB39_1485:
	s_mov_b64 s[0:1], 0
.LBB39_1486:
	s_andn2_b64 vcc, exec, s[0:1]
	s_cbranch_vccnz .LBB39_1488
; %bb.1487:
	global_load_ushort v9, v[14:15], off
.LBB39_1488:
	s_mov_b64 s[0:1], 0
.LBB39_1489:
	s_andn2_b64 vcc, exec, s[0:1]
	s_cbranch_vccnz .LBB39_1495
; %bb.1490:
	s_cmp_gt_i32 s14, 0
	s_cbranch_scc0 .LBB39_1492
; %bb.1491:
	global_load_ubyte v9, v[14:15], off
	s_mov_b64 s[0:1], 0
	s_branch .LBB39_1493
.LBB39_1492:
	s_mov_b64 s[0:1], -1
                                        ; implicit-def: $vgpr9
.LBB39_1493:
	s_andn2_b64 vcc, exec, s[0:1]
	s_cbranch_vccnz .LBB39_1495
; %bb.1494:
	global_load_ubyte v9, v[14:15], off
.LBB39_1495:
.LBB39_1496:
	v_mov_b32_e32 v1, s11
	v_add_co_u32_e32 v14, vcc, s10, v7
	s_cmp_lt_i32 s14, 11
	v_addc_co_u32_e32 v15, vcc, 0, v1, vcc
	s_cbranch_scc1 .LBB39_1503
; %bb.1497:
	s_cmp_gt_i32 s14, 25
	s_mov_b64 s[4:5], 0
	s_cbranch_scc0 .LBB39_1504
; %bb.1498:
	s_cmp_gt_i32 s14, 28
	s_cbranch_scc0 .LBB39_1505
; %bb.1499:
	s_cmp_gt_i32 s14, 43
	;; [unrolled: 3-line block ×3, first 2 shown]
	s_cbranch_scc0 .LBB39_1508
; %bb.1501:
	s_cmp_eq_u32 s14, 46
	s_mov_b64 s[10:11], 0
	s_cbranch_scc0 .LBB39_1509
; %bb.1502:
	global_load_dword v1, v[14:15], off
	s_mov_b64 s[0:1], 0
	s_mov_b64 s[6:7], -1
	s_waitcnt vmcnt(0)
	v_lshlrev_b32_e32 v1, 16, v1
	v_cvt_i32_f32_e32 v7, v1
	s_branch .LBB39_1510
.LBB39_1503:
	s_mov_b64 s[0:1], -1
	s_mov_b64 s[6:7], 0
                                        ; implicit-def: $vgpr7
	s_branch .LBB39_1572
.LBB39_1504:
	s_mov_b64 s[10:11], -1
	s_mov_b64 s[6:7], 0
	s_mov_b64 s[0:1], 0
                                        ; implicit-def: $vgpr7
	s_branch .LBB39_1537
.LBB39_1505:
	s_mov_b64 s[10:11], -1
	s_mov_b64 s[6:7], 0
	s_mov_b64 s[0:1], 0
                                        ; implicit-def: $vgpr7
	s_branch .LBB39_1520
.LBB39_1506:
	s_mov_b64 s[10:11], -1
	s_mov_b64 s[6:7], 0
	s_mov_b64 s[0:1], 0
                                        ; implicit-def: $vgpr7
	s_branch .LBB39_1515
.LBB39_1507:
	s_trap 2
	s_or_b64 s[2:3], s[2:3], exec
	s_cbranch_execz .LBB39_1446
	s_branch .LBB39_1447
.LBB39_1508:
	s_mov_b64 s[10:11], -1
	s_mov_b64 s[6:7], 0
	s_mov_b64 s[0:1], 0
                                        ; implicit-def: $vgpr7
	s_branch .LBB39_1510
.LBB39_1509:
	s_mov_b64 s[0:1], -1
                                        ; implicit-def: $vgpr7
	s_mov_b64 s[6:7], 0
.LBB39_1510:
	s_and_b64 vcc, exec, s[10:11]
	s_cbranch_vccz .LBB39_1514
; %bb.1511:
	s_cmp_eq_u32 s14, 44
	s_cbranch_scc0 .LBB39_1513
; %bb.1512:
	global_load_ubyte v1, v[14:15], off
	s_mov_b64 s[0:1], 0
	s_mov_b64 s[6:7], -1
	s_waitcnt vmcnt(0)
	v_lshlrev_b32_e32 v3, 23, v1
	v_cvt_i32_f32_e32 v3, v3
	v_cmp_ne_u32_e32 vcc, 0, v1
	v_cndmask_b32_e32 v7, 0, v3, vcc
	s_branch .LBB39_1514
.LBB39_1513:
	s_mov_b64 s[0:1], -1
                                        ; implicit-def: $vgpr7
.LBB39_1514:
	s_mov_b64 s[10:11], 0
.LBB39_1515:
	s_and_b64 vcc, exec, s[10:11]
	s_cbranch_vccz .LBB39_1519
; %bb.1516:
	s_cmp_eq_u32 s14, 29
	s_cbranch_scc0 .LBB39_1518
; %bb.1517:
	global_load_dwordx2 v[7:8], v[14:15], off
	s_mov_b64 s[0:1], 0
	s_mov_b64 s[6:7], -1
	s_branch .LBB39_1519
.LBB39_1518:
	s_mov_b64 s[0:1], -1
                                        ; implicit-def: $vgpr7
.LBB39_1519:
	s_mov_b64 s[10:11], 0
.LBB39_1520:
	s_and_b64 vcc, exec, s[10:11]
	s_cbranch_vccz .LBB39_1536
; %bb.1521:
	s_cmp_lt_i32 s14, 27
	s_cbranch_scc1 .LBB39_1524
; %bb.1522:
	s_cmp_gt_i32 s14, 27
	s_cbranch_scc0 .LBB39_1525
; %bb.1523:
	global_load_dword v7, v[14:15], off
	s_mov_b64 s[6:7], 0
	s_branch .LBB39_1526
.LBB39_1524:
	s_mov_b64 s[6:7], -1
                                        ; implicit-def: $vgpr7
	s_branch .LBB39_1529
.LBB39_1525:
	s_mov_b64 s[6:7], -1
                                        ; implicit-def: $vgpr7
.LBB39_1526:
	s_andn2_b64 vcc, exec, s[6:7]
	s_cbranch_vccnz .LBB39_1528
; %bb.1527:
	global_load_ushort v7, v[14:15], off
.LBB39_1528:
	s_mov_b64 s[6:7], 0
.LBB39_1529:
	s_andn2_b64 vcc, exec, s[6:7]
	s_cbranch_vccnz .LBB39_1535
; %bb.1530:
	global_load_ubyte v1, v[14:15], off
	s_movk_i32 s6, 0x7f
	s_mov_b64 s[10:11], 0
	s_waitcnt vmcnt(0)
	v_cmp_lt_i16_e32 vcc, s6, v1
	s_and_saveexec_b64 s[6:7], vcc
	s_xor_b64 s[6:7], exec, s[6:7]
	s_cbranch_execz .LBB39_1547
; %bb.1531:
	s_movk_i32 s10, 0x80
	v_cmp_ne_u16_e32 vcc, s10, v1
	s_and_b64 s[10:11], vcc, exec
	s_andn2_saveexec_b64 s[6:7], s[6:7]
	s_cbranch_execnz .LBB39_1548
.LBB39_1532:
	s_or_b64 exec, exec, s[6:7]
	v_mov_b32_e32 v7, 0
	s_and_saveexec_b64 s[6:7], s[10:11]
	s_cbranch_execz .LBB39_1534
.LBB39_1533:
	v_lshlrev_b32_e32 v3, 24, v1
	v_and_b32_e32 v1, 0xffff, v1
	v_and_b32_e32 v5, 7, v1
	v_ffbh_u32_e32 v8, v5
	v_min_u32_e32 v8, 32, v8
	v_subrev_u32_e32 v10, 28, v8
	v_bfe_u32 v7, v1, 3, 4
	v_lshlrev_b32_e32 v1, v10, v1
	v_sub_u32_e32 v8, 29, v8
	v_and_b32_e32 v1, 7, v1
	v_cmp_eq_u32_e32 vcc, 0, v7
	v_cndmask_b32_e32 v7, v7, v8, vcc
	v_cndmask_b32_e32 v1, v5, v1, vcc
	v_mov_b32_e32 v5, 0x3b800000
	v_lshlrev_b32_e32 v1, 20, v1
	v_and_b32_e32 v3, 0x80000000, v3
	v_lshl_add_u32 v5, v7, 23, v5
	v_or3_b32 v1, v3, v5, v1
	v_cvt_i32_f32_e32 v7, v1
.LBB39_1534:
	s_or_b64 exec, exec, s[6:7]
.LBB39_1535:
	s_mov_b64 s[6:7], -1
.LBB39_1536:
	s_mov_b64 s[10:11], 0
.LBB39_1537:
	s_and_b64 vcc, exec, s[10:11]
	s_cbranch_vccz .LBB39_1568
; %bb.1538:
	s_cmp_gt_i32 s14, 22
	s_cbranch_scc0 .LBB39_1546
; %bb.1539:
	s_cmp_lt_i32 s14, 24
	s_cbranch_scc1 .LBB39_1549
; %bb.1540:
	s_cmp_gt_i32 s14, 24
	s_cbranch_scc0 .LBB39_1550
; %bb.1541:
	global_load_ubyte v1, v[14:15], off
	s_movk_i32 s4, 0x7f
	s_mov_b64 s[6:7], 0
	s_waitcnt vmcnt(0)
	v_cmp_lt_i16_e32 vcc, s4, v1
	s_and_saveexec_b64 s[4:5], vcc
	s_xor_b64 s[4:5], exec, s[4:5]
	s_cbranch_execz .LBB39_1562
; %bb.1542:
	s_movk_i32 s6, 0x80
	v_cmp_ne_u16_e32 vcc, s6, v1
	s_and_b64 s[6:7], vcc, exec
	s_andn2_saveexec_b64 s[4:5], s[4:5]
	s_cbranch_execnz .LBB39_1563
.LBB39_1543:
	s_or_b64 exec, exec, s[4:5]
	v_mov_b32_e32 v7, 0
	s_and_saveexec_b64 s[4:5], s[6:7]
	s_cbranch_execz .LBB39_1545
.LBB39_1544:
	v_lshlrev_b32_e32 v3, 24, v1
	v_and_b32_e32 v1, 0xffff, v1
	v_and_b32_e32 v5, 3, v1
	v_ffbh_u32_e32 v8, v5
	v_min_u32_e32 v8, 32, v8
	v_subrev_u32_e32 v10, 29, v8
	v_bfe_u32 v7, v1, 2, 5
	v_lshlrev_b32_e32 v1, v10, v1
	v_sub_u32_e32 v8, 30, v8
	v_and_b32_e32 v1, 3, v1
	v_cmp_eq_u32_e32 vcc, 0, v7
	v_cndmask_b32_e32 v7, v7, v8, vcc
	v_cndmask_b32_e32 v1, v5, v1, vcc
	v_mov_b32_e32 v5, 0x37800000
	v_lshlrev_b32_e32 v1, 21, v1
	v_and_b32_e32 v3, 0x80000000, v3
	v_lshl_add_u32 v5, v7, 23, v5
	v_or3_b32 v1, v3, v5, v1
	v_cvt_i32_f32_e32 v7, v1
.LBB39_1545:
	s_or_b64 exec, exec, s[4:5]
	s_mov_b64 s[4:5], 0
	s_branch .LBB39_1551
.LBB39_1546:
	s_mov_b64 s[4:5], -1
                                        ; implicit-def: $vgpr7
	s_branch .LBB39_1557
.LBB39_1547:
	s_andn2_saveexec_b64 s[6:7], s[6:7]
	s_cbranch_execz .LBB39_1532
.LBB39_1548:
	v_cmp_ne_u16_e32 vcc, 0, v1
	s_andn2_b64 s[10:11], s[10:11], exec
	s_and_b64 s[12:13], vcc, exec
	s_or_b64 s[10:11], s[10:11], s[12:13]
	s_or_b64 exec, exec, s[6:7]
	v_mov_b32_e32 v7, 0
	s_and_saveexec_b64 s[6:7], s[10:11]
	s_cbranch_execnz .LBB39_1533
	s_branch .LBB39_1534
.LBB39_1549:
	s_mov_b64 s[4:5], -1
                                        ; implicit-def: $vgpr7
	s_branch .LBB39_1554
.LBB39_1550:
	s_mov_b64 s[4:5], -1
                                        ; implicit-def: $vgpr7
.LBB39_1551:
	s_and_b64 vcc, exec, s[4:5]
	s_cbranch_vccz .LBB39_1553
; %bb.1552:
	global_load_ubyte v1, v[14:15], off
	s_mov_b32 s4, 0x7f800000
	s_waitcnt vmcnt(0)
	v_lshlrev_b32_e32 v1, 24, v1
	v_and_b32_e32 v3, 0x7f000000, v1
	v_ffbh_u32_e32 v5, v3
	v_min_u32_e32 v5, 32, v5
	v_sub_u32_e64 v5, v5, 4 clamp
	v_lshlrev_b32_e32 v8, v5, v3
	v_lshlrev_b32_e32 v5, 23, v5
	v_lshrrev_b32_e32 v8, 4, v8
	v_add_u32_e32 v7, 0x1000000, v3
	v_sub_u32_e32 v5, v8, v5
	v_ashrrev_i32_e32 v7, 8, v7
	v_add_u32_e32 v5, 0x3c000000, v5
	v_and_or_b32 v5, v7, s4, v5
	v_cmp_ne_u32_e32 vcc, 0, v3
	v_cndmask_b32_e32 v3, 0, v5, vcc
	s_brev_b32 s4, 1
	v_and_or_b32 v1, v1, s4, v3
	v_cvt_i32_f32_e32 v7, v1
.LBB39_1553:
	s_mov_b64 s[4:5], 0
.LBB39_1554:
	s_andn2_b64 vcc, exec, s[4:5]
	s_cbranch_vccnz .LBB39_1556
; %bb.1555:
	global_load_ubyte v1, v[14:15], off
	s_movk_i32 s4, 0x7f00
	s_brev_b32 s5, 16
	s_waitcnt vmcnt(0)
	v_lshlrev_b16_e32 v3, 8, v1
	v_lshlrev_b32_e32 v1, 25, v1
	v_lshrrev_b32_e32 v5, 4, v1
	v_and_or_b32 v7, v3, s4, 0.5
	v_or_b32_e32 v5, 0x70000000, v5
	v_add_f32_e32 v7, -0.5, v7
	v_mul_f32_e32 v5, 0x7800000, v5
	v_cmp_gt_u32_e32 vcc, s5, v1
	v_bfe_i32 v3, v3, 0, 16
	v_cndmask_b32_e32 v1, v5, v7, vcc
	s_brev_b32 s4, 1
	v_and_or_b32 v1, v3, s4, v1
	v_cvt_i32_f32_e32 v7, v1
.LBB39_1556:
	s_mov_b64 s[4:5], 0
	s_mov_b64 s[6:7], -1
.LBB39_1557:
	s_andn2_b64 vcc, exec, s[4:5]
	s_mov_b64 s[4:5], 0
	s_cbranch_vccnz .LBB39_1568
; %bb.1558:
	s_cmp_gt_i32 s14, 14
	s_cbranch_scc0 .LBB39_1561
; %bb.1559:
	s_cmp_eq_u32 s14, 15
	s_cbranch_scc0 .LBB39_1564
; %bb.1560:
	global_load_ushort v1, v[14:15], off
	s_mov_b64 s[0:1], 0
	s_mov_b64 s[6:7], -1
	s_waitcnt vmcnt(0)
	v_lshlrev_b32_e32 v1, 16, v1
	v_cvt_i32_f32_e32 v7, v1
	s_branch .LBB39_1565
.LBB39_1561:
	s_mov_b64 s[10:11], -1
                                        ; implicit-def: $vgpr7
	s_branch .LBB39_1566
.LBB39_1562:
	s_andn2_saveexec_b64 s[4:5], s[4:5]
	s_cbranch_execz .LBB39_1543
.LBB39_1563:
	v_cmp_ne_u16_e32 vcc, 0, v1
	s_andn2_b64 s[6:7], s[6:7], exec
	s_and_b64 s[10:11], vcc, exec
	s_or_b64 s[6:7], s[6:7], s[10:11]
	s_or_b64 exec, exec, s[4:5]
	v_mov_b32_e32 v7, 0
	s_and_saveexec_b64 s[4:5], s[6:7]
	s_cbranch_execnz .LBB39_1544
	s_branch .LBB39_1545
.LBB39_1564:
	s_mov_b64 s[0:1], -1
                                        ; implicit-def: $vgpr7
.LBB39_1565:
	s_mov_b64 s[10:11], 0
.LBB39_1566:
	s_and_b64 vcc, exec, s[10:11]
	s_cbranch_vccz .LBB39_1568
; %bb.1567:
	s_cmp_lg_u32 s14, 11
	s_mov_b64 s[4:5], -1
	s_cselect_b64 s[0:1], -1, 0
.LBB39_1568:
	s_and_b64 vcc, exec, s[0:1]
	s_cbranch_vccnz .LBB39_2101
; %bb.1569:
	s_andn2_b64 vcc, exec, s[4:5]
	s_cbranch_vccnz .LBB39_1571
.LBB39_1570:
	global_load_ubyte v1, v[14:15], off
	s_mov_b64 s[6:7], -1
	s_waitcnt vmcnt(0)
	v_cmp_ne_u16_e32 vcc, 0, v1
	v_cndmask_b32_e64 v7, 0, 1, vcc
.LBB39_1571:
	s_mov_b64 s[0:1], 0
.LBB39_1572:
	s_and_b64 vcc, exec, s[0:1]
	s_cbranch_vccz .LBB39_1621
; %bb.1573:
	s_cmp_lt_i32 s14, 5
	s_cbranch_scc1 .LBB39_1578
; %bb.1574:
	s_cmp_lt_i32 s14, 8
	s_cbranch_scc1 .LBB39_1579
	;; [unrolled: 3-line block ×3, first 2 shown]
; %bb.1576:
	s_cmp_gt_i32 s14, 9
	s_cbranch_scc0 .LBB39_1581
; %bb.1577:
	global_load_dwordx2 v[7:8], v[14:15], off
	s_mov_b64 s[0:1], 0
	s_waitcnt vmcnt(0)
	v_cvt_i32_f64_e32 v7, v[7:8]
	s_branch .LBB39_1582
.LBB39_1578:
	s_mov_b64 s[0:1], -1
                                        ; implicit-def: $vgpr7
	s_branch .LBB39_1600
.LBB39_1579:
	s_mov_b64 s[0:1], -1
                                        ; implicit-def: $vgpr7
	s_branch .LBB39_1588
.LBB39_1580:
	s_mov_b64 s[0:1], -1
                                        ; implicit-def: $vgpr7
	s_branch .LBB39_1585
.LBB39_1581:
	s_mov_b64 s[0:1], -1
                                        ; implicit-def: $vgpr7
.LBB39_1582:
	s_andn2_b64 vcc, exec, s[0:1]
	s_cbranch_vccnz .LBB39_1584
; %bb.1583:
	global_load_dword v1, v[14:15], off
	s_waitcnt vmcnt(0)
	v_cvt_i32_f32_e32 v7, v1
.LBB39_1584:
	s_mov_b64 s[0:1], 0
.LBB39_1585:
	s_andn2_b64 vcc, exec, s[0:1]
	s_cbranch_vccnz .LBB39_1587
; %bb.1586:
	global_load_dword v1, v[14:15], off
	s_waitcnt vmcnt(0)
	v_cvt_i16_f16_e32 v7, v1
.LBB39_1587:
	s_mov_b64 s[0:1], 0
.LBB39_1588:
	s_andn2_b64 vcc, exec, s[0:1]
	s_cbranch_vccnz .LBB39_1599
; %bb.1589:
	s_cmp_lt_i32 s14, 6
	s_cbranch_scc1 .LBB39_1592
; %bb.1590:
	s_cmp_gt_i32 s14, 6
	s_cbranch_scc0 .LBB39_1593
; %bb.1591:
	global_load_dwordx2 v[7:8], v[14:15], off
	s_mov_b64 s[0:1], 0
	s_waitcnt vmcnt(0)
	v_cvt_i32_f64_e32 v7, v[7:8]
	s_branch .LBB39_1594
.LBB39_1592:
	s_mov_b64 s[0:1], -1
                                        ; implicit-def: $vgpr7
	s_branch .LBB39_1597
.LBB39_1593:
	s_mov_b64 s[0:1], -1
                                        ; implicit-def: $vgpr7
.LBB39_1594:
	s_andn2_b64 vcc, exec, s[0:1]
	s_cbranch_vccnz .LBB39_1596
; %bb.1595:
	global_load_dword v1, v[14:15], off
	s_waitcnt vmcnt(0)
	v_cvt_i32_f32_e32 v7, v1
.LBB39_1596:
	s_mov_b64 s[0:1], 0
.LBB39_1597:
	s_andn2_b64 vcc, exec, s[0:1]
	s_cbranch_vccnz .LBB39_1599
; %bb.1598:
	global_load_ushort v1, v[14:15], off
	s_waitcnt vmcnt(0)
	v_cvt_i16_f16_e32 v7, v1
.LBB39_1599:
	s_mov_b64 s[0:1], 0
.LBB39_1600:
	s_andn2_b64 vcc, exec, s[0:1]
	s_cbranch_vccnz .LBB39_1620
; %bb.1601:
	s_cmp_lt_i32 s14, 2
	s_cbranch_scc1 .LBB39_1605
; %bb.1602:
	s_cmp_lt_i32 s14, 3
	s_cbranch_scc1 .LBB39_1606
; %bb.1603:
	s_cmp_gt_i32 s14, 3
	s_cbranch_scc0 .LBB39_1607
; %bb.1604:
	global_load_dwordx2 v[7:8], v[14:15], off
	s_mov_b64 s[0:1], 0
	s_branch .LBB39_1608
.LBB39_1605:
	s_mov_b64 s[0:1], -1
                                        ; implicit-def: $vgpr7
	s_branch .LBB39_1614
.LBB39_1606:
	s_mov_b64 s[0:1], -1
                                        ; implicit-def: $vgpr7
	s_branch .LBB39_1611
.LBB39_1607:
	s_mov_b64 s[0:1], -1
                                        ; implicit-def: $vgpr7
.LBB39_1608:
	s_andn2_b64 vcc, exec, s[0:1]
	s_cbranch_vccnz .LBB39_1610
; %bb.1609:
	global_load_dword v7, v[14:15], off
.LBB39_1610:
	s_mov_b64 s[0:1], 0
.LBB39_1611:
	s_andn2_b64 vcc, exec, s[0:1]
	s_cbranch_vccnz .LBB39_1613
; %bb.1612:
	global_load_ushort v7, v[14:15], off
.LBB39_1613:
	s_mov_b64 s[0:1], 0
.LBB39_1614:
	s_andn2_b64 vcc, exec, s[0:1]
	s_cbranch_vccnz .LBB39_1620
; %bb.1615:
	s_cmp_gt_i32 s14, 0
	s_cbranch_scc0 .LBB39_1617
; %bb.1616:
	global_load_ubyte v7, v[14:15], off
	s_mov_b64 s[0:1], 0
	s_branch .LBB39_1618
.LBB39_1617:
	s_mov_b64 s[0:1], -1
                                        ; implicit-def: $vgpr7
.LBB39_1618:
	s_andn2_b64 vcc, exec, s[0:1]
	s_cbranch_vccnz .LBB39_1620
; %bb.1619:
	global_load_ubyte v7, v[14:15], off
.LBB39_1620:
	s_mov_b64 s[6:7], -1
.LBB39_1621:
	s_andn2_b64 vcc, exec, s[6:7]
	s_cbranch_vccnz .LBB39_2055
; %bb.1622:
	s_lshr_b32 s0, s16, 8
	s_and_b32 s17, s0, 0xff
	s_cmp_gt_u32 s17, 7
	v_lshlrev_b32_e32 v1, s0, v13
	s_cselect_b64 s[4:5], -1, 0
	s_bfe_u32 s18, s16, 0x80010
	v_mov_b32_e32 v3, s9
	v_add_co_u32_e32 v5, vcc, s8, v6
	v_cndmask_b32_e64 v1, v1, 0, s[4:5]
	s_cmp_lt_i32 s18, 11
	v_addc_co_u32_e32 v6, vcc, 0, v3, vcc
	s_cbranch_scc1 .LBB39_1700
; %bb.1623:
	s_and_b32 s19, 0xffff, s18
	s_mov_b64 s[12:13], -1
	s_mov_b64 s[6:7], 0
	s_cmp_gt_i32 s19, 25
	s_mov_b64 s[10:11], 0
	s_mov_b64 s[0:1], 0
	s_cbranch_scc0 .LBB39_1656
; %bb.1624:
	s_cmp_gt_i32 s19, 28
	s_cbranch_scc0 .LBB39_1639
; %bb.1625:
	s_cmp_gt_i32 s19, 43
	;; [unrolled: 3-line block ×3, first 2 shown]
	s_cbranch_scc0 .LBB39_1629
; %bb.1627:
	s_mov_b64 s[0:1], -1
	s_mov_b64 s[12:13], 0
	s_cmp_eq_u32 s19, 46
	s_cbranch_scc0 .LBB39_1629
; %bb.1628:
	v_bfe_i32 v3, v1, 0, 8
	v_cvt_f32_i32_sdwa v3, sext(v3) dst_sel:DWORD dst_unused:UNUSED_PAD src0_sel:WORD_0
	s_movk_i32 s10, 0x7fff
	s_mov_b64 s[0:1], 0
	s_waitcnt vmcnt(0)
	v_bfe_u32 v8, v3, 16, 1
	v_add3_u32 v3, v3, v8, s10
	v_lshrrev_b32_e32 v3, 16, v3
	global_store_dword v[5:6], v3, off
	s_mov_b64 s[10:11], -1
.LBB39_1629:
	s_and_b64 vcc, exec, s[12:13]
	s_cbranch_vccz .LBB39_1634
; %bb.1630:
	s_cmp_eq_u32 s19, 44
	s_mov_b64 s[0:1], -1
	s_cbranch_scc0 .LBB39_1634
; %bb.1631:
	v_bfe_i32 v3, v1, 0, 8
	v_cvt_f32_i32_sdwa v3, sext(v3) dst_sel:DWORD dst_unused:UNUSED_PAD src0_sel:WORD_0
	s_movk_i32 s0, 0xff
	s_waitcnt vmcnt(0)
	v_mov_b32_e32 v10, 0xff
	v_bfe_u32 v8, v3, 23, 8
	v_cmp_ne_u32_e32 vcc, s0, v8
	s_and_saveexec_b64 s[10:11], vcc
; %bb.1632:
	s_mov_b32 s0, 0x3fffff
	v_lshrrev_b32_e32 v10, 23, v3
	v_and_b32_e32 v12, 0x400000, v3
	v_and_or_b32 v3, v3, s0, v8
	v_cmp_ne_u32_e32 vcc, 0, v12
	v_cmp_ne_u32_e64 s[0:1], 0, v3
	s_and_b64 s[0:1], vcc, s[0:1]
	v_cndmask_b32_e64 v3, 0, 1, s[0:1]
	v_add_u32_e32 v10, v10, v3
; %bb.1633:
	s_or_b64 exec, exec, s[10:11]
	s_mov_b64 s[0:1], 0
	s_mov_b64 s[10:11], -1
	global_store_byte v[5:6], v10, off
.LBB39_1634:
	s_mov_b64 s[12:13], 0
.LBB39_1635:
	s_and_b64 vcc, exec, s[12:13]
	s_cbranch_vccz .LBB39_1638
; %bb.1636:
	s_cmp_eq_u32 s19, 29
	s_mov_b64 s[0:1], -1
	s_cbranch_scc0 .LBB39_1638
; %bb.1637:
	s_waitcnt vmcnt(0)
	v_bfe_i32 v12, v1, 0, 8
	v_ashrrev_i32_e32 v13, 31, v12
	global_store_dwordx2 v[5:6], v[12:13], off
	s_mov_b64 s[0:1], 0
	s_mov_b64 s[10:11], -1
.LBB39_1638:
	s_mov_b64 s[12:13], 0
.LBB39_1639:
	s_and_b64 vcc, exec, s[12:13]
	s_cbranch_vccz .LBB39_1655
; %bb.1640:
	s_cmp_lt_i32 s19, 27
	s_mov_b64 s[10:11], -1
	s_cbranch_scc1 .LBB39_1646
; %bb.1641:
	s_cmp_gt_i32 s19, 27
	s_cbranch_scc0 .LBB39_1643
; %bb.1642:
	v_bfe_i32 v3, v1, 0, 8
	s_mov_b64 s[10:11], 0
	global_store_dword v[5:6], v3, off
.LBB39_1643:
	s_andn2_b64 vcc, exec, s[10:11]
	s_cbranch_vccnz .LBB39_1645
; %bb.1644:
	v_bfe_i32 v3, v1, 0, 8
	global_store_short v[5:6], v3, off
.LBB39_1645:
	s_mov_b64 s[10:11], 0
.LBB39_1646:
	s_andn2_b64 vcc, exec, s[10:11]
	s_cbranch_vccnz .LBB39_1654
; %bb.1647:
	v_bfe_i32 v3, v1, 0, 8
	v_cvt_f32_i32_sdwa v3, sext(v3) dst_sel:DWORD dst_unused:UNUSED_PAD src0_sel:WORD_0
	s_mov_b32 s10, 0x43800000
	s_waitcnt vmcnt(0)
	v_mov_b32_e32 v10, 0x80
	v_and_b32_e32 v8, 0x7fffffff, v3
	v_cmp_gt_u32_e32 vcc, s10, v8
	s_and_saveexec_b64 s[10:11], vcc
	s_cbranch_execz .LBB39_1653
; %bb.1648:
	s_mov_b32 s12, 0x3bffffff
	v_cmp_lt_u32_e32 vcc, s12, v8
	s_mov_b64 s[12:13], 0
                                        ; implicit-def: $vgpr8
	s_and_saveexec_b64 s[14:15], vcc
	s_xor_b64 s[14:15], exec, s[14:15]
	s_cbranch_execz .LBB39_2102
; %bb.1649:
	v_bfe_u32 v8, v3, 20, 1
	s_mov_b32 s20, 0x487ffff
	v_add3_u32 v8, v3, v8, s20
	s_mov_b64 s[12:13], exec
	v_lshrrev_b32_e32 v8, 20, v8
	s_andn2_saveexec_b64 s[14:15], s[14:15]
	s_cbranch_execnz .LBB39_2103
.LBB39_1650:
	s_or_b64 exec, exec, s[14:15]
	v_mov_b32_e32 v10, 0
	s_and_saveexec_b64 s[14:15], s[12:13]
.LBB39_1651:
	v_lshrrev_b32_e32 v3, 24, v3
	s_movk_i32 s12, 0x80
	v_and_or_b32 v10, v3, s12, v8
.LBB39_1652:
	s_or_b64 exec, exec, s[14:15]
.LBB39_1653:
	s_or_b64 exec, exec, s[10:11]
	global_store_byte v[5:6], v10, off
.LBB39_1654:
	s_mov_b64 s[10:11], -1
.LBB39_1655:
	s_mov_b64 s[12:13], 0
.LBB39_1656:
	s_and_b64 vcc, exec, s[12:13]
	s_cbranch_vccz .LBB39_1696
; %bb.1657:
	s_cmp_gt_i32 s19, 22
	s_mov_b64 s[6:7], -1
	s_cbranch_scc0 .LBB39_1689
; %bb.1658:
	s_cmp_lt_i32 s19, 24
	s_cbranch_scc1 .LBB39_1678
; %bb.1659:
	s_cmp_gt_i32 s19, 24
	s_cbranch_scc0 .LBB39_1667
; %bb.1660:
	v_bfe_i32 v3, v1, 0, 8
	v_cvt_f32_i32_sdwa v3, sext(v3) dst_sel:DWORD dst_unused:UNUSED_PAD src0_sel:WORD_0
	s_mov_b32 s6, 0x47800000
	s_waitcnt vmcnt(0)
	v_mov_b32_e32 v10, 0x80
	v_and_b32_e32 v8, 0x7fffffff, v3
	v_cmp_gt_u32_e32 vcc, s6, v8
	s_and_saveexec_b64 s[6:7], vcc
	s_cbranch_execz .LBB39_1666
; %bb.1661:
	s_mov_b32 s10, 0x37ffffff
	v_cmp_lt_u32_e32 vcc, s10, v8
	s_mov_b64 s[10:11], 0
                                        ; implicit-def: $vgpr8
	s_and_saveexec_b64 s[12:13], vcc
	s_xor_b64 s[12:13], exec, s[12:13]
	s_cbranch_execz .LBB39_2105
; %bb.1662:
	v_bfe_u32 v8, v3, 21, 1
	s_mov_b32 s14, 0x88fffff
	v_add3_u32 v8, v3, v8, s14
	s_mov_b64 s[10:11], exec
	v_lshrrev_b32_e32 v8, 21, v8
	s_andn2_saveexec_b64 s[12:13], s[12:13]
	s_cbranch_execnz .LBB39_2106
.LBB39_1663:
	s_or_b64 exec, exec, s[12:13]
	v_mov_b32_e32 v10, 0
	s_and_saveexec_b64 s[12:13], s[10:11]
.LBB39_1664:
	v_lshrrev_b32_e32 v3, 24, v3
	s_movk_i32 s10, 0x80
	v_and_or_b32 v10, v3, s10, v8
.LBB39_1665:
	s_or_b64 exec, exec, s[12:13]
.LBB39_1666:
	s_or_b64 exec, exec, s[6:7]
	s_mov_b64 s[6:7], 0
	global_store_byte v[5:6], v10, off
.LBB39_1667:
	s_and_b64 vcc, exec, s[6:7]
	s_cbranch_vccz .LBB39_1677
; %bb.1668:
	v_bfe_i32 v3, v1, 0, 8
	v_cvt_f32_i32_sdwa v3, sext(v3) dst_sel:DWORD dst_unused:UNUSED_PAD src0_sel:WORD_0
	s_mov_b32 s6, 0x43f00000
                                        ; implicit-def: $vgpr8
	s_waitcnt vmcnt(0)
	v_and_b32_e32 v10, 0x7fffffff, v3
	v_cmp_gt_u32_e32 vcc, s6, v10
	s_and_saveexec_b64 s[6:7], vcc
	s_xor_b64 s[6:7], exec, s[6:7]
	s_cbranch_execz .LBB39_1674
; %bb.1669:
	s_mov_b32 s10, 0x3c7fffff
	v_cmp_lt_u32_e32 vcc, s10, v10
                                        ; implicit-def: $vgpr8
	s_and_saveexec_b64 s[10:11], vcc
	s_xor_b64 s[10:11], exec, s[10:11]
; %bb.1670:
	v_bfe_u32 v8, v3, 20, 1
	s_mov_b32 s12, 0x407ffff
	v_add3_u32 v8, v3, v8, s12
	v_lshrrev_b32_e32 v10, 20, v8
	v_and_b32_e32 v8, 0xff00000, v8
	s_mov_b32 s12, 0x7f00000
	v_mov_b32_e32 v12, 0x7e
	v_cmp_ne_u32_e32 vcc, s12, v8
	v_cndmask_b32_e32 v8, v12, v10, vcc
; %bb.1671:
	s_andn2_saveexec_b64 s[10:11], s[10:11]
; %bb.1672:
	s_mov_b32 s12, 0x46800000
	v_add_f32_e64 v8, |v3|, s12
; %bb.1673:
	s_or_b64 exec, exec, s[10:11]
                                        ; implicit-def: $vgpr10
.LBB39_1674:
	s_andn2_saveexec_b64 s[6:7], s[6:7]
; %bb.1675:
	s_mov_b32 s10, 0x7f800000
	v_mov_b32_e32 v8, 0x7e
	v_mov_b32_e32 v12, 0x7f
	v_cmp_lt_u32_e32 vcc, s10, v10
	v_cndmask_b32_e32 v8, v8, v12, vcc
; %bb.1676:
	s_or_b64 exec, exec, s[6:7]
	v_lshrrev_b32_e32 v3, 24, v3
	s_movk_i32 s6, 0x80
	v_and_or_b32 v3, v3, s6, v8
	global_store_byte v[5:6], v3, off
.LBB39_1677:
	s_mov_b64 s[6:7], 0
.LBB39_1678:
	s_andn2_b64 vcc, exec, s[6:7]
	s_cbranch_vccnz .LBB39_1688
; %bb.1679:
	v_bfe_i32 v3, v1, 0, 8
	v_cvt_f32_i32_sdwa v3, sext(v3) dst_sel:DWORD dst_unused:UNUSED_PAD src0_sel:WORD_0
	s_mov_b32 s6, 0x47800000
                                        ; implicit-def: $vgpr8
	s_waitcnt vmcnt(0)
	v_and_b32_e32 v10, 0x7fffffff, v3
	v_cmp_gt_u32_e32 vcc, s6, v10
	s_and_saveexec_b64 s[6:7], vcc
	s_xor_b64 s[6:7], exec, s[6:7]
	s_cbranch_execz .LBB39_1685
; %bb.1680:
	s_mov_b32 s10, 0x387fffff
	v_cmp_lt_u32_e32 vcc, s10, v10
                                        ; implicit-def: $vgpr8
	s_and_saveexec_b64 s[10:11], vcc
	s_xor_b64 s[10:11], exec, s[10:11]
; %bb.1681:
	v_bfe_u32 v8, v3, 21, 1
	s_mov_b32 s12, 0x80fffff
	v_add3_u32 v8, v3, v8, s12
	v_lshrrev_b32_e32 v8, 21, v8
; %bb.1682:
	s_andn2_saveexec_b64 s[10:11], s[10:11]
; %bb.1683:
	s_mov_b32 s12, 0x43000000
	v_add_f32_e64 v8, |v3|, s12
; %bb.1684:
	s_or_b64 exec, exec, s[10:11]
                                        ; implicit-def: $vgpr10
.LBB39_1685:
	s_andn2_saveexec_b64 s[6:7], s[6:7]
; %bb.1686:
	s_mov_b32 s10, 0x7f800000
	v_mov_b32_e32 v8, 0x7c
	v_mov_b32_e32 v12, 0x7f
	v_cmp_lt_u32_e32 vcc, s10, v10
	v_cndmask_b32_e32 v8, v8, v12, vcc
; %bb.1687:
	s_or_b64 exec, exec, s[6:7]
	v_lshrrev_b32_e32 v3, 24, v3
	s_movk_i32 s6, 0x80
	v_and_or_b32 v3, v3, s6, v8
	global_store_byte v[5:6], v3, off
.LBB39_1688:
	s_mov_b64 s[6:7], 0
	s_mov_b64 s[10:11], -1
.LBB39_1689:
	s_andn2_b64 vcc, exec, s[6:7]
	s_mov_b64 s[6:7], 0
	s_cbranch_vccnz .LBB39_1696
; %bb.1690:
	s_cmp_gt_i32 s19, 14
	s_mov_b64 s[12:13], -1
	s_cbranch_scc0 .LBB39_1694
; %bb.1691:
	s_cmp_eq_u32 s19, 15
	s_mov_b64 s[0:1], -1
	s_cbranch_scc0 .LBB39_1693
; %bb.1692:
	v_bfe_i32 v3, v1, 0, 8
	v_cvt_f32_i32_sdwa v3, sext(v3) dst_sel:DWORD dst_unused:UNUSED_PAD src0_sel:WORD_0
	s_movk_i32 s6, 0x7fff
	s_mov_b64 s[0:1], 0
	s_mov_b64 s[10:11], -1
	s_waitcnt vmcnt(0)
	v_bfe_u32 v8, v3, 16, 1
	v_add3_u32 v3, v3, v8, s6
	global_store_short_d16_hi v[5:6], v3, off
.LBB39_1693:
	s_mov_b64 s[12:13], 0
.LBB39_1694:
	s_mov_b64 s[6:7], 0
	s_and_b64 vcc, exec, s[12:13]
	s_cbranch_vccz .LBB39_1696
; %bb.1695:
	s_cmp_lg_u32 s19, 11
	s_mov_b64 s[6:7], -1
	s_cselect_b64 s[0:1], -1, 0
.LBB39_1696:
	s_and_b64 vcc, exec, s[0:1]
	s_cbranch_vccnz .LBB39_2104
; %bb.1697:
	s_andn2_b64 vcc, exec, s[6:7]
	s_cbranch_vccnz .LBB39_1699
.LBB39_1698:
	v_mov_b32_e32 v3, 0
	v_cmp_ne_u16_sdwa s[0:1], v1, v3 src0_sel:BYTE_0 src1_sel:DWORD
	v_cndmask_b32_e64 v3, 0, 1, s[0:1]
	s_mov_b64 s[10:11], -1
	global_store_byte v[5:6], v3, off
.LBB39_1699:
	s_mov_b64 s[0:1], 0
	s_branch .LBB39_1701
.LBB39_1700:
	s_mov_b64 s[0:1], -1
	s_mov_b64 s[10:11], 0
.LBB39_1701:
	s_and_b64 vcc, exec, s[0:1]
	s_cbranch_vccz .LBB39_1740
; %bb.1702:
	s_and_b32 s6, 0xffff, s18
	s_cmp_lt_i32 s6, 5
	s_mov_b64 s[0:1], -1
	s_cbranch_scc1 .LBB39_1723
; %bb.1703:
	s_cmp_lt_i32 s6, 8
	s_cbranch_scc1 .LBB39_1713
; %bb.1704:
	s_cmp_lt_i32 s6, 9
	s_cbranch_scc1 .LBB39_1710
; %bb.1705:
	s_cmp_gt_i32 s6, 9
	s_cbranch_scc0 .LBB39_1707
; %bb.1706:
	v_bfe_i32 v3, v1, 0, 8
	v_bfe_i32 v3, v3, 0, 16
	s_waitcnt vmcnt(0)
	v_cvt_f64_i32_e32 v[12:13], v3
	v_mov_b32_e32 v14, 0
	v_mov_b32_e32 v15, v14
	s_mov_b64 s[0:1], 0
	global_store_dwordx4 v[5:6], v[12:15], off
.LBB39_1707:
	s_andn2_b64 vcc, exec, s[0:1]
	s_cbranch_vccnz .LBB39_1709
; %bb.1708:
	v_bfe_i32 v3, v1, 0, 8
	s_waitcnt vmcnt(0)
	v_cvt_f32_i32_sdwa v12, sext(v3) dst_sel:DWORD dst_unused:UNUSED_PAD src0_sel:WORD_0
	v_mov_b32_e32 v13, 0
	global_store_dwordx2 v[5:6], v[12:13], off
.LBB39_1709:
	s_mov_b64 s[0:1], 0
.LBB39_1710:
	s_andn2_b64 vcc, exec, s[0:1]
	s_cbranch_vccnz .LBB39_1712
; %bb.1711:
	v_cvt_f16_i16_sdwa v3, sext(v1) dst_sel:DWORD dst_unused:UNUSED_PAD src0_sel:BYTE_0
	global_store_dword v[5:6], v3, off
.LBB39_1712:
	s_mov_b64 s[0:1], 0
.LBB39_1713:
	s_andn2_b64 vcc, exec, s[0:1]
	s_cbranch_vccnz .LBB39_1722
; %bb.1714:
	s_cmp_lt_i32 s6, 6
	s_mov_b64 s[0:1], -1
	s_cbranch_scc1 .LBB39_1720
; %bb.1715:
	s_cmp_gt_i32 s6, 6
	s_cbranch_scc0 .LBB39_1717
; %bb.1716:
	v_bfe_i32 v3, v1, 0, 8
	v_bfe_i32 v3, v3, 0, 16
	s_waitcnt vmcnt(0)
	v_cvt_f64_i32_e32 v[12:13], v3
	s_mov_b64 s[0:1], 0
	global_store_dwordx2 v[5:6], v[12:13], off
.LBB39_1717:
	s_andn2_b64 vcc, exec, s[0:1]
	s_cbranch_vccnz .LBB39_1719
; %bb.1718:
	v_bfe_i32 v3, v1, 0, 8
	v_cvt_f32_i32_sdwa v3, sext(v3) dst_sel:DWORD dst_unused:UNUSED_PAD src0_sel:WORD_0
	global_store_dword v[5:6], v3, off
.LBB39_1719:
	s_mov_b64 s[0:1], 0
.LBB39_1720:
	s_andn2_b64 vcc, exec, s[0:1]
	s_cbranch_vccnz .LBB39_1722
; %bb.1721:
	v_cvt_f16_i16_sdwa v3, sext(v1) dst_sel:DWORD dst_unused:UNUSED_PAD src0_sel:BYTE_0
	global_store_short v[5:6], v3, off
.LBB39_1722:
	s_mov_b64 s[0:1], 0
.LBB39_1723:
	s_andn2_b64 vcc, exec, s[0:1]
	s_cbranch_vccnz .LBB39_1739
; %bb.1724:
	s_cmp_lt_i32 s6, 2
	s_mov_b64 s[0:1], -1
	s_cbranch_scc1 .LBB39_1734
; %bb.1725:
	s_cmp_lt_i32 s6, 3
	s_cbranch_scc1 .LBB39_1731
; %bb.1726:
	s_cmp_gt_i32 s6, 3
	s_cbranch_scc0 .LBB39_1728
; %bb.1727:
	s_waitcnt vmcnt(0)
	v_bfe_i32 v12, v1, 0, 8
	v_ashrrev_i32_e32 v13, 31, v12
	global_store_dwordx2 v[5:6], v[12:13], off
	s_mov_b64 s[0:1], 0
.LBB39_1728:
	s_andn2_b64 vcc, exec, s[0:1]
	s_cbranch_vccnz .LBB39_1730
; %bb.1729:
	v_bfe_i32 v3, v1, 0, 8
	global_store_dword v[5:6], v3, off
.LBB39_1730:
	s_mov_b64 s[0:1], 0
.LBB39_1731:
	s_andn2_b64 vcc, exec, s[0:1]
	s_cbranch_vccnz .LBB39_1733
; %bb.1732:
	v_bfe_i32 v3, v1, 0, 8
	global_store_short v[5:6], v3, off
.LBB39_1733:
	s_mov_b64 s[0:1], 0
.LBB39_1734:
	s_andn2_b64 vcc, exec, s[0:1]
	s_cbranch_vccnz .LBB39_1739
; %bb.1735:
	s_cmp_gt_i32 s6, 0
	s_mov_b64 s[0:1], -1
	s_cbranch_scc0 .LBB39_1737
; %bb.1736:
	global_store_byte v[5:6], v1, off
	s_mov_b64 s[0:1], 0
.LBB39_1737:
	s_andn2_b64 vcc, exec, s[0:1]
	s_cbranch_vccnz .LBB39_1739
; %bb.1738:
	global_store_byte v[5:6], v1, off
.LBB39_1739:
	s_mov_b64 s[10:11], -1
.LBB39_1740:
	s_andn2_b64 vcc, exec, s[10:11]
	s_cbranch_vccnz .LBB39_2055
; %bb.1741:
	s_lshr_b32 s0, s16, 16
	s_and_b32 s16, s0, 0xff
	s_waitcnt vmcnt(0)
	v_lshlrev_b32_e32 v1, s17, v11
	v_mov_b32_e32 v5, s9
	v_add_co_u32_e32 v3, vcc, s8, v4
	v_cndmask_b32_e64 v1, v1, 0, s[4:5]
	s_cmp_lt_i32 s16, 11
	v_addc_co_u32_e32 v4, vcc, 0, v5, vcc
	s_cbranch_scc1 .LBB39_1819
; %bb.1742:
	s_and_b32 s18, 0xffff, s16
	s_mov_b64 s[12:13], -1
	s_mov_b64 s[6:7], 0
	s_cmp_gt_i32 s18, 25
	s_mov_b64 s[10:11], 0
	s_mov_b64 s[0:1], 0
	s_cbranch_scc0 .LBB39_1775
; %bb.1743:
	s_cmp_gt_i32 s18, 28
	s_cbranch_scc0 .LBB39_1758
; %bb.1744:
	s_cmp_gt_i32 s18, 43
	s_cbranch_scc0 .LBB39_1754
; %bb.1745:
	s_cmp_gt_i32 s18, 45
	s_cbranch_scc0 .LBB39_1748
; %bb.1746:
	s_mov_b64 s[0:1], -1
	s_mov_b64 s[12:13], 0
	s_cmp_eq_u32 s18, 46
	s_cbranch_scc0 .LBB39_1748
; %bb.1747:
	v_bfe_i32 v5, v1, 0, 8
	v_cvt_f32_i32_sdwa v5, sext(v5) dst_sel:DWORD dst_unused:UNUSED_PAD src0_sel:WORD_0
	s_movk_i32 s10, 0x7fff
	s_mov_b64 s[0:1], 0
	v_bfe_u32 v6, v5, 16, 1
	v_add3_u32 v5, v5, v6, s10
	v_lshrrev_b32_e32 v5, 16, v5
	global_store_dword v[3:4], v5, off
	s_mov_b64 s[10:11], -1
.LBB39_1748:
	s_and_b64 vcc, exec, s[12:13]
	s_cbranch_vccz .LBB39_1753
; %bb.1749:
	s_cmp_eq_u32 s18, 44
	s_mov_b64 s[0:1], -1
	s_cbranch_scc0 .LBB39_1753
; %bb.1750:
	v_bfe_i32 v5, v1, 0, 8
	v_cvt_f32_i32_sdwa v5, sext(v5) dst_sel:DWORD dst_unused:UNUSED_PAD src0_sel:WORD_0
	s_movk_i32 s0, 0xff
	v_mov_b32_e32 v8, 0xff
	v_bfe_u32 v6, v5, 23, 8
	v_cmp_ne_u32_e32 vcc, s0, v6
	s_and_saveexec_b64 s[10:11], vcc
; %bb.1751:
	s_mov_b32 s0, 0x3fffff
	v_lshrrev_b32_e32 v8, 23, v5
	v_and_b32_e32 v10, 0x400000, v5
	v_and_or_b32 v5, v5, s0, v6
	v_cmp_ne_u32_e32 vcc, 0, v10
	v_cmp_ne_u32_e64 s[0:1], 0, v5
	s_and_b64 s[0:1], vcc, s[0:1]
	v_cndmask_b32_e64 v5, 0, 1, s[0:1]
	v_add_u32_e32 v8, v8, v5
; %bb.1752:
	s_or_b64 exec, exec, s[10:11]
	s_mov_b64 s[0:1], 0
	s_mov_b64 s[10:11], -1
	global_store_byte v[3:4], v8, off
.LBB39_1753:
	s_mov_b64 s[12:13], 0
.LBB39_1754:
	s_and_b64 vcc, exec, s[12:13]
	s_cbranch_vccz .LBB39_1757
; %bb.1755:
	s_cmp_eq_u32 s18, 29
	s_mov_b64 s[0:1], -1
	s_cbranch_scc0 .LBB39_1757
; %bb.1756:
	v_bfe_i32 v5, v1, 0, 8
	v_ashrrev_i32_e32 v6, 31, v5
	global_store_dwordx2 v[3:4], v[5:6], off
	s_mov_b64 s[0:1], 0
	s_mov_b64 s[10:11], -1
.LBB39_1757:
	s_mov_b64 s[12:13], 0
.LBB39_1758:
	s_and_b64 vcc, exec, s[12:13]
	s_cbranch_vccz .LBB39_1774
; %bb.1759:
	s_cmp_lt_i32 s18, 27
	s_mov_b64 s[10:11], -1
	s_cbranch_scc1 .LBB39_1765
; %bb.1760:
	s_cmp_gt_i32 s18, 27
	s_cbranch_scc0 .LBB39_1762
; %bb.1761:
	v_bfe_i32 v5, v1, 0, 8
	s_mov_b64 s[10:11], 0
	global_store_dword v[3:4], v5, off
.LBB39_1762:
	s_andn2_b64 vcc, exec, s[10:11]
	s_cbranch_vccnz .LBB39_1764
; %bb.1763:
	v_bfe_i32 v5, v1, 0, 8
	global_store_short v[3:4], v5, off
.LBB39_1764:
	s_mov_b64 s[10:11], 0
.LBB39_1765:
	s_andn2_b64 vcc, exec, s[10:11]
	s_cbranch_vccnz .LBB39_1773
; %bb.1766:
	v_bfe_i32 v5, v1, 0, 8
	v_cvt_f32_i32_sdwa v5, sext(v5) dst_sel:DWORD dst_unused:UNUSED_PAD src0_sel:WORD_0
	s_mov_b32 s10, 0x43800000
	v_mov_b32_e32 v8, 0x80
	v_and_b32_e32 v6, 0x7fffffff, v5
	v_cmp_gt_u32_e32 vcc, s10, v6
	s_and_saveexec_b64 s[10:11], vcc
	s_cbranch_execz .LBB39_1772
; %bb.1767:
	s_mov_b32 s12, 0x3bffffff
	v_cmp_lt_u32_e32 vcc, s12, v6
	s_mov_b64 s[12:13], 0
                                        ; implicit-def: $vgpr6
	s_and_saveexec_b64 s[14:15], vcc
	s_xor_b64 s[14:15], exec, s[14:15]
	s_cbranch_execz .LBB39_2107
; %bb.1768:
	v_bfe_u32 v6, v5, 20, 1
	s_mov_b32 s19, 0x487ffff
	v_add3_u32 v6, v5, v6, s19
	s_mov_b64 s[12:13], exec
	v_lshrrev_b32_e32 v6, 20, v6
	s_andn2_saveexec_b64 s[14:15], s[14:15]
	s_cbranch_execnz .LBB39_2108
.LBB39_1769:
	s_or_b64 exec, exec, s[14:15]
	v_mov_b32_e32 v8, 0
	s_and_saveexec_b64 s[14:15], s[12:13]
.LBB39_1770:
	v_lshrrev_b32_e32 v5, 24, v5
	s_movk_i32 s12, 0x80
	v_and_or_b32 v8, v5, s12, v6
.LBB39_1771:
	s_or_b64 exec, exec, s[14:15]
.LBB39_1772:
	s_or_b64 exec, exec, s[10:11]
	global_store_byte v[3:4], v8, off
.LBB39_1773:
	s_mov_b64 s[10:11], -1
.LBB39_1774:
	s_mov_b64 s[12:13], 0
.LBB39_1775:
	s_and_b64 vcc, exec, s[12:13]
	s_cbranch_vccz .LBB39_1815
; %bb.1776:
	s_cmp_gt_i32 s18, 22
	s_mov_b64 s[6:7], -1
	s_cbranch_scc0 .LBB39_1808
; %bb.1777:
	s_cmp_lt_i32 s18, 24
	s_cbranch_scc1 .LBB39_1797
; %bb.1778:
	s_cmp_gt_i32 s18, 24
	s_cbranch_scc0 .LBB39_1786
; %bb.1779:
	v_bfe_i32 v5, v1, 0, 8
	v_cvt_f32_i32_sdwa v5, sext(v5) dst_sel:DWORD dst_unused:UNUSED_PAD src0_sel:WORD_0
	s_mov_b32 s6, 0x47800000
	v_mov_b32_e32 v8, 0x80
	v_and_b32_e32 v6, 0x7fffffff, v5
	v_cmp_gt_u32_e32 vcc, s6, v6
	s_and_saveexec_b64 s[6:7], vcc
	s_cbranch_execz .LBB39_1785
; %bb.1780:
	s_mov_b32 s10, 0x37ffffff
	v_cmp_lt_u32_e32 vcc, s10, v6
	s_mov_b64 s[10:11], 0
                                        ; implicit-def: $vgpr6
	s_and_saveexec_b64 s[12:13], vcc
	s_xor_b64 s[12:13], exec, s[12:13]
	s_cbranch_execz .LBB39_2110
; %bb.1781:
	v_bfe_u32 v6, v5, 21, 1
	s_mov_b32 s14, 0x88fffff
	v_add3_u32 v6, v5, v6, s14
	s_mov_b64 s[10:11], exec
	v_lshrrev_b32_e32 v6, 21, v6
	s_andn2_saveexec_b64 s[12:13], s[12:13]
	s_cbranch_execnz .LBB39_2111
.LBB39_1782:
	s_or_b64 exec, exec, s[12:13]
	v_mov_b32_e32 v8, 0
	s_and_saveexec_b64 s[12:13], s[10:11]
.LBB39_1783:
	v_lshrrev_b32_e32 v5, 24, v5
	s_movk_i32 s10, 0x80
	v_and_or_b32 v8, v5, s10, v6
.LBB39_1784:
	s_or_b64 exec, exec, s[12:13]
.LBB39_1785:
	s_or_b64 exec, exec, s[6:7]
	s_mov_b64 s[6:7], 0
	global_store_byte v[3:4], v8, off
.LBB39_1786:
	s_and_b64 vcc, exec, s[6:7]
	s_cbranch_vccz .LBB39_1796
; %bb.1787:
	v_bfe_i32 v5, v1, 0, 8
	v_cvt_f32_i32_sdwa v5, sext(v5) dst_sel:DWORD dst_unused:UNUSED_PAD src0_sel:WORD_0
	s_mov_b32 s6, 0x43f00000
                                        ; implicit-def: $vgpr6
	v_and_b32_e32 v8, 0x7fffffff, v5
	v_cmp_gt_u32_e32 vcc, s6, v8
	s_and_saveexec_b64 s[6:7], vcc
	s_xor_b64 s[6:7], exec, s[6:7]
	s_cbranch_execz .LBB39_1793
; %bb.1788:
	s_mov_b32 s10, 0x3c7fffff
	v_cmp_lt_u32_e32 vcc, s10, v8
                                        ; implicit-def: $vgpr6
	s_and_saveexec_b64 s[10:11], vcc
	s_xor_b64 s[10:11], exec, s[10:11]
; %bb.1789:
	v_bfe_u32 v6, v5, 20, 1
	s_mov_b32 s12, 0x407ffff
	v_add3_u32 v6, v5, v6, s12
	v_lshrrev_b32_e32 v8, 20, v6
	v_and_b32_e32 v6, 0xff00000, v6
	s_mov_b32 s12, 0x7f00000
	v_mov_b32_e32 v10, 0x7e
	v_cmp_ne_u32_e32 vcc, s12, v6
	v_cndmask_b32_e32 v6, v10, v8, vcc
; %bb.1790:
	s_andn2_saveexec_b64 s[10:11], s[10:11]
; %bb.1791:
	s_mov_b32 s12, 0x46800000
	v_add_f32_e64 v6, |v5|, s12
; %bb.1792:
	s_or_b64 exec, exec, s[10:11]
                                        ; implicit-def: $vgpr8
.LBB39_1793:
	s_andn2_saveexec_b64 s[6:7], s[6:7]
; %bb.1794:
	s_mov_b32 s10, 0x7f800000
	v_mov_b32_e32 v6, 0x7e
	v_mov_b32_e32 v10, 0x7f
	v_cmp_lt_u32_e32 vcc, s10, v8
	v_cndmask_b32_e32 v6, v6, v10, vcc
; %bb.1795:
	s_or_b64 exec, exec, s[6:7]
	v_lshrrev_b32_e32 v5, 24, v5
	s_movk_i32 s6, 0x80
	v_and_or_b32 v5, v5, s6, v6
	global_store_byte v[3:4], v5, off
.LBB39_1796:
	s_mov_b64 s[6:7], 0
.LBB39_1797:
	s_andn2_b64 vcc, exec, s[6:7]
	s_cbranch_vccnz .LBB39_1807
; %bb.1798:
	v_bfe_i32 v5, v1, 0, 8
	v_cvt_f32_i32_sdwa v5, sext(v5) dst_sel:DWORD dst_unused:UNUSED_PAD src0_sel:WORD_0
	s_mov_b32 s6, 0x47800000
                                        ; implicit-def: $vgpr6
	v_and_b32_e32 v8, 0x7fffffff, v5
	v_cmp_gt_u32_e32 vcc, s6, v8
	s_and_saveexec_b64 s[6:7], vcc
	s_xor_b64 s[6:7], exec, s[6:7]
	s_cbranch_execz .LBB39_1804
; %bb.1799:
	s_mov_b32 s10, 0x387fffff
	v_cmp_lt_u32_e32 vcc, s10, v8
                                        ; implicit-def: $vgpr6
	s_and_saveexec_b64 s[10:11], vcc
	s_xor_b64 s[10:11], exec, s[10:11]
; %bb.1800:
	v_bfe_u32 v6, v5, 21, 1
	s_mov_b32 s12, 0x80fffff
	v_add3_u32 v6, v5, v6, s12
	v_lshrrev_b32_e32 v6, 21, v6
; %bb.1801:
	s_andn2_saveexec_b64 s[10:11], s[10:11]
; %bb.1802:
	s_mov_b32 s12, 0x43000000
	v_add_f32_e64 v6, |v5|, s12
; %bb.1803:
	s_or_b64 exec, exec, s[10:11]
                                        ; implicit-def: $vgpr8
.LBB39_1804:
	s_andn2_saveexec_b64 s[6:7], s[6:7]
; %bb.1805:
	s_mov_b32 s10, 0x7f800000
	v_mov_b32_e32 v6, 0x7c
	v_mov_b32_e32 v10, 0x7f
	v_cmp_lt_u32_e32 vcc, s10, v8
	v_cndmask_b32_e32 v6, v6, v10, vcc
; %bb.1806:
	s_or_b64 exec, exec, s[6:7]
	v_lshrrev_b32_e32 v5, 24, v5
	s_movk_i32 s6, 0x80
	v_and_or_b32 v5, v5, s6, v6
	global_store_byte v[3:4], v5, off
.LBB39_1807:
	s_mov_b64 s[6:7], 0
	s_mov_b64 s[10:11], -1
.LBB39_1808:
	s_andn2_b64 vcc, exec, s[6:7]
	s_mov_b64 s[6:7], 0
	s_cbranch_vccnz .LBB39_1815
; %bb.1809:
	s_cmp_gt_i32 s18, 14
	s_mov_b64 s[12:13], -1
	s_cbranch_scc0 .LBB39_1813
; %bb.1810:
	s_cmp_eq_u32 s18, 15
	s_mov_b64 s[0:1], -1
	s_cbranch_scc0 .LBB39_1812
; %bb.1811:
	v_bfe_i32 v5, v1, 0, 8
	v_cvt_f32_i32_sdwa v5, sext(v5) dst_sel:DWORD dst_unused:UNUSED_PAD src0_sel:WORD_0
	s_movk_i32 s6, 0x7fff
	s_mov_b64 s[0:1], 0
	s_mov_b64 s[10:11], -1
	v_bfe_u32 v6, v5, 16, 1
	v_add3_u32 v5, v5, v6, s6
	global_store_short_d16_hi v[3:4], v5, off
.LBB39_1812:
	s_mov_b64 s[12:13], 0
.LBB39_1813:
	s_mov_b64 s[6:7], 0
	s_and_b64 vcc, exec, s[12:13]
	s_cbranch_vccz .LBB39_1815
; %bb.1814:
	s_cmp_lg_u32 s18, 11
	s_mov_b64 s[6:7], -1
	s_cselect_b64 s[0:1], -1, 0
.LBB39_1815:
	s_and_b64 vcc, exec, s[0:1]
	s_cbranch_vccnz .LBB39_2109
; %bb.1816:
	s_andn2_b64 vcc, exec, s[6:7]
	s_cbranch_vccnz .LBB39_1818
.LBB39_1817:
	v_mov_b32_e32 v5, 0
	v_cmp_ne_u16_sdwa s[0:1], v1, v5 src0_sel:BYTE_0 src1_sel:DWORD
	v_cndmask_b32_e64 v5, 0, 1, s[0:1]
	s_mov_b64 s[10:11], -1
	global_store_byte v[3:4], v5, off
.LBB39_1818:
	s_mov_b64 s[0:1], 0
	s_branch .LBB39_1820
.LBB39_1819:
	s_mov_b64 s[0:1], -1
	s_mov_b64 s[10:11], 0
.LBB39_1820:
	s_and_b64 vcc, exec, s[0:1]
	s_cbranch_vccz .LBB39_1859
; %bb.1821:
	s_and_b32 s6, 0xffff, s16
	s_cmp_lt_i32 s6, 5
	s_mov_b64 s[0:1], -1
	s_cbranch_scc1 .LBB39_1842
; %bb.1822:
	s_cmp_lt_i32 s6, 8
	s_cbranch_scc1 .LBB39_1832
; %bb.1823:
	s_cmp_lt_i32 s6, 9
	s_cbranch_scc1 .LBB39_1829
; %bb.1824:
	s_cmp_gt_i32 s6, 9
	s_cbranch_scc0 .LBB39_1826
; %bb.1825:
	v_bfe_i32 v5, v1, 0, 8
	v_bfe_i32 v5, v5, 0, 16
	v_cvt_f64_i32_e32 v[10:11], v5
	v_mov_b32_e32 v12, 0
	v_mov_b32_e32 v13, v12
	s_mov_b64 s[0:1], 0
	global_store_dwordx4 v[3:4], v[10:13], off
.LBB39_1826:
	s_andn2_b64 vcc, exec, s[0:1]
	s_cbranch_vccnz .LBB39_1828
; %bb.1827:
	v_bfe_i32 v5, v1, 0, 8
	v_cvt_f32_i32_sdwa v5, sext(v5) dst_sel:DWORD dst_unused:UNUSED_PAD src0_sel:WORD_0
	v_mov_b32_e32 v6, 0
	global_store_dwordx2 v[3:4], v[5:6], off
.LBB39_1828:
	s_mov_b64 s[0:1], 0
.LBB39_1829:
	s_andn2_b64 vcc, exec, s[0:1]
	s_cbranch_vccnz .LBB39_1831
; %bb.1830:
	v_cvt_f16_i16_sdwa v5, sext(v1) dst_sel:DWORD dst_unused:UNUSED_PAD src0_sel:BYTE_0
	global_store_dword v[3:4], v5, off
.LBB39_1831:
	s_mov_b64 s[0:1], 0
.LBB39_1832:
	s_andn2_b64 vcc, exec, s[0:1]
	s_cbranch_vccnz .LBB39_1841
; %bb.1833:
	s_cmp_lt_i32 s6, 6
	s_mov_b64 s[0:1], -1
	s_cbranch_scc1 .LBB39_1839
; %bb.1834:
	s_cmp_gt_i32 s6, 6
	s_cbranch_scc0 .LBB39_1836
; %bb.1835:
	v_bfe_i32 v5, v1, 0, 8
	v_bfe_i32 v5, v5, 0, 16
	v_cvt_f64_i32_e32 v[5:6], v5
	s_mov_b64 s[0:1], 0
	global_store_dwordx2 v[3:4], v[5:6], off
.LBB39_1836:
	s_andn2_b64 vcc, exec, s[0:1]
	s_cbranch_vccnz .LBB39_1838
; %bb.1837:
	v_bfe_i32 v5, v1, 0, 8
	v_cvt_f32_i32_sdwa v5, sext(v5) dst_sel:DWORD dst_unused:UNUSED_PAD src0_sel:WORD_0
	global_store_dword v[3:4], v5, off
.LBB39_1838:
	s_mov_b64 s[0:1], 0
.LBB39_1839:
	s_andn2_b64 vcc, exec, s[0:1]
	s_cbranch_vccnz .LBB39_1841
; %bb.1840:
	v_cvt_f16_i16_sdwa v5, sext(v1) dst_sel:DWORD dst_unused:UNUSED_PAD src0_sel:BYTE_0
	global_store_short v[3:4], v5, off
.LBB39_1841:
	s_mov_b64 s[0:1], 0
.LBB39_1842:
	s_andn2_b64 vcc, exec, s[0:1]
	s_cbranch_vccnz .LBB39_1858
; %bb.1843:
	s_cmp_lt_i32 s6, 2
	s_mov_b64 s[0:1], -1
	s_cbranch_scc1 .LBB39_1853
; %bb.1844:
	s_cmp_lt_i32 s6, 3
	s_cbranch_scc1 .LBB39_1850
; %bb.1845:
	s_cmp_gt_i32 s6, 3
	s_cbranch_scc0 .LBB39_1847
; %bb.1846:
	v_bfe_i32 v5, v1, 0, 8
	v_ashrrev_i32_e32 v6, 31, v5
	global_store_dwordx2 v[3:4], v[5:6], off
	s_mov_b64 s[0:1], 0
.LBB39_1847:
	s_andn2_b64 vcc, exec, s[0:1]
	s_cbranch_vccnz .LBB39_1849
; %bb.1848:
	v_bfe_i32 v5, v1, 0, 8
	global_store_dword v[3:4], v5, off
.LBB39_1849:
	s_mov_b64 s[0:1], 0
.LBB39_1850:
	s_andn2_b64 vcc, exec, s[0:1]
	s_cbranch_vccnz .LBB39_1852
; %bb.1851:
	v_bfe_i32 v5, v1, 0, 8
	global_store_short v[3:4], v5, off
.LBB39_1852:
	s_mov_b64 s[0:1], 0
.LBB39_1853:
	s_andn2_b64 vcc, exec, s[0:1]
	s_cbranch_vccnz .LBB39_1858
; %bb.1854:
	s_cmp_gt_i32 s6, 0
	s_mov_b64 s[0:1], -1
	s_cbranch_scc0 .LBB39_1856
; %bb.1855:
	global_store_byte v[3:4], v1, off
	s_mov_b64 s[0:1], 0
.LBB39_1856:
	s_andn2_b64 vcc, exec, s[0:1]
	s_cbranch_vccnz .LBB39_1858
; %bb.1857:
	global_store_byte v[3:4], v1, off
.LBB39_1858:
	s_mov_b64 s[10:11], -1
.LBB39_1859:
	s_andn2_b64 vcc, exec, s[10:11]
	s_cbranch_vccnz .LBB39_2055
; %bb.1860:
	v_lshlrev_b32_e32 v1, s17, v9
	v_cndmask_b32_e64 v3, v1, 0, s[4:5]
	v_mov_b32_e32 v4, s9
	v_add_co_u32_e32 v1, vcc, s8, v2
	s_cmp_lt_i32 s16, 11
	v_addc_co_u32_e32 v2, vcc, 0, v4, vcc
	s_cbranch_scc1 .LBB39_1938
; %bb.1861:
	s_and_b32 s18, 0xffff, s16
	s_mov_b64 s[12:13], -1
	s_mov_b64 s[6:7], 0
	s_cmp_gt_i32 s18, 25
	s_mov_b64 s[10:11], 0
	s_mov_b64 s[0:1], 0
	s_cbranch_scc0 .LBB39_1894
; %bb.1862:
	s_cmp_gt_i32 s18, 28
	s_cbranch_scc0 .LBB39_1877
; %bb.1863:
	s_cmp_gt_i32 s18, 43
	s_cbranch_scc0 .LBB39_1873
; %bb.1864:
	s_cmp_gt_i32 s18, 45
	s_cbranch_scc0 .LBB39_1867
; %bb.1865:
	s_mov_b64 s[0:1], -1
	s_mov_b64 s[12:13], 0
	s_cmp_eq_u32 s18, 46
	s_cbranch_scc0 .LBB39_1867
; %bb.1866:
	v_bfe_i32 v4, v3, 0, 8
	v_cvt_f32_i32_sdwa v4, sext(v4) dst_sel:DWORD dst_unused:UNUSED_PAD src0_sel:WORD_0
	s_movk_i32 s10, 0x7fff
	s_mov_b64 s[0:1], 0
	v_bfe_u32 v5, v4, 16, 1
	v_add3_u32 v4, v4, v5, s10
	v_lshrrev_b32_e32 v4, 16, v4
	global_store_dword v[1:2], v4, off
	s_mov_b64 s[10:11], -1
.LBB39_1867:
	s_and_b64 vcc, exec, s[12:13]
	s_cbranch_vccz .LBB39_1872
; %bb.1868:
	s_cmp_eq_u32 s18, 44
	s_mov_b64 s[0:1], -1
	s_cbranch_scc0 .LBB39_1872
; %bb.1869:
	v_bfe_i32 v4, v3, 0, 8
	v_cvt_f32_i32_sdwa v4, sext(v4) dst_sel:DWORD dst_unused:UNUSED_PAD src0_sel:WORD_0
	s_movk_i32 s0, 0xff
	v_mov_b32_e32 v6, 0xff
	v_bfe_u32 v5, v4, 23, 8
	v_cmp_ne_u32_e32 vcc, s0, v5
	s_and_saveexec_b64 s[10:11], vcc
; %bb.1870:
	s_mov_b32 s0, 0x3fffff
	v_lshrrev_b32_e32 v6, 23, v4
	v_and_b32_e32 v8, 0x400000, v4
	v_and_or_b32 v4, v4, s0, v5
	v_cmp_ne_u32_e32 vcc, 0, v8
	v_cmp_ne_u32_e64 s[0:1], 0, v4
	s_and_b64 s[0:1], vcc, s[0:1]
	v_cndmask_b32_e64 v4, 0, 1, s[0:1]
	v_add_u32_e32 v6, v6, v4
; %bb.1871:
	s_or_b64 exec, exec, s[10:11]
	s_mov_b64 s[0:1], 0
	s_mov_b64 s[10:11], -1
	global_store_byte v[1:2], v6, off
.LBB39_1872:
	s_mov_b64 s[12:13], 0
.LBB39_1873:
	s_and_b64 vcc, exec, s[12:13]
	s_cbranch_vccz .LBB39_1876
; %bb.1874:
	s_cmp_eq_u32 s18, 29
	s_mov_b64 s[0:1], -1
	s_cbranch_scc0 .LBB39_1876
; %bb.1875:
	v_bfe_i32 v4, v3, 0, 8
	v_ashrrev_i32_e32 v5, 31, v4
	global_store_dwordx2 v[1:2], v[4:5], off
	s_mov_b64 s[0:1], 0
	s_mov_b64 s[10:11], -1
.LBB39_1876:
	s_mov_b64 s[12:13], 0
.LBB39_1877:
	s_and_b64 vcc, exec, s[12:13]
	s_cbranch_vccz .LBB39_1893
; %bb.1878:
	s_cmp_lt_i32 s18, 27
	s_mov_b64 s[10:11], -1
	s_cbranch_scc1 .LBB39_1884
; %bb.1879:
	s_cmp_gt_i32 s18, 27
	s_cbranch_scc0 .LBB39_1881
; %bb.1880:
	v_bfe_i32 v4, v3, 0, 8
	s_mov_b64 s[10:11], 0
	global_store_dword v[1:2], v4, off
.LBB39_1881:
	s_andn2_b64 vcc, exec, s[10:11]
	s_cbranch_vccnz .LBB39_1883
; %bb.1882:
	v_bfe_i32 v4, v3, 0, 8
	global_store_short v[1:2], v4, off
.LBB39_1883:
	s_mov_b64 s[10:11], 0
.LBB39_1884:
	s_andn2_b64 vcc, exec, s[10:11]
	s_cbranch_vccnz .LBB39_1892
; %bb.1885:
	v_bfe_i32 v4, v3, 0, 8
	v_cvt_f32_i32_sdwa v4, sext(v4) dst_sel:DWORD dst_unused:UNUSED_PAD src0_sel:WORD_0
	s_mov_b32 s10, 0x43800000
	v_mov_b32_e32 v6, 0x80
	v_and_b32_e32 v5, 0x7fffffff, v4
	v_cmp_gt_u32_e32 vcc, s10, v5
	s_and_saveexec_b64 s[10:11], vcc
	s_cbranch_execz .LBB39_1891
; %bb.1886:
	s_mov_b32 s12, 0x3bffffff
	v_cmp_lt_u32_e32 vcc, s12, v5
	s_mov_b64 s[12:13], 0
                                        ; implicit-def: $vgpr5
	s_and_saveexec_b64 s[14:15], vcc
	s_xor_b64 s[14:15], exec, s[14:15]
	s_cbranch_execz .LBB39_2112
; %bb.1887:
	v_bfe_u32 v5, v4, 20, 1
	s_mov_b32 s19, 0x487ffff
	v_add3_u32 v5, v4, v5, s19
	s_mov_b64 s[12:13], exec
	v_lshrrev_b32_e32 v5, 20, v5
	s_andn2_saveexec_b64 s[14:15], s[14:15]
	s_cbranch_execnz .LBB39_2113
.LBB39_1888:
	s_or_b64 exec, exec, s[14:15]
	v_mov_b32_e32 v6, 0
	s_and_saveexec_b64 s[14:15], s[12:13]
.LBB39_1889:
	v_lshrrev_b32_e32 v4, 24, v4
	s_movk_i32 s12, 0x80
	v_and_or_b32 v6, v4, s12, v5
.LBB39_1890:
	s_or_b64 exec, exec, s[14:15]
.LBB39_1891:
	s_or_b64 exec, exec, s[10:11]
	global_store_byte v[1:2], v6, off
.LBB39_1892:
	s_mov_b64 s[10:11], -1
.LBB39_1893:
	s_mov_b64 s[12:13], 0
.LBB39_1894:
	s_and_b64 vcc, exec, s[12:13]
	s_cbranch_vccz .LBB39_1934
; %bb.1895:
	s_cmp_gt_i32 s18, 22
	s_mov_b64 s[6:7], -1
	s_cbranch_scc0 .LBB39_1927
; %bb.1896:
	s_cmp_lt_i32 s18, 24
	s_cbranch_scc1 .LBB39_1916
; %bb.1897:
	s_cmp_gt_i32 s18, 24
	s_cbranch_scc0 .LBB39_1905
; %bb.1898:
	v_bfe_i32 v4, v3, 0, 8
	v_cvt_f32_i32_sdwa v4, sext(v4) dst_sel:DWORD dst_unused:UNUSED_PAD src0_sel:WORD_0
	s_mov_b32 s6, 0x47800000
	v_mov_b32_e32 v6, 0x80
	v_and_b32_e32 v5, 0x7fffffff, v4
	v_cmp_gt_u32_e32 vcc, s6, v5
	s_and_saveexec_b64 s[6:7], vcc
	s_cbranch_execz .LBB39_1904
; %bb.1899:
	s_mov_b32 s10, 0x37ffffff
	v_cmp_lt_u32_e32 vcc, s10, v5
	s_mov_b64 s[10:11], 0
                                        ; implicit-def: $vgpr5
	s_and_saveexec_b64 s[12:13], vcc
	s_xor_b64 s[12:13], exec, s[12:13]
	s_cbranch_execz .LBB39_2115
; %bb.1900:
	v_bfe_u32 v5, v4, 21, 1
	s_mov_b32 s14, 0x88fffff
	v_add3_u32 v5, v4, v5, s14
	s_mov_b64 s[10:11], exec
	v_lshrrev_b32_e32 v5, 21, v5
	s_andn2_saveexec_b64 s[12:13], s[12:13]
	s_cbranch_execnz .LBB39_2116
.LBB39_1901:
	s_or_b64 exec, exec, s[12:13]
	v_mov_b32_e32 v6, 0
	s_and_saveexec_b64 s[12:13], s[10:11]
.LBB39_1902:
	v_lshrrev_b32_e32 v4, 24, v4
	s_movk_i32 s10, 0x80
	v_and_or_b32 v6, v4, s10, v5
.LBB39_1903:
	s_or_b64 exec, exec, s[12:13]
.LBB39_1904:
	s_or_b64 exec, exec, s[6:7]
	s_mov_b64 s[6:7], 0
	global_store_byte v[1:2], v6, off
.LBB39_1905:
	s_and_b64 vcc, exec, s[6:7]
	s_cbranch_vccz .LBB39_1915
; %bb.1906:
	v_bfe_i32 v4, v3, 0, 8
	v_cvt_f32_i32_sdwa v4, sext(v4) dst_sel:DWORD dst_unused:UNUSED_PAD src0_sel:WORD_0
	s_mov_b32 s6, 0x43f00000
                                        ; implicit-def: $vgpr5
	v_and_b32_e32 v6, 0x7fffffff, v4
	v_cmp_gt_u32_e32 vcc, s6, v6
	s_and_saveexec_b64 s[6:7], vcc
	s_xor_b64 s[6:7], exec, s[6:7]
	s_cbranch_execz .LBB39_1912
; %bb.1907:
	s_mov_b32 s10, 0x3c7fffff
	v_cmp_lt_u32_e32 vcc, s10, v6
                                        ; implicit-def: $vgpr5
	s_and_saveexec_b64 s[10:11], vcc
	s_xor_b64 s[10:11], exec, s[10:11]
; %bb.1908:
	v_bfe_u32 v5, v4, 20, 1
	s_mov_b32 s12, 0x407ffff
	v_add3_u32 v5, v4, v5, s12
	v_lshrrev_b32_e32 v6, 20, v5
	v_and_b32_e32 v5, 0xff00000, v5
	s_mov_b32 s12, 0x7f00000
	v_mov_b32_e32 v8, 0x7e
	v_cmp_ne_u32_e32 vcc, s12, v5
	v_cndmask_b32_e32 v5, v8, v6, vcc
; %bb.1909:
	s_andn2_saveexec_b64 s[10:11], s[10:11]
; %bb.1910:
	s_mov_b32 s12, 0x46800000
	v_add_f32_e64 v5, |v4|, s12
; %bb.1911:
	s_or_b64 exec, exec, s[10:11]
                                        ; implicit-def: $vgpr6
.LBB39_1912:
	s_andn2_saveexec_b64 s[6:7], s[6:7]
; %bb.1913:
	s_mov_b32 s10, 0x7f800000
	v_mov_b32_e32 v5, 0x7e
	v_mov_b32_e32 v8, 0x7f
	v_cmp_lt_u32_e32 vcc, s10, v6
	v_cndmask_b32_e32 v5, v5, v8, vcc
; %bb.1914:
	s_or_b64 exec, exec, s[6:7]
	v_lshrrev_b32_e32 v4, 24, v4
	s_movk_i32 s6, 0x80
	v_and_or_b32 v4, v4, s6, v5
	global_store_byte v[1:2], v4, off
.LBB39_1915:
	s_mov_b64 s[6:7], 0
.LBB39_1916:
	s_andn2_b64 vcc, exec, s[6:7]
	s_cbranch_vccnz .LBB39_1926
; %bb.1917:
	v_bfe_i32 v4, v3, 0, 8
	v_cvt_f32_i32_sdwa v4, sext(v4) dst_sel:DWORD dst_unused:UNUSED_PAD src0_sel:WORD_0
	s_mov_b32 s6, 0x47800000
                                        ; implicit-def: $vgpr5
	v_and_b32_e32 v6, 0x7fffffff, v4
	v_cmp_gt_u32_e32 vcc, s6, v6
	s_and_saveexec_b64 s[6:7], vcc
	s_xor_b64 s[6:7], exec, s[6:7]
	s_cbranch_execz .LBB39_1923
; %bb.1918:
	s_mov_b32 s10, 0x387fffff
	v_cmp_lt_u32_e32 vcc, s10, v6
                                        ; implicit-def: $vgpr5
	s_and_saveexec_b64 s[10:11], vcc
	s_xor_b64 s[10:11], exec, s[10:11]
; %bb.1919:
	v_bfe_u32 v5, v4, 21, 1
	s_mov_b32 s12, 0x80fffff
	v_add3_u32 v5, v4, v5, s12
	v_lshrrev_b32_e32 v5, 21, v5
; %bb.1920:
	s_andn2_saveexec_b64 s[10:11], s[10:11]
; %bb.1921:
	s_mov_b32 s12, 0x43000000
	v_add_f32_e64 v5, |v4|, s12
; %bb.1922:
	s_or_b64 exec, exec, s[10:11]
                                        ; implicit-def: $vgpr6
.LBB39_1923:
	s_andn2_saveexec_b64 s[6:7], s[6:7]
; %bb.1924:
	s_mov_b32 s10, 0x7f800000
	v_mov_b32_e32 v5, 0x7c
	v_mov_b32_e32 v8, 0x7f
	v_cmp_lt_u32_e32 vcc, s10, v6
	v_cndmask_b32_e32 v5, v5, v8, vcc
; %bb.1925:
	s_or_b64 exec, exec, s[6:7]
	v_lshrrev_b32_e32 v4, 24, v4
	s_movk_i32 s6, 0x80
	v_and_or_b32 v4, v4, s6, v5
	global_store_byte v[1:2], v4, off
.LBB39_1926:
	s_mov_b64 s[6:7], 0
	s_mov_b64 s[10:11], -1
.LBB39_1927:
	s_andn2_b64 vcc, exec, s[6:7]
	s_mov_b64 s[6:7], 0
	s_cbranch_vccnz .LBB39_1934
; %bb.1928:
	s_cmp_gt_i32 s18, 14
	s_mov_b64 s[12:13], -1
	s_cbranch_scc0 .LBB39_1932
; %bb.1929:
	s_cmp_eq_u32 s18, 15
	s_mov_b64 s[0:1], -1
	s_cbranch_scc0 .LBB39_1931
; %bb.1930:
	v_bfe_i32 v4, v3, 0, 8
	v_cvt_f32_i32_sdwa v4, sext(v4) dst_sel:DWORD dst_unused:UNUSED_PAD src0_sel:WORD_0
	s_movk_i32 s6, 0x7fff
	s_mov_b64 s[0:1], 0
	s_mov_b64 s[10:11], -1
	v_bfe_u32 v5, v4, 16, 1
	v_add3_u32 v4, v4, v5, s6
	global_store_short_d16_hi v[1:2], v4, off
.LBB39_1931:
	s_mov_b64 s[12:13], 0
.LBB39_1932:
	s_mov_b64 s[6:7], 0
	s_and_b64 vcc, exec, s[12:13]
	s_cbranch_vccz .LBB39_1934
; %bb.1933:
	s_cmp_lg_u32 s18, 11
	s_mov_b64 s[6:7], -1
	s_cselect_b64 s[0:1], -1, 0
.LBB39_1934:
	s_and_b64 vcc, exec, s[0:1]
	s_cbranch_vccnz .LBB39_2114
; %bb.1935:
	s_andn2_b64 vcc, exec, s[6:7]
	s_cbranch_vccnz .LBB39_1937
.LBB39_1936:
	v_mov_b32_e32 v4, 0
	v_cmp_ne_u16_sdwa s[0:1], v3, v4 src0_sel:BYTE_0 src1_sel:DWORD
	v_cndmask_b32_e64 v4, 0, 1, s[0:1]
	s_mov_b64 s[10:11], -1
	global_store_byte v[1:2], v4, off
.LBB39_1937:
	s_mov_b64 s[0:1], 0
	s_branch .LBB39_1939
.LBB39_1938:
	s_mov_b64 s[0:1], -1
	s_mov_b64 s[10:11], 0
.LBB39_1939:
	s_and_b64 vcc, exec, s[0:1]
	s_cbranch_vccz .LBB39_1978
; %bb.1940:
	s_and_b32 s6, 0xffff, s16
	s_cmp_lt_i32 s6, 5
	s_mov_b64 s[0:1], -1
	s_cbranch_scc1 .LBB39_1961
; %bb.1941:
	s_cmp_lt_i32 s6, 8
	s_cbranch_scc1 .LBB39_1951
; %bb.1942:
	s_cmp_lt_i32 s6, 9
	s_cbranch_scc1 .LBB39_1948
; %bb.1943:
	s_cmp_gt_i32 s6, 9
	s_cbranch_scc0 .LBB39_1945
; %bb.1944:
	v_bfe_i32 v4, v3, 0, 8
	v_bfe_i32 v4, v4, 0, 16
	v_cvt_f64_i32_e32 v[8:9], v4
	v_mov_b32_e32 v10, 0
	v_mov_b32_e32 v11, v10
	s_mov_b64 s[0:1], 0
	global_store_dwordx4 v[1:2], v[8:11], off
.LBB39_1945:
	s_andn2_b64 vcc, exec, s[0:1]
	s_cbranch_vccnz .LBB39_1947
; %bb.1946:
	v_bfe_i32 v4, v3, 0, 8
	v_cvt_f32_i32_sdwa v4, sext(v4) dst_sel:DWORD dst_unused:UNUSED_PAD src0_sel:WORD_0
	v_mov_b32_e32 v5, 0
	global_store_dwordx2 v[1:2], v[4:5], off
.LBB39_1947:
	s_mov_b64 s[0:1], 0
.LBB39_1948:
	s_andn2_b64 vcc, exec, s[0:1]
	s_cbranch_vccnz .LBB39_1950
; %bb.1949:
	v_cvt_f16_i16_sdwa v4, sext(v3) dst_sel:DWORD dst_unused:UNUSED_PAD src0_sel:BYTE_0
	global_store_dword v[1:2], v4, off
.LBB39_1950:
	s_mov_b64 s[0:1], 0
.LBB39_1951:
	s_andn2_b64 vcc, exec, s[0:1]
	s_cbranch_vccnz .LBB39_1960
; %bb.1952:
	s_cmp_lt_i32 s6, 6
	s_mov_b64 s[0:1], -1
	s_cbranch_scc1 .LBB39_1958
; %bb.1953:
	s_cmp_gt_i32 s6, 6
	s_cbranch_scc0 .LBB39_1955
; %bb.1954:
	v_bfe_i32 v4, v3, 0, 8
	v_bfe_i32 v4, v4, 0, 16
	v_cvt_f64_i32_e32 v[4:5], v4
	s_mov_b64 s[0:1], 0
	global_store_dwordx2 v[1:2], v[4:5], off
.LBB39_1955:
	s_andn2_b64 vcc, exec, s[0:1]
	s_cbranch_vccnz .LBB39_1957
; %bb.1956:
	v_bfe_i32 v4, v3, 0, 8
	v_cvt_f32_i32_sdwa v4, sext(v4) dst_sel:DWORD dst_unused:UNUSED_PAD src0_sel:WORD_0
	global_store_dword v[1:2], v4, off
.LBB39_1957:
	s_mov_b64 s[0:1], 0
.LBB39_1958:
	s_andn2_b64 vcc, exec, s[0:1]
	s_cbranch_vccnz .LBB39_1960
; %bb.1959:
	v_cvt_f16_i16_sdwa v4, sext(v3) dst_sel:DWORD dst_unused:UNUSED_PAD src0_sel:BYTE_0
	global_store_short v[1:2], v4, off
.LBB39_1960:
	s_mov_b64 s[0:1], 0
.LBB39_1961:
	s_andn2_b64 vcc, exec, s[0:1]
	s_cbranch_vccnz .LBB39_1977
; %bb.1962:
	s_cmp_lt_i32 s6, 2
	s_mov_b64 s[0:1], -1
	s_cbranch_scc1 .LBB39_1972
; %bb.1963:
	s_cmp_lt_i32 s6, 3
	s_cbranch_scc1 .LBB39_1969
; %bb.1964:
	s_cmp_gt_i32 s6, 3
	s_cbranch_scc0 .LBB39_1966
; %bb.1965:
	v_bfe_i32 v4, v3, 0, 8
	v_ashrrev_i32_e32 v5, 31, v4
	global_store_dwordx2 v[1:2], v[4:5], off
	s_mov_b64 s[0:1], 0
.LBB39_1966:
	s_andn2_b64 vcc, exec, s[0:1]
	s_cbranch_vccnz .LBB39_1968
; %bb.1967:
	v_bfe_i32 v4, v3, 0, 8
	global_store_dword v[1:2], v4, off
.LBB39_1968:
	s_mov_b64 s[0:1], 0
.LBB39_1969:
	s_andn2_b64 vcc, exec, s[0:1]
	s_cbranch_vccnz .LBB39_1971
; %bb.1970:
	v_bfe_i32 v4, v3, 0, 8
	global_store_short v[1:2], v4, off
.LBB39_1971:
	s_mov_b64 s[0:1], 0
.LBB39_1972:
	s_andn2_b64 vcc, exec, s[0:1]
	s_cbranch_vccnz .LBB39_1977
; %bb.1973:
	s_cmp_gt_i32 s6, 0
	s_mov_b64 s[0:1], -1
	s_cbranch_scc0 .LBB39_1975
; %bb.1974:
	global_store_byte v[1:2], v3, off
	s_mov_b64 s[0:1], 0
.LBB39_1975:
	s_andn2_b64 vcc, exec, s[0:1]
	s_cbranch_vccnz .LBB39_1977
; %bb.1976:
	global_store_byte v[1:2], v3, off
.LBB39_1977:
	s_mov_b64 s[10:11], -1
.LBB39_1978:
	s_andn2_b64 vcc, exec, s[10:11]
	s_cbranch_vccnz .LBB39_2055
; %bb.1979:
	v_lshlrev_b32_e32 v1, s17, v7
	v_cndmask_b32_e64 v2, v1, 0, s[4:5]
	v_mov_b32_e32 v1, s9
	v_add_co_u32_e32 v0, vcc, s8, v0
	s_cmp_lt_i32 s16, 11
	v_addc_co_u32_e32 v1, vcc, 0, v1, vcc
	s_cbranch_scc1 .LBB39_2100
; %bb.1980:
	s_and_b32 s12, 0xffff, s16
	s_mov_b64 s[6:7], -1
	s_mov_b64 s[4:5], 0
	s_cmp_gt_i32 s12, 25
	s_mov_b64 s[0:1], 0
	s_cbranch_scc0 .LBB39_2013
; %bb.1981:
	s_cmp_gt_i32 s12, 28
	s_cbranch_scc0 .LBB39_1997
; %bb.1982:
	s_cmp_gt_i32 s12, 43
	s_cbranch_scc0 .LBB39_1993
; %bb.1983:
	s_cmp_gt_i32 s12, 45
	s_cbranch_scc0 .LBB39_1987
; %bb.1984:
	s_cmp_eq_u32 s12, 46
	s_mov_b64 s[0:1], -1
	s_cbranch_scc0 .LBB39_1986
; %bb.1985:
	v_bfe_i32 v3, v2, 0, 8
	v_cvt_f32_i32_sdwa v3, sext(v3) dst_sel:DWORD dst_unused:UNUSED_PAD src0_sel:WORD_0
	s_movk_i32 s0, 0x7fff
	v_bfe_u32 v4, v3, 16, 1
	v_add3_u32 v3, v3, v4, s0
	v_lshrrev_b32_e32 v3, 16, v3
	global_store_dword v[0:1], v3, off
	s_mov_b64 s[0:1], 0
.LBB39_1986:
	s_mov_b64 s[6:7], 0
.LBB39_1987:
	s_and_b64 vcc, exec, s[6:7]
	s_cbranch_vccz .LBB39_1992
; %bb.1988:
	s_cmp_eq_u32 s12, 44
	s_mov_b64 s[0:1], -1
	s_cbranch_scc0 .LBB39_1992
; %bb.1989:
	v_bfe_i32 v3, v2, 0, 8
	v_cvt_f32_i32_sdwa v3, sext(v3) dst_sel:DWORD dst_unused:UNUSED_PAD src0_sel:WORD_0
	s_movk_i32 s0, 0xff
	v_mov_b32_e32 v5, 0xff
	v_bfe_u32 v4, v3, 23, 8
	v_cmp_ne_u32_e32 vcc, s0, v4
	s_and_saveexec_b64 s[6:7], vcc
; %bb.1990:
	s_mov_b32 s0, 0x3fffff
	v_lshrrev_b32_e32 v5, 23, v3
	v_and_b32_e32 v6, 0x400000, v3
	v_and_or_b32 v3, v3, s0, v4
	v_cmp_ne_u32_e32 vcc, 0, v6
	v_cmp_ne_u32_e64 s[0:1], 0, v3
	s_and_b64 s[0:1], vcc, s[0:1]
	v_cndmask_b32_e64 v3, 0, 1, s[0:1]
	v_add_u32_e32 v5, v5, v3
; %bb.1991:
	s_or_b64 exec, exec, s[6:7]
	s_mov_b64 s[0:1], 0
	global_store_byte v[0:1], v5, off
.LBB39_1992:
	s_mov_b64 s[6:7], 0
.LBB39_1993:
	s_and_b64 vcc, exec, s[6:7]
	s_cbranch_vccz .LBB39_1996
; %bb.1994:
	s_cmp_eq_u32 s12, 29
	s_mov_b64 s[0:1], -1
	s_cbranch_scc0 .LBB39_1996
; %bb.1995:
	v_bfe_i32 v3, v2, 0, 8
	v_ashrrev_i32_e32 v4, 31, v3
	global_store_dwordx2 v[0:1], v[3:4], off
	s_mov_b64 s[0:1], 0
.LBB39_1996:
	s_mov_b64 s[6:7], 0
.LBB39_1997:
	s_and_b64 vcc, exec, s[6:7]
	s_cbranch_vccz .LBB39_2012
; %bb.1998:
	s_cmp_lt_i32 s12, 27
	s_mov_b64 s[6:7], -1
	s_cbranch_scc1 .LBB39_2004
; %bb.1999:
	s_cmp_gt_i32 s12, 27
	s_cbranch_scc0 .LBB39_2001
; %bb.2000:
	v_bfe_i32 v3, v2, 0, 8
	global_store_dword v[0:1], v3, off
	s_mov_b64 s[6:7], 0
.LBB39_2001:
	s_andn2_b64 vcc, exec, s[6:7]
	s_cbranch_vccnz .LBB39_2003
; %bb.2002:
	v_bfe_i32 v3, v2, 0, 8
	global_store_short v[0:1], v3, off
.LBB39_2003:
	s_mov_b64 s[6:7], 0
.LBB39_2004:
	s_andn2_b64 vcc, exec, s[6:7]
	s_cbranch_vccnz .LBB39_2012
; %bb.2005:
	v_bfe_i32 v3, v2, 0, 8
	v_cvt_f32_i32_sdwa v3, sext(v3) dst_sel:DWORD dst_unused:UNUSED_PAD src0_sel:WORD_0
	s_mov_b32 s6, 0x43800000
	v_mov_b32_e32 v5, 0x80
	v_and_b32_e32 v4, 0x7fffffff, v3
	v_cmp_gt_u32_e32 vcc, s6, v4
	s_and_saveexec_b64 s[6:7], vcc
	s_cbranch_execz .LBB39_2011
; %bb.2006:
	s_mov_b32 s8, 0x3bffffff
	v_cmp_lt_u32_e32 vcc, s8, v4
	s_mov_b64 s[8:9], 0
                                        ; implicit-def: $vgpr4
	s_and_saveexec_b64 s[10:11], vcc
	s_xor_b64 s[10:11], exec, s[10:11]
	s_cbranch_execz .LBB39_2117
; %bb.2007:
	v_bfe_u32 v4, v3, 20, 1
	s_mov_b32 s13, 0x487ffff
	v_add3_u32 v4, v3, v4, s13
	s_mov_b64 s[8:9], exec
	v_lshrrev_b32_e32 v4, 20, v4
	s_andn2_saveexec_b64 s[10:11], s[10:11]
	s_cbranch_execnz .LBB39_2118
.LBB39_2008:
	s_or_b64 exec, exec, s[10:11]
	v_mov_b32_e32 v5, 0
	s_and_saveexec_b64 s[10:11], s[8:9]
.LBB39_2009:
	v_lshrrev_b32_e32 v3, 24, v3
	s_movk_i32 s8, 0x80
	v_and_or_b32 v5, v3, s8, v4
.LBB39_2010:
	s_or_b64 exec, exec, s[10:11]
.LBB39_2011:
	s_or_b64 exec, exec, s[6:7]
	global_store_byte v[0:1], v5, off
.LBB39_2012:
	s_mov_b64 s[6:7], 0
.LBB39_2013:
	s_and_b64 vcc, exec, s[6:7]
	s_cbranch_vccz .LBB39_2053
; %bb.2014:
	s_cmp_gt_i32 s12, 22
	s_mov_b64 s[4:5], -1
	s_cbranch_scc0 .LBB39_2046
; %bb.2015:
	s_cmp_lt_i32 s12, 24
	s_cbranch_scc1 .LBB39_2035
; %bb.2016:
	s_cmp_gt_i32 s12, 24
	s_cbranch_scc0 .LBB39_2024
; %bb.2017:
	v_bfe_i32 v3, v2, 0, 8
	v_cvt_f32_i32_sdwa v3, sext(v3) dst_sel:DWORD dst_unused:UNUSED_PAD src0_sel:WORD_0
	s_mov_b32 s4, 0x47800000
	v_mov_b32_e32 v5, 0x80
	v_and_b32_e32 v4, 0x7fffffff, v3
	v_cmp_gt_u32_e32 vcc, s4, v4
	s_and_saveexec_b64 s[4:5], vcc
	s_cbranch_execz .LBB39_2023
; %bb.2018:
	s_mov_b32 s6, 0x37ffffff
	v_cmp_lt_u32_e32 vcc, s6, v4
	s_mov_b64 s[6:7], 0
                                        ; implicit-def: $vgpr4
	s_and_saveexec_b64 s[8:9], vcc
	s_xor_b64 s[8:9], exec, s[8:9]
	s_cbranch_execz .LBB39_2120
; %bb.2019:
	v_bfe_u32 v4, v3, 21, 1
	s_mov_b32 s10, 0x88fffff
	v_add3_u32 v4, v3, v4, s10
	s_mov_b64 s[6:7], exec
	v_lshrrev_b32_e32 v4, 21, v4
	s_andn2_saveexec_b64 s[8:9], s[8:9]
	s_cbranch_execnz .LBB39_2121
.LBB39_2020:
	s_or_b64 exec, exec, s[8:9]
	v_mov_b32_e32 v5, 0
	s_and_saveexec_b64 s[8:9], s[6:7]
.LBB39_2021:
	v_lshrrev_b32_e32 v3, 24, v3
	s_movk_i32 s6, 0x80
	v_and_or_b32 v5, v3, s6, v4
.LBB39_2022:
	s_or_b64 exec, exec, s[8:9]
.LBB39_2023:
	s_or_b64 exec, exec, s[4:5]
	s_mov_b64 s[4:5], 0
	global_store_byte v[0:1], v5, off
.LBB39_2024:
	s_and_b64 vcc, exec, s[4:5]
	s_cbranch_vccz .LBB39_2034
; %bb.2025:
	v_bfe_i32 v3, v2, 0, 8
	v_cvt_f32_i32_sdwa v3, sext(v3) dst_sel:DWORD dst_unused:UNUSED_PAD src0_sel:WORD_0
	s_mov_b32 s4, 0x43f00000
                                        ; implicit-def: $vgpr4
	v_and_b32_e32 v5, 0x7fffffff, v3
	v_cmp_gt_u32_e32 vcc, s4, v5
	s_and_saveexec_b64 s[4:5], vcc
	s_xor_b64 s[4:5], exec, s[4:5]
	s_cbranch_execz .LBB39_2031
; %bb.2026:
	s_mov_b32 s6, 0x3c7fffff
	v_cmp_lt_u32_e32 vcc, s6, v5
                                        ; implicit-def: $vgpr4
	s_and_saveexec_b64 s[6:7], vcc
	s_xor_b64 s[6:7], exec, s[6:7]
; %bb.2027:
	v_bfe_u32 v4, v3, 20, 1
	s_mov_b32 s8, 0x407ffff
	v_add3_u32 v4, v3, v4, s8
	v_lshrrev_b32_e32 v5, 20, v4
	v_and_b32_e32 v4, 0xff00000, v4
	s_mov_b32 s8, 0x7f00000
	v_mov_b32_e32 v6, 0x7e
	v_cmp_ne_u32_e32 vcc, s8, v4
	v_cndmask_b32_e32 v4, v6, v5, vcc
; %bb.2028:
	s_andn2_saveexec_b64 s[6:7], s[6:7]
; %bb.2029:
	s_mov_b32 s8, 0x46800000
	v_add_f32_e64 v4, |v3|, s8
; %bb.2030:
	s_or_b64 exec, exec, s[6:7]
                                        ; implicit-def: $vgpr5
.LBB39_2031:
	s_andn2_saveexec_b64 s[4:5], s[4:5]
; %bb.2032:
	s_mov_b32 s6, 0x7f800000
	v_mov_b32_e32 v4, 0x7e
	v_mov_b32_e32 v6, 0x7f
	v_cmp_lt_u32_e32 vcc, s6, v5
	v_cndmask_b32_e32 v4, v4, v6, vcc
; %bb.2033:
	s_or_b64 exec, exec, s[4:5]
	v_lshrrev_b32_e32 v3, 24, v3
	s_movk_i32 s4, 0x80
	v_and_or_b32 v3, v3, s4, v4
	global_store_byte v[0:1], v3, off
.LBB39_2034:
	s_mov_b64 s[4:5], 0
.LBB39_2035:
	s_andn2_b64 vcc, exec, s[4:5]
	s_cbranch_vccnz .LBB39_2045
; %bb.2036:
	v_bfe_i32 v3, v2, 0, 8
	v_cvt_f32_i32_sdwa v3, sext(v3) dst_sel:DWORD dst_unused:UNUSED_PAD src0_sel:WORD_0
	s_mov_b32 s4, 0x47800000
                                        ; implicit-def: $vgpr4
	v_and_b32_e32 v5, 0x7fffffff, v3
	v_cmp_gt_u32_e32 vcc, s4, v5
	s_and_saveexec_b64 s[4:5], vcc
	s_xor_b64 s[4:5], exec, s[4:5]
	s_cbranch_execz .LBB39_2042
; %bb.2037:
	s_mov_b32 s6, 0x387fffff
	v_cmp_lt_u32_e32 vcc, s6, v5
                                        ; implicit-def: $vgpr4
	s_and_saveexec_b64 s[6:7], vcc
	s_xor_b64 s[6:7], exec, s[6:7]
; %bb.2038:
	v_bfe_u32 v4, v3, 21, 1
	s_mov_b32 s8, 0x80fffff
	v_add3_u32 v4, v3, v4, s8
	v_lshrrev_b32_e32 v4, 21, v4
; %bb.2039:
	s_andn2_saveexec_b64 s[6:7], s[6:7]
; %bb.2040:
	s_mov_b32 s8, 0x43000000
	v_add_f32_e64 v4, |v3|, s8
; %bb.2041:
	s_or_b64 exec, exec, s[6:7]
                                        ; implicit-def: $vgpr5
.LBB39_2042:
	s_andn2_saveexec_b64 s[4:5], s[4:5]
; %bb.2043:
	s_mov_b32 s6, 0x7f800000
	v_mov_b32_e32 v4, 0x7c
	v_mov_b32_e32 v6, 0x7f
	v_cmp_lt_u32_e32 vcc, s6, v5
	v_cndmask_b32_e32 v4, v4, v6, vcc
; %bb.2044:
	s_or_b64 exec, exec, s[4:5]
	v_lshrrev_b32_e32 v3, 24, v3
	s_movk_i32 s4, 0x80
	v_and_or_b32 v3, v3, s4, v4
	global_store_byte v[0:1], v3, off
.LBB39_2045:
	s_mov_b64 s[4:5], 0
.LBB39_2046:
	s_andn2_b64 vcc, exec, s[4:5]
	s_mov_b64 s[4:5], 0
	s_cbranch_vccnz .LBB39_2053
; %bb.2047:
	s_cmp_gt_i32 s12, 14
	s_mov_b64 s[6:7], -1
	s_cbranch_scc0 .LBB39_2051
; %bb.2048:
	s_cmp_eq_u32 s12, 15
	s_mov_b64 s[0:1], -1
	s_cbranch_scc0 .LBB39_2050
; %bb.2049:
	v_bfe_i32 v3, v2, 0, 8
	v_cvt_f32_i32_sdwa v3, sext(v3) dst_sel:DWORD dst_unused:UNUSED_PAD src0_sel:WORD_0
	s_movk_i32 s0, 0x7fff
	v_bfe_u32 v4, v3, 16, 1
	v_add3_u32 v3, v3, v4, s0
	global_store_short_d16_hi v[0:1], v3, off
	s_mov_b64 s[0:1], 0
.LBB39_2050:
	s_mov_b64 s[6:7], 0
.LBB39_2051:
	s_and_b64 vcc, exec, s[6:7]
	s_cbranch_vccz .LBB39_2053
; %bb.2052:
	s_cmp_lg_u32 s12, 11
	s_mov_b64 s[4:5], -1
	s_cselect_b64 s[0:1], -1, 0
.LBB39_2053:
	s_and_b64 vcc, exec, s[0:1]
	s_cbranch_vccnz .LBB39_2119
.LBB39_2054:
	s_mov_b64 s[0:1], 0
	s_branch .LBB39_2056
.LBB39_2055:
	s_mov_b64 s[0:1], 0
	s_mov_b64 s[4:5], 0
                                        ; implicit-def: $vgpr0_vgpr1
                                        ; implicit-def: $sgpr16
                                        ; implicit-def: $vgpr2
.LBB39_2056:
	s_and_b64 s[6:7], s[4:5], exec
	s_andn2_b64 s[4:5], s[28:29], exec
	s_and_b64 s[2:3], s[2:3], exec
	s_and_b64 s[0:1], s[0:1], exec
	s_or_b64 s[28:29], s[4:5], s[2:3]
.LBB39_2057:
	s_or_b64 exec, exec, s[30:31]
	s_and_saveexec_b64 s[2:3], s[28:29]
	s_cbranch_execz .LBB39_2060
; %bb.2058:
	; divergent unreachable
	s_or_b64 exec, exec, s[2:3]
	s_and_saveexec_b64 s[2:3], s[6:7]
	s_xor_b64 s[2:3], exec, s[2:3]
	s_cbranch_execnz .LBB39_2061
.LBB39_2059:
	s_or_b64 exec, exec, s[2:3]
	s_and_saveexec_b64 s[2:3], s[0:1]
	s_cbranch_execnz .LBB39_2062
	s_branch .LBB39_2099
.LBB39_2060:
	s_or_b64 exec, exec, s[2:3]
	s_and_saveexec_b64 s[2:3], s[6:7]
	s_xor_b64 s[2:3], exec, s[2:3]
	s_cbranch_execz .LBB39_2059
.LBB39_2061:
	s_waitcnt vmcnt(0)
	v_mov_b32_e32 v3, 0
	v_cmp_ne_u16_sdwa s[4:5], v2, v3 src0_sel:BYTE_0 src1_sel:DWORD
	v_cndmask_b32_e64 v3, 0, 1, s[4:5]
	global_store_byte v[0:1], v3, off
	s_or_b64 exec, exec, s[2:3]
	s_and_saveexec_b64 s[2:3], s[0:1]
	s_cbranch_execz .LBB39_2099
.LBB39_2062:
	s_sext_i32_i16 s2, s16
	s_cmp_lt_i32 s2, 5
	s_mov_b64 s[0:1], -1
	s_cbranch_scc1 .LBB39_2083
; %bb.2063:
	s_cmp_lt_i32 s2, 8
	s_cbranch_scc1 .LBB39_2073
; %bb.2064:
	s_cmp_lt_i32 s2, 9
	s_cbranch_scc1 .LBB39_2070
; %bb.2065:
	s_cmp_gt_i32 s2, 9
	s_cbranch_scc0 .LBB39_2067
; %bb.2066:
	s_waitcnt vmcnt(0)
	v_bfe_i32 v3, v2, 0, 8
	v_bfe_i32 v3, v3, 0, 16
	v_cvt_f64_i32_e32 v[3:4], v3
	v_mov_b32_e32 v5, 0
	v_mov_b32_e32 v6, v5
	s_mov_b64 s[0:1], 0
	global_store_dwordx4 v[0:1], v[3:6], off
.LBB39_2067:
	s_andn2_b64 vcc, exec, s[0:1]
	s_cbranch_vccnz .LBB39_2069
; %bb.2068:
	s_waitcnt vmcnt(0)
	v_bfe_i32 v3, v2, 0, 8
	v_cvt_f32_i32_sdwa v3, sext(v3) dst_sel:DWORD dst_unused:UNUSED_PAD src0_sel:WORD_0
	v_mov_b32_e32 v4, 0
	global_store_dwordx2 v[0:1], v[3:4], off
.LBB39_2069:
	s_mov_b64 s[0:1], 0
.LBB39_2070:
	s_andn2_b64 vcc, exec, s[0:1]
	s_cbranch_vccnz .LBB39_2072
; %bb.2071:
	s_waitcnt vmcnt(0)
	v_cvt_f16_i16_sdwa v3, sext(v2) dst_sel:DWORD dst_unused:UNUSED_PAD src0_sel:BYTE_0
	global_store_dword v[0:1], v3, off
.LBB39_2072:
	s_mov_b64 s[0:1], 0
.LBB39_2073:
	s_andn2_b64 vcc, exec, s[0:1]
	s_cbranch_vccnz .LBB39_2082
; %bb.2074:
	s_sext_i32_i16 s2, s16
	s_cmp_lt_i32 s2, 6
	s_mov_b64 s[0:1], -1
	s_cbranch_scc1 .LBB39_2080
; %bb.2075:
	s_cmp_gt_i32 s2, 6
	s_cbranch_scc0 .LBB39_2077
; %bb.2076:
	s_waitcnt vmcnt(0)
	v_bfe_i32 v3, v2, 0, 8
	v_bfe_i32 v3, v3, 0, 16
	v_cvt_f64_i32_e32 v[3:4], v3
	s_mov_b64 s[0:1], 0
	global_store_dwordx2 v[0:1], v[3:4], off
.LBB39_2077:
	s_andn2_b64 vcc, exec, s[0:1]
	s_cbranch_vccnz .LBB39_2079
; %bb.2078:
	s_waitcnt vmcnt(0)
	v_bfe_i32 v3, v2, 0, 8
	v_cvt_f32_i32_sdwa v3, sext(v3) dst_sel:DWORD dst_unused:UNUSED_PAD src0_sel:WORD_0
	global_store_dword v[0:1], v3, off
.LBB39_2079:
	s_mov_b64 s[0:1], 0
.LBB39_2080:
	s_andn2_b64 vcc, exec, s[0:1]
	s_cbranch_vccnz .LBB39_2082
; %bb.2081:
	s_waitcnt vmcnt(0)
	v_cvt_f16_i16_sdwa v3, sext(v2) dst_sel:DWORD dst_unused:UNUSED_PAD src0_sel:BYTE_0
	global_store_short v[0:1], v3, off
.LBB39_2082:
	s_mov_b64 s[0:1], 0
.LBB39_2083:
	s_andn2_b64 vcc, exec, s[0:1]
	s_cbranch_vccnz .LBB39_2099
; %bb.2084:
	s_sext_i32_i16 s2, s16
	s_cmp_lt_i32 s2, 2
	s_mov_b64 s[0:1], -1
	s_cbranch_scc1 .LBB39_2094
; %bb.2085:
	s_cmp_lt_i32 s2, 3
	s_cbranch_scc1 .LBB39_2091
; %bb.2086:
	s_cmp_gt_i32 s2, 3
	s_cbranch_scc0 .LBB39_2088
; %bb.2087:
	s_waitcnt vmcnt(0)
	v_bfe_i32 v3, v2, 0, 8
	v_ashrrev_i32_e32 v4, 31, v3
	global_store_dwordx2 v[0:1], v[3:4], off
	s_mov_b64 s[0:1], 0
.LBB39_2088:
	s_andn2_b64 vcc, exec, s[0:1]
	s_cbranch_vccnz .LBB39_2090
; %bb.2089:
	s_waitcnt vmcnt(0)
	v_bfe_i32 v3, v2, 0, 8
	global_store_dword v[0:1], v3, off
.LBB39_2090:
	s_mov_b64 s[0:1], 0
.LBB39_2091:
	s_andn2_b64 vcc, exec, s[0:1]
	s_cbranch_vccnz .LBB39_2093
; %bb.2092:
	s_waitcnt vmcnt(0)
	v_bfe_i32 v3, v2, 0, 8
	global_store_short v[0:1], v3, off
.LBB39_2093:
	s_mov_b64 s[0:1], 0
.LBB39_2094:
	s_andn2_b64 vcc, exec, s[0:1]
	s_cbranch_vccnz .LBB39_2099
; %bb.2095:
	s_sext_i32_i16 s0, s16
	s_cmp_gt_i32 s0, 0
	s_mov_b64 s[0:1], -1
	s_cbranch_scc0 .LBB39_2097
; %bb.2096:
	global_store_byte v[0:1], v2, off
	s_mov_b64 s[0:1], 0
.LBB39_2097:
	s_andn2_b64 vcc, exec, s[0:1]
	s_cbranch_vccnz .LBB39_2099
; %bb.2098:
	global_store_byte v[0:1], v2, off
	s_endpgm
.LBB39_2099:
	s_endpgm
.LBB39_2100:
	s_mov_b64 s[4:5], 0
	s_mov_b64 s[0:1], -1
	s_branch .LBB39_2056
.LBB39_2101:
	s_trap 2
	s_or_b64 s[2:3], s[2:3], exec
	s_cbranch_execz .LBB39_1570
	s_branch .LBB39_1571
.LBB39_2102:
	s_andn2_saveexec_b64 s[14:15], s[14:15]
	s_cbranch_execz .LBB39_1650
.LBB39_2103:
	s_mov_b32 s20, 0x46000000
	v_add_f32_e64 v8, |v3|, s20
	v_and_b32_e32 v8, 0xff, v8
	v_cmp_ne_u32_e32 vcc, 0, v8
	s_andn2_b64 s[12:13], s[12:13], exec
	s_and_b64 s[20:21], vcc, exec
	s_or_b64 s[12:13], s[12:13], s[20:21]
	s_or_b64 exec, exec, s[14:15]
	v_mov_b32_e32 v10, 0
	s_and_saveexec_b64 s[14:15], s[12:13]
	s_cbranch_execnz .LBB39_1651
	s_branch .LBB39_1652
.LBB39_2104:
	s_trap 2
	s_or_b64 s[2:3], s[2:3], exec
	s_cbranch_execz .LBB39_1698
	s_branch .LBB39_1699
.LBB39_2105:
	s_andn2_saveexec_b64 s[12:13], s[12:13]
	s_cbranch_execz .LBB39_1663
.LBB39_2106:
	s_mov_b32 s14, 0x42800000
	v_add_f32_e64 v8, |v3|, s14
	v_and_b32_e32 v8, 0xff, v8
	v_cmp_ne_u32_e32 vcc, 0, v8
	s_andn2_b64 s[10:11], s[10:11], exec
	s_and_b64 s[14:15], vcc, exec
	s_or_b64 s[10:11], s[10:11], s[14:15]
	s_or_b64 exec, exec, s[12:13]
	v_mov_b32_e32 v10, 0
	s_and_saveexec_b64 s[12:13], s[10:11]
	s_cbranch_execnz .LBB39_1664
	s_branch .LBB39_1665
.LBB39_2107:
	s_andn2_saveexec_b64 s[14:15], s[14:15]
	s_cbranch_execz .LBB39_1769
.LBB39_2108:
	s_mov_b32 s19, 0x46000000
	v_add_f32_e64 v6, |v5|, s19
	v_and_b32_e32 v6, 0xff, v6
	v_cmp_ne_u32_e32 vcc, 0, v6
	s_andn2_b64 s[12:13], s[12:13], exec
	s_and_b64 s[20:21], vcc, exec
	s_or_b64 s[12:13], s[12:13], s[20:21]
	s_or_b64 exec, exec, s[14:15]
	v_mov_b32_e32 v8, 0
	s_and_saveexec_b64 s[14:15], s[12:13]
	s_cbranch_execnz .LBB39_1770
	s_branch .LBB39_1771
.LBB39_2109:
	s_trap 2
	s_or_b64 s[2:3], s[2:3], exec
	s_cbranch_execz .LBB39_1817
	s_branch .LBB39_1818
.LBB39_2110:
	s_andn2_saveexec_b64 s[12:13], s[12:13]
	s_cbranch_execz .LBB39_1782
.LBB39_2111:
	s_mov_b32 s14, 0x42800000
	v_add_f32_e64 v6, |v5|, s14
	v_and_b32_e32 v6, 0xff, v6
	v_cmp_ne_u32_e32 vcc, 0, v6
	s_andn2_b64 s[10:11], s[10:11], exec
	s_and_b64 s[14:15], vcc, exec
	s_or_b64 s[10:11], s[10:11], s[14:15]
	s_or_b64 exec, exec, s[12:13]
	v_mov_b32_e32 v8, 0
	s_and_saveexec_b64 s[12:13], s[10:11]
	s_cbranch_execnz .LBB39_1783
	s_branch .LBB39_1784
.LBB39_2112:
	s_andn2_saveexec_b64 s[14:15], s[14:15]
	s_cbranch_execz .LBB39_1888
.LBB39_2113:
	s_mov_b32 s19, 0x46000000
	v_add_f32_e64 v5, |v4|, s19
	v_and_b32_e32 v5, 0xff, v5
	v_cmp_ne_u32_e32 vcc, 0, v5
	s_andn2_b64 s[12:13], s[12:13], exec
	s_and_b64 s[20:21], vcc, exec
	s_or_b64 s[12:13], s[12:13], s[20:21]
	s_or_b64 exec, exec, s[14:15]
	v_mov_b32_e32 v6, 0
	s_and_saveexec_b64 s[14:15], s[12:13]
	s_cbranch_execnz .LBB39_1889
	s_branch .LBB39_1890
.LBB39_2114:
	s_trap 2
	s_or_b64 s[2:3], s[2:3], exec
	s_cbranch_execz .LBB39_1936
	s_branch .LBB39_1937
.LBB39_2115:
	s_andn2_saveexec_b64 s[12:13], s[12:13]
	s_cbranch_execz .LBB39_1901
.LBB39_2116:
	s_mov_b32 s14, 0x42800000
	v_add_f32_e64 v5, |v4|, s14
	v_and_b32_e32 v5, 0xff, v5
	v_cmp_ne_u32_e32 vcc, 0, v5
	s_andn2_b64 s[10:11], s[10:11], exec
	s_and_b64 s[14:15], vcc, exec
	s_or_b64 s[10:11], s[10:11], s[14:15]
	s_or_b64 exec, exec, s[12:13]
	v_mov_b32_e32 v6, 0
	s_and_saveexec_b64 s[12:13], s[10:11]
	s_cbranch_execnz .LBB39_1902
	s_branch .LBB39_1903
.LBB39_2117:
	s_andn2_saveexec_b64 s[10:11], s[10:11]
	s_cbranch_execz .LBB39_2008
.LBB39_2118:
	s_mov_b32 s13, 0x46000000
	v_add_f32_e64 v4, |v3|, s13
	v_and_b32_e32 v4, 0xff, v4
	v_cmp_ne_u32_e32 vcc, 0, v4
	s_andn2_b64 s[8:9], s[8:9], exec
	s_and_b64 s[14:15], vcc, exec
	s_or_b64 s[8:9], s[8:9], s[14:15]
	s_or_b64 exec, exec, s[10:11]
	v_mov_b32_e32 v5, 0
	s_and_saveexec_b64 s[10:11], s[8:9]
	s_cbranch_execnz .LBB39_2009
	s_branch .LBB39_2010
.LBB39_2119:
	s_mov_b64 s[4:5], 0
	s_or_b64 s[2:3], s[2:3], exec
	s_trap 2
	s_branch .LBB39_2054
.LBB39_2120:
	s_andn2_saveexec_b64 s[8:9], s[8:9]
	s_cbranch_execz .LBB39_2020
.LBB39_2121:
	s_mov_b32 s10, 0x42800000
	v_add_f32_e64 v4, |v3|, s10
	v_and_b32_e32 v4, 0xff, v4
	v_cmp_ne_u32_e32 vcc, 0, v4
	s_andn2_b64 s[6:7], s[6:7], exec
	s_and_b64 s[10:11], vcc, exec
	s_or_b64 s[6:7], s[6:7], s[10:11]
	s_or_b64 exec, exec, s[8:9]
	v_mov_b32_e32 v5, 0
	s_and_saveexec_b64 s[8:9], s[6:7]
	s_cbranch_execnz .LBB39_2021
	s_branch .LBB39_2022
	.section	.rodata,"a",@progbits
	.p2align	6, 0x0
	.amdhsa_kernel _ZN2at6native32elementwise_kernel_manual_unrollILi128ELi4EZNS0_15gpu_kernel_implINS0_13BUnaryFunctorIaaaZZZNS0_18lshift_kernel_cudaERNS_18TensorIteratorBaseEENKUlvE_clEvENKUlvE0_clEvEUlaaE_EEEEvS5_RKT_EUlibE0_EEviT1_
		.amdhsa_group_segment_fixed_size 0
		.amdhsa_private_segment_fixed_size 0
		.amdhsa_kernarg_size 360
		.amdhsa_user_sgpr_count 6
		.amdhsa_user_sgpr_private_segment_buffer 1
		.amdhsa_user_sgpr_dispatch_ptr 0
		.amdhsa_user_sgpr_queue_ptr 0
		.amdhsa_user_sgpr_kernarg_segment_ptr 1
		.amdhsa_user_sgpr_dispatch_id 0
		.amdhsa_user_sgpr_flat_scratch_init 0
		.amdhsa_user_sgpr_private_segment_size 0
		.amdhsa_uses_dynamic_stack 0
		.amdhsa_system_sgpr_private_segment_wavefront_offset 0
		.amdhsa_system_sgpr_workgroup_id_x 1
		.amdhsa_system_sgpr_workgroup_id_y 0
		.amdhsa_system_sgpr_workgroup_id_z 0
		.amdhsa_system_sgpr_workgroup_info 0
		.amdhsa_system_vgpr_workitem_id 0
		.amdhsa_next_free_vgpr 18
		.amdhsa_next_free_sgpr 81
		.amdhsa_reserve_vcc 1
		.amdhsa_reserve_flat_scratch 0
		.amdhsa_float_round_mode_32 0
		.amdhsa_float_round_mode_16_64 0
		.amdhsa_float_denorm_mode_32 3
		.amdhsa_float_denorm_mode_16_64 3
		.amdhsa_dx10_clamp 1
		.amdhsa_ieee_mode 1
		.amdhsa_fp16_overflow 0
		.amdhsa_exception_fp_ieee_invalid_op 0
		.amdhsa_exception_fp_denorm_src 0
		.amdhsa_exception_fp_ieee_div_zero 0
		.amdhsa_exception_fp_ieee_overflow 0
		.amdhsa_exception_fp_ieee_underflow 0
		.amdhsa_exception_fp_ieee_inexact 0
		.amdhsa_exception_int_div_zero 0
	.end_amdhsa_kernel
	.section	.text._ZN2at6native32elementwise_kernel_manual_unrollILi128ELi4EZNS0_15gpu_kernel_implINS0_13BUnaryFunctorIaaaZZZNS0_18lshift_kernel_cudaERNS_18TensorIteratorBaseEENKUlvE_clEvENKUlvE0_clEvEUlaaE_EEEEvS5_RKT_EUlibE0_EEviT1_,"axG",@progbits,_ZN2at6native32elementwise_kernel_manual_unrollILi128ELi4EZNS0_15gpu_kernel_implINS0_13BUnaryFunctorIaaaZZZNS0_18lshift_kernel_cudaERNS_18TensorIteratorBaseEENKUlvE_clEvENKUlvE0_clEvEUlaaE_EEEEvS5_RKT_EUlibE0_EEviT1_,comdat
.Lfunc_end39:
	.size	_ZN2at6native32elementwise_kernel_manual_unrollILi128ELi4EZNS0_15gpu_kernel_implINS0_13BUnaryFunctorIaaaZZZNS0_18lshift_kernel_cudaERNS_18TensorIteratorBaseEENKUlvE_clEvENKUlvE0_clEvEUlaaE_EEEEvS5_RKT_EUlibE0_EEviT1_, .Lfunc_end39-_ZN2at6native32elementwise_kernel_manual_unrollILi128ELi4EZNS0_15gpu_kernel_implINS0_13BUnaryFunctorIaaaZZZNS0_18lshift_kernel_cudaERNS_18TensorIteratorBaseEENKUlvE_clEvENKUlvE0_clEvEUlaaE_EEEEvS5_RKT_EUlibE0_EEviT1_
                                        ; -- End function
	.set _ZN2at6native32elementwise_kernel_manual_unrollILi128ELi4EZNS0_15gpu_kernel_implINS0_13BUnaryFunctorIaaaZZZNS0_18lshift_kernel_cudaERNS_18TensorIteratorBaseEENKUlvE_clEvENKUlvE0_clEvEUlaaE_EEEEvS5_RKT_EUlibE0_EEviT1_.num_vgpr, 18
	.set _ZN2at6native32elementwise_kernel_manual_unrollILi128ELi4EZNS0_15gpu_kernel_implINS0_13BUnaryFunctorIaaaZZZNS0_18lshift_kernel_cudaERNS_18TensorIteratorBaseEENKUlvE_clEvENKUlvE0_clEvEUlaaE_EEEEvS5_RKT_EUlibE0_EEviT1_.num_agpr, 0
	.set _ZN2at6native32elementwise_kernel_manual_unrollILi128ELi4EZNS0_15gpu_kernel_implINS0_13BUnaryFunctorIaaaZZZNS0_18lshift_kernel_cudaERNS_18TensorIteratorBaseEENKUlvE_clEvENKUlvE0_clEvEUlaaE_EEEEvS5_RKT_EUlibE0_EEviT1_.numbered_sgpr, 81
	.set _ZN2at6native32elementwise_kernel_manual_unrollILi128ELi4EZNS0_15gpu_kernel_implINS0_13BUnaryFunctorIaaaZZZNS0_18lshift_kernel_cudaERNS_18TensorIteratorBaseEENKUlvE_clEvENKUlvE0_clEvEUlaaE_EEEEvS5_RKT_EUlibE0_EEviT1_.num_named_barrier, 0
	.set _ZN2at6native32elementwise_kernel_manual_unrollILi128ELi4EZNS0_15gpu_kernel_implINS0_13BUnaryFunctorIaaaZZZNS0_18lshift_kernel_cudaERNS_18TensorIteratorBaseEENKUlvE_clEvENKUlvE0_clEvEUlaaE_EEEEvS5_RKT_EUlibE0_EEviT1_.private_seg_size, 0
	.set _ZN2at6native32elementwise_kernel_manual_unrollILi128ELi4EZNS0_15gpu_kernel_implINS0_13BUnaryFunctorIaaaZZZNS0_18lshift_kernel_cudaERNS_18TensorIteratorBaseEENKUlvE_clEvENKUlvE0_clEvEUlaaE_EEEEvS5_RKT_EUlibE0_EEviT1_.uses_vcc, 1
	.set _ZN2at6native32elementwise_kernel_manual_unrollILi128ELi4EZNS0_15gpu_kernel_implINS0_13BUnaryFunctorIaaaZZZNS0_18lshift_kernel_cudaERNS_18TensorIteratorBaseEENKUlvE_clEvENKUlvE0_clEvEUlaaE_EEEEvS5_RKT_EUlibE0_EEviT1_.uses_flat_scratch, 0
	.set _ZN2at6native32elementwise_kernel_manual_unrollILi128ELi4EZNS0_15gpu_kernel_implINS0_13BUnaryFunctorIaaaZZZNS0_18lshift_kernel_cudaERNS_18TensorIteratorBaseEENKUlvE_clEvENKUlvE0_clEvEUlaaE_EEEEvS5_RKT_EUlibE0_EEviT1_.has_dyn_sized_stack, 0
	.set _ZN2at6native32elementwise_kernel_manual_unrollILi128ELi4EZNS0_15gpu_kernel_implINS0_13BUnaryFunctorIaaaZZZNS0_18lshift_kernel_cudaERNS_18TensorIteratorBaseEENKUlvE_clEvENKUlvE0_clEvEUlaaE_EEEEvS5_RKT_EUlibE0_EEviT1_.has_recursion, 0
	.set _ZN2at6native32elementwise_kernel_manual_unrollILi128ELi4EZNS0_15gpu_kernel_implINS0_13BUnaryFunctorIaaaZZZNS0_18lshift_kernel_cudaERNS_18TensorIteratorBaseEENKUlvE_clEvENKUlvE0_clEvEUlaaE_EEEEvS5_RKT_EUlibE0_EEviT1_.has_indirect_call, 0
	.section	.AMDGPU.csdata,"",@progbits
; Kernel info:
; codeLenInByte = 36312
; TotalNumSgprs: 85
; NumVgprs: 18
; ScratchSize: 0
; MemoryBound: 1
; FloatMode: 240
; IeeeMode: 1
; LDSByteSize: 0 bytes/workgroup (compile time only)
; SGPRBlocks: 10
; VGPRBlocks: 4
; NumSGPRsForWavesPerEU: 85
; NumVGPRsForWavesPerEU: 18
; Occupancy: 9
; WaveLimiterHint : 1
; COMPUTE_PGM_RSRC2:SCRATCH_EN: 0
; COMPUTE_PGM_RSRC2:USER_SGPR: 6
; COMPUTE_PGM_RSRC2:TRAP_HANDLER: 0
; COMPUTE_PGM_RSRC2:TGID_X_EN: 1
; COMPUTE_PGM_RSRC2:TGID_Y_EN: 0
; COMPUTE_PGM_RSRC2:TGID_Z_EN: 0
; COMPUTE_PGM_RSRC2:TIDIG_COMP_CNT: 0
	.section	.text._ZN2at6native29vectorized_elementwise_kernelILi16ENS0_13BinaryFunctorIaaaZZZNS0_18lshift_kernel_cudaERNS_18TensorIteratorBaseEENKUlvE_clEvENKUlvE0_clEvEUlaaE_EESt5arrayIPcLm3EEEEviT0_T1_,"axG",@progbits,_ZN2at6native29vectorized_elementwise_kernelILi16ENS0_13BinaryFunctorIaaaZZZNS0_18lshift_kernel_cudaERNS_18TensorIteratorBaseEENKUlvE_clEvENKUlvE0_clEvEUlaaE_EESt5arrayIPcLm3EEEEviT0_T1_,comdat
	.globl	_ZN2at6native29vectorized_elementwise_kernelILi16ENS0_13BinaryFunctorIaaaZZZNS0_18lshift_kernel_cudaERNS_18TensorIteratorBaseEENKUlvE_clEvENKUlvE0_clEvEUlaaE_EESt5arrayIPcLm3EEEEviT0_T1_ ; -- Begin function _ZN2at6native29vectorized_elementwise_kernelILi16ENS0_13BinaryFunctorIaaaZZZNS0_18lshift_kernel_cudaERNS_18TensorIteratorBaseEENKUlvE_clEvENKUlvE0_clEvEUlaaE_EESt5arrayIPcLm3EEEEviT0_T1_
	.p2align	8
	.type	_ZN2at6native29vectorized_elementwise_kernelILi16ENS0_13BinaryFunctorIaaaZZZNS0_18lshift_kernel_cudaERNS_18TensorIteratorBaseEENKUlvE_clEvENKUlvE0_clEvEUlaaE_EESt5arrayIPcLm3EEEEviT0_T1_,@function
_ZN2at6native29vectorized_elementwise_kernelILi16ENS0_13BinaryFunctorIaaaZZZNS0_18lshift_kernel_cudaERNS_18TensorIteratorBaseEENKUlvE_clEvENKUlvE0_clEvEUlaaE_EESt5arrayIPcLm3EEEEviT0_T1_: ; @_ZN2at6native29vectorized_elementwise_kernelILi16ENS0_13BinaryFunctorIaaaZZZNS0_18lshift_kernel_cudaERNS_18TensorIteratorBaseEENKUlvE_clEvENKUlvE0_clEvEUlaaE_EESt5arrayIPcLm3EEEEviT0_T1_
; %bb.0:
	s_load_dword s0, s[4:5], 0x0
	s_load_dwordx4 s[8:11], s[4:5], 0x8
	s_load_dwordx2 s[12:13], s[4:5], 0x18
	s_lshl_b32 s33, s6, 12
	s_waitcnt lgkmcnt(0)
	s_sub_i32 s38, s0, s33
	s_cmpk_gt_i32 s38, 0xfff
	s_mov_b64 s[0:1], -1
	s_cbranch_scc0 .LBB40_2
; %bb.1:
	s_ashr_i32 s4, s33, 31
	s_add_u32 s0, s10, s33
	s_addc_u32 s1, s11, s4
	s_add_u32 s2, s12, s33
	v_lshlrev_b32_e32 v9, 4, v0
	s_addc_u32 s3, s13, s4
	global_load_dwordx4 v[1:4], v9, s[2:3]
	global_load_dwordx4 v[5:8], v9, s[0:1]
	v_mov_b32_e32 v10, 8
	s_movk_i32 s2, 0xff
	s_add_u32 s0, s8, s33
	s_addc_u32 s1, s9, s4
	s_waitcnt vmcnt(1)
	v_cmp_lt_u16_sdwa vcc, v1, v10 src0_sel:BYTE_0 src1_sel:DWORD
	s_waitcnt vmcnt(0)
	v_lshlrev_b32_e32 v15, v1, v5
	v_lshlrev_b32_sdwa v16, v1, v5 dst_sel:DWORD dst_unused:UNUSED_PAD src0_sel:BYTE_1 src1_sel:BYTE_1
	v_cndmask_b32_e32 v15, 0, v15, vcc
	v_cmp_lt_u16_sdwa vcc, v1, v10 src0_sel:BYTE_1 src1_sel:DWORD
	v_and_b32_sdwa v11, v1, s2 dst_sel:DWORD dst_unused:UNUSED_PAD src0_sel:WORD_1 src1_sel:DWORD
	v_lshlrev_b32_sdwa v17, v1, v5 dst_sel:DWORD dst_unused:UNUSED_PAD src0_sel:BYTE_3 src1_sel:BYTE_3
	v_cndmask_b32_e32 v16, 0, v16, vcc
	v_cmp_lt_u16_sdwa vcc, v1, v10 src0_sel:BYTE_3 src1_sel:DWORD
	v_lshlrev_b32_sdwa v5, v1, v5 dst_sel:DWORD dst_unused:UNUSED_PAD src0_sel:WORD_1 src1_sel:WORD_1
	v_cndmask_b32_e32 v1, 0, v17, vcc
	v_cmp_gt_u16_e32 vcc, 8, v11
	v_lshlrev_b32_e32 v18, v2, v6
	v_cndmask_b32_e32 v5, 0, v5, vcc
	v_cmp_lt_u16_sdwa vcc, v2, v10 src0_sel:BYTE_0 src1_sel:DWORD
	v_lshlrev_b32_sdwa v19, v2, v6 dst_sel:DWORD dst_unused:UNUSED_PAD src0_sel:BYTE_1 src1_sel:BYTE_1
	v_cndmask_b32_e32 v11, 0, v18, vcc
	v_cmp_lt_u16_sdwa vcc, v2, v10 src0_sel:BYTE_1 src1_sel:DWORD
	v_and_b32_sdwa v12, v2, s2 dst_sel:DWORD dst_unused:UNUSED_PAD src0_sel:WORD_1 src1_sel:DWORD
	v_lshlrev_b32_sdwa v20, v2, v6 dst_sel:DWORD dst_unused:UNUSED_PAD src0_sel:BYTE_3 src1_sel:BYTE_3
	v_cndmask_b32_e32 v17, 0, v19, vcc
	v_cmp_lt_u16_sdwa vcc, v2, v10 src0_sel:BYTE_3 src1_sel:DWORD
	v_lshlrev_b32_sdwa v6, v2, v6 dst_sel:DWORD dst_unused:UNUSED_PAD src0_sel:WORD_1 src1_sel:WORD_1
	v_cndmask_b32_e32 v2, 0, v20, vcc
	v_cmp_gt_u16_e32 vcc, 8, v12
	v_lshlrev_b32_e32 v21, v3, v7
	v_cndmask_b32_e32 v6, 0, v6, vcc
	v_cmp_lt_u16_sdwa vcc, v3, v10 src0_sel:BYTE_0 src1_sel:DWORD
	;; [unrolled: 13-line block ×3, first 2 shown]
	v_lshlrev_b32_sdwa v25, v4, v8 dst_sel:DWORD dst_unused:UNUSED_PAD src0_sel:BYTE_1 src1_sel:BYTE_1
	v_cndmask_b32_e32 v13, 0, v24, vcc
	v_cmp_lt_u16_sdwa vcc, v4, v10 src0_sel:BYTE_1 src1_sel:DWORD
	v_and_b32_sdwa v14, v4, s2 dst_sel:DWORD dst_unused:UNUSED_PAD src0_sel:WORD_1 src1_sel:DWORD
	v_lshlrev_b32_sdwa v26, v4, v8 dst_sel:DWORD dst_unused:UNUSED_PAD src0_sel:BYTE_3 src1_sel:BYTE_3
	v_cndmask_b32_e32 v19, 0, v25, vcc
	v_cmp_lt_u16_sdwa vcc, v4, v10 src0_sel:BYTE_3 src1_sel:DWORD
	v_lshlrev_b32_sdwa v8, v4, v8 dst_sel:DWORD dst_unused:UNUSED_PAD src0_sel:WORD_1 src1_sel:WORD_1
	v_cndmask_b32_e32 v4, 0, v26, vcc
	v_cmp_gt_u16_e32 vcc, 8, v14
	v_cndmask_b32_e32 v8, 0, v8, vcc
	v_lshlrev_b16_e32 v10, 8, v16
	v_lshlrev_b16_e32 v1, 8, v1
	;; [unrolled: 1-line block ×8, first 2 shown]
	v_or_b32_sdwa v10, v15, v10 dst_sel:DWORD dst_unused:UNUSED_PAD src0_sel:BYTE_0 src1_sel:DWORD
	v_or_b32_sdwa v1, v5, v1 dst_sel:WORD_1 dst_unused:UNUSED_PAD src0_sel:BYTE_0 src1_sel:DWORD
	v_or_b32_sdwa v5, v11, v14 dst_sel:DWORD dst_unused:UNUSED_PAD src0_sel:BYTE_0 src1_sel:DWORD
	v_or_b32_sdwa v2, v6, v2 dst_sel:WORD_1 dst_unused:UNUSED_PAD src0_sel:BYTE_0 src1_sel:DWORD
	;; [unrolled: 2-line block ×4, first 2 shown]
	v_or_b32_sdwa v1, v10, v1 dst_sel:DWORD dst_unused:UNUSED_PAD src0_sel:WORD_0 src1_sel:DWORD
	v_or_b32_sdwa v2, v5, v2 dst_sel:DWORD dst_unused:UNUSED_PAD src0_sel:WORD_0 src1_sel:DWORD
	;; [unrolled: 1-line block ×4, first 2 shown]
	global_store_dwordx4 v9, v[1:4], s[0:1]
	s_mov_b64 s[0:1], 0
.LBB40_2:
	s_andn2_b64 vcc, exec, s[0:1]
	s_cbranch_vccnz .LBB40_54
; %bb.3:
	v_cmp_gt_i32_e64 s[0:1], s38, v0
	v_cmp_le_i32_e32 vcc, s38, v0
                                        ; implicit-def: $vgpr5
	s_and_saveexec_b64 s[2:3], vcc
	s_xor_b64 s[2:3], exec, s[2:3]
; %bb.4:
	v_or_b32_e32 v5, 0x100, v0
; %bb.5:
	s_or_saveexec_b64 s[2:3], s[2:3]
	v_mov_b32_e32 v39, 0
	v_mov_b32_e32 v7, 0
	v_or_b32_e32 v6, s33, v0
	v_mov_b32_e32 v8, 0
	v_mov_b32_e32 v38, 0
	;; [unrolled: 1-line block ×31, first 2 shown]
	s_xor_b64 exec, exec, s[2:3]
	s_cbranch_execz .LBB40_37
; %bb.6:
	global_load_ubyte v10, v6, s[10:11]
	global_load_ubyte v11, v6, s[12:13]
	v_or_b32_e32 v5, 0x100, v0
	v_cmp_gt_u32_e32 vcc, s38, v5
	v_mov_b32_e32 v8, 0
	v_mov_b32_e32 v9, 0
	;; [unrolled: 1-line block ×30, first 2 shown]
	s_and_saveexec_b64 s[4:5], vcc
	s_cbranch_execz .LBB40_36
; %bb.7:
	v_add_u32_e32 v3, s33, v0
	global_load_ubyte v12, v3, s[10:11] offset:256
	global_load_ubyte v9, v3, s[12:13] offset:256
	v_or_b32_e32 v1, 0x200, v0
	v_mov_b32_e32 v13, 0
	v_cmp_gt_u32_e32 vcc, s38, v1
	v_mov_b32_e32 v17, 0
	v_mov_b32_e32 v14, 0
	;; [unrolled: 1-line block ×27, first 2 shown]
	s_and_saveexec_b64 s[6:7], vcc
	s_cbranch_execz .LBB40_35
; %bb.8:
	v_mov_b32_e32 v2, s11
	v_add_co_u32_e32 v1, vcc, s10, v3
	v_addc_co_u32_e32 v2, vcc, 0, v2, vcc
	v_mov_b32_e32 v4, s13
	v_add_co_u32_e32 v3, vcc, s12, v3
	v_addc_co_u32_e32 v4, vcc, 0, v4, vcc
	global_load_ubyte v17, v[1:2], off offset:512
	global_load_ubyte v13, v[3:4], off offset:512
	v_or_b32_e32 v8, 0x300, v0
	v_cmp_gt_u32_e32 vcc, s38, v8
	v_mov_b32_e32 v8, 0
	v_mov_b32_e32 v14, 0
	;; [unrolled: 1-line block ×26, first 2 shown]
	s_and_saveexec_b64 s[10:11], vcc
	s_cbranch_execz .LBB40_34
; %bb.9:
	global_load_ubyte v15, v[1:2], off offset:768
	global_load_ubyte v14, v[3:4], off offset:768
	v_or_b32_e32 v8, 0x400, v0
	v_cmp_gt_u32_e32 vcc, s38, v8
	v_mov_b32_e32 v8, 0
	v_mov_b32_e32 v16, 0
	;; [unrolled: 1-line block ×24, first 2 shown]
	s_and_saveexec_b64 s[12:13], vcc
	s_cbranch_execz .LBB40_33
; %bb.10:
	global_load_ubyte v18, v[1:2], off offset:1024
	global_load_ubyte v16, v[3:4], off offset:1024
	v_or_b32_e32 v8, 0x500, v0
	v_cmp_gt_u32_e32 vcc, s38, v8
	v_mov_b32_e32 v8, 0
	v_mov_b32_e32 v19, 0
	;; [unrolled: 1-line block ×22, first 2 shown]
	s_and_saveexec_b64 s[14:15], vcc
	s_cbranch_execz .LBB40_32
; %bb.11:
	global_load_ubyte v23, v[1:2], off offset:1280
	global_load_ubyte v19, v[3:4], off offset:1280
	v_or_b32_e32 v8, 0x600, v0
	v_cmp_gt_u32_e32 vcc, s38, v8
	v_mov_b32_e32 v8, 0
	v_mov_b32_e32 v21, 0
	;; [unrolled: 1-line block ×20, first 2 shown]
	s_and_saveexec_b64 s[16:17], vcc
	s_cbranch_execz .LBB40_31
; %bb.12:
	global_load_ubyte v24, v[1:2], off offset:1536
	global_load_ubyte v21, v[3:4], off offset:1536
	v_or_b32_e32 v8, 0x700, v0
	v_cmp_gt_u32_e32 vcc, s38, v8
	v_mov_b32_e32 v8, 0
	v_mov_b32_e32 v25, 0
	v_mov_b32_e32 v20, 0
	v_mov_b32_e32 v22, 0
	v_mov_b32_e32 v26, 0
	v_mov_b32_e32 v27, 0
	v_mov_b32_e32 v28, 0
	v_mov_b32_e32 v29, 0
	v_mov_b32_e32 v30, 0
	v_mov_b32_e32 v31, 0
	v_mov_b32_e32 v32, 0
	v_mov_b32_e32 v33, 0
	v_mov_b32_e32 v34, 0
	v_mov_b32_e32 v35, 0
	v_mov_b32_e32 v36, 0
	v_mov_b32_e32 v37, 0
	v_mov_b32_e32 v38, 0
	v_mov_b32_e32 v39, 0
	s_and_saveexec_b64 s[18:19], vcc
	s_cbranch_execz .LBB40_30
; %bb.13:
	global_load_ubyte v20, v[1:2], off offset:1792
	global_load_ubyte v25, v[3:4], off offset:1792
	v_or_b32_e32 v8, 0x800, v0
	v_cmp_gt_u32_e32 vcc, s38, v8
	v_mov_b32_e32 v8, 0
	v_mov_b32_e32 v22, 0
	;; [unrolled: 1-line block ×16, first 2 shown]
	s_and_saveexec_b64 s[20:21], vcc
	s_cbranch_execz .LBB40_29
; %bb.14:
	global_load_ubyte v26, v[1:2], off offset:2048
	global_load_ubyte v22, v[3:4], off offset:2048
	v_or_b32_e32 v8, 0x900, v0
	v_cmp_gt_u32_e32 vcc, s38, v8
	v_mov_b32_e32 v8, 0
	v_mov_b32_e32 v27, 0
	;; [unrolled: 1-line block ×14, first 2 shown]
	s_and_saveexec_b64 s[22:23], vcc
	s_cbranch_execz .LBB40_28
; %bb.15:
	global_load_ubyte v28, v[1:2], off offset:2304
	global_load_ubyte v27, v[3:4], off offset:2304
	v_or_b32_e32 v8, 0xa00, v0
	v_cmp_gt_u32_e32 vcc, s38, v8
	v_mov_b32_e32 v8, 0
	v_mov_b32_e32 v29, 0
	;; [unrolled: 1-line block ×12, first 2 shown]
	s_and_saveexec_b64 s[24:25], vcc
	s_cbranch_execz .LBB40_27
; %bb.16:
	global_load_ubyte v30, v[1:2], off offset:2560
	global_load_ubyte v29, v[3:4], off offset:2560
	v_or_b32_e32 v8, 0xb00, v0
	v_cmp_gt_u32_e32 vcc, s38, v8
	v_mov_b32_e32 v8, 0
	v_mov_b32_e32 v31, 0
	;; [unrolled: 1-line block ×10, first 2 shown]
	s_and_saveexec_b64 s[26:27], vcc
	s_cbranch_execz .LBB40_26
; %bb.17:
	global_load_ubyte v32, v[1:2], off offset:2816
	global_load_ubyte v31, v[3:4], off offset:2816
	v_or_b32_e32 v8, 0xc00, v0
	v_cmp_gt_u32_e32 vcc, s38, v8
	v_mov_b32_e32 v8, 0
	v_mov_b32_e32 v33, 0
	v_mov_b32_e32 v34, 0
	v_mov_b32_e32 v35, 0
	v_mov_b32_e32 v36, 0
	v_mov_b32_e32 v37, 0
	v_mov_b32_e32 v38, 0
	v_mov_b32_e32 v39, 0
	s_and_saveexec_b64 s[28:29], vcc
	s_cbranch_execz .LBB40_25
; %bb.18:
	global_load_ubyte v34, v[1:2], off offset:3072
	global_load_ubyte v33, v[3:4], off offset:3072
	v_or_b32_e32 v8, 0xd00, v0
	v_cmp_gt_u32_e32 vcc, s38, v8
	v_mov_b32_e32 v8, 0
	v_mov_b32_e32 v35, 0
	;; [unrolled: 1-line block ×6, first 2 shown]
	s_and_saveexec_b64 s[30:31], vcc
	s_cbranch_execz .LBB40_24
; %bb.19:
	global_load_ubyte v36, v[1:2], off offset:3328
	global_load_ubyte v35, v[3:4], off offset:3328
	v_or_b32_e32 v8, 0xe00, v0
	v_cmp_gt_u32_e32 vcc, s38, v8
	v_mov_b32_e32 v8, 0
	v_mov_b32_e32 v37, 0
	;; [unrolled: 1-line block ×4, first 2 shown]
	s_and_saveexec_b64 s[34:35], vcc
	s_cbranch_execz .LBB40_23
; %bb.20:
	global_load_ubyte v38, v[1:2], off offset:3584
	global_load_ubyte v37, v[3:4], off offset:3584
	v_or_b32_e32 v8, 0xf00, v0
	v_cmp_gt_u32_e32 vcc, s38, v8
	v_mov_b32_e32 v8, 0
	v_mov_b32_e32 v39, 0
	s_and_saveexec_b64 s[36:37], vcc
	s_cbranch_execz .LBB40_22
; %bb.21:
	global_load_ubyte v8, v[1:2], off offset:3840
	global_load_ubyte v39, v[3:4], off offset:3840
.LBB40_22:
	s_or_b64 exec, exec, s[36:37]
.LBB40_23:
	s_or_b64 exec, exec, s[34:35]
.LBB40_24:
	s_or_b64 exec, exec, s[30:31]
.LBB40_25:
	s_or_b64 exec, exec, s[28:29]
.LBB40_26:
	s_or_b64 exec, exec, s[26:27]
.LBB40_27:
	s_or_b64 exec, exec, s[24:25]
.LBB40_28:
	s_or_b64 exec, exec, s[22:23]
.LBB40_29:
	s_or_b64 exec, exec, s[20:21]
.LBB40_30:
	s_or_b64 exec, exec, s[18:19]
.LBB40_31:
	s_or_b64 exec, exec, s[16:17]
.LBB40_32:
	s_or_b64 exec, exec, s[14:15]
.LBB40_33:
	s_or_b64 exec, exec, s[12:13]
.LBB40_34:
	s_or_b64 exec, exec, s[10:11]
.LBB40_35:
	s_or_b64 exec, exec, s[6:7]
.LBB40_36:
	s_or_b64 exec, exec, s[4:5]
.LBB40_37:
	s_or_b64 exec, exec, s[2:3]
	s_waitcnt vmcnt(0)
	v_lshlrev_b32_e32 v1, v11, v10
	v_mov_b32_e32 v10, 8
	v_cmp_lt_u16_sdwa vcc, v11, v10 src0_sel:BYTE_0 src1_sel:DWORD
	v_cndmask_b32_e32 v1, 0, v1, vcc
	s_mov_b32 s3, 0xffff
	v_lshlrev_b32_e32 v2, v9, v12
	v_cmp_lt_u16_sdwa vcc, v9, v10 src0_sel:BYTE_0 src1_sel:DWORD
	v_and_b32_sdwa v1, s3, v1 dst_sel:DWORD dst_unused:UNUSED_PAD src0_sel:DWORD src1_sel:BYTE_0
	v_cndmask_b32_e32 v2, 0, v2, vcc
	v_cndmask_b32_e64 v1, 0, v1, s[0:1]
	v_lshlrev_b16_e32 v2, 8, v2
	v_or_b32_e32 v2, v1, v2
	v_and_b32_e32 v2, 0xffff, v2
	v_cmp_gt_i32_e32 vcc, s38, v5
	v_cndmask_b32_e32 v1, v1, v2, vcc
	v_lshlrev_b32_e32 v3, v13, v17
	v_cmp_lt_u16_sdwa vcc, v13, v10 src0_sel:BYTE_0 src1_sel:DWORD
	v_cndmask_b32_e32 v3, 0, v3, vcc
	s_mov_b32 s4, 0xc0c0304
	v_or_b32_e32 v2, 0x200, v0
	v_perm_b32 v3, v3, v1, s4
	v_lshl_or_b32 v3, v3, 16, v1
	v_cmp_gt_i32_e32 vcc, s38, v2
	v_cndmask_b32_e32 v1, v1, v3, vcc
	v_lshlrev_b32_e32 v4, v14, v15
	v_cmp_lt_u16_sdwa vcc, v14, v10 src0_sel:BYTE_0 src1_sel:DWORD
	s_movk_i32 s2, 0xff
	v_cndmask_b32_e32 v4, 0, v4, vcc
	v_and_b32_sdwa v2, v1, s2 dst_sel:DWORD dst_unused:UNUSED_PAD src0_sel:WORD_1 src1_sel:DWORD
	v_lshlrev_b16_e32 v4, 8, v4
	v_or_b32_e32 v3, 0x300, v0
	v_or_b32_sdwa v2, v2, v4 dst_sel:WORD_1 dst_unused:UNUSED_PAD src0_sel:DWORD src1_sel:DWORD
	v_and_or_b32 v2, v1, s3, v2
	v_cmp_gt_i32_e32 vcc, s38, v3
	v_cndmask_b32_e32 v4, v1, v2, vcc
	v_lshlrev_b32_e32 v1, v16, v18
	v_cmp_lt_u16_sdwa vcc, v16, v10 src0_sel:BYTE_0 src1_sel:DWORD
	v_cndmask_b32_e32 v1, 0, v1, vcc
	s_mov_b32 s5, 0x3020104
	v_or_b32_e32 v2, 0x400, v0
	v_perm_b32 v1, v1, 0, s5
	v_cmp_gt_i32_e32 vcc, s38, v2
	v_cndmask_b32_e32 v1, 0, v1, vcc
	v_lshlrev_b32_e32 v2, v19, v23
	v_cmp_lt_u16_sdwa vcc, v19, v10 src0_sel:BYTE_0 src1_sel:DWORD
	v_cndmask_b32_e32 v2, 0, v2, vcc
	v_lshlrev_b16_e32 v2, 8, v2
	v_or_b32_sdwa v2, v1, v2 dst_sel:DWORD dst_unused:UNUSED_PAD src0_sel:BYTE_0 src1_sel:DWORD
	v_and_b32_e32 v2, 0xffff, v2
	s_mov_b32 s6, 0xffff0000
	v_or_b32_e32 v3, 0x500, v0
	v_and_or_b32 v2, v1, s6, v2
	v_cmp_gt_i32_e32 vcc, s38, v3
	v_cndmask_b32_e32 v1, v1, v2, vcc
	v_lshlrev_b32_e32 v3, v21, v24
	v_cmp_lt_u16_sdwa vcc, v21, v10 src0_sel:BYTE_0 src1_sel:DWORD
	v_or_b32_e32 v2, 0x600, v0
	v_cndmask_b32_e32 v3, 0, v3, vcc
	s_mov_b32 s7, 0x7000504
	v_perm_b32 v3, v1, v3, s7
	v_cmp_gt_i32_e32 vcc, s38, v2
	v_cndmask_b32_e32 v1, v1, v3, vcc
	v_lshlrev_b32_e32 v9, v25, v20
	v_cmp_lt_u16_sdwa vcc, v25, v10 src0_sel:BYTE_0 src1_sel:DWORD
	v_cndmask_b32_e32 v9, 0, v9, vcc
	v_and_b32_sdwa v2, v1, s2 dst_sel:DWORD dst_unused:UNUSED_PAD src0_sel:WORD_1 src1_sel:DWORD
	v_lshlrev_b16_e32 v9, 8, v9
	v_or_b32_e32 v3, 0x700, v0
	v_or_b32_sdwa v2, v2, v9 dst_sel:WORD_1 dst_unused:UNUSED_PAD src0_sel:DWORD src1_sel:DWORD
	v_and_or_b32 v2, v1, s3, v2
	v_cmp_gt_i32_e32 vcc, s38, v3
	v_cndmask_b32_e32 v3, v1, v2, vcc
	v_lshlrev_b32_e32 v2, v22, v26
	v_cmp_lt_u16_sdwa vcc, v22, v10 src0_sel:BYTE_0 src1_sel:DWORD
	v_or_b32_e32 v1, 0x800, v0
	v_cndmask_b32_e32 v2, 0, v2, vcc
	v_and_b32_sdwa v2, s3, v2 dst_sel:DWORD dst_unused:UNUSED_PAD src0_sel:DWORD src1_sel:BYTE_0
	v_cmp_gt_i32_e32 vcc, s38, v1
	v_cndmask_b32_e32 v1, 0, v2, vcc
	v_lshlrev_b32_e32 v9, v27, v28
	v_cmp_lt_u16_sdwa vcc, v27, v10 src0_sel:BYTE_0 src1_sel:DWORD
	v_cndmask_b32_e32 v9, 0, v9, vcc
	v_lshlrev_b16_e32 v9, 8, v9
	v_or_b32_e32 v2, 0x900, v0
	v_or_b32_e32 v9, v1, v9
	v_and_b32_e32 v9, 0xffff, v9
	v_cmp_gt_i32_e32 vcc, s38, v2
	v_cndmask_b32_e32 v1, v1, v9, vcc
	v_lshlrev_b32_e32 v9, v29, v30
	v_cmp_lt_u16_sdwa vcc, v29, v10 src0_sel:BYTE_0 src1_sel:DWORD
	v_cndmask_b32_e32 v9, 0, v9, vcc
	v_or_b32_e32 v2, 0xa00, v0
	v_perm_b32 v9, v9, v1, s4
	v_lshl_or_b32 v9, v9, 16, v1
	v_cmp_gt_i32_e32 vcc, s38, v2
	v_cndmask_b32_e32 v1, v1, v9, vcc
	v_lshlrev_b32_e32 v11, v31, v32
	v_cmp_lt_u16_sdwa vcc, v31, v10 src0_sel:BYTE_0 src1_sel:DWORD
	v_cndmask_b32_e32 v11, 0, v11, vcc
	v_and_b32_sdwa v2, v1, s2 dst_sel:DWORD dst_unused:UNUSED_PAD src0_sel:WORD_1 src1_sel:DWORD
	v_lshlrev_b16_e32 v11, 8, v11
	v_or_b32_e32 v9, 0xb00, v0
	v_or_b32_sdwa v2, v2, v11 dst_sel:WORD_1 dst_unused:UNUSED_PAD src0_sel:DWORD src1_sel:DWORD
	v_and_or_b32 v2, v1, s3, v2
	v_cmp_gt_i32_e32 vcc, s38, v9
	v_cndmask_b32_e32 v2, v1, v2, vcc
	v_lshlrev_b32_e32 v1, v33, v34
	v_cmp_lt_u16_sdwa vcc, v33, v10 src0_sel:BYTE_0 src1_sel:DWORD
	v_cndmask_b32_e32 v1, 0, v1, vcc
	v_or_b32_e32 v9, 0xc00, v0
	v_perm_b32 v1, v1, 0, s5
	v_cmp_gt_i32_e32 vcc, s38, v9
	v_cndmask_b32_e32 v1, 0, v1, vcc
	v_lshlrev_b32_e32 v9, v35, v36
	v_cmp_lt_u16_sdwa vcc, v35, v10 src0_sel:BYTE_0 src1_sel:DWORD
	v_cndmask_b32_e32 v9, 0, v9, vcc
	v_lshlrev_b16_e32 v9, 8, v9
	v_or_b32_sdwa v9, v1, v9 dst_sel:DWORD dst_unused:UNUSED_PAD src0_sel:BYTE_0 src1_sel:DWORD
	v_and_b32_e32 v9, 0xffff, v9
	v_or_b32_e32 v11, 0xd00, v0
	v_and_or_b32 v9, v1, s6, v9
	v_cmp_gt_i32_e32 vcc, s38, v11
	v_cndmask_b32_e32 v1, v1, v9, vcc
	v_lshlrev_b32_e32 v11, v37, v38
	v_cmp_lt_u16_sdwa vcc, v37, v10 src0_sel:BYTE_0 src1_sel:DWORD
	v_or_b32_e32 v9, 0xe00, v0
	v_cndmask_b32_e32 v11, 0, v11, vcc
	v_perm_b32 v11, v1, v11, s7
	v_cmp_gt_i32_e32 vcc, s38, v9
	v_cndmask_b32_e32 v1, v1, v11, vcc
	v_lshlrev_b32_e32 v8, v39, v8
	v_cmp_lt_u16_sdwa vcc, v39, v10 src0_sel:BYTE_0 src1_sel:DWORD
	v_and_b32_sdwa v9, v1, s2 dst_sel:DWORD dst_unused:UNUSED_PAD src0_sel:WORD_1 src1_sel:DWORD
	v_cndmask_b32_sdwa v7, v7, v8, vcc dst_sel:BYTE_1 dst_unused:UNUSED_PAD src0_sel:DWORD src1_sel:DWORD
	v_or_b32_e32 v11, 0xf00, v0
	v_or_b32_sdwa v7, v9, v7 dst_sel:WORD_1 dst_unused:UNUSED_PAD src0_sel:DWORD src1_sel:DWORD
	v_and_or_b32 v7, v1, s3, v7
	v_cmp_gt_i32_e32 vcc, s38, v11
	v_cndmask_b32_e32 v1, v1, v7, vcc
	s_and_saveexec_b64 s[2:3], s[0:1]
	s_cbranch_execnz .LBB40_55
; %bb.38:
	s_or_b64 exec, exec, s[2:3]
	v_cmp_gt_i32_e32 vcc, s38, v0
	s_and_saveexec_b64 s[0:1], vcc
	s_cbranch_execnz .LBB40_56
.LBB40_39:
	s_or_b64 exec, exec, s[0:1]
	v_cmp_gt_i32_e32 vcc, s38, v0
	s_and_saveexec_b64 s[0:1], vcc
	s_cbranch_execnz .LBB40_57
.LBB40_40:
	s_or_b64 exec, exec, s[0:1]
	v_cmp_gt_i32_e32 vcc, s38, v0
	s_and_saveexec_b64 s[0:1], vcc
	s_cbranch_execnz .LBB40_58
.LBB40_41:
	s_or_b64 exec, exec, s[0:1]
	v_cmp_gt_i32_e32 vcc, s38, v0
	s_and_saveexec_b64 s[0:1], vcc
	s_cbranch_execnz .LBB40_59
.LBB40_42:
	s_or_b64 exec, exec, s[0:1]
	v_cmp_gt_i32_e32 vcc, s38, v0
	s_and_saveexec_b64 s[0:1], vcc
	s_cbranch_execnz .LBB40_60
.LBB40_43:
	s_or_b64 exec, exec, s[0:1]
	v_cmp_gt_i32_e32 vcc, s38, v0
	s_and_saveexec_b64 s[0:1], vcc
	s_cbranch_execnz .LBB40_61
.LBB40_44:
	s_or_b64 exec, exec, s[0:1]
	v_cmp_gt_i32_e32 vcc, s38, v0
	s_and_saveexec_b64 s[0:1], vcc
	s_cbranch_execnz .LBB40_62
.LBB40_45:
	s_or_b64 exec, exec, s[0:1]
	v_cmp_gt_i32_e32 vcc, s38, v0
	s_and_saveexec_b64 s[0:1], vcc
	s_cbranch_execnz .LBB40_63
.LBB40_46:
	s_or_b64 exec, exec, s[0:1]
	v_cmp_gt_i32_e32 vcc, s38, v0
	s_and_saveexec_b64 s[0:1], vcc
	s_cbranch_execnz .LBB40_64
.LBB40_47:
	s_or_b64 exec, exec, s[0:1]
	v_cmp_gt_i32_e32 vcc, s38, v0
	s_and_saveexec_b64 s[0:1], vcc
	s_cbranch_execnz .LBB40_65
.LBB40_48:
	s_or_b64 exec, exec, s[0:1]
	v_cmp_gt_i32_e32 vcc, s38, v0
	s_and_saveexec_b64 s[0:1], vcc
	s_cbranch_execnz .LBB40_66
.LBB40_49:
	s_or_b64 exec, exec, s[0:1]
	v_cmp_gt_i32_e32 vcc, s38, v0
	s_and_saveexec_b64 s[0:1], vcc
	s_cbranch_execnz .LBB40_67
.LBB40_50:
	s_or_b64 exec, exec, s[0:1]
	v_cmp_gt_i32_e32 vcc, s38, v0
	s_and_saveexec_b64 s[0:1], vcc
	s_cbranch_execnz .LBB40_68
.LBB40_51:
	s_or_b64 exec, exec, s[0:1]
	v_cmp_gt_i32_e32 vcc, s38, v0
	s_and_saveexec_b64 s[0:1], vcc
	s_cbranch_execnz .LBB40_69
.LBB40_52:
	s_or_b64 exec, exec, s[0:1]
	v_cmp_gt_i32_e32 vcc, s38, v0
	s_and_saveexec_b64 s[0:1], vcc
	s_cbranch_execz .LBB40_54
.LBB40_53:
	v_lshrrev_b32_e32 v1, 24, v1
	v_add_u32_e32 v0, s33, v0
	global_store_byte v0, v1, s[8:9]
.LBB40_54:
	s_endpgm
.LBB40_55:
	v_mov_b32_e32 v0, v5
	global_store_byte v6, v4, s[8:9]
	s_or_b64 exec, exec, s[2:3]
	v_cmp_gt_i32_e32 vcc, s38, v0
	s_and_saveexec_b64 s[0:1], vcc
	s_cbranch_execz .LBB40_39
.LBB40_56:
	v_lshrrev_b32_e32 v5, 8, v4
	v_add_u32_e32 v6, s33, v0
	v_add_u32_e32 v0, 0x100, v0
	global_store_byte v6, v5, s[8:9]
	s_or_b64 exec, exec, s[0:1]
	v_cmp_gt_i32_e32 vcc, s38, v0
	s_and_saveexec_b64 s[0:1], vcc
	s_cbranch_execz .LBB40_40
.LBB40_57:
	v_add_u32_e32 v5, s33, v0
	v_add_u32_e32 v0, 0x100, v0
	global_store_byte_d16_hi v5, v4, s[8:9]
	s_or_b64 exec, exec, s[0:1]
	v_cmp_gt_i32_e32 vcc, s38, v0
	s_and_saveexec_b64 s[0:1], vcc
	s_cbranch_execz .LBB40_41
.LBB40_58:
	v_lshrrev_b32_e32 v4, 24, v4
	v_add_u32_e32 v5, s33, v0
	v_add_u32_e32 v0, 0x100, v0
	global_store_byte v5, v4, s[8:9]
	s_or_b64 exec, exec, s[0:1]
	v_cmp_gt_i32_e32 vcc, s38, v0
	s_and_saveexec_b64 s[0:1], vcc
	s_cbranch_execz .LBB40_42
.LBB40_59:
	v_add_u32_e32 v4, s33, v0
	v_add_u32_e32 v0, 0x100, v0
	global_store_byte v4, v3, s[8:9]
	s_or_b64 exec, exec, s[0:1]
	v_cmp_gt_i32_e32 vcc, s38, v0
	s_and_saveexec_b64 s[0:1], vcc
	s_cbranch_execz .LBB40_43
.LBB40_60:
	v_lshrrev_b32_e32 v4, 8, v3
	v_add_u32_e32 v5, s33, v0
	v_add_u32_e32 v0, 0x100, v0
	global_store_byte v5, v4, s[8:9]
	s_or_b64 exec, exec, s[0:1]
	v_cmp_gt_i32_e32 vcc, s38, v0
	s_and_saveexec_b64 s[0:1], vcc
	s_cbranch_execz .LBB40_44
.LBB40_61:
	v_add_u32_e32 v4, s33, v0
	v_add_u32_e32 v0, 0x100, v0
	global_store_byte_d16_hi v4, v3, s[8:9]
	s_or_b64 exec, exec, s[0:1]
	v_cmp_gt_i32_e32 vcc, s38, v0
	s_and_saveexec_b64 s[0:1], vcc
	s_cbranch_execz .LBB40_45
.LBB40_62:
	v_lshrrev_b32_e32 v3, 24, v3
	v_add_u32_e32 v4, s33, v0
	v_add_u32_e32 v0, 0x100, v0
	global_store_byte v4, v3, s[8:9]
	s_or_b64 exec, exec, s[0:1]
	v_cmp_gt_i32_e32 vcc, s38, v0
	s_and_saveexec_b64 s[0:1], vcc
	s_cbranch_execz .LBB40_46
.LBB40_63:
	v_add_u32_e32 v3, s33, v0
	v_add_u32_e32 v0, 0x100, v0
	global_store_byte v3, v2, s[8:9]
	s_or_b64 exec, exec, s[0:1]
	v_cmp_gt_i32_e32 vcc, s38, v0
	s_and_saveexec_b64 s[0:1], vcc
	s_cbranch_execz .LBB40_47
.LBB40_64:
	v_lshrrev_b32_e32 v3, 8, v2
	v_add_u32_e32 v4, s33, v0
	v_add_u32_e32 v0, 0x100, v0
	global_store_byte v4, v3, s[8:9]
	s_or_b64 exec, exec, s[0:1]
	v_cmp_gt_i32_e32 vcc, s38, v0
	s_and_saveexec_b64 s[0:1], vcc
	s_cbranch_execz .LBB40_48
.LBB40_65:
	v_add_u32_e32 v3, s33, v0
	v_add_u32_e32 v0, 0x100, v0
	global_store_byte_d16_hi v3, v2, s[8:9]
	s_or_b64 exec, exec, s[0:1]
	v_cmp_gt_i32_e32 vcc, s38, v0
	s_and_saveexec_b64 s[0:1], vcc
	s_cbranch_execz .LBB40_49
.LBB40_66:
	v_lshrrev_b32_e32 v2, 24, v2
	v_add_u32_e32 v3, s33, v0
	v_add_u32_e32 v0, 0x100, v0
	global_store_byte v3, v2, s[8:9]
	s_or_b64 exec, exec, s[0:1]
	v_cmp_gt_i32_e32 vcc, s38, v0
	s_and_saveexec_b64 s[0:1], vcc
	s_cbranch_execz .LBB40_50
.LBB40_67:
	v_add_u32_e32 v2, s33, v0
	v_add_u32_e32 v0, 0x100, v0
	global_store_byte v2, v1, s[8:9]
	s_or_b64 exec, exec, s[0:1]
	v_cmp_gt_i32_e32 vcc, s38, v0
	s_and_saveexec_b64 s[0:1], vcc
	s_cbranch_execz .LBB40_51
.LBB40_68:
	v_lshrrev_b32_e32 v2, 8, v1
	v_add_u32_e32 v3, s33, v0
	v_add_u32_e32 v0, 0x100, v0
	global_store_byte v3, v2, s[8:9]
	s_or_b64 exec, exec, s[0:1]
	v_cmp_gt_i32_e32 vcc, s38, v0
	s_and_saveexec_b64 s[0:1], vcc
	s_cbranch_execz .LBB40_52
.LBB40_69:
	v_add_u32_e32 v2, s33, v0
	v_add_u32_e32 v0, 0x100, v0
	global_store_byte_d16_hi v2, v1, s[8:9]
	s_or_b64 exec, exec, s[0:1]
	v_cmp_gt_i32_e32 vcc, s38, v0
	s_and_saveexec_b64 s[0:1], vcc
	s_cbranch_execnz .LBB40_53
	s_branch .LBB40_54
	.section	.rodata,"a",@progbits
	.p2align	6, 0x0
	.amdhsa_kernel _ZN2at6native29vectorized_elementwise_kernelILi16ENS0_13BinaryFunctorIaaaZZZNS0_18lshift_kernel_cudaERNS_18TensorIteratorBaseEENKUlvE_clEvENKUlvE0_clEvEUlaaE_EESt5arrayIPcLm3EEEEviT0_T1_
		.amdhsa_group_segment_fixed_size 0
		.amdhsa_private_segment_fixed_size 0
		.amdhsa_kernarg_size 32
		.amdhsa_user_sgpr_count 6
		.amdhsa_user_sgpr_private_segment_buffer 1
		.amdhsa_user_sgpr_dispatch_ptr 0
		.amdhsa_user_sgpr_queue_ptr 0
		.amdhsa_user_sgpr_kernarg_segment_ptr 1
		.amdhsa_user_sgpr_dispatch_id 0
		.amdhsa_user_sgpr_flat_scratch_init 0
		.amdhsa_user_sgpr_private_segment_size 0
		.amdhsa_uses_dynamic_stack 0
		.amdhsa_system_sgpr_private_segment_wavefront_offset 0
		.amdhsa_system_sgpr_workgroup_id_x 1
		.amdhsa_system_sgpr_workgroup_id_y 0
		.amdhsa_system_sgpr_workgroup_id_z 0
		.amdhsa_system_sgpr_workgroup_info 0
		.amdhsa_system_vgpr_workitem_id 0
		.amdhsa_next_free_vgpr 40
		.amdhsa_next_free_sgpr 39
		.amdhsa_reserve_vcc 1
		.amdhsa_reserve_flat_scratch 0
		.amdhsa_float_round_mode_32 0
		.amdhsa_float_round_mode_16_64 0
		.amdhsa_float_denorm_mode_32 3
		.amdhsa_float_denorm_mode_16_64 3
		.amdhsa_dx10_clamp 1
		.amdhsa_ieee_mode 1
		.amdhsa_fp16_overflow 0
		.amdhsa_exception_fp_ieee_invalid_op 0
		.amdhsa_exception_fp_denorm_src 0
		.amdhsa_exception_fp_ieee_div_zero 0
		.amdhsa_exception_fp_ieee_overflow 0
		.amdhsa_exception_fp_ieee_underflow 0
		.amdhsa_exception_fp_ieee_inexact 0
		.amdhsa_exception_int_div_zero 0
	.end_amdhsa_kernel
	.section	.text._ZN2at6native29vectorized_elementwise_kernelILi16ENS0_13BinaryFunctorIaaaZZZNS0_18lshift_kernel_cudaERNS_18TensorIteratorBaseEENKUlvE_clEvENKUlvE0_clEvEUlaaE_EESt5arrayIPcLm3EEEEviT0_T1_,"axG",@progbits,_ZN2at6native29vectorized_elementwise_kernelILi16ENS0_13BinaryFunctorIaaaZZZNS0_18lshift_kernel_cudaERNS_18TensorIteratorBaseEENKUlvE_clEvENKUlvE0_clEvEUlaaE_EESt5arrayIPcLm3EEEEviT0_T1_,comdat
.Lfunc_end40:
	.size	_ZN2at6native29vectorized_elementwise_kernelILi16ENS0_13BinaryFunctorIaaaZZZNS0_18lshift_kernel_cudaERNS_18TensorIteratorBaseEENKUlvE_clEvENKUlvE0_clEvEUlaaE_EESt5arrayIPcLm3EEEEviT0_T1_, .Lfunc_end40-_ZN2at6native29vectorized_elementwise_kernelILi16ENS0_13BinaryFunctorIaaaZZZNS0_18lshift_kernel_cudaERNS_18TensorIteratorBaseEENKUlvE_clEvENKUlvE0_clEvEUlaaE_EESt5arrayIPcLm3EEEEviT0_T1_
                                        ; -- End function
	.set _ZN2at6native29vectorized_elementwise_kernelILi16ENS0_13BinaryFunctorIaaaZZZNS0_18lshift_kernel_cudaERNS_18TensorIteratorBaseEENKUlvE_clEvENKUlvE0_clEvEUlaaE_EESt5arrayIPcLm3EEEEviT0_T1_.num_vgpr, 40
	.set _ZN2at6native29vectorized_elementwise_kernelILi16ENS0_13BinaryFunctorIaaaZZZNS0_18lshift_kernel_cudaERNS_18TensorIteratorBaseEENKUlvE_clEvENKUlvE0_clEvEUlaaE_EESt5arrayIPcLm3EEEEviT0_T1_.num_agpr, 0
	.set _ZN2at6native29vectorized_elementwise_kernelILi16ENS0_13BinaryFunctorIaaaZZZNS0_18lshift_kernel_cudaERNS_18TensorIteratorBaseEENKUlvE_clEvENKUlvE0_clEvEUlaaE_EESt5arrayIPcLm3EEEEviT0_T1_.numbered_sgpr, 39
	.set _ZN2at6native29vectorized_elementwise_kernelILi16ENS0_13BinaryFunctorIaaaZZZNS0_18lshift_kernel_cudaERNS_18TensorIteratorBaseEENKUlvE_clEvENKUlvE0_clEvEUlaaE_EESt5arrayIPcLm3EEEEviT0_T1_.num_named_barrier, 0
	.set _ZN2at6native29vectorized_elementwise_kernelILi16ENS0_13BinaryFunctorIaaaZZZNS0_18lshift_kernel_cudaERNS_18TensorIteratorBaseEENKUlvE_clEvENKUlvE0_clEvEUlaaE_EESt5arrayIPcLm3EEEEviT0_T1_.private_seg_size, 0
	.set _ZN2at6native29vectorized_elementwise_kernelILi16ENS0_13BinaryFunctorIaaaZZZNS0_18lshift_kernel_cudaERNS_18TensorIteratorBaseEENKUlvE_clEvENKUlvE0_clEvEUlaaE_EESt5arrayIPcLm3EEEEviT0_T1_.uses_vcc, 1
	.set _ZN2at6native29vectorized_elementwise_kernelILi16ENS0_13BinaryFunctorIaaaZZZNS0_18lshift_kernel_cudaERNS_18TensorIteratorBaseEENKUlvE_clEvENKUlvE0_clEvEUlaaE_EESt5arrayIPcLm3EEEEviT0_T1_.uses_flat_scratch, 0
	.set _ZN2at6native29vectorized_elementwise_kernelILi16ENS0_13BinaryFunctorIaaaZZZNS0_18lshift_kernel_cudaERNS_18TensorIteratorBaseEENKUlvE_clEvENKUlvE0_clEvEUlaaE_EESt5arrayIPcLm3EEEEviT0_T1_.has_dyn_sized_stack, 0
	.set _ZN2at6native29vectorized_elementwise_kernelILi16ENS0_13BinaryFunctorIaaaZZZNS0_18lshift_kernel_cudaERNS_18TensorIteratorBaseEENKUlvE_clEvENKUlvE0_clEvEUlaaE_EESt5arrayIPcLm3EEEEviT0_T1_.has_recursion, 0
	.set _ZN2at6native29vectorized_elementwise_kernelILi16ENS0_13BinaryFunctorIaaaZZZNS0_18lshift_kernel_cudaERNS_18TensorIteratorBaseEENKUlvE_clEvENKUlvE0_clEvEUlaaE_EESt5arrayIPcLm3EEEEviT0_T1_.has_indirect_call, 0
	.section	.AMDGPU.csdata,"",@progbits
; Kernel info:
; codeLenInByte = 4024
; TotalNumSgprs: 43
; NumVgprs: 40
; ScratchSize: 0
; MemoryBound: 0
; FloatMode: 240
; IeeeMode: 1
; LDSByteSize: 0 bytes/workgroup (compile time only)
; SGPRBlocks: 5
; VGPRBlocks: 9
; NumSGPRsForWavesPerEU: 43
; NumVGPRsForWavesPerEU: 40
; Occupancy: 6
; WaveLimiterHint : 0
; COMPUTE_PGM_RSRC2:SCRATCH_EN: 0
; COMPUTE_PGM_RSRC2:USER_SGPR: 6
; COMPUTE_PGM_RSRC2:TRAP_HANDLER: 0
; COMPUTE_PGM_RSRC2:TGID_X_EN: 1
; COMPUTE_PGM_RSRC2:TGID_Y_EN: 0
; COMPUTE_PGM_RSRC2:TGID_Z_EN: 0
; COMPUTE_PGM_RSRC2:TIDIG_COMP_CNT: 0
	.section	.text._ZN2at6native29vectorized_elementwise_kernelILi8ENS0_13BinaryFunctorIaaaZZZNS0_18lshift_kernel_cudaERNS_18TensorIteratorBaseEENKUlvE_clEvENKUlvE0_clEvEUlaaE_EESt5arrayIPcLm3EEEEviT0_T1_,"axG",@progbits,_ZN2at6native29vectorized_elementwise_kernelILi8ENS0_13BinaryFunctorIaaaZZZNS0_18lshift_kernel_cudaERNS_18TensorIteratorBaseEENKUlvE_clEvENKUlvE0_clEvEUlaaE_EESt5arrayIPcLm3EEEEviT0_T1_,comdat
	.globl	_ZN2at6native29vectorized_elementwise_kernelILi8ENS0_13BinaryFunctorIaaaZZZNS0_18lshift_kernel_cudaERNS_18TensorIteratorBaseEENKUlvE_clEvENKUlvE0_clEvEUlaaE_EESt5arrayIPcLm3EEEEviT0_T1_ ; -- Begin function _ZN2at6native29vectorized_elementwise_kernelILi8ENS0_13BinaryFunctorIaaaZZZNS0_18lshift_kernel_cudaERNS_18TensorIteratorBaseEENKUlvE_clEvENKUlvE0_clEvEUlaaE_EESt5arrayIPcLm3EEEEviT0_T1_
	.p2align	8
	.type	_ZN2at6native29vectorized_elementwise_kernelILi8ENS0_13BinaryFunctorIaaaZZZNS0_18lshift_kernel_cudaERNS_18TensorIteratorBaseEENKUlvE_clEvENKUlvE0_clEvEUlaaE_EESt5arrayIPcLm3EEEEviT0_T1_,@function
_ZN2at6native29vectorized_elementwise_kernelILi8ENS0_13BinaryFunctorIaaaZZZNS0_18lshift_kernel_cudaERNS_18TensorIteratorBaseEENKUlvE_clEvENKUlvE0_clEvEUlaaE_EESt5arrayIPcLm3EEEEviT0_T1_: ; @_ZN2at6native29vectorized_elementwise_kernelILi8ENS0_13BinaryFunctorIaaaZZZNS0_18lshift_kernel_cudaERNS_18TensorIteratorBaseEENKUlvE_clEvENKUlvE0_clEvEUlaaE_EESt5arrayIPcLm3EEEEviT0_T1_
; %bb.0:
	s_load_dword s0, s[4:5], 0x0
	s_load_dwordx4 s[8:11], s[4:5], 0x8
	s_load_dwordx2 s[12:13], s[4:5], 0x18
	s_lshl_b32 s33, s6, 12
	s_waitcnt lgkmcnt(0)
	s_sub_i32 s38, s0, s33
	s_cmpk_gt_i32 s38, 0xfff
	s_mov_b64 s[0:1], -1
	s_cbranch_scc0 .LBB41_2
; %bb.1:
	s_ashr_i32 s2, s33, 31
	s_add_u32 s0, s10, s33
	s_addc_u32 s1, s11, s2
	v_lshlrev_b32_e32 v9, 3, v0
	global_load_dwordx2 v[1:2], v9, s[0:1]
	global_load_dwordx2 v[3:4], v9, s[0:1] offset:2048
	s_add_u32 s0, s12, s33
	s_addc_u32 s1, s13, s2
	global_load_dwordx2 v[5:6], v9, s[0:1]
	global_load_dwordx2 v[7:8], v9, s[0:1] offset:2048
	s_brev_b32 s0, 16
	s_waitcnt vmcnt(3)
	v_lshrrev_b32_e32 v10, 8, v1
	v_lshrrev_b32_e32 v11, 8, v2
	s_waitcnt vmcnt(2)
	v_lshrrev_b32_e32 v12, 8, v3
	s_waitcnt vmcnt(1)
	v_and_b32_e32 v18, 0xf8, v5
	v_lshlrev_b32_e32 v19, v5, v1
	v_and_b32_e32 v21, 0xf80000, v5
	v_cmp_eq_u32_e32 vcc, 0, v18
	v_lshlrev_b32_sdwa v22, v5, v1 dst_sel:DWORD dst_unused:UNUSED_PAD src0_sel:WORD_1 src1_sel:WORD_1
	v_cndmask_b32_e32 v19, 0, v19, vcc
	v_cmp_eq_u32_e32 vcc, 0, v21
	v_lshlrev_b32_sdwa v1, v5, v1 dst_sel:DWORD dst_unused:UNUSED_PAD src0_sel:BYTE_3 src1_sel:BYTE_3
	v_and_b32_e32 v23, 0xf8, v6
	v_cndmask_b32_e32 v21, 0, v22, vcc
	v_cmp_gt_u32_e32 vcc, s0, v5
	v_lshrrev_b32_e32 v14, 8, v5
	v_and_b32_e32 v20, 0xf800, v5
	v_lshlrev_b32_e32 v24, v6, v2
	v_and_b32_e32 v26, 0xf80000, v6
	v_cndmask_b32_e32 v5, 0, v1, vcc
	v_cmp_eq_u32_e32 vcc, 0, v23
	v_lshrrev_b32_e32 v15, 8, v6
	v_lshlrev_b32_sdwa v27, v6, v2 dst_sel:DWORD dst_unused:UNUSED_PAD src0_sel:WORD_1 src1_sel:WORD_1
	v_cndmask_b32_e32 v1, 0, v24, vcc
	v_cmp_eq_u32_e32 vcc, 0, v26
	v_lshlrev_b32_sdwa v2, v6, v2 dst_sel:DWORD dst_unused:UNUSED_PAD src0_sel:BYTE_3 src1_sel:BYTE_3
	s_waitcnt vmcnt(0)
	v_and_b32_e32 v28, 0xf8, v7
	v_lshlrev_b32_e32 v11, v15, v11
	v_cndmask_b32_e32 v15, 0, v27, vcc
	v_cmp_gt_u32_e32 vcc, s0, v6
	v_and_b32_e32 v25, 0xf800, v6
	v_lshlrev_b32_e32 v29, v7, v3
	v_and_b32_e32 v31, 0xf80000, v7
	v_cndmask_b32_e32 v6, 0, v2, vcc
	v_cmp_eq_u32_e32 vcc, 0, v28
	v_lshrrev_b32_e32 v16, 8, v7
	v_lshlrev_b32_sdwa v32, v7, v3 dst_sel:DWORD dst_unused:UNUSED_PAD src0_sel:WORD_1 src1_sel:WORD_1
	v_cndmask_b32_e32 v2, 0, v29, vcc
	v_cmp_eq_u32_e32 vcc, 0, v31
	v_lshlrev_b32_sdwa v3, v7, v3 dst_sel:DWORD dst_unused:UNUSED_PAD src0_sel:BYTE_3 src1_sel:BYTE_3
	v_and_b32_e32 v35, 0xf8, v8
	v_lshlrev_b32_e32 v12, v16, v12
	v_cndmask_b32_e32 v16, 0, v32, vcc
	v_cmp_gt_u32_e32 vcc, s0, v7
	v_lshlrev_b32_e32 v33, v8, v4
	v_lshlrev_b32_e32 v10, v14, v10
	v_and_b32_e32 v14, 0xf80000, v8
	v_cndmask_b32_e32 v3, 0, v3, vcc
	v_cmp_eq_u32_e32 vcc, 0, v35
	v_and_b32_e32 v30, 0xf800, v7
	v_lshlrev_b32_sdwa v34, v8, v4 dst_sel:DWORD dst_unused:UNUSED_PAD src0_sel:WORD_1 src1_sel:WORD_1
	v_cndmask_b32_e32 v7, 0, v33, vcc
	v_cmp_eq_u32_e32 vcc, 0, v14
	v_lshrrev_b32_e32 v13, 8, v4
	v_lshlrev_b32_sdwa v4, v8, v4 dst_sel:DWORD dst_unused:UNUSED_PAD src0_sel:BYTE_3 src1_sel:BYTE_3
	v_cndmask_b32_e32 v14, 0, v34, vcc
	v_cmp_gt_u32_e32 vcc, s0, v8
	v_cndmask_b32_e32 v4, 0, v4, vcc
	v_cmp_eq_u32_e32 vcc, 0, v20
	v_lshrrev_b32_e32 v17, 8, v8
	v_and_b32_e32 v18, 0xf800, v8
	v_cndmask_b32_e32 v8, 0, v10, vcc
	v_cmp_eq_u32_e32 vcc, 0, v25
	v_cndmask_b32_e32 v10, 0, v11, vcc
	v_cmp_eq_u32_e32 vcc, 0, v30
	v_cndmask_b32_e32 v11, 0, v12, vcc
	v_lshlrev_b32_e32 v13, v17, v13
	v_cmp_eq_u32_e32 vcc, 0, v18
	v_lshlrev_b16_e32 v3, 8, v3
	v_lshlrev_b16_e32 v11, 8, v11
	v_cndmask_b32_e32 v12, 0, v13, vcc
	v_or_b32_sdwa v3, v16, v3 dst_sel:WORD_1 dst_unused:UNUSED_PAD src0_sel:BYTE_0 src1_sel:DWORD
	v_lshlrev_b16_e32 v10, 8, v10
	v_or_b32_sdwa v11, v2, v11 dst_sel:DWORD dst_unused:UNUSED_PAD src0_sel:BYTE_0 src1_sel:DWORD
	v_lshlrev_b16_e32 v4, 8, v4
	v_lshlrev_b16_e32 v12, 8, v12
	v_or_b32_sdwa v10, v1, v10 dst_sel:DWORD dst_unused:UNUSED_PAD src0_sel:BYTE_0 src1_sel:DWORD
	v_or_b32_sdwa v1, v11, v3 dst_sel:DWORD dst_unused:UNUSED_PAD src0_sel:WORD_0 src1_sel:DWORD
	v_lshlrev_b16_e32 v3, 8, v6
	v_or_b32_sdwa v4, v14, v4 dst_sel:WORD_1 dst_unused:UNUSED_PAD src0_sel:BYTE_0 src1_sel:DWORD
	v_or_b32_sdwa v7, v7, v12 dst_sel:DWORD dst_unused:UNUSED_PAD src0_sel:BYTE_0 src1_sel:DWORD
	v_or_b32_sdwa v3, v15, v3 dst_sel:WORD_1 dst_unused:UNUSED_PAD src0_sel:BYTE_0 src1_sel:DWORD
	v_or_b32_sdwa v2, v7, v4 dst_sel:DWORD dst_unused:UNUSED_PAD src0_sel:WORD_0 src1_sel:DWORD
	v_or_b32_sdwa v4, v10, v3 dst_sel:DWORD dst_unused:UNUSED_PAD src0_sel:WORD_0 src1_sel:DWORD
	v_lshlrev_b16_e32 v3, 8, v8
	v_lshlrev_b16_e32 v5, 8, v5
	v_or_b32_sdwa v3, v19, v3 dst_sel:DWORD dst_unused:UNUSED_PAD src0_sel:BYTE_0 src1_sel:DWORD
	v_or_b32_sdwa v5, v21, v5 dst_sel:WORD_1 dst_unused:UNUSED_PAD src0_sel:BYTE_0 src1_sel:DWORD
	s_add_u32 s0, s8, s33
	v_or_b32_sdwa v3, v3, v5 dst_sel:DWORD dst_unused:UNUSED_PAD src0_sel:WORD_0 src1_sel:DWORD
	s_addc_u32 s1, s9, s2
	global_store_dwordx2 v9, v[3:4], s[0:1]
	global_store_dwordx2 v9, v[1:2], s[0:1] offset:2048
	s_mov_b64 s[0:1], 0
.LBB41_2:
	s_andn2_b64 vcc, exec, s[0:1]
	s_cbranch_vccnz .LBB41_54
; %bb.3:
	v_cmp_gt_i32_e64 s[0:1], s38, v0
	v_cmp_le_i32_e32 vcc, s38, v0
                                        ; implicit-def: $vgpr5
	s_and_saveexec_b64 s[2:3], vcc
	s_xor_b64 s[2:3], exec, s[2:3]
; %bb.4:
	v_or_b32_e32 v5, 0x100, v0
; %bb.5:
	s_or_saveexec_b64 s[2:3], s[2:3]
	v_mov_b32_e32 v39, 0
	v_mov_b32_e32 v7, 0
	v_or_b32_e32 v6, s33, v0
	v_mov_b32_e32 v8, 0
	v_mov_b32_e32 v38, 0
	;; [unrolled: 1-line block ×31, first 2 shown]
	s_xor_b64 exec, exec, s[2:3]
	s_cbranch_execz .LBB41_37
; %bb.6:
	global_load_ubyte v10, v6, s[10:11]
	global_load_ubyte v11, v6, s[12:13]
	v_or_b32_e32 v5, 0x100, v0
	v_cmp_gt_u32_e32 vcc, s38, v5
	v_mov_b32_e32 v8, 0
	v_mov_b32_e32 v9, 0
	;; [unrolled: 1-line block ×30, first 2 shown]
	s_and_saveexec_b64 s[4:5], vcc
	s_cbranch_execz .LBB41_36
; %bb.7:
	v_add_u32_e32 v3, s33, v0
	global_load_ubyte v12, v3, s[10:11] offset:256
	global_load_ubyte v9, v3, s[12:13] offset:256
	v_or_b32_e32 v1, 0x200, v0
	v_mov_b32_e32 v13, 0
	v_cmp_gt_u32_e32 vcc, s38, v1
	v_mov_b32_e32 v17, 0
	v_mov_b32_e32 v14, 0
	;; [unrolled: 1-line block ×27, first 2 shown]
	s_and_saveexec_b64 s[6:7], vcc
	s_cbranch_execz .LBB41_35
; %bb.8:
	v_mov_b32_e32 v2, s11
	v_add_co_u32_e32 v1, vcc, s10, v3
	v_addc_co_u32_e32 v2, vcc, 0, v2, vcc
	v_mov_b32_e32 v4, s13
	v_add_co_u32_e32 v3, vcc, s12, v3
	v_addc_co_u32_e32 v4, vcc, 0, v4, vcc
	global_load_ubyte v17, v[1:2], off offset:512
	global_load_ubyte v13, v[3:4], off offset:512
	v_or_b32_e32 v8, 0x300, v0
	v_cmp_gt_u32_e32 vcc, s38, v8
	v_mov_b32_e32 v8, 0
	v_mov_b32_e32 v14, 0
	;; [unrolled: 1-line block ×26, first 2 shown]
	s_and_saveexec_b64 s[10:11], vcc
	s_cbranch_execz .LBB41_34
; %bb.9:
	global_load_ubyte v15, v[1:2], off offset:768
	global_load_ubyte v14, v[3:4], off offset:768
	v_or_b32_e32 v8, 0x400, v0
	v_cmp_gt_u32_e32 vcc, s38, v8
	v_mov_b32_e32 v8, 0
	v_mov_b32_e32 v16, 0
	;; [unrolled: 1-line block ×24, first 2 shown]
	s_and_saveexec_b64 s[12:13], vcc
	s_cbranch_execz .LBB41_33
; %bb.10:
	global_load_ubyte v18, v[1:2], off offset:1024
	global_load_ubyte v16, v[3:4], off offset:1024
	v_or_b32_e32 v8, 0x500, v0
	v_cmp_gt_u32_e32 vcc, s38, v8
	v_mov_b32_e32 v8, 0
	v_mov_b32_e32 v19, 0
	;; [unrolled: 1-line block ×22, first 2 shown]
	s_and_saveexec_b64 s[14:15], vcc
	s_cbranch_execz .LBB41_32
; %bb.11:
	global_load_ubyte v23, v[1:2], off offset:1280
	global_load_ubyte v19, v[3:4], off offset:1280
	v_or_b32_e32 v8, 0x600, v0
	v_cmp_gt_u32_e32 vcc, s38, v8
	v_mov_b32_e32 v8, 0
	v_mov_b32_e32 v21, 0
	;; [unrolled: 1-line block ×20, first 2 shown]
	s_and_saveexec_b64 s[16:17], vcc
	s_cbranch_execz .LBB41_31
; %bb.12:
	global_load_ubyte v24, v[1:2], off offset:1536
	global_load_ubyte v21, v[3:4], off offset:1536
	v_or_b32_e32 v8, 0x700, v0
	v_cmp_gt_u32_e32 vcc, s38, v8
	v_mov_b32_e32 v8, 0
	v_mov_b32_e32 v25, 0
	;; [unrolled: 1-line block ×18, first 2 shown]
	s_and_saveexec_b64 s[18:19], vcc
	s_cbranch_execz .LBB41_30
; %bb.13:
	global_load_ubyte v20, v[1:2], off offset:1792
	global_load_ubyte v25, v[3:4], off offset:1792
	v_or_b32_e32 v8, 0x800, v0
	v_cmp_gt_u32_e32 vcc, s38, v8
	v_mov_b32_e32 v8, 0
	v_mov_b32_e32 v22, 0
	;; [unrolled: 1-line block ×16, first 2 shown]
	s_and_saveexec_b64 s[20:21], vcc
	s_cbranch_execz .LBB41_29
; %bb.14:
	global_load_ubyte v26, v[1:2], off offset:2048
	global_load_ubyte v22, v[3:4], off offset:2048
	v_or_b32_e32 v8, 0x900, v0
	v_cmp_gt_u32_e32 vcc, s38, v8
	v_mov_b32_e32 v8, 0
	v_mov_b32_e32 v27, 0
	;; [unrolled: 1-line block ×14, first 2 shown]
	s_and_saveexec_b64 s[22:23], vcc
	s_cbranch_execz .LBB41_28
; %bb.15:
	global_load_ubyte v28, v[1:2], off offset:2304
	global_load_ubyte v27, v[3:4], off offset:2304
	v_or_b32_e32 v8, 0xa00, v0
	v_cmp_gt_u32_e32 vcc, s38, v8
	v_mov_b32_e32 v8, 0
	v_mov_b32_e32 v29, 0
	;; [unrolled: 1-line block ×12, first 2 shown]
	s_and_saveexec_b64 s[24:25], vcc
	s_cbranch_execz .LBB41_27
; %bb.16:
	global_load_ubyte v30, v[1:2], off offset:2560
	global_load_ubyte v29, v[3:4], off offset:2560
	v_or_b32_e32 v8, 0xb00, v0
	v_cmp_gt_u32_e32 vcc, s38, v8
	v_mov_b32_e32 v8, 0
	v_mov_b32_e32 v31, 0
	;; [unrolled: 1-line block ×10, first 2 shown]
	s_and_saveexec_b64 s[26:27], vcc
	s_cbranch_execz .LBB41_26
; %bb.17:
	global_load_ubyte v32, v[1:2], off offset:2816
	global_load_ubyte v31, v[3:4], off offset:2816
	v_or_b32_e32 v8, 0xc00, v0
	v_cmp_gt_u32_e32 vcc, s38, v8
	v_mov_b32_e32 v8, 0
	v_mov_b32_e32 v33, 0
	;; [unrolled: 1-line block ×8, first 2 shown]
	s_and_saveexec_b64 s[28:29], vcc
	s_cbranch_execz .LBB41_25
; %bb.18:
	global_load_ubyte v34, v[1:2], off offset:3072
	global_load_ubyte v33, v[3:4], off offset:3072
	v_or_b32_e32 v8, 0xd00, v0
	v_cmp_gt_u32_e32 vcc, s38, v8
	v_mov_b32_e32 v8, 0
	v_mov_b32_e32 v35, 0
	v_mov_b32_e32 v36, 0
	v_mov_b32_e32 v37, 0
	v_mov_b32_e32 v38, 0
	v_mov_b32_e32 v39, 0
	s_and_saveexec_b64 s[30:31], vcc
	s_cbranch_execz .LBB41_24
; %bb.19:
	global_load_ubyte v36, v[1:2], off offset:3328
	global_load_ubyte v35, v[3:4], off offset:3328
	v_or_b32_e32 v8, 0xe00, v0
	v_cmp_gt_u32_e32 vcc, s38, v8
	v_mov_b32_e32 v8, 0
	v_mov_b32_e32 v37, 0
	;; [unrolled: 1-line block ×4, first 2 shown]
	s_and_saveexec_b64 s[34:35], vcc
	s_cbranch_execz .LBB41_23
; %bb.20:
	global_load_ubyte v38, v[1:2], off offset:3584
	global_load_ubyte v37, v[3:4], off offset:3584
	v_or_b32_e32 v8, 0xf00, v0
	v_cmp_gt_u32_e32 vcc, s38, v8
	v_mov_b32_e32 v8, 0
	v_mov_b32_e32 v39, 0
	s_and_saveexec_b64 s[36:37], vcc
	s_cbranch_execz .LBB41_22
; %bb.21:
	global_load_ubyte v8, v[1:2], off offset:3840
	global_load_ubyte v39, v[3:4], off offset:3840
.LBB41_22:
	s_or_b64 exec, exec, s[36:37]
.LBB41_23:
	s_or_b64 exec, exec, s[34:35]
.LBB41_24:
	s_or_b64 exec, exec, s[30:31]
.LBB41_25:
	s_or_b64 exec, exec, s[28:29]
.LBB41_26:
	s_or_b64 exec, exec, s[26:27]
.LBB41_27:
	s_or_b64 exec, exec, s[24:25]
.LBB41_28:
	s_or_b64 exec, exec, s[22:23]
.LBB41_29:
	s_or_b64 exec, exec, s[20:21]
.LBB41_30:
	s_or_b64 exec, exec, s[18:19]
.LBB41_31:
	s_or_b64 exec, exec, s[16:17]
.LBB41_32:
	s_or_b64 exec, exec, s[14:15]
.LBB41_33:
	s_or_b64 exec, exec, s[12:13]
.LBB41_34:
	s_or_b64 exec, exec, s[10:11]
.LBB41_35:
	s_or_b64 exec, exec, s[6:7]
.LBB41_36:
	s_or_b64 exec, exec, s[4:5]
.LBB41_37:
	s_or_b64 exec, exec, s[2:3]
	s_waitcnt vmcnt(0)
	v_lshlrev_b32_e32 v1, v11, v10
	v_mov_b32_e32 v10, 8
	v_cmp_lt_u16_sdwa vcc, v11, v10 src0_sel:BYTE_0 src1_sel:DWORD
	v_cndmask_b32_e32 v1, 0, v1, vcc
	s_mov_b32 s3, 0xffff
	v_lshlrev_b32_e32 v2, v9, v12
	v_cmp_lt_u16_sdwa vcc, v9, v10 src0_sel:BYTE_0 src1_sel:DWORD
	v_and_b32_sdwa v1, s3, v1 dst_sel:DWORD dst_unused:UNUSED_PAD src0_sel:DWORD src1_sel:BYTE_0
	v_cndmask_b32_e32 v2, 0, v2, vcc
	v_cndmask_b32_e64 v1, 0, v1, s[0:1]
	v_lshlrev_b16_e32 v2, 8, v2
	v_or_b32_e32 v2, v1, v2
	v_and_b32_e32 v2, 0xffff, v2
	v_cmp_gt_i32_e32 vcc, s38, v5
	v_cndmask_b32_e32 v1, v1, v2, vcc
	v_lshlrev_b32_e32 v3, v13, v17
	v_cmp_lt_u16_sdwa vcc, v13, v10 src0_sel:BYTE_0 src1_sel:DWORD
	v_cndmask_b32_e32 v3, 0, v3, vcc
	s_mov_b32 s4, 0xc0c0304
	v_or_b32_e32 v2, 0x200, v0
	v_perm_b32 v3, v3, v1, s4
	v_lshl_or_b32 v3, v3, 16, v1
	v_cmp_gt_i32_e32 vcc, s38, v2
	v_cndmask_b32_e32 v1, v1, v3, vcc
	v_lshlrev_b32_e32 v4, v14, v15
	v_cmp_lt_u16_sdwa vcc, v14, v10 src0_sel:BYTE_0 src1_sel:DWORD
	s_movk_i32 s2, 0xff
	v_cndmask_b32_e32 v4, 0, v4, vcc
	v_and_b32_sdwa v2, v1, s2 dst_sel:DWORD dst_unused:UNUSED_PAD src0_sel:WORD_1 src1_sel:DWORD
	v_lshlrev_b16_e32 v4, 8, v4
	v_or_b32_e32 v3, 0x300, v0
	v_or_b32_sdwa v2, v2, v4 dst_sel:WORD_1 dst_unused:UNUSED_PAD src0_sel:DWORD src1_sel:DWORD
	v_and_or_b32 v2, v1, s3, v2
	v_cmp_gt_i32_e32 vcc, s38, v3
	v_cndmask_b32_e32 v4, v1, v2, vcc
	v_lshlrev_b32_e32 v1, v16, v18
	v_cmp_lt_u16_sdwa vcc, v16, v10 src0_sel:BYTE_0 src1_sel:DWORD
	v_cndmask_b32_e32 v1, 0, v1, vcc
	s_mov_b32 s5, 0x3020104
	v_or_b32_e32 v2, 0x400, v0
	v_perm_b32 v1, v1, 0, s5
	v_cmp_gt_i32_e32 vcc, s38, v2
	v_cndmask_b32_e32 v1, 0, v1, vcc
	v_lshlrev_b32_e32 v2, v19, v23
	v_cmp_lt_u16_sdwa vcc, v19, v10 src0_sel:BYTE_0 src1_sel:DWORD
	v_cndmask_b32_e32 v2, 0, v2, vcc
	v_lshlrev_b16_e32 v2, 8, v2
	v_or_b32_sdwa v2, v1, v2 dst_sel:DWORD dst_unused:UNUSED_PAD src0_sel:BYTE_0 src1_sel:DWORD
	v_and_b32_e32 v2, 0xffff, v2
	s_mov_b32 s6, 0xffff0000
	v_or_b32_e32 v3, 0x500, v0
	v_and_or_b32 v2, v1, s6, v2
	v_cmp_gt_i32_e32 vcc, s38, v3
	v_cndmask_b32_e32 v1, v1, v2, vcc
	v_lshlrev_b32_e32 v3, v21, v24
	v_cmp_lt_u16_sdwa vcc, v21, v10 src0_sel:BYTE_0 src1_sel:DWORD
	v_or_b32_e32 v2, 0x600, v0
	v_cndmask_b32_e32 v3, 0, v3, vcc
	s_mov_b32 s7, 0x7000504
	v_perm_b32 v3, v1, v3, s7
	v_cmp_gt_i32_e32 vcc, s38, v2
	v_cndmask_b32_e32 v1, v1, v3, vcc
	v_lshlrev_b32_e32 v9, v25, v20
	v_cmp_lt_u16_sdwa vcc, v25, v10 src0_sel:BYTE_0 src1_sel:DWORD
	v_cndmask_b32_e32 v9, 0, v9, vcc
	v_and_b32_sdwa v2, v1, s2 dst_sel:DWORD dst_unused:UNUSED_PAD src0_sel:WORD_1 src1_sel:DWORD
	v_lshlrev_b16_e32 v9, 8, v9
	v_or_b32_e32 v3, 0x700, v0
	v_or_b32_sdwa v2, v2, v9 dst_sel:WORD_1 dst_unused:UNUSED_PAD src0_sel:DWORD src1_sel:DWORD
	v_and_or_b32 v2, v1, s3, v2
	v_cmp_gt_i32_e32 vcc, s38, v3
	v_cndmask_b32_e32 v3, v1, v2, vcc
	v_lshlrev_b32_e32 v2, v22, v26
	v_cmp_lt_u16_sdwa vcc, v22, v10 src0_sel:BYTE_0 src1_sel:DWORD
	v_or_b32_e32 v1, 0x800, v0
	v_cndmask_b32_e32 v2, 0, v2, vcc
	v_and_b32_sdwa v2, s3, v2 dst_sel:DWORD dst_unused:UNUSED_PAD src0_sel:DWORD src1_sel:BYTE_0
	v_cmp_gt_i32_e32 vcc, s38, v1
	v_cndmask_b32_e32 v1, 0, v2, vcc
	v_lshlrev_b32_e32 v9, v27, v28
	v_cmp_lt_u16_sdwa vcc, v27, v10 src0_sel:BYTE_0 src1_sel:DWORD
	v_cndmask_b32_e32 v9, 0, v9, vcc
	v_lshlrev_b16_e32 v9, 8, v9
	v_or_b32_e32 v2, 0x900, v0
	v_or_b32_e32 v9, v1, v9
	v_and_b32_e32 v9, 0xffff, v9
	v_cmp_gt_i32_e32 vcc, s38, v2
	v_cndmask_b32_e32 v1, v1, v9, vcc
	v_lshlrev_b32_e32 v9, v29, v30
	v_cmp_lt_u16_sdwa vcc, v29, v10 src0_sel:BYTE_0 src1_sel:DWORD
	v_cndmask_b32_e32 v9, 0, v9, vcc
	v_or_b32_e32 v2, 0xa00, v0
	v_perm_b32 v9, v9, v1, s4
	v_lshl_or_b32 v9, v9, 16, v1
	v_cmp_gt_i32_e32 vcc, s38, v2
	v_cndmask_b32_e32 v1, v1, v9, vcc
	v_lshlrev_b32_e32 v11, v31, v32
	v_cmp_lt_u16_sdwa vcc, v31, v10 src0_sel:BYTE_0 src1_sel:DWORD
	v_cndmask_b32_e32 v11, 0, v11, vcc
	v_and_b32_sdwa v2, v1, s2 dst_sel:DWORD dst_unused:UNUSED_PAD src0_sel:WORD_1 src1_sel:DWORD
	v_lshlrev_b16_e32 v11, 8, v11
	v_or_b32_e32 v9, 0xb00, v0
	v_or_b32_sdwa v2, v2, v11 dst_sel:WORD_1 dst_unused:UNUSED_PAD src0_sel:DWORD src1_sel:DWORD
	v_and_or_b32 v2, v1, s3, v2
	v_cmp_gt_i32_e32 vcc, s38, v9
	v_cndmask_b32_e32 v2, v1, v2, vcc
	v_lshlrev_b32_e32 v1, v33, v34
	v_cmp_lt_u16_sdwa vcc, v33, v10 src0_sel:BYTE_0 src1_sel:DWORD
	v_cndmask_b32_e32 v1, 0, v1, vcc
	v_or_b32_e32 v9, 0xc00, v0
	v_perm_b32 v1, v1, 0, s5
	v_cmp_gt_i32_e32 vcc, s38, v9
	v_cndmask_b32_e32 v1, 0, v1, vcc
	v_lshlrev_b32_e32 v9, v35, v36
	v_cmp_lt_u16_sdwa vcc, v35, v10 src0_sel:BYTE_0 src1_sel:DWORD
	v_cndmask_b32_e32 v9, 0, v9, vcc
	v_lshlrev_b16_e32 v9, 8, v9
	v_or_b32_sdwa v9, v1, v9 dst_sel:DWORD dst_unused:UNUSED_PAD src0_sel:BYTE_0 src1_sel:DWORD
	v_and_b32_e32 v9, 0xffff, v9
	v_or_b32_e32 v11, 0xd00, v0
	v_and_or_b32 v9, v1, s6, v9
	v_cmp_gt_i32_e32 vcc, s38, v11
	v_cndmask_b32_e32 v1, v1, v9, vcc
	v_lshlrev_b32_e32 v11, v37, v38
	v_cmp_lt_u16_sdwa vcc, v37, v10 src0_sel:BYTE_0 src1_sel:DWORD
	v_or_b32_e32 v9, 0xe00, v0
	v_cndmask_b32_e32 v11, 0, v11, vcc
	v_perm_b32 v11, v1, v11, s7
	v_cmp_gt_i32_e32 vcc, s38, v9
	v_cndmask_b32_e32 v1, v1, v11, vcc
	v_lshlrev_b32_e32 v8, v39, v8
	v_cmp_lt_u16_sdwa vcc, v39, v10 src0_sel:BYTE_0 src1_sel:DWORD
	v_and_b32_sdwa v9, v1, s2 dst_sel:DWORD dst_unused:UNUSED_PAD src0_sel:WORD_1 src1_sel:DWORD
	v_cndmask_b32_sdwa v7, v7, v8, vcc dst_sel:BYTE_1 dst_unused:UNUSED_PAD src0_sel:DWORD src1_sel:DWORD
	v_or_b32_e32 v11, 0xf00, v0
	v_or_b32_sdwa v7, v9, v7 dst_sel:WORD_1 dst_unused:UNUSED_PAD src0_sel:DWORD src1_sel:DWORD
	v_and_or_b32 v7, v1, s3, v7
	v_cmp_gt_i32_e32 vcc, s38, v11
	v_cndmask_b32_e32 v1, v1, v7, vcc
	s_and_saveexec_b64 s[2:3], s[0:1]
	s_cbranch_execnz .LBB41_55
; %bb.38:
	s_or_b64 exec, exec, s[2:3]
	v_cmp_gt_i32_e32 vcc, s38, v0
	s_and_saveexec_b64 s[0:1], vcc
	s_cbranch_execnz .LBB41_56
.LBB41_39:
	s_or_b64 exec, exec, s[0:1]
	v_cmp_gt_i32_e32 vcc, s38, v0
	s_and_saveexec_b64 s[0:1], vcc
	s_cbranch_execnz .LBB41_57
.LBB41_40:
	s_or_b64 exec, exec, s[0:1]
	v_cmp_gt_i32_e32 vcc, s38, v0
	s_and_saveexec_b64 s[0:1], vcc
	s_cbranch_execnz .LBB41_58
.LBB41_41:
	s_or_b64 exec, exec, s[0:1]
	v_cmp_gt_i32_e32 vcc, s38, v0
	s_and_saveexec_b64 s[0:1], vcc
	s_cbranch_execnz .LBB41_59
.LBB41_42:
	s_or_b64 exec, exec, s[0:1]
	v_cmp_gt_i32_e32 vcc, s38, v0
	s_and_saveexec_b64 s[0:1], vcc
	s_cbranch_execnz .LBB41_60
.LBB41_43:
	s_or_b64 exec, exec, s[0:1]
	v_cmp_gt_i32_e32 vcc, s38, v0
	s_and_saveexec_b64 s[0:1], vcc
	s_cbranch_execnz .LBB41_61
.LBB41_44:
	s_or_b64 exec, exec, s[0:1]
	v_cmp_gt_i32_e32 vcc, s38, v0
	s_and_saveexec_b64 s[0:1], vcc
	s_cbranch_execnz .LBB41_62
.LBB41_45:
	s_or_b64 exec, exec, s[0:1]
	v_cmp_gt_i32_e32 vcc, s38, v0
	s_and_saveexec_b64 s[0:1], vcc
	s_cbranch_execnz .LBB41_63
.LBB41_46:
	s_or_b64 exec, exec, s[0:1]
	v_cmp_gt_i32_e32 vcc, s38, v0
	s_and_saveexec_b64 s[0:1], vcc
	s_cbranch_execnz .LBB41_64
.LBB41_47:
	s_or_b64 exec, exec, s[0:1]
	v_cmp_gt_i32_e32 vcc, s38, v0
	s_and_saveexec_b64 s[0:1], vcc
	s_cbranch_execnz .LBB41_65
.LBB41_48:
	s_or_b64 exec, exec, s[0:1]
	v_cmp_gt_i32_e32 vcc, s38, v0
	s_and_saveexec_b64 s[0:1], vcc
	s_cbranch_execnz .LBB41_66
.LBB41_49:
	s_or_b64 exec, exec, s[0:1]
	v_cmp_gt_i32_e32 vcc, s38, v0
	s_and_saveexec_b64 s[0:1], vcc
	s_cbranch_execnz .LBB41_67
.LBB41_50:
	s_or_b64 exec, exec, s[0:1]
	v_cmp_gt_i32_e32 vcc, s38, v0
	s_and_saveexec_b64 s[0:1], vcc
	s_cbranch_execnz .LBB41_68
.LBB41_51:
	s_or_b64 exec, exec, s[0:1]
	v_cmp_gt_i32_e32 vcc, s38, v0
	s_and_saveexec_b64 s[0:1], vcc
	s_cbranch_execnz .LBB41_69
.LBB41_52:
	s_or_b64 exec, exec, s[0:1]
	v_cmp_gt_i32_e32 vcc, s38, v0
	s_and_saveexec_b64 s[0:1], vcc
	s_cbranch_execz .LBB41_54
.LBB41_53:
	v_lshrrev_b32_e32 v1, 24, v1
	v_add_u32_e32 v0, s33, v0
	global_store_byte v0, v1, s[8:9]
.LBB41_54:
	s_endpgm
.LBB41_55:
	v_mov_b32_e32 v0, v5
	global_store_byte v6, v4, s[8:9]
	s_or_b64 exec, exec, s[2:3]
	v_cmp_gt_i32_e32 vcc, s38, v0
	s_and_saveexec_b64 s[0:1], vcc
	s_cbranch_execz .LBB41_39
.LBB41_56:
	v_lshrrev_b32_e32 v5, 8, v4
	v_add_u32_e32 v6, s33, v0
	v_add_u32_e32 v0, 0x100, v0
	global_store_byte v6, v5, s[8:9]
	s_or_b64 exec, exec, s[0:1]
	v_cmp_gt_i32_e32 vcc, s38, v0
	s_and_saveexec_b64 s[0:1], vcc
	s_cbranch_execz .LBB41_40
.LBB41_57:
	v_add_u32_e32 v5, s33, v0
	v_add_u32_e32 v0, 0x100, v0
	global_store_byte_d16_hi v5, v4, s[8:9]
	s_or_b64 exec, exec, s[0:1]
	v_cmp_gt_i32_e32 vcc, s38, v0
	s_and_saveexec_b64 s[0:1], vcc
	s_cbranch_execz .LBB41_41
.LBB41_58:
	v_lshrrev_b32_e32 v4, 24, v4
	v_add_u32_e32 v5, s33, v0
	v_add_u32_e32 v0, 0x100, v0
	global_store_byte v5, v4, s[8:9]
	s_or_b64 exec, exec, s[0:1]
	v_cmp_gt_i32_e32 vcc, s38, v0
	s_and_saveexec_b64 s[0:1], vcc
	s_cbranch_execz .LBB41_42
.LBB41_59:
	v_add_u32_e32 v4, s33, v0
	v_add_u32_e32 v0, 0x100, v0
	global_store_byte v4, v3, s[8:9]
	s_or_b64 exec, exec, s[0:1]
	v_cmp_gt_i32_e32 vcc, s38, v0
	s_and_saveexec_b64 s[0:1], vcc
	s_cbranch_execz .LBB41_43
.LBB41_60:
	v_lshrrev_b32_e32 v4, 8, v3
	v_add_u32_e32 v5, s33, v0
	v_add_u32_e32 v0, 0x100, v0
	global_store_byte v5, v4, s[8:9]
	s_or_b64 exec, exec, s[0:1]
	v_cmp_gt_i32_e32 vcc, s38, v0
	s_and_saveexec_b64 s[0:1], vcc
	s_cbranch_execz .LBB41_44
.LBB41_61:
	v_add_u32_e32 v4, s33, v0
	v_add_u32_e32 v0, 0x100, v0
	global_store_byte_d16_hi v4, v3, s[8:9]
	s_or_b64 exec, exec, s[0:1]
	v_cmp_gt_i32_e32 vcc, s38, v0
	s_and_saveexec_b64 s[0:1], vcc
	s_cbranch_execz .LBB41_45
.LBB41_62:
	v_lshrrev_b32_e32 v3, 24, v3
	v_add_u32_e32 v4, s33, v0
	v_add_u32_e32 v0, 0x100, v0
	global_store_byte v4, v3, s[8:9]
	s_or_b64 exec, exec, s[0:1]
	v_cmp_gt_i32_e32 vcc, s38, v0
	s_and_saveexec_b64 s[0:1], vcc
	s_cbranch_execz .LBB41_46
.LBB41_63:
	v_add_u32_e32 v3, s33, v0
	v_add_u32_e32 v0, 0x100, v0
	global_store_byte v3, v2, s[8:9]
	s_or_b64 exec, exec, s[0:1]
	v_cmp_gt_i32_e32 vcc, s38, v0
	s_and_saveexec_b64 s[0:1], vcc
	s_cbranch_execz .LBB41_47
.LBB41_64:
	v_lshrrev_b32_e32 v3, 8, v2
	v_add_u32_e32 v4, s33, v0
	v_add_u32_e32 v0, 0x100, v0
	global_store_byte v4, v3, s[8:9]
	s_or_b64 exec, exec, s[0:1]
	v_cmp_gt_i32_e32 vcc, s38, v0
	s_and_saveexec_b64 s[0:1], vcc
	s_cbranch_execz .LBB41_48
.LBB41_65:
	v_add_u32_e32 v3, s33, v0
	v_add_u32_e32 v0, 0x100, v0
	global_store_byte_d16_hi v3, v2, s[8:9]
	s_or_b64 exec, exec, s[0:1]
	v_cmp_gt_i32_e32 vcc, s38, v0
	s_and_saveexec_b64 s[0:1], vcc
	s_cbranch_execz .LBB41_49
.LBB41_66:
	v_lshrrev_b32_e32 v2, 24, v2
	v_add_u32_e32 v3, s33, v0
	v_add_u32_e32 v0, 0x100, v0
	global_store_byte v3, v2, s[8:9]
	s_or_b64 exec, exec, s[0:1]
	v_cmp_gt_i32_e32 vcc, s38, v0
	s_and_saveexec_b64 s[0:1], vcc
	s_cbranch_execz .LBB41_50
.LBB41_67:
	v_add_u32_e32 v2, s33, v0
	v_add_u32_e32 v0, 0x100, v0
	global_store_byte v2, v1, s[8:9]
	s_or_b64 exec, exec, s[0:1]
	v_cmp_gt_i32_e32 vcc, s38, v0
	s_and_saveexec_b64 s[0:1], vcc
	s_cbranch_execz .LBB41_51
.LBB41_68:
	v_lshrrev_b32_e32 v2, 8, v1
	v_add_u32_e32 v3, s33, v0
	v_add_u32_e32 v0, 0x100, v0
	global_store_byte v3, v2, s[8:9]
	s_or_b64 exec, exec, s[0:1]
	v_cmp_gt_i32_e32 vcc, s38, v0
	s_and_saveexec_b64 s[0:1], vcc
	s_cbranch_execz .LBB41_52
.LBB41_69:
	v_add_u32_e32 v2, s33, v0
	v_add_u32_e32 v0, 0x100, v0
	global_store_byte_d16_hi v2, v1, s[8:9]
	s_or_b64 exec, exec, s[0:1]
	v_cmp_gt_i32_e32 vcc, s38, v0
	s_and_saveexec_b64 s[0:1], vcc
	s_cbranch_execnz .LBB41_53
	s_branch .LBB41_54
	.section	.rodata,"a",@progbits
	.p2align	6, 0x0
	.amdhsa_kernel _ZN2at6native29vectorized_elementwise_kernelILi8ENS0_13BinaryFunctorIaaaZZZNS0_18lshift_kernel_cudaERNS_18TensorIteratorBaseEENKUlvE_clEvENKUlvE0_clEvEUlaaE_EESt5arrayIPcLm3EEEEviT0_T1_
		.amdhsa_group_segment_fixed_size 0
		.amdhsa_private_segment_fixed_size 0
		.amdhsa_kernarg_size 32
		.amdhsa_user_sgpr_count 6
		.amdhsa_user_sgpr_private_segment_buffer 1
		.amdhsa_user_sgpr_dispatch_ptr 0
		.amdhsa_user_sgpr_queue_ptr 0
		.amdhsa_user_sgpr_kernarg_segment_ptr 1
		.amdhsa_user_sgpr_dispatch_id 0
		.amdhsa_user_sgpr_flat_scratch_init 0
		.amdhsa_user_sgpr_private_segment_size 0
		.amdhsa_uses_dynamic_stack 0
		.amdhsa_system_sgpr_private_segment_wavefront_offset 0
		.amdhsa_system_sgpr_workgroup_id_x 1
		.amdhsa_system_sgpr_workgroup_id_y 0
		.amdhsa_system_sgpr_workgroup_id_z 0
		.amdhsa_system_sgpr_workgroup_info 0
		.amdhsa_system_vgpr_workitem_id 0
		.amdhsa_next_free_vgpr 40
		.amdhsa_next_free_sgpr 39
		.amdhsa_reserve_vcc 1
		.amdhsa_reserve_flat_scratch 0
		.amdhsa_float_round_mode_32 0
		.amdhsa_float_round_mode_16_64 0
		.amdhsa_float_denorm_mode_32 3
		.amdhsa_float_denorm_mode_16_64 3
		.amdhsa_dx10_clamp 1
		.amdhsa_ieee_mode 1
		.amdhsa_fp16_overflow 0
		.amdhsa_exception_fp_ieee_invalid_op 0
		.amdhsa_exception_fp_denorm_src 0
		.amdhsa_exception_fp_ieee_div_zero 0
		.amdhsa_exception_fp_ieee_overflow 0
		.amdhsa_exception_fp_ieee_underflow 0
		.amdhsa_exception_fp_ieee_inexact 0
		.amdhsa_exception_int_div_zero 0
	.end_amdhsa_kernel
	.section	.text._ZN2at6native29vectorized_elementwise_kernelILi8ENS0_13BinaryFunctorIaaaZZZNS0_18lshift_kernel_cudaERNS_18TensorIteratorBaseEENKUlvE_clEvENKUlvE0_clEvEUlaaE_EESt5arrayIPcLm3EEEEviT0_T1_,"axG",@progbits,_ZN2at6native29vectorized_elementwise_kernelILi8ENS0_13BinaryFunctorIaaaZZZNS0_18lshift_kernel_cudaERNS_18TensorIteratorBaseEENKUlvE_clEvENKUlvE0_clEvEUlaaE_EESt5arrayIPcLm3EEEEviT0_T1_,comdat
.Lfunc_end41:
	.size	_ZN2at6native29vectorized_elementwise_kernelILi8ENS0_13BinaryFunctorIaaaZZZNS0_18lshift_kernel_cudaERNS_18TensorIteratorBaseEENKUlvE_clEvENKUlvE0_clEvEUlaaE_EESt5arrayIPcLm3EEEEviT0_T1_, .Lfunc_end41-_ZN2at6native29vectorized_elementwise_kernelILi8ENS0_13BinaryFunctorIaaaZZZNS0_18lshift_kernel_cudaERNS_18TensorIteratorBaseEENKUlvE_clEvENKUlvE0_clEvEUlaaE_EESt5arrayIPcLm3EEEEviT0_T1_
                                        ; -- End function
	.set _ZN2at6native29vectorized_elementwise_kernelILi8ENS0_13BinaryFunctorIaaaZZZNS0_18lshift_kernel_cudaERNS_18TensorIteratorBaseEENKUlvE_clEvENKUlvE0_clEvEUlaaE_EESt5arrayIPcLm3EEEEviT0_T1_.num_vgpr, 40
	.set _ZN2at6native29vectorized_elementwise_kernelILi8ENS0_13BinaryFunctorIaaaZZZNS0_18lshift_kernel_cudaERNS_18TensorIteratorBaseEENKUlvE_clEvENKUlvE0_clEvEUlaaE_EESt5arrayIPcLm3EEEEviT0_T1_.num_agpr, 0
	.set _ZN2at6native29vectorized_elementwise_kernelILi8ENS0_13BinaryFunctorIaaaZZZNS0_18lshift_kernel_cudaERNS_18TensorIteratorBaseEENKUlvE_clEvENKUlvE0_clEvEUlaaE_EESt5arrayIPcLm3EEEEviT0_T1_.numbered_sgpr, 39
	.set _ZN2at6native29vectorized_elementwise_kernelILi8ENS0_13BinaryFunctorIaaaZZZNS0_18lshift_kernel_cudaERNS_18TensorIteratorBaseEENKUlvE_clEvENKUlvE0_clEvEUlaaE_EESt5arrayIPcLm3EEEEviT0_T1_.num_named_barrier, 0
	.set _ZN2at6native29vectorized_elementwise_kernelILi8ENS0_13BinaryFunctorIaaaZZZNS0_18lshift_kernel_cudaERNS_18TensorIteratorBaseEENKUlvE_clEvENKUlvE0_clEvEUlaaE_EESt5arrayIPcLm3EEEEviT0_T1_.private_seg_size, 0
	.set _ZN2at6native29vectorized_elementwise_kernelILi8ENS0_13BinaryFunctorIaaaZZZNS0_18lshift_kernel_cudaERNS_18TensorIteratorBaseEENKUlvE_clEvENKUlvE0_clEvEUlaaE_EESt5arrayIPcLm3EEEEviT0_T1_.uses_vcc, 1
	.set _ZN2at6native29vectorized_elementwise_kernelILi8ENS0_13BinaryFunctorIaaaZZZNS0_18lshift_kernel_cudaERNS_18TensorIteratorBaseEENKUlvE_clEvENKUlvE0_clEvEUlaaE_EESt5arrayIPcLm3EEEEviT0_T1_.uses_flat_scratch, 0
	.set _ZN2at6native29vectorized_elementwise_kernelILi8ENS0_13BinaryFunctorIaaaZZZNS0_18lshift_kernel_cudaERNS_18TensorIteratorBaseEENKUlvE_clEvENKUlvE0_clEvEUlaaE_EESt5arrayIPcLm3EEEEviT0_T1_.has_dyn_sized_stack, 0
	.set _ZN2at6native29vectorized_elementwise_kernelILi8ENS0_13BinaryFunctorIaaaZZZNS0_18lshift_kernel_cudaERNS_18TensorIteratorBaseEENKUlvE_clEvENKUlvE0_clEvEUlaaE_EESt5arrayIPcLm3EEEEviT0_T1_.has_recursion, 0
	.set _ZN2at6native29vectorized_elementwise_kernelILi8ENS0_13BinaryFunctorIaaaZZZNS0_18lshift_kernel_cudaERNS_18TensorIteratorBaseEENKUlvE_clEvENKUlvE0_clEvEUlaaE_EESt5arrayIPcLm3EEEEviT0_T1_.has_indirect_call, 0
	.section	.AMDGPU.csdata,"",@progbits
; Kernel info:
; codeLenInByte = 4084
; TotalNumSgprs: 43
; NumVgprs: 40
; ScratchSize: 0
; MemoryBound: 0
; FloatMode: 240
; IeeeMode: 1
; LDSByteSize: 0 bytes/workgroup (compile time only)
; SGPRBlocks: 5
; VGPRBlocks: 9
; NumSGPRsForWavesPerEU: 43
; NumVGPRsForWavesPerEU: 40
; Occupancy: 6
; WaveLimiterHint : 1
; COMPUTE_PGM_RSRC2:SCRATCH_EN: 0
; COMPUTE_PGM_RSRC2:USER_SGPR: 6
; COMPUTE_PGM_RSRC2:TRAP_HANDLER: 0
; COMPUTE_PGM_RSRC2:TGID_X_EN: 1
; COMPUTE_PGM_RSRC2:TGID_Y_EN: 0
; COMPUTE_PGM_RSRC2:TGID_Z_EN: 0
; COMPUTE_PGM_RSRC2:TIDIG_COMP_CNT: 0
	.section	.text._ZN2at6native29vectorized_elementwise_kernelILi4ENS0_13BinaryFunctorIaaaZZZNS0_18lshift_kernel_cudaERNS_18TensorIteratorBaseEENKUlvE_clEvENKUlvE0_clEvEUlaaE_EESt5arrayIPcLm3EEEEviT0_T1_,"axG",@progbits,_ZN2at6native29vectorized_elementwise_kernelILi4ENS0_13BinaryFunctorIaaaZZZNS0_18lshift_kernel_cudaERNS_18TensorIteratorBaseEENKUlvE_clEvENKUlvE0_clEvEUlaaE_EESt5arrayIPcLm3EEEEviT0_T1_,comdat
	.globl	_ZN2at6native29vectorized_elementwise_kernelILi4ENS0_13BinaryFunctorIaaaZZZNS0_18lshift_kernel_cudaERNS_18TensorIteratorBaseEENKUlvE_clEvENKUlvE0_clEvEUlaaE_EESt5arrayIPcLm3EEEEviT0_T1_ ; -- Begin function _ZN2at6native29vectorized_elementwise_kernelILi4ENS0_13BinaryFunctorIaaaZZZNS0_18lshift_kernel_cudaERNS_18TensorIteratorBaseEENKUlvE_clEvENKUlvE0_clEvEUlaaE_EESt5arrayIPcLm3EEEEviT0_T1_
	.p2align	8
	.type	_ZN2at6native29vectorized_elementwise_kernelILi4ENS0_13BinaryFunctorIaaaZZZNS0_18lshift_kernel_cudaERNS_18TensorIteratorBaseEENKUlvE_clEvENKUlvE0_clEvEUlaaE_EESt5arrayIPcLm3EEEEviT0_T1_,@function
_ZN2at6native29vectorized_elementwise_kernelILi4ENS0_13BinaryFunctorIaaaZZZNS0_18lshift_kernel_cudaERNS_18TensorIteratorBaseEENKUlvE_clEvENKUlvE0_clEvEUlaaE_EESt5arrayIPcLm3EEEEviT0_T1_: ; @_ZN2at6native29vectorized_elementwise_kernelILi4ENS0_13BinaryFunctorIaaaZZZNS0_18lshift_kernel_cudaERNS_18TensorIteratorBaseEENKUlvE_clEvENKUlvE0_clEvEUlaaE_EESt5arrayIPcLm3EEEEviT0_T1_
; %bb.0:
	s_load_dword s0, s[4:5], 0x0
	s_load_dwordx4 s[8:11], s[4:5], 0x8
	s_load_dwordx2 s[12:13], s[4:5], 0x18
	s_lshl_b32 s33, s6, 12
	s_waitcnt lgkmcnt(0)
	s_sub_i32 s38, s0, s33
	s_cmpk_gt_i32 s38, 0xfff
	s_mov_b64 s[0:1], -1
	s_cbranch_scc0 .LBB42_2
; %bb.1:
	s_ashr_i32 s4, s33, 31
	s_add_u32 s0, s10, s33
	s_addc_u32 s1, s11, s4
	v_lshlrev_b32_e32 v1, 2, v0
	s_add_u32 s2, s12, s33
	s_addc_u32 s3, s13, s4
	global_load_dword v2, v1, s[0:1]
	global_load_dword v3, v1, s[0:1] offset:1024
	global_load_dword v4, v1, s[0:1] offset:2048
	;; [unrolled: 1-line block ×3, first 2 shown]
	global_load_dword v6, v1, s[2:3]
	global_load_dword v7, v1, s[2:3] offset:1024
	global_load_dword v8, v1, s[2:3] offset:2048
	;; [unrolled: 1-line block ×3, first 2 shown]
	s_brev_b32 s0, 16
	s_waitcnt vmcnt(7)
	v_lshrrev_b32_e32 v10, 8, v2
	s_waitcnt vmcnt(6)
	v_lshrrev_b32_e32 v11, 8, v3
	;; [unrolled: 2-line block ×4, first 2 shown]
	s_waitcnt vmcnt(3)
	v_and_b32_e32 v18, 0xf8, v6
	v_lshlrev_b32_e32 v19, v6, v2
	v_and_b32_e32 v21, 0xf80000, v6
	v_cmp_eq_u32_e32 vcc, 0, v18
	v_lshlrev_b32_sdwa v22, v6, v2 dst_sel:DWORD dst_unused:UNUSED_PAD src0_sel:WORD_1 src1_sel:WORD_1
	v_cndmask_b32_e32 v19, 0, v19, vcc
	v_cmp_eq_u32_e32 vcc, 0, v21
	v_lshlrev_b32_sdwa v2, v6, v2 dst_sel:DWORD dst_unused:UNUSED_PAD src0_sel:BYTE_3 src1_sel:BYTE_3
	s_waitcnt vmcnt(2)
	v_and_b32_e32 v23, 0xf8, v7
	v_cndmask_b32_e32 v21, 0, v22, vcc
	v_cmp_gt_u32_e32 vcc, s0, v6
	v_lshlrev_b32_e32 v24, v7, v3
	v_and_b32_e32 v26, 0xf80000, v7
	v_cndmask_b32_e32 v2, 0, v2, vcc
	v_cmp_eq_u32_e32 vcc, 0, v23
	v_lshrrev_b32_e32 v14, 8, v6
	v_lshrrev_b32_e32 v15, 8, v7
	v_and_b32_e32 v20, 0xf800, v6
	v_lshlrev_b32_sdwa v27, v7, v3 dst_sel:DWORD dst_unused:UNUSED_PAD src0_sel:WORD_1 src1_sel:WORD_1
	v_cndmask_b32_e32 v6, 0, v24, vcc
	v_cmp_eq_u32_e32 vcc, 0, v26
	v_lshlrev_b32_sdwa v3, v7, v3 dst_sel:DWORD dst_unused:UNUSED_PAD src0_sel:BYTE_3 src1_sel:BYTE_3
	s_waitcnt vmcnt(1)
	v_and_b32_e32 v28, 0xf8, v8
	v_lshlrev_b32_e32 v11, v15, v11
	v_cndmask_b32_e32 v15, 0, v27, vcc
	v_cmp_gt_u32_e32 vcc, s0, v7
	v_lshlrev_b32_e32 v29, v8, v4
	v_and_b32_e32 v31, 0xf80000, v8
	v_cndmask_b32_e32 v3, 0, v3, vcc
	v_cmp_eq_u32_e32 vcc, 0, v28
	v_lshrrev_b32_e32 v16, 8, v8
	v_and_b32_e32 v25, 0xf800, v7
	v_lshlrev_b32_sdwa v32, v8, v4 dst_sel:DWORD dst_unused:UNUSED_PAD src0_sel:WORD_1 src1_sel:WORD_1
	v_cndmask_b32_e32 v7, 0, v29, vcc
	v_cmp_eq_u32_e32 vcc, 0, v31
	v_lshlrev_b32_sdwa v4, v8, v4 dst_sel:DWORD dst_unused:UNUSED_PAD src0_sel:BYTE_3 src1_sel:BYTE_3
	s_waitcnt vmcnt(0)
	v_and_b32_e32 v33, 0xf8, v9
	v_lshlrev_b32_e32 v12, v16, v12
	v_cndmask_b32_e32 v16, 0, v32, vcc
	v_cmp_gt_u32_e32 vcc, s0, v8
	v_lshlrev_b32_e32 v34, v9, v5
	v_and_b32_e32 v18, 0xf80000, v9
	v_cndmask_b32_e32 v4, 0, v4, vcc
	v_cmp_eq_u32_e32 vcc, 0, v33
	v_and_b32_e32 v30, 0xf800, v8
	v_lshlrev_b32_e32 v10, v14, v10
	v_lshlrev_b32_sdwa v14, v9, v5 dst_sel:DWORD dst_unused:UNUSED_PAD src0_sel:WORD_1 src1_sel:WORD_1
	v_cndmask_b32_e32 v8, 0, v34, vcc
	v_cmp_eq_u32_e32 vcc, 0, v18
	v_lshlrev_b32_sdwa v5, v9, v5 dst_sel:DWORD dst_unused:UNUSED_PAD src0_sel:BYTE_3 src1_sel:BYTE_3
	v_cndmask_b32_e32 v14, 0, v14, vcc
	v_cmp_gt_u32_e32 vcc, s0, v9
	v_cndmask_b32_e32 v5, 0, v5, vcc
	v_cmp_eq_u32_e32 vcc, 0, v20
	v_lshrrev_b32_e32 v17, 8, v9
	v_and_b32_e32 v35, 0xf800, v9
	v_cndmask_b32_e32 v9, 0, v10, vcc
	v_cmp_eq_u32_e32 vcc, 0, v25
	v_cndmask_b32_e32 v10, 0, v11, vcc
	v_cmp_eq_u32_e32 vcc, 0, v30
	v_cndmask_b32_e32 v11, 0, v12, vcc
	v_lshlrev_b16_e32 v4, 8, v4
	v_lshlrev_b16_e32 v11, 8, v11
	v_or_b32_sdwa v7, v7, v11 dst_sel:DWORD dst_unused:UNUSED_PAD src0_sel:BYTE_0 src1_sel:DWORD
	v_or_b32_sdwa v4, v16, v4 dst_sel:WORD_1 dst_unused:UNUSED_PAD src0_sel:BYTE_0 src1_sel:DWORD
	v_or_b32_sdwa v4, v7, v4 dst_sel:DWORD dst_unused:UNUSED_PAD src0_sel:WORD_0 src1_sel:DWORD
	v_lshlrev_b16_e32 v7, 8, v10
	v_lshlrev_b16_e32 v3, 8, v3
	v_lshlrev_b32_e32 v13, v17, v13
	v_cmp_eq_u32_e32 vcc, 0, v35
	v_or_b32_sdwa v6, v6, v7 dst_sel:DWORD dst_unused:UNUSED_PAD src0_sel:BYTE_0 src1_sel:DWORD
	v_or_b32_sdwa v3, v15, v3 dst_sel:WORD_1 dst_unused:UNUSED_PAD src0_sel:BYTE_0 src1_sel:DWORD
	v_cndmask_b32_e32 v12, 0, v13, vcc
	v_or_b32_sdwa v3, v6, v3 dst_sel:DWORD dst_unused:UNUSED_PAD src0_sel:WORD_0 src1_sel:DWORD
	v_lshlrev_b16_e32 v6, 8, v9
	v_lshlrev_b16_e32 v2, 8, v2
	;; [unrolled: 1-line block ×4, first 2 shown]
	v_or_b32_sdwa v6, v19, v6 dst_sel:DWORD dst_unused:UNUSED_PAD src0_sel:BYTE_0 src1_sel:DWORD
	v_or_b32_sdwa v2, v21, v2 dst_sel:WORD_1 dst_unused:UNUSED_PAD src0_sel:BYTE_0 src1_sel:DWORD
	s_add_u32 s0, s8, s33
	v_or_b32_sdwa v5, v14, v5 dst_sel:WORD_1 dst_unused:UNUSED_PAD src0_sel:BYTE_0 src1_sel:DWORD
	v_or_b32_sdwa v8, v8, v12 dst_sel:DWORD dst_unused:UNUSED_PAD src0_sel:BYTE_0 src1_sel:DWORD
	v_or_b32_sdwa v2, v6, v2 dst_sel:DWORD dst_unused:UNUSED_PAD src0_sel:WORD_0 src1_sel:DWORD
	s_addc_u32 s1, s9, s4
	v_or_b32_sdwa v5, v8, v5 dst_sel:DWORD dst_unused:UNUSED_PAD src0_sel:WORD_0 src1_sel:DWORD
	global_store_dword v1, v2, s[0:1]
	global_store_dword v1, v3, s[0:1] offset:1024
	global_store_dword v1, v4, s[0:1] offset:2048
	;; [unrolled: 1-line block ×3, first 2 shown]
	s_mov_b64 s[0:1], 0
.LBB42_2:
	s_andn2_b64 vcc, exec, s[0:1]
	s_cbranch_vccnz .LBB42_54
; %bb.3:
	v_cmp_gt_i32_e64 s[0:1], s38, v0
	v_cmp_le_i32_e32 vcc, s38, v0
                                        ; implicit-def: $vgpr5
	s_and_saveexec_b64 s[2:3], vcc
	s_xor_b64 s[2:3], exec, s[2:3]
; %bb.4:
	v_or_b32_e32 v5, 0x100, v0
; %bb.5:
	s_or_saveexec_b64 s[2:3], s[2:3]
	v_mov_b32_e32 v39, 0
	v_mov_b32_e32 v7, 0
	v_or_b32_e32 v6, s33, v0
	v_mov_b32_e32 v8, 0
	v_mov_b32_e32 v38, 0
	;; [unrolled: 1-line block ×31, first 2 shown]
	s_xor_b64 exec, exec, s[2:3]
	s_cbranch_execz .LBB42_37
; %bb.6:
	global_load_ubyte v10, v6, s[10:11]
	global_load_ubyte v11, v6, s[12:13]
	v_or_b32_e32 v5, 0x100, v0
	v_cmp_gt_u32_e32 vcc, s38, v5
	v_mov_b32_e32 v8, 0
	v_mov_b32_e32 v9, 0
	;; [unrolled: 1-line block ×30, first 2 shown]
	s_and_saveexec_b64 s[4:5], vcc
	s_cbranch_execz .LBB42_36
; %bb.7:
	v_add_u32_e32 v3, s33, v0
	global_load_ubyte v12, v3, s[10:11] offset:256
	global_load_ubyte v9, v3, s[12:13] offset:256
	v_or_b32_e32 v1, 0x200, v0
	v_mov_b32_e32 v13, 0
	v_cmp_gt_u32_e32 vcc, s38, v1
	v_mov_b32_e32 v17, 0
	v_mov_b32_e32 v14, 0
	v_mov_b32_e32 v15, 0
	v_mov_b32_e32 v16, 0
	v_mov_b32_e32 v18, 0
	v_mov_b32_e32 v19, 0
	v_mov_b32_e32 v23, 0
	v_mov_b32_e32 v21, 0
	v_mov_b32_e32 v24, 0
	v_mov_b32_e32 v25, 0
	v_mov_b32_e32 v20, 0
	v_mov_b32_e32 v22, 0
	v_mov_b32_e32 v26, 0
	v_mov_b32_e32 v27, 0
	v_mov_b32_e32 v28, 0
	v_mov_b32_e32 v29, 0
	v_mov_b32_e32 v30, 0
	v_mov_b32_e32 v31, 0
	v_mov_b32_e32 v32, 0
	v_mov_b32_e32 v33, 0
	v_mov_b32_e32 v34, 0
	v_mov_b32_e32 v35, 0
	v_mov_b32_e32 v36, 0
	v_mov_b32_e32 v37, 0
	v_mov_b32_e32 v38, 0
	v_mov_b32_e32 v39, 0
	v_mov_b32_e32 v8, 0
	s_and_saveexec_b64 s[6:7], vcc
	s_cbranch_execz .LBB42_35
; %bb.8:
	v_mov_b32_e32 v2, s11
	v_add_co_u32_e32 v1, vcc, s10, v3
	v_addc_co_u32_e32 v2, vcc, 0, v2, vcc
	v_mov_b32_e32 v4, s13
	v_add_co_u32_e32 v3, vcc, s12, v3
	v_addc_co_u32_e32 v4, vcc, 0, v4, vcc
	global_load_ubyte v17, v[1:2], off offset:512
	global_load_ubyte v13, v[3:4], off offset:512
	v_or_b32_e32 v8, 0x300, v0
	v_cmp_gt_u32_e32 vcc, s38, v8
	v_mov_b32_e32 v8, 0
	v_mov_b32_e32 v14, 0
	;; [unrolled: 1-line block ×26, first 2 shown]
	s_and_saveexec_b64 s[10:11], vcc
	s_cbranch_execz .LBB42_34
; %bb.9:
	global_load_ubyte v15, v[1:2], off offset:768
	global_load_ubyte v14, v[3:4], off offset:768
	v_or_b32_e32 v8, 0x400, v0
	v_cmp_gt_u32_e32 vcc, s38, v8
	v_mov_b32_e32 v8, 0
	v_mov_b32_e32 v16, 0
	;; [unrolled: 1-line block ×24, first 2 shown]
	s_and_saveexec_b64 s[12:13], vcc
	s_cbranch_execz .LBB42_33
; %bb.10:
	global_load_ubyte v18, v[1:2], off offset:1024
	global_load_ubyte v16, v[3:4], off offset:1024
	v_or_b32_e32 v8, 0x500, v0
	v_cmp_gt_u32_e32 vcc, s38, v8
	v_mov_b32_e32 v8, 0
	v_mov_b32_e32 v19, 0
	;; [unrolled: 1-line block ×22, first 2 shown]
	s_and_saveexec_b64 s[14:15], vcc
	s_cbranch_execz .LBB42_32
; %bb.11:
	global_load_ubyte v23, v[1:2], off offset:1280
	global_load_ubyte v19, v[3:4], off offset:1280
	v_or_b32_e32 v8, 0x600, v0
	v_cmp_gt_u32_e32 vcc, s38, v8
	v_mov_b32_e32 v8, 0
	v_mov_b32_e32 v21, 0
	;; [unrolled: 1-line block ×20, first 2 shown]
	s_and_saveexec_b64 s[16:17], vcc
	s_cbranch_execz .LBB42_31
; %bb.12:
	global_load_ubyte v24, v[1:2], off offset:1536
	global_load_ubyte v21, v[3:4], off offset:1536
	v_or_b32_e32 v8, 0x700, v0
	v_cmp_gt_u32_e32 vcc, s38, v8
	v_mov_b32_e32 v8, 0
	v_mov_b32_e32 v25, 0
	;; [unrolled: 1-line block ×18, first 2 shown]
	s_and_saveexec_b64 s[18:19], vcc
	s_cbranch_execz .LBB42_30
; %bb.13:
	global_load_ubyte v20, v[1:2], off offset:1792
	global_load_ubyte v25, v[3:4], off offset:1792
	v_or_b32_e32 v8, 0x800, v0
	v_cmp_gt_u32_e32 vcc, s38, v8
	v_mov_b32_e32 v8, 0
	v_mov_b32_e32 v22, 0
	;; [unrolled: 1-line block ×16, first 2 shown]
	s_and_saveexec_b64 s[20:21], vcc
	s_cbranch_execz .LBB42_29
; %bb.14:
	global_load_ubyte v26, v[1:2], off offset:2048
	global_load_ubyte v22, v[3:4], off offset:2048
	v_or_b32_e32 v8, 0x900, v0
	v_cmp_gt_u32_e32 vcc, s38, v8
	v_mov_b32_e32 v8, 0
	v_mov_b32_e32 v27, 0
	;; [unrolled: 1-line block ×14, first 2 shown]
	s_and_saveexec_b64 s[22:23], vcc
	s_cbranch_execz .LBB42_28
; %bb.15:
	global_load_ubyte v28, v[1:2], off offset:2304
	global_load_ubyte v27, v[3:4], off offset:2304
	v_or_b32_e32 v8, 0xa00, v0
	v_cmp_gt_u32_e32 vcc, s38, v8
	v_mov_b32_e32 v8, 0
	v_mov_b32_e32 v29, 0
	;; [unrolled: 1-line block ×12, first 2 shown]
	s_and_saveexec_b64 s[24:25], vcc
	s_cbranch_execz .LBB42_27
; %bb.16:
	global_load_ubyte v30, v[1:2], off offset:2560
	global_load_ubyte v29, v[3:4], off offset:2560
	v_or_b32_e32 v8, 0xb00, v0
	v_cmp_gt_u32_e32 vcc, s38, v8
	v_mov_b32_e32 v8, 0
	v_mov_b32_e32 v31, 0
	;; [unrolled: 1-line block ×10, first 2 shown]
	s_and_saveexec_b64 s[26:27], vcc
	s_cbranch_execz .LBB42_26
; %bb.17:
	global_load_ubyte v32, v[1:2], off offset:2816
	global_load_ubyte v31, v[3:4], off offset:2816
	v_or_b32_e32 v8, 0xc00, v0
	v_cmp_gt_u32_e32 vcc, s38, v8
	v_mov_b32_e32 v8, 0
	v_mov_b32_e32 v33, 0
	v_mov_b32_e32 v34, 0
	v_mov_b32_e32 v35, 0
	v_mov_b32_e32 v36, 0
	v_mov_b32_e32 v37, 0
	v_mov_b32_e32 v38, 0
	v_mov_b32_e32 v39, 0
	s_and_saveexec_b64 s[28:29], vcc
	s_cbranch_execz .LBB42_25
; %bb.18:
	global_load_ubyte v34, v[1:2], off offset:3072
	global_load_ubyte v33, v[3:4], off offset:3072
	v_or_b32_e32 v8, 0xd00, v0
	v_cmp_gt_u32_e32 vcc, s38, v8
	v_mov_b32_e32 v8, 0
	v_mov_b32_e32 v35, 0
	;; [unrolled: 1-line block ×6, first 2 shown]
	s_and_saveexec_b64 s[30:31], vcc
	s_cbranch_execz .LBB42_24
; %bb.19:
	global_load_ubyte v36, v[1:2], off offset:3328
	global_load_ubyte v35, v[3:4], off offset:3328
	v_or_b32_e32 v8, 0xe00, v0
	v_cmp_gt_u32_e32 vcc, s38, v8
	v_mov_b32_e32 v8, 0
	v_mov_b32_e32 v37, 0
	;; [unrolled: 1-line block ×4, first 2 shown]
	s_and_saveexec_b64 s[34:35], vcc
	s_cbranch_execz .LBB42_23
; %bb.20:
	global_load_ubyte v38, v[1:2], off offset:3584
	global_load_ubyte v37, v[3:4], off offset:3584
	v_or_b32_e32 v8, 0xf00, v0
	v_cmp_gt_u32_e32 vcc, s38, v8
	v_mov_b32_e32 v8, 0
	v_mov_b32_e32 v39, 0
	s_and_saveexec_b64 s[36:37], vcc
	s_cbranch_execz .LBB42_22
; %bb.21:
	global_load_ubyte v8, v[1:2], off offset:3840
	global_load_ubyte v39, v[3:4], off offset:3840
.LBB42_22:
	s_or_b64 exec, exec, s[36:37]
.LBB42_23:
	s_or_b64 exec, exec, s[34:35]
.LBB42_24:
	s_or_b64 exec, exec, s[30:31]
.LBB42_25:
	s_or_b64 exec, exec, s[28:29]
.LBB42_26:
	s_or_b64 exec, exec, s[26:27]
.LBB42_27:
	s_or_b64 exec, exec, s[24:25]
.LBB42_28:
	s_or_b64 exec, exec, s[22:23]
.LBB42_29:
	s_or_b64 exec, exec, s[20:21]
.LBB42_30:
	s_or_b64 exec, exec, s[18:19]
.LBB42_31:
	s_or_b64 exec, exec, s[16:17]
.LBB42_32:
	s_or_b64 exec, exec, s[14:15]
.LBB42_33:
	s_or_b64 exec, exec, s[12:13]
.LBB42_34:
	s_or_b64 exec, exec, s[10:11]
.LBB42_35:
	s_or_b64 exec, exec, s[6:7]
.LBB42_36:
	s_or_b64 exec, exec, s[4:5]
.LBB42_37:
	s_or_b64 exec, exec, s[2:3]
	s_waitcnt vmcnt(0)
	v_lshlrev_b32_e32 v1, v11, v10
	v_mov_b32_e32 v10, 8
	v_cmp_lt_u16_sdwa vcc, v11, v10 src0_sel:BYTE_0 src1_sel:DWORD
	v_cndmask_b32_e32 v1, 0, v1, vcc
	s_mov_b32 s3, 0xffff
	v_lshlrev_b32_e32 v2, v9, v12
	v_cmp_lt_u16_sdwa vcc, v9, v10 src0_sel:BYTE_0 src1_sel:DWORD
	v_and_b32_sdwa v1, s3, v1 dst_sel:DWORD dst_unused:UNUSED_PAD src0_sel:DWORD src1_sel:BYTE_0
	v_cndmask_b32_e32 v2, 0, v2, vcc
	v_cndmask_b32_e64 v1, 0, v1, s[0:1]
	v_lshlrev_b16_e32 v2, 8, v2
	v_or_b32_e32 v2, v1, v2
	v_and_b32_e32 v2, 0xffff, v2
	v_cmp_gt_i32_e32 vcc, s38, v5
	v_cndmask_b32_e32 v1, v1, v2, vcc
	v_lshlrev_b32_e32 v3, v13, v17
	v_cmp_lt_u16_sdwa vcc, v13, v10 src0_sel:BYTE_0 src1_sel:DWORD
	v_cndmask_b32_e32 v3, 0, v3, vcc
	s_mov_b32 s4, 0xc0c0304
	v_or_b32_e32 v2, 0x200, v0
	v_perm_b32 v3, v3, v1, s4
	v_lshl_or_b32 v3, v3, 16, v1
	v_cmp_gt_i32_e32 vcc, s38, v2
	v_cndmask_b32_e32 v1, v1, v3, vcc
	v_lshlrev_b32_e32 v4, v14, v15
	v_cmp_lt_u16_sdwa vcc, v14, v10 src0_sel:BYTE_0 src1_sel:DWORD
	s_movk_i32 s2, 0xff
	v_cndmask_b32_e32 v4, 0, v4, vcc
	v_and_b32_sdwa v2, v1, s2 dst_sel:DWORD dst_unused:UNUSED_PAD src0_sel:WORD_1 src1_sel:DWORD
	v_lshlrev_b16_e32 v4, 8, v4
	v_or_b32_e32 v3, 0x300, v0
	v_or_b32_sdwa v2, v2, v4 dst_sel:WORD_1 dst_unused:UNUSED_PAD src0_sel:DWORD src1_sel:DWORD
	v_and_or_b32 v2, v1, s3, v2
	v_cmp_gt_i32_e32 vcc, s38, v3
	v_cndmask_b32_e32 v4, v1, v2, vcc
	v_lshlrev_b32_e32 v1, v16, v18
	v_cmp_lt_u16_sdwa vcc, v16, v10 src0_sel:BYTE_0 src1_sel:DWORD
	v_cndmask_b32_e32 v1, 0, v1, vcc
	s_mov_b32 s5, 0x3020104
	v_or_b32_e32 v2, 0x400, v0
	v_perm_b32 v1, v1, 0, s5
	v_cmp_gt_i32_e32 vcc, s38, v2
	v_cndmask_b32_e32 v1, 0, v1, vcc
	v_lshlrev_b32_e32 v2, v19, v23
	v_cmp_lt_u16_sdwa vcc, v19, v10 src0_sel:BYTE_0 src1_sel:DWORD
	v_cndmask_b32_e32 v2, 0, v2, vcc
	v_lshlrev_b16_e32 v2, 8, v2
	v_or_b32_sdwa v2, v1, v2 dst_sel:DWORD dst_unused:UNUSED_PAD src0_sel:BYTE_0 src1_sel:DWORD
	v_and_b32_e32 v2, 0xffff, v2
	s_mov_b32 s6, 0xffff0000
	v_or_b32_e32 v3, 0x500, v0
	v_and_or_b32 v2, v1, s6, v2
	v_cmp_gt_i32_e32 vcc, s38, v3
	v_cndmask_b32_e32 v1, v1, v2, vcc
	v_lshlrev_b32_e32 v3, v21, v24
	v_cmp_lt_u16_sdwa vcc, v21, v10 src0_sel:BYTE_0 src1_sel:DWORD
	v_or_b32_e32 v2, 0x600, v0
	v_cndmask_b32_e32 v3, 0, v3, vcc
	s_mov_b32 s7, 0x7000504
	v_perm_b32 v3, v1, v3, s7
	v_cmp_gt_i32_e32 vcc, s38, v2
	v_cndmask_b32_e32 v1, v1, v3, vcc
	v_lshlrev_b32_e32 v9, v25, v20
	v_cmp_lt_u16_sdwa vcc, v25, v10 src0_sel:BYTE_0 src1_sel:DWORD
	v_cndmask_b32_e32 v9, 0, v9, vcc
	v_and_b32_sdwa v2, v1, s2 dst_sel:DWORD dst_unused:UNUSED_PAD src0_sel:WORD_1 src1_sel:DWORD
	v_lshlrev_b16_e32 v9, 8, v9
	v_or_b32_e32 v3, 0x700, v0
	v_or_b32_sdwa v2, v2, v9 dst_sel:WORD_1 dst_unused:UNUSED_PAD src0_sel:DWORD src1_sel:DWORD
	v_and_or_b32 v2, v1, s3, v2
	v_cmp_gt_i32_e32 vcc, s38, v3
	v_cndmask_b32_e32 v3, v1, v2, vcc
	v_lshlrev_b32_e32 v2, v22, v26
	v_cmp_lt_u16_sdwa vcc, v22, v10 src0_sel:BYTE_0 src1_sel:DWORD
	v_or_b32_e32 v1, 0x800, v0
	v_cndmask_b32_e32 v2, 0, v2, vcc
	v_and_b32_sdwa v2, s3, v2 dst_sel:DWORD dst_unused:UNUSED_PAD src0_sel:DWORD src1_sel:BYTE_0
	v_cmp_gt_i32_e32 vcc, s38, v1
	v_cndmask_b32_e32 v1, 0, v2, vcc
	v_lshlrev_b32_e32 v9, v27, v28
	v_cmp_lt_u16_sdwa vcc, v27, v10 src0_sel:BYTE_0 src1_sel:DWORD
	v_cndmask_b32_e32 v9, 0, v9, vcc
	v_lshlrev_b16_e32 v9, 8, v9
	v_or_b32_e32 v2, 0x900, v0
	v_or_b32_e32 v9, v1, v9
	v_and_b32_e32 v9, 0xffff, v9
	v_cmp_gt_i32_e32 vcc, s38, v2
	v_cndmask_b32_e32 v1, v1, v9, vcc
	v_lshlrev_b32_e32 v9, v29, v30
	v_cmp_lt_u16_sdwa vcc, v29, v10 src0_sel:BYTE_0 src1_sel:DWORD
	v_cndmask_b32_e32 v9, 0, v9, vcc
	v_or_b32_e32 v2, 0xa00, v0
	v_perm_b32 v9, v9, v1, s4
	v_lshl_or_b32 v9, v9, 16, v1
	v_cmp_gt_i32_e32 vcc, s38, v2
	v_cndmask_b32_e32 v1, v1, v9, vcc
	v_lshlrev_b32_e32 v11, v31, v32
	v_cmp_lt_u16_sdwa vcc, v31, v10 src0_sel:BYTE_0 src1_sel:DWORD
	v_cndmask_b32_e32 v11, 0, v11, vcc
	v_and_b32_sdwa v2, v1, s2 dst_sel:DWORD dst_unused:UNUSED_PAD src0_sel:WORD_1 src1_sel:DWORD
	v_lshlrev_b16_e32 v11, 8, v11
	v_or_b32_e32 v9, 0xb00, v0
	v_or_b32_sdwa v2, v2, v11 dst_sel:WORD_1 dst_unused:UNUSED_PAD src0_sel:DWORD src1_sel:DWORD
	v_and_or_b32 v2, v1, s3, v2
	v_cmp_gt_i32_e32 vcc, s38, v9
	v_cndmask_b32_e32 v2, v1, v2, vcc
	v_lshlrev_b32_e32 v1, v33, v34
	v_cmp_lt_u16_sdwa vcc, v33, v10 src0_sel:BYTE_0 src1_sel:DWORD
	v_cndmask_b32_e32 v1, 0, v1, vcc
	v_or_b32_e32 v9, 0xc00, v0
	v_perm_b32 v1, v1, 0, s5
	v_cmp_gt_i32_e32 vcc, s38, v9
	v_cndmask_b32_e32 v1, 0, v1, vcc
	v_lshlrev_b32_e32 v9, v35, v36
	v_cmp_lt_u16_sdwa vcc, v35, v10 src0_sel:BYTE_0 src1_sel:DWORD
	v_cndmask_b32_e32 v9, 0, v9, vcc
	v_lshlrev_b16_e32 v9, 8, v9
	v_or_b32_sdwa v9, v1, v9 dst_sel:DWORD dst_unused:UNUSED_PAD src0_sel:BYTE_0 src1_sel:DWORD
	v_and_b32_e32 v9, 0xffff, v9
	v_or_b32_e32 v11, 0xd00, v0
	v_and_or_b32 v9, v1, s6, v9
	v_cmp_gt_i32_e32 vcc, s38, v11
	v_cndmask_b32_e32 v1, v1, v9, vcc
	v_lshlrev_b32_e32 v11, v37, v38
	v_cmp_lt_u16_sdwa vcc, v37, v10 src0_sel:BYTE_0 src1_sel:DWORD
	v_or_b32_e32 v9, 0xe00, v0
	v_cndmask_b32_e32 v11, 0, v11, vcc
	v_perm_b32 v11, v1, v11, s7
	v_cmp_gt_i32_e32 vcc, s38, v9
	v_cndmask_b32_e32 v1, v1, v11, vcc
	v_lshlrev_b32_e32 v8, v39, v8
	v_cmp_lt_u16_sdwa vcc, v39, v10 src0_sel:BYTE_0 src1_sel:DWORD
	v_and_b32_sdwa v9, v1, s2 dst_sel:DWORD dst_unused:UNUSED_PAD src0_sel:WORD_1 src1_sel:DWORD
	v_cndmask_b32_sdwa v7, v7, v8, vcc dst_sel:BYTE_1 dst_unused:UNUSED_PAD src0_sel:DWORD src1_sel:DWORD
	v_or_b32_e32 v11, 0xf00, v0
	v_or_b32_sdwa v7, v9, v7 dst_sel:WORD_1 dst_unused:UNUSED_PAD src0_sel:DWORD src1_sel:DWORD
	v_and_or_b32 v7, v1, s3, v7
	v_cmp_gt_i32_e32 vcc, s38, v11
	v_cndmask_b32_e32 v1, v1, v7, vcc
	s_and_saveexec_b64 s[2:3], s[0:1]
	s_cbranch_execnz .LBB42_55
; %bb.38:
	s_or_b64 exec, exec, s[2:3]
	v_cmp_gt_i32_e32 vcc, s38, v0
	s_and_saveexec_b64 s[0:1], vcc
	s_cbranch_execnz .LBB42_56
.LBB42_39:
	s_or_b64 exec, exec, s[0:1]
	v_cmp_gt_i32_e32 vcc, s38, v0
	s_and_saveexec_b64 s[0:1], vcc
	s_cbranch_execnz .LBB42_57
.LBB42_40:
	s_or_b64 exec, exec, s[0:1]
	v_cmp_gt_i32_e32 vcc, s38, v0
	s_and_saveexec_b64 s[0:1], vcc
	s_cbranch_execnz .LBB42_58
.LBB42_41:
	s_or_b64 exec, exec, s[0:1]
	v_cmp_gt_i32_e32 vcc, s38, v0
	s_and_saveexec_b64 s[0:1], vcc
	s_cbranch_execnz .LBB42_59
.LBB42_42:
	s_or_b64 exec, exec, s[0:1]
	v_cmp_gt_i32_e32 vcc, s38, v0
	s_and_saveexec_b64 s[0:1], vcc
	s_cbranch_execnz .LBB42_60
.LBB42_43:
	s_or_b64 exec, exec, s[0:1]
	v_cmp_gt_i32_e32 vcc, s38, v0
	s_and_saveexec_b64 s[0:1], vcc
	s_cbranch_execnz .LBB42_61
.LBB42_44:
	s_or_b64 exec, exec, s[0:1]
	v_cmp_gt_i32_e32 vcc, s38, v0
	s_and_saveexec_b64 s[0:1], vcc
	s_cbranch_execnz .LBB42_62
.LBB42_45:
	s_or_b64 exec, exec, s[0:1]
	v_cmp_gt_i32_e32 vcc, s38, v0
	s_and_saveexec_b64 s[0:1], vcc
	s_cbranch_execnz .LBB42_63
.LBB42_46:
	s_or_b64 exec, exec, s[0:1]
	v_cmp_gt_i32_e32 vcc, s38, v0
	s_and_saveexec_b64 s[0:1], vcc
	s_cbranch_execnz .LBB42_64
.LBB42_47:
	s_or_b64 exec, exec, s[0:1]
	v_cmp_gt_i32_e32 vcc, s38, v0
	s_and_saveexec_b64 s[0:1], vcc
	s_cbranch_execnz .LBB42_65
.LBB42_48:
	s_or_b64 exec, exec, s[0:1]
	v_cmp_gt_i32_e32 vcc, s38, v0
	s_and_saveexec_b64 s[0:1], vcc
	s_cbranch_execnz .LBB42_66
.LBB42_49:
	s_or_b64 exec, exec, s[0:1]
	v_cmp_gt_i32_e32 vcc, s38, v0
	s_and_saveexec_b64 s[0:1], vcc
	s_cbranch_execnz .LBB42_67
.LBB42_50:
	s_or_b64 exec, exec, s[0:1]
	v_cmp_gt_i32_e32 vcc, s38, v0
	s_and_saveexec_b64 s[0:1], vcc
	s_cbranch_execnz .LBB42_68
.LBB42_51:
	s_or_b64 exec, exec, s[0:1]
	v_cmp_gt_i32_e32 vcc, s38, v0
	s_and_saveexec_b64 s[0:1], vcc
	s_cbranch_execnz .LBB42_69
.LBB42_52:
	s_or_b64 exec, exec, s[0:1]
	v_cmp_gt_i32_e32 vcc, s38, v0
	s_and_saveexec_b64 s[0:1], vcc
	s_cbranch_execz .LBB42_54
.LBB42_53:
	v_lshrrev_b32_e32 v1, 24, v1
	v_add_u32_e32 v0, s33, v0
	global_store_byte v0, v1, s[8:9]
.LBB42_54:
	s_endpgm
.LBB42_55:
	v_mov_b32_e32 v0, v5
	global_store_byte v6, v4, s[8:9]
	s_or_b64 exec, exec, s[2:3]
	v_cmp_gt_i32_e32 vcc, s38, v0
	s_and_saveexec_b64 s[0:1], vcc
	s_cbranch_execz .LBB42_39
.LBB42_56:
	v_lshrrev_b32_e32 v5, 8, v4
	v_add_u32_e32 v6, s33, v0
	v_add_u32_e32 v0, 0x100, v0
	global_store_byte v6, v5, s[8:9]
	s_or_b64 exec, exec, s[0:1]
	v_cmp_gt_i32_e32 vcc, s38, v0
	s_and_saveexec_b64 s[0:1], vcc
	s_cbranch_execz .LBB42_40
.LBB42_57:
	v_add_u32_e32 v5, s33, v0
	v_add_u32_e32 v0, 0x100, v0
	global_store_byte_d16_hi v5, v4, s[8:9]
	s_or_b64 exec, exec, s[0:1]
	v_cmp_gt_i32_e32 vcc, s38, v0
	s_and_saveexec_b64 s[0:1], vcc
	s_cbranch_execz .LBB42_41
.LBB42_58:
	v_lshrrev_b32_e32 v4, 24, v4
	v_add_u32_e32 v5, s33, v0
	v_add_u32_e32 v0, 0x100, v0
	global_store_byte v5, v4, s[8:9]
	s_or_b64 exec, exec, s[0:1]
	v_cmp_gt_i32_e32 vcc, s38, v0
	s_and_saveexec_b64 s[0:1], vcc
	s_cbranch_execz .LBB42_42
.LBB42_59:
	v_add_u32_e32 v4, s33, v0
	v_add_u32_e32 v0, 0x100, v0
	global_store_byte v4, v3, s[8:9]
	s_or_b64 exec, exec, s[0:1]
	v_cmp_gt_i32_e32 vcc, s38, v0
	s_and_saveexec_b64 s[0:1], vcc
	s_cbranch_execz .LBB42_43
.LBB42_60:
	v_lshrrev_b32_e32 v4, 8, v3
	v_add_u32_e32 v5, s33, v0
	v_add_u32_e32 v0, 0x100, v0
	global_store_byte v5, v4, s[8:9]
	s_or_b64 exec, exec, s[0:1]
	v_cmp_gt_i32_e32 vcc, s38, v0
	s_and_saveexec_b64 s[0:1], vcc
	s_cbranch_execz .LBB42_44
.LBB42_61:
	v_add_u32_e32 v4, s33, v0
	v_add_u32_e32 v0, 0x100, v0
	global_store_byte_d16_hi v4, v3, s[8:9]
	s_or_b64 exec, exec, s[0:1]
	v_cmp_gt_i32_e32 vcc, s38, v0
	s_and_saveexec_b64 s[0:1], vcc
	s_cbranch_execz .LBB42_45
.LBB42_62:
	v_lshrrev_b32_e32 v3, 24, v3
	v_add_u32_e32 v4, s33, v0
	v_add_u32_e32 v0, 0x100, v0
	global_store_byte v4, v3, s[8:9]
	s_or_b64 exec, exec, s[0:1]
	v_cmp_gt_i32_e32 vcc, s38, v0
	s_and_saveexec_b64 s[0:1], vcc
	s_cbranch_execz .LBB42_46
.LBB42_63:
	v_add_u32_e32 v3, s33, v0
	v_add_u32_e32 v0, 0x100, v0
	global_store_byte v3, v2, s[8:9]
	s_or_b64 exec, exec, s[0:1]
	v_cmp_gt_i32_e32 vcc, s38, v0
	s_and_saveexec_b64 s[0:1], vcc
	s_cbranch_execz .LBB42_47
.LBB42_64:
	v_lshrrev_b32_e32 v3, 8, v2
	v_add_u32_e32 v4, s33, v0
	v_add_u32_e32 v0, 0x100, v0
	global_store_byte v4, v3, s[8:9]
	s_or_b64 exec, exec, s[0:1]
	v_cmp_gt_i32_e32 vcc, s38, v0
	s_and_saveexec_b64 s[0:1], vcc
	s_cbranch_execz .LBB42_48
.LBB42_65:
	v_add_u32_e32 v3, s33, v0
	v_add_u32_e32 v0, 0x100, v0
	global_store_byte_d16_hi v3, v2, s[8:9]
	s_or_b64 exec, exec, s[0:1]
	v_cmp_gt_i32_e32 vcc, s38, v0
	s_and_saveexec_b64 s[0:1], vcc
	s_cbranch_execz .LBB42_49
.LBB42_66:
	v_lshrrev_b32_e32 v2, 24, v2
	v_add_u32_e32 v3, s33, v0
	v_add_u32_e32 v0, 0x100, v0
	global_store_byte v3, v2, s[8:9]
	s_or_b64 exec, exec, s[0:1]
	v_cmp_gt_i32_e32 vcc, s38, v0
	s_and_saveexec_b64 s[0:1], vcc
	s_cbranch_execz .LBB42_50
.LBB42_67:
	v_add_u32_e32 v2, s33, v0
	v_add_u32_e32 v0, 0x100, v0
	global_store_byte v2, v1, s[8:9]
	s_or_b64 exec, exec, s[0:1]
	v_cmp_gt_i32_e32 vcc, s38, v0
	s_and_saveexec_b64 s[0:1], vcc
	s_cbranch_execz .LBB42_51
.LBB42_68:
	v_lshrrev_b32_e32 v2, 8, v1
	v_add_u32_e32 v3, s33, v0
	v_add_u32_e32 v0, 0x100, v0
	global_store_byte v3, v2, s[8:9]
	s_or_b64 exec, exec, s[0:1]
	v_cmp_gt_i32_e32 vcc, s38, v0
	s_and_saveexec_b64 s[0:1], vcc
	s_cbranch_execz .LBB42_52
.LBB42_69:
	v_add_u32_e32 v2, s33, v0
	v_add_u32_e32 v0, 0x100, v0
	global_store_byte_d16_hi v2, v1, s[8:9]
	s_or_b64 exec, exec, s[0:1]
	v_cmp_gt_i32_e32 vcc, s38, v0
	s_and_saveexec_b64 s[0:1], vcc
	s_cbranch_execnz .LBB42_53
	s_branch .LBB42_54
	.section	.rodata,"a",@progbits
	.p2align	6, 0x0
	.amdhsa_kernel _ZN2at6native29vectorized_elementwise_kernelILi4ENS0_13BinaryFunctorIaaaZZZNS0_18lshift_kernel_cudaERNS_18TensorIteratorBaseEENKUlvE_clEvENKUlvE0_clEvEUlaaE_EESt5arrayIPcLm3EEEEviT0_T1_
		.amdhsa_group_segment_fixed_size 0
		.amdhsa_private_segment_fixed_size 0
		.amdhsa_kernarg_size 32
		.amdhsa_user_sgpr_count 6
		.amdhsa_user_sgpr_private_segment_buffer 1
		.amdhsa_user_sgpr_dispatch_ptr 0
		.amdhsa_user_sgpr_queue_ptr 0
		.amdhsa_user_sgpr_kernarg_segment_ptr 1
		.amdhsa_user_sgpr_dispatch_id 0
		.amdhsa_user_sgpr_flat_scratch_init 0
		.amdhsa_user_sgpr_private_segment_size 0
		.amdhsa_uses_dynamic_stack 0
		.amdhsa_system_sgpr_private_segment_wavefront_offset 0
		.amdhsa_system_sgpr_workgroup_id_x 1
		.amdhsa_system_sgpr_workgroup_id_y 0
		.amdhsa_system_sgpr_workgroup_id_z 0
		.amdhsa_system_sgpr_workgroup_info 0
		.amdhsa_system_vgpr_workitem_id 0
		.amdhsa_next_free_vgpr 40
		.amdhsa_next_free_sgpr 39
		.amdhsa_reserve_vcc 1
		.amdhsa_reserve_flat_scratch 0
		.amdhsa_float_round_mode_32 0
		.amdhsa_float_round_mode_16_64 0
		.amdhsa_float_denorm_mode_32 3
		.amdhsa_float_denorm_mode_16_64 3
		.amdhsa_dx10_clamp 1
		.amdhsa_ieee_mode 1
		.amdhsa_fp16_overflow 0
		.amdhsa_exception_fp_ieee_invalid_op 0
		.amdhsa_exception_fp_denorm_src 0
		.amdhsa_exception_fp_ieee_div_zero 0
		.amdhsa_exception_fp_ieee_overflow 0
		.amdhsa_exception_fp_ieee_underflow 0
		.amdhsa_exception_fp_ieee_inexact 0
		.amdhsa_exception_int_div_zero 0
	.end_amdhsa_kernel
	.section	.text._ZN2at6native29vectorized_elementwise_kernelILi4ENS0_13BinaryFunctorIaaaZZZNS0_18lshift_kernel_cudaERNS_18TensorIteratorBaseEENKUlvE_clEvENKUlvE0_clEvEUlaaE_EESt5arrayIPcLm3EEEEviT0_T1_,"axG",@progbits,_ZN2at6native29vectorized_elementwise_kernelILi4ENS0_13BinaryFunctorIaaaZZZNS0_18lshift_kernel_cudaERNS_18TensorIteratorBaseEENKUlvE_clEvENKUlvE0_clEvEUlaaE_EESt5arrayIPcLm3EEEEviT0_T1_,comdat
.Lfunc_end42:
	.size	_ZN2at6native29vectorized_elementwise_kernelILi4ENS0_13BinaryFunctorIaaaZZZNS0_18lshift_kernel_cudaERNS_18TensorIteratorBaseEENKUlvE_clEvENKUlvE0_clEvEUlaaE_EESt5arrayIPcLm3EEEEviT0_T1_, .Lfunc_end42-_ZN2at6native29vectorized_elementwise_kernelILi4ENS0_13BinaryFunctorIaaaZZZNS0_18lshift_kernel_cudaERNS_18TensorIteratorBaseEENKUlvE_clEvENKUlvE0_clEvEUlaaE_EESt5arrayIPcLm3EEEEviT0_T1_
                                        ; -- End function
	.set _ZN2at6native29vectorized_elementwise_kernelILi4ENS0_13BinaryFunctorIaaaZZZNS0_18lshift_kernel_cudaERNS_18TensorIteratorBaseEENKUlvE_clEvENKUlvE0_clEvEUlaaE_EESt5arrayIPcLm3EEEEviT0_T1_.num_vgpr, 40
	.set _ZN2at6native29vectorized_elementwise_kernelILi4ENS0_13BinaryFunctorIaaaZZZNS0_18lshift_kernel_cudaERNS_18TensorIteratorBaseEENKUlvE_clEvENKUlvE0_clEvEUlaaE_EESt5arrayIPcLm3EEEEviT0_T1_.num_agpr, 0
	.set _ZN2at6native29vectorized_elementwise_kernelILi4ENS0_13BinaryFunctorIaaaZZZNS0_18lshift_kernel_cudaERNS_18TensorIteratorBaseEENKUlvE_clEvENKUlvE0_clEvEUlaaE_EESt5arrayIPcLm3EEEEviT0_T1_.numbered_sgpr, 39
	.set _ZN2at6native29vectorized_elementwise_kernelILi4ENS0_13BinaryFunctorIaaaZZZNS0_18lshift_kernel_cudaERNS_18TensorIteratorBaseEENKUlvE_clEvENKUlvE0_clEvEUlaaE_EESt5arrayIPcLm3EEEEviT0_T1_.num_named_barrier, 0
	.set _ZN2at6native29vectorized_elementwise_kernelILi4ENS0_13BinaryFunctorIaaaZZZNS0_18lshift_kernel_cudaERNS_18TensorIteratorBaseEENKUlvE_clEvENKUlvE0_clEvEUlaaE_EESt5arrayIPcLm3EEEEviT0_T1_.private_seg_size, 0
	.set _ZN2at6native29vectorized_elementwise_kernelILi4ENS0_13BinaryFunctorIaaaZZZNS0_18lshift_kernel_cudaERNS_18TensorIteratorBaseEENKUlvE_clEvENKUlvE0_clEvEUlaaE_EESt5arrayIPcLm3EEEEviT0_T1_.uses_vcc, 1
	.set _ZN2at6native29vectorized_elementwise_kernelILi4ENS0_13BinaryFunctorIaaaZZZNS0_18lshift_kernel_cudaERNS_18TensorIteratorBaseEENKUlvE_clEvENKUlvE0_clEvEUlaaE_EESt5arrayIPcLm3EEEEviT0_T1_.uses_flat_scratch, 0
	.set _ZN2at6native29vectorized_elementwise_kernelILi4ENS0_13BinaryFunctorIaaaZZZNS0_18lshift_kernel_cudaERNS_18TensorIteratorBaseEENKUlvE_clEvENKUlvE0_clEvEUlaaE_EESt5arrayIPcLm3EEEEviT0_T1_.has_dyn_sized_stack, 0
	.set _ZN2at6native29vectorized_elementwise_kernelILi4ENS0_13BinaryFunctorIaaaZZZNS0_18lshift_kernel_cudaERNS_18TensorIteratorBaseEENKUlvE_clEvENKUlvE0_clEvEUlaaE_EESt5arrayIPcLm3EEEEviT0_T1_.has_recursion, 0
	.set _ZN2at6native29vectorized_elementwise_kernelILi4ENS0_13BinaryFunctorIaaaZZZNS0_18lshift_kernel_cudaERNS_18TensorIteratorBaseEENKUlvE_clEvENKUlvE0_clEvEUlaaE_EESt5arrayIPcLm3EEEEviT0_T1_.has_indirect_call, 0
	.section	.AMDGPU.csdata,"",@progbits
; Kernel info:
; codeLenInByte = 4148
; TotalNumSgprs: 43
; NumVgprs: 40
; ScratchSize: 0
; MemoryBound: 0
; FloatMode: 240
; IeeeMode: 1
; LDSByteSize: 0 bytes/workgroup (compile time only)
; SGPRBlocks: 5
; VGPRBlocks: 9
; NumSGPRsForWavesPerEU: 43
; NumVGPRsForWavesPerEU: 40
; Occupancy: 6
; WaveLimiterHint : 1
; COMPUTE_PGM_RSRC2:SCRATCH_EN: 0
; COMPUTE_PGM_RSRC2:USER_SGPR: 6
; COMPUTE_PGM_RSRC2:TRAP_HANDLER: 0
; COMPUTE_PGM_RSRC2:TGID_X_EN: 1
; COMPUTE_PGM_RSRC2:TGID_Y_EN: 0
; COMPUTE_PGM_RSRC2:TGID_Z_EN: 0
; COMPUTE_PGM_RSRC2:TIDIG_COMP_CNT: 0
	.section	.text._ZN2at6native29vectorized_elementwise_kernelILi2ENS0_13BinaryFunctorIaaaZZZNS0_18lshift_kernel_cudaERNS_18TensorIteratorBaseEENKUlvE_clEvENKUlvE0_clEvEUlaaE_EESt5arrayIPcLm3EEEEviT0_T1_,"axG",@progbits,_ZN2at6native29vectorized_elementwise_kernelILi2ENS0_13BinaryFunctorIaaaZZZNS0_18lshift_kernel_cudaERNS_18TensorIteratorBaseEENKUlvE_clEvENKUlvE0_clEvEUlaaE_EESt5arrayIPcLm3EEEEviT0_T1_,comdat
	.globl	_ZN2at6native29vectorized_elementwise_kernelILi2ENS0_13BinaryFunctorIaaaZZZNS0_18lshift_kernel_cudaERNS_18TensorIteratorBaseEENKUlvE_clEvENKUlvE0_clEvEUlaaE_EESt5arrayIPcLm3EEEEviT0_T1_ ; -- Begin function _ZN2at6native29vectorized_elementwise_kernelILi2ENS0_13BinaryFunctorIaaaZZZNS0_18lshift_kernel_cudaERNS_18TensorIteratorBaseEENKUlvE_clEvENKUlvE0_clEvEUlaaE_EESt5arrayIPcLm3EEEEviT0_T1_
	.p2align	8
	.type	_ZN2at6native29vectorized_elementwise_kernelILi2ENS0_13BinaryFunctorIaaaZZZNS0_18lshift_kernel_cudaERNS_18TensorIteratorBaseEENKUlvE_clEvENKUlvE0_clEvEUlaaE_EESt5arrayIPcLm3EEEEviT0_T1_,@function
_ZN2at6native29vectorized_elementwise_kernelILi2ENS0_13BinaryFunctorIaaaZZZNS0_18lshift_kernel_cudaERNS_18TensorIteratorBaseEENKUlvE_clEvENKUlvE0_clEvEUlaaE_EESt5arrayIPcLm3EEEEviT0_T1_: ; @_ZN2at6native29vectorized_elementwise_kernelILi2ENS0_13BinaryFunctorIaaaZZZNS0_18lshift_kernel_cudaERNS_18TensorIteratorBaseEENKUlvE_clEvENKUlvE0_clEvEUlaaE_EESt5arrayIPcLm3EEEEviT0_T1_
; %bb.0:
	s_load_dword s0, s[4:5], 0x0
	s_load_dwordx4 s[8:11], s[4:5], 0x8
	s_load_dwordx2 s[12:13], s[4:5], 0x18
	s_lshl_b32 s33, s6, 12
	s_waitcnt lgkmcnt(0)
	s_sub_i32 s38, s0, s33
	s_cmpk_gt_i32 s38, 0xfff
	s_mov_b64 s[0:1], -1
	s_cbranch_scc0 .LBB43_2
; %bb.1:
	s_ashr_i32 s4, s33, 31
	s_add_u32 s0, s10, s33
	s_addc_u32 s1, s11, s4
	s_add_u32 s2, s12, s33
	v_lshlrev_b32_e32 v1, 1, v0
	s_addc_u32 s3, s13, s4
	global_load_ushort v2, v1, s[2:3]
	global_load_ushort v3, v1, s[0:1]
	global_load_ushort v4, v1, s[2:3] offset:512
	global_load_ushort v5, v1, s[0:1] offset:512
	;; [unrolled: 1-line block ×13, first 2 shown]
                                        ; kill: killed $sgpr2 killed $sgpr3
	global_load_ushort v17, v1, s[0:1] offset:3584
	s_movk_i32 s6, 0x800
	s_mov_b32 s5, 0xffff
	s_waitcnt vmcnt(15)
	v_cmp_gt_u16_e32 vcc, s6, v2
	s_waitcnt vmcnt(14)
	v_lshlrev_b32_sdwa v20, v2, v3 dst_sel:DWORD dst_unused:UNUSED_PAD src0_sel:BYTE_1 src1_sel:BYTE_1
	v_cndmask_b32_e32 v20, 0, v20, vcc
	v_and_b32_e32 v18, 0xf8, v2
	v_and_b32_sdwa v19, s5, v2 dst_sel:DWORD dst_unused:UNUSED_PAD src0_sel:DWORD src1_sel:BYTE_0
	s_waitcnt vmcnt(13)
	v_and_b32_e32 v2, 0xf8, v4
	s_waitcnt vmcnt(9)
	v_cmp_gt_u16_e32 vcc, s6, v8
	s_waitcnt vmcnt(8)
	v_lshlrev_b32_sdwa v26, v8, v9 dst_sel:DWORD dst_unused:UNUSED_PAD src0_sel:BYTE_1 src1_sel:BYTE_1
	v_and_b32_sdwa v21, s5, v4 dst_sel:DWORD dst_unused:UNUSED_PAD src0_sel:DWORD src1_sel:BYTE_0
	v_lshlrev_b32_sdwa v22, v4, v5 dst_sel:DWORD dst_unused:UNUSED_PAD src0_sel:BYTE_1 src1_sel:BYTE_1
	v_cmp_gt_u16_e64 s[0:1], s6, v4
	v_and_b32_e32 v4, 0xf8, v6
	v_and_b32_sdwa v23, s5, v6 dst_sel:DWORD dst_unused:UNUSED_PAD src0_sel:DWORD src1_sel:BYTE_0
	v_lshlrev_b32_sdwa v24, v6, v7 dst_sel:DWORD dst_unused:UNUSED_PAD src0_sel:BYTE_1 src1_sel:BYTE_1
	v_cmp_gt_u16_e64 s[2:3], s6, v6
	v_and_b32_e32 v6, 0xf8, v8
	v_and_b32_sdwa v25, s5, v8 dst_sel:DWORD dst_unused:UNUSED_PAD src0_sel:DWORD src1_sel:BYTE_0
	s_waitcnt vmcnt(6)
	v_lshlrev_b32_sdwa v29, v10, v11 dst_sel:DWORD dst_unused:UNUSED_PAD src0_sel:BYTE_1 src1_sel:BYTE_1
	v_cndmask_b32_e32 v8, 0, v26, vcc
	v_cmp_gt_u16_e32 vcc, s6, v10
	v_and_b32_e32 v27, 0xf8, v10
	v_and_b32_sdwa v28, s5, v10 dst_sel:DWORD dst_unused:UNUSED_PAD src0_sel:DWORD src1_sel:BYTE_0
	s_waitcnt vmcnt(4)
	v_lshlrev_b32_sdwa v32, v12, v13 dst_sel:DWORD dst_unused:UNUSED_PAD src0_sel:BYTE_1 src1_sel:BYTE_1
	v_cndmask_b32_e32 v10, 0, v29, vcc
	v_cmp_gt_u16_e32 vcc, s6, v12
	;; [unrolled: 6-line block ×3, first 2 shown]
	v_and_b32_e32 v33, 0xf8, v14
	v_and_b32_sdwa v34, s5, v14 dst_sel:DWORD dst_unused:UNUSED_PAD src0_sel:DWORD src1_sel:BYTE_0
	v_lshlrev_b32_e32 v7, v23, v7
	s_waitcnt vmcnt(0)
	v_lshlrev_b32_sdwa v23, v16, v17 dst_sel:DWORD dst_unused:UNUSED_PAD src0_sel:BYTE_1 src1_sel:BYTE_1
	v_cndmask_b32_e32 v14, 0, v35, vcc
	v_cmp_gt_u16_e32 vcc, s6, v16
	v_lshlrev_b32_e32 v3, v19, v3
	v_and_b32_e32 v19, 0xf8, v16
	v_lshlrev_b32_e32 v5, v21, v5
	v_and_b32_sdwa v21, s5, v16 dst_sel:DWORD dst_unused:UNUSED_PAD src0_sel:DWORD src1_sel:BYTE_0
	v_cndmask_b32_e32 v16, 0, v23, vcc
	v_cmp_eq_u16_e32 vcc, 0, v18
	v_cndmask_b32_e32 v3, 0, v3, vcc
	v_cmp_eq_u16_e32 vcc, 0, v2
	;; [unrolled: 2-line block ×3, first 2 shown]
	v_lshlrev_b32_e32 v9, v25, v9
	v_cndmask_b32_e32 v4, 0, v7, vcc
	v_cmp_eq_u16_e32 vcc, 0, v6
	v_lshlrev_b32_e32 v11, v28, v11
	v_cndmask_b32_e32 v5, 0, v9, vcc
	v_cmp_eq_u16_e32 vcc, 0, v27
	v_cndmask_b32_e64 v24, 0, v24, s[2:3]
	v_lshlrev_b32_e32 v13, v31, v13
	v_cndmask_b32_e32 v6, 0, v11, vcc
	v_cmp_eq_u16_e32 vcc, 0, v30
	v_lshlrev_b16_e32 v8, 8, v8
	v_cndmask_b32_e64 v22, 0, v22, s[0:1]
	v_lshlrev_b32_e32 v15, v34, v15
	v_cndmask_b32_e32 v7, 0, v13, vcc
	v_cmp_eq_u16_e32 vcc, 0, v33
	v_or_b32_sdwa v5, v5, v8 dst_sel:DWORD dst_unused:UNUSED_PAD src0_sel:BYTE_0 src1_sel:DWORD
	v_lshlrev_b16_e32 v8, 8, v24
	v_lshlrev_b32_e32 v17, v21, v17
	v_cndmask_b32_e32 v9, 0, v15, vcc
	v_cmp_eq_u16_e32 vcc, 0, v19
	v_or_b32_sdwa v4, v4, v8 dst_sel:DWORD dst_unused:UNUSED_PAD src0_sel:BYTE_0 src1_sel:DWORD
	v_lshlrev_b16_e32 v8, 8, v22
	v_cndmask_b32_e32 v11, 0, v17, vcc
	v_lshlrev_b16_e32 v13, 8, v16
	v_or_b32_sdwa v2, v2, v8 dst_sel:DWORD dst_unused:UNUSED_PAD src0_sel:BYTE_0 src1_sel:DWORD
	v_lshlrev_b16_e32 v8, 8, v20
	s_add_u32 s0, s8, s33
	v_or_b32_sdwa v11, v11, v13 dst_sel:DWORD dst_unused:UNUSED_PAD src0_sel:BYTE_0 src1_sel:DWORD
	v_lshlrev_b16_e32 v13, 8, v14
	v_lshlrev_b16_e32 v12, 8, v12
	;; [unrolled: 1-line block ×3, first 2 shown]
	v_or_b32_sdwa v3, v3, v8 dst_sel:DWORD dst_unused:UNUSED_PAD src0_sel:BYTE_0 src1_sel:DWORD
	s_addc_u32 s1, s9, s4
	v_or_b32_sdwa v9, v9, v13 dst_sel:DWORD dst_unused:UNUSED_PAD src0_sel:BYTE_0 src1_sel:DWORD
	v_or_b32_sdwa v7, v7, v12 dst_sel:DWORD dst_unused:UNUSED_PAD src0_sel:BYTE_0 src1_sel:DWORD
	;; [unrolled: 1-line block ×3, first 2 shown]
	global_store_short v1, v3, s[0:1]
	global_store_short v1, v2, s[0:1] offset:512
	global_store_short v1, v4, s[0:1] offset:1024
	;; [unrolled: 1-line block ×7, first 2 shown]
	s_mov_b64 s[0:1], 0
.LBB43_2:
	s_andn2_b64 vcc, exec, s[0:1]
	s_cbranch_vccnz .LBB43_54
; %bb.3:
	v_cmp_gt_i32_e64 s[0:1], s38, v0
	v_cmp_le_i32_e32 vcc, s38, v0
                                        ; implicit-def: $vgpr5
	s_and_saveexec_b64 s[2:3], vcc
	s_xor_b64 s[2:3], exec, s[2:3]
; %bb.4:
	v_or_b32_e32 v5, 0x100, v0
; %bb.5:
	s_or_saveexec_b64 s[2:3], s[2:3]
	v_mov_b32_e32 v39, 0
	v_mov_b32_e32 v7, 0
	v_or_b32_e32 v6, s33, v0
	v_mov_b32_e32 v8, 0
	v_mov_b32_e32 v38, 0
	;; [unrolled: 1-line block ×31, first 2 shown]
	s_xor_b64 exec, exec, s[2:3]
	s_cbranch_execz .LBB43_37
; %bb.6:
	global_load_ubyte v10, v6, s[10:11]
	global_load_ubyte v11, v6, s[12:13]
	v_or_b32_e32 v5, 0x100, v0
	v_cmp_gt_u32_e32 vcc, s38, v5
	v_mov_b32_e32 v8, 0
	v_mov_b32_e32 v9, 0
	;; [unrolled: 1-line block ×30, first 2 shown]
	s_and_saveexec_b64 s[4:5], vcc
	s_cbranch_execz .LBB43_36
; %bb.7:
	v_add_u32_e32 v3, s33, v0
	global_load_ubyte v12, v3, s[10:11] offset:256
	global_load_ubyte v9, v3, s[12:13] offset:256
	v_or_b32_e32 v1, 0x200, v0
	v_mov_b32_e32 v13, 0
	v_cmp_gt_u32_e32 vcc, s38, v1
	v_mov_b32_e32 v17, 0
	v_mov_b32_e32 v14, 0
	;; [unrolled: 1-line block ×27, first 2 shown]
	s_and_saveexec_b64 s[6:7], vcc
	s_cbranch_execz .LBB43_35
; %bb.8:
	v_mov_b32_e32 v2, s11
	v_add_co_u32_e32 v1, vcc, s10, v3
	v_addc_co_u32_e32 v2, vcc, 0, v2, vcc
	v_mov_b32_e32 v4, s13
	v_add_co_u32_e32 v3, vcc, s12, v3
	v_addc_co_u32_e32 v4, vcc, 0, v4, vcc
	global_load_ubyte v17, v[1:2], off offset:512
	global_load_ubyte v13, v[3:4], off offset:512
	v_or_b32_e32 v8, 0x300, v0
	v_cmp_gt_u32_e32 vcc, s38, v8
	v_mov_b32_e32 v8, 0
	v_mov_b32_e32 v14, 0
	;; [unrolled: 1-line block ×26, first 2 shown]
	s_and_saveexec_b64 s[10:11], vcc
	s_cbranch_execz .LBB43_34
; %bb.9:
	global_load_ubyte v15, v[1:2], off offset:768
	global_load_ubyte v14, v[3:4], off offset:768
	v_or_b32_e32 v8, 0x400, v0
	v_cmp_gt_u32_e32 vcc, s38, v8
	v_mov_b32_e32 v8, 0
	v_mov_b32_e32 v16, 0
	;; [unrolled: 1-line block ×24, first 2 shown]
	s_and_saveexec_b64 s[12:13], vcc
	s_cbranch_execz .LBB43_33
; %bb.10:
	global_load_ubyte v18, v[1:2], off offset:1024
	global_load_ubyte v16, v[3:4], off offset:1024
	v_or_b32_e32 v8, 0x500, v0
	v_cmp_gt_u32_e32 vcc, s38, v8
	v_mov_b32_e32 v8, 0
	v_mov_b32_e32 v19, 0
	;; [unrolled: 1-line block ×22, first 2 shown]
	s_and_saveexec_b64 s[14:15], vcc
	s_cbranch_execz .LBB43_32
; %bb.11:
	global_load_ubyte v23, v[1:2], off offset:1280
	global_load_ubyte v19, v[3:4], off offset:1280
	v_or_b32_e32 v8, 0x600, v0
	v_cmp_gt_u32_e32 vcc, s38, v8
	v_mov_b32_e32 v8, 0
	v_mov_b32_e32 v21, 0
	;; [unrolled: 1-line block ×20, first 2 shown]
	s_and_saveexec_b64 s[16:17], vcc
	s_cbranch_execz .LBB43_31
; %bb.12:
	global_load_ubyte v24, v[1:2], off offset:1536
	global_load_ubyte v21, v[3:4], off offset:1536
	v_or_b32_e32 v8, 0x700, v0
	v_cmp_gt_u32_e32 vcc, s38, v8
	v_mov_b32_e32 v8, 0
	v_mov_b32_e32 v25, 0
	;; [unrolled: 1-line block ×18, first 2 shown]
	s_and_saveexec_b64 s[18:19], vcc
	s_cbranch_execz .LBB43_30
; %bb.13:
	global_load_ubyte v20, v[1:2], off offset:1792
	global_load_ubyte v25, v[3:4], off offset:1792
	v_or_b32_e32 v8, 0x800, v0
	v_cmp_gt_u32_e32 vcc, s38, v8
	v_mov_b32_e32 v8, 0
	v_mov_b32_e32 v22, 0
	;; [unrolled: 1-line block ×16, first 2 shown]
	s_and_saveexec_b64 s[20:21], vcc
	s_cbranch_execz .LBB43_29
; %bb.14:
	global_load_ubyte v26, v[1:2], off offset:2048
	global_load_ubyte v22, v[3:4], off offset:2048
	v_or_b32_e32 v8, 0x900, v0
	v_cmp_gt_u32_e32 vcc, s38, v8
	v_mov_b32_e32 v8, 0
	v_mov_b32_e32 v27, 0
	;; [unrolled: 1-line block ×14, first 2 shown]
	s_and_saveexec_b64 s[22:23], vcc
	s_cbranch_execz .LBB43_28
; %bb.15:
	global_load_ubyte v28, v[1:2], off offset:2304
	global_load_ubyte v27, v[3:4], off offset:2304
	v_or_b32_e32 v8, 0xa00, v0
	v_cmp_gt_u32_e32 vcc, s38, v8
	v_mov_b32_e32 v8, 0
	v_mov_b32_e32 v29, 0
	;; [unrolled: 1-line block ×12, first 2 shown]
	s_and_saveexec_b64 s[24:25], vcc
	s_cbranch_execz .LBB43_27
; %bb.16:
	global_load_ubyte v30, v[1:2], off offset:2560
	global_load_ubyte v29, v[3:4], off offset:2560
	v_or_b32_e32 v8, 0xb00, v0
	v_cmp_gt_u32_e32 vcc, s38, v8
	v_mov_b32_e32 v8, 0
	v_mov_b32_e32 v31, 0
	v_mov_b32_e32 v32, 0
	v_mov_b32_e32 v33, 0
	v_mov_b32_e32 v34, 0
	v_mov_b32_e32 v35, 0
	v_mov_b32_e32 v36, 0
	v_mov_b32_e32 v37, 0
	v_mov_b32_e32 v38, 0
	v_mov_b32_e32 v39, 0
	s_and_saveexec_b64 s[26:27], vcc
	s_cbranch_execz .LBB43_26
; %bb.17:
	global_load_ubyte v32, v[1:2], off offset:2816
	global_load_ubyte v31, v[3:4], off offset:2816
	v_or_b32_e32 v8, 0xc00, v0
	v_cmp_gt_u32_e32 vcc, s38, v8
	v_mov_b32_e32 v8, 0
	v_mov_b32_e32 v33, 0
	;; [unrolled: 1-line block ×8, first 2 shown]
	s_and_saveexec_b64 s[28:29], vcc
	s_cbranch_execz .LBB43_25
; %bb.18:
	global_load_ubyte v34, v[1:2], off offset:3072
	global_load_ubyte v33, v[3:4], off offset:3072
	v_or_b32_e32 v8, 0xd00, v0
	v_cmp_gt_u32_e32 vcc, s38, v8
	v_mov_b32_e32 v8, 0
	v_mov_b32_e32 v35, 0
	;; [unrolled: 1-line block ×6, first 2 shown]
	s_and_saveexec_b64 s[30:31], vcc
	s_cbranch_execz .LBB43_24
; %bb.19:
	global_load_ubyte v36, v[1:2], off offset:3328
	global_load_ubyte v35, v[3:4], off offset:3328
	v_or_b32_e32 v8, 0xe00, v0
	v_cmp_gt_u32_e32 vcc, s38, v8
	v_mov_b32_e32 v8, 0
	v_mov_b32_e32 v37, 0
	;; [unrolled: 1-line block ×4, first 2 shown]
	s_and_saveexec_b64 s[34:35], vcc
	s_cbranch_execz .LBB43_23
; %bb.20:
	global_load_ubyte v38, v[1:2], off offset:3584
	global_load_ubyte v37, v[3:4], off offset:3584
	v_or_b32_e32 v8, 0xf00, v0
	v_cmp_gt_u32_e32 vcc, s38, v8
	v_mov_b32_e32 v8, 0
	v_mov_b32_e32 v39, 0
	s_and_saveexec_b64 s[36:37], vcc
	s_cbranch_execz .LBB43_22
; %bb.21:
	global_load_ubyte v8, v[1:2], off offset:3840
	global_load_ubyte v39, v[3:4], off offset:3840
.LBB43_22:
	s_or_b64 exec, exec, s[36:37]
.LBB43_23:
	s_or_b64 exec, exec, s[34:35]
.LBB43_24:
	s_or_b64 exec, exec, s[30:31]
.LBB43_25:
	s_or_b64 exec, exec, s[28:29]
.LBB43_26:
	s_or_b64 exec, exec, s[26:27]
.LBB43_27:
	s_or_b64 exec, exec, s[24:25]
.LBB43_28:
	s_or_b64 exec, exec, s[22:23]
.LBB43_29:
	s_or_b64 exec, exec, s[20:21]
.LBB43_30:
	s_or_b64 exec, exec, s[18:19]
.LBB43_31:
	s_or_b64 exec, exec, s[16:17]
.LBB43_32:
	s_or_b64 exec, exec, s[14:15]
.LBB43_33:
	s_or_b64 exec, exec, s[12:13]
.LBB43_34:
	s_or_b64 exec, exec, s[10:11]
.LBB43_35:
	s_or_b64 exec, exec, s[6:7]
.LBB43_36:
	s_or_b64 exec, exec, s[4:5]
.LBB43_37:
	s_or_b64 exec, exec, s[2:3]
	s_waitcnt vmcnt(0)
	v_lshlrev_b32_e32 v1, v11, v10
	v_mov_b32_e32 v10, 8
	v_cmp_lt_u16_sdwa vcc, v11, v10 src0_sel:BYTE_0 src1_sel:DWORD
	v_cndmask_b32_e32 v1, 0, v1, vcc
	s_mov_b32 s3, 0xffff
	v_lshlrev_b32_e32 v2, v9, v12
	v_cmp_lt_u16_sdwa vcc, v9, v10 src0_sel:BYTE_0 src1_sel:DWORD
	v_and_b32_sdwa v1, s3, v1 dst_sel:DWORD dst_unused:UNUSED_PAD src0_sel:DWORD src1_sel:BYTE_0
	v_cndmask_b32_e32 v2, 0, v2, vcc
	v_cndmask_b32_e64 v1, 0, v1, s[0:1]
	v_lshlrev_b16_e32 v2, 8, v2
	v_or_b32_e32 v2, v1, v2
	v_and_b32_e32 v2, 0xffff, v2
	v_cmp_gt_i32_e32 vcc, s38, v5
	v_cndmask_b32_e32 v1, v1, v2, vcc
	v_lshlrev_b32_e32 v3, v13, v17
	v_cmp_lt_u16_sdwa vcc, v13, v10 src0_sel:BYTE_0 src1_sel:DWORD
	v_cndmask_b32_e32 v3, 0, v3, vcc
	s_mov_b32 s4, 0xc0c0304
	v_or_b32_e32 v2, 0x200, v0
	v_perm_b32 v3, v3, v1, s4
	v_lshl_or_b32 v3, v3, 16, v1
	v_cmp_gt_i32_e32 vcc, s38, v2
	v_cndmask_b32_e32 v1, v1, v3, vcc
	v_lshlrev_b32_e32 v4, v14, v15
	v_cmp_lt_u16_sdwa vcc, v14, v10 src0_sel:BYTE_0 src1_sel:DWORD
	s_movk_i32 s2, 0xff
	v_cndmask_b32_e32 v4, 0, v4, vcc
	v_and_b32_sdwa v2, v1, s2 dst_sel:DWORD dst_unused:UNUSED_PAD src0_sel:WORD_1 src1_sel:DWORD
	v_lshlrev_b16_e32 v4, 8, v4
	v_or_b32_e32 v3, 0x300, v0
	v_or_b32_sdwa v2, v2, v4 dst_sel:WORD_1 dst_unused:UNUSED_PAD src0_sel:DWORD src1_sel:DWORD
	v_and_or_b32 v2, v1, s3, v2
	v_cmp_gt_i32_e32 vcc, s38, v3
	v_cndmask_b32_e32 v4, v1, v2, vcc
	v_lshlrev_b32_e32 v1, v16, v18
	v_cmp_lt_u16_sdwa vcc, v16, v10 src0_sel:BYTE_0 src1_sel:DWORD
	v_cndmask_b32_e32 v1, 0, v1, vcc
	s_mov_b32 s5, 0x3020104
	v_or_b32_e32 v2, 0x400, v0
	v_perm_b32 v1, v1, 0, s5
	v_cmp_gt_i32_e32 vcc, s38, v2
	v_cndmask_b32_e32 v1, 0, v1, vcc
	v_lshlrev_b32_e32 v2, v19, v23
	v_cmp_lt_u16_sdwa vcc, v19, v10 src0_sel:BYTE_0 src1_sel:DWORD
	v_cndmask_b32_e32 v2, 0, v2, vcc
	v_lshlrev_b16_e32 v2, 8, v2
	v_or_b32_sdwa v2, v1, v2 dst_sel:DWORD dst_unused:UNUSED_PAD src0_sel:BYTE_0 src1_sel:DWORD
	v_and_b32_e32 v2, 0xffff, v2
	s_mov_b32 s6, 0xffff0000
	v_or_b32_e32 v3, 0x500, v0
	v_and_or_b32 v2, v1, s6, v2
	v_cmp_gt_i32_e32 vcc, s38, v3
	v_cndmask_b32_e32 v1, v1, v2, vcc
	v_lshlrev_b32_e32 v3, v21, v24
	v_cmp_lt_u16_sdwa vcc, v21, v10 src0_sel:BYTE_0 src1_sel:DWORD
	v_or_b32_e32 v2, 0x600, v0
	v_cndmask_b32_e32 v3, 0, v3, vcc
	s_mov_b32 s7, 0x7000504
	v_perm_b32 v3, v1, v3, s7
	v_cmp_gt_i32_e32 vcc, s38, v2
	v_cndmask_b32_e32 v1, v1, v3, vcc
	v_lshlrev_b32_e32 v9, v25, v20
	v_cmp_lt_u16_sdwa vcc, v25, v10 src0_sel:BYTE_0 src1_sel:DWORD
	v_cndmask_b32_e32 v9, 0, v9, vcc
	v_and_b32_sdwa v2, v1, s2 dst_sel:DWORD dst_unused:UNUSED_PAD src0_sel:WORD_1 src1_sel:DWORD
	v_lshlrev_b16_e32 v9, 8, v9
	v_or_b32_e32 v3, 0x700, v0
	v_or_b32_sdwa v2, v2, v9 dst_sel:WORD_1 dst_unused:UNUSED_PAD src0_sel:DWORD src1_sel:DWORD
	v_and_or_b32 v2, v1, s3, v2
	v_cmp_gt_i32_e32 vcc, s38, v3
	v_cndmask_b32_e32 v3, v1, v2, vcc
	v_lshlrev_b32_e32 v2, v22, v26
	v_cmp_lt_u16_sdwa vcc, v22, v10 src0_sel:BYTE_0 src1_sel:DWORD
	v_or_b32_e32 v1, 0x800, v0
	v_cndmask_b32_e32 v2, 0, v2, vcc
	v_and_b32_sdwa v2, s3, v2 dst_sel:DWORD dst_unused:UNUSED_PAD src0_sel:DWORD src1_sel:BYTE_0
	v_cmp_gt_i32_e32 vcc, s38, v1
	v_cndmask_b32_e32 v1, 0, v2, vcc
	v_lshlrev_b32_e32 v9, v27, v28
	v_cmp_lt_u16_sdwa vcc, v27, v10 src0_sel:BYTE_0 src1_sel:DWORD
	v_cndmask_b32_e32 v9, 0, v9, vcc
	v_lshlrev_b16_e32 v9, 8, v9
	v_or_b32_e32 v2, 0x900, v0
	v_or_b32_e32 v9, v1, v9
	v_and_b32_e32 v9, 0xffff, v9
	v_cmp_gt_i32_e32 vcc, s38, v2
	v_cndmask_b32_e32 v1, v1, v9, vcc
	v_lshlrev_b32_e32 v9, v29, v30
	v_cmp_lt_u16_sdwa vcc, v29, v10 src0_sel:BYTE_0 src1_sel:DWORD
	v_cndmask_b32_e32 v9, 0, v9, vcc
	v_or_b32_e32 v2, 0xa00, v0
	v_perm_b32 v9, v9, v1, s4
	v_lshl_or_b32 v9, v9, 16, v1
	v_cmp_gt_i32_e32 vcc, s38, v2
	v_cndmask_b32_e32 v1, v1, v9, vcc
	v_lshlrev_b32_e32 v11, v31, v32
	v_cmp_lt_u16_sdwa vcc, v31, v10 src0_sel:BYTE_0 src1_sel:DWORD
	v_cndmask_b32_e32 v11, 0, v11, vcc
	v_and_b32_sdwa v2, v1, s2 dst_sel:DWORD dst_unused:UNUSED_PAD src0_sel:WORD_1 src1_sel:DWORD
	v_lshlrev_b16_e32 v11, 8, v11
	v_or_b32_e32 v9, 0xb00, v0
	v_or_b32_sdwa v2, v2, v11 dst_sel:WORD_1 dst_unused:UNUSED_PAD src0_sel:DWORD src1_sel:DWORD
	v_and_or_b32 v2, v1, s3, v2
	v_cmp_gt_i32_e32 vcc, s38, v9
	v_cndmask_b32_e32 v2, v1, v2, vcc
	v_lshlrev_b32_e32 v1, v33, v34
	v_cmp_lt_u16_sdwa vcc, v33, v10 src0_sel:BYTE_0 src1_sel:DWORD
	v_cndmask_b32_e32 v1, 0, v1, vcc
	v_or_b32_e32 v9, 0xc00, v0
	v_perm_b32 v1, v1, 0, s5
	v_cmp_gt_i32_e32 vcc, s38, v9
	v_cndmask_b32_e32 v1, 0, v1, vcc
	v_lshlrev_b32_e32 v9, v35, v36
	v_cmp_lt_u16_sdwa vcc, v35, v10 src0_sel:BYTE_0 src1_sel:DWORD
	v_cndmask_b32_e32 v9, 0, v9, vcc
	v_lshlrev_b16_e32 v9, 8, v9
	v_or_b32_sdwa v9, v1, v9 dst_sel:DWORD dst_unused:UNUSED_PAD src0_sel:BYTE_0 src1_sel:DWORD
	v_and_b32_e32 v9, 0xffff, v9
	v_or_b32_e32 v11, 0xd00, v0
	v_and_or_b32 v9, v1, s6, v9
	v_cmp_gt_i32_e32 vcc, s38, v11
	v_cndmask_b32_e32 v1, v1, v9, vcc
	v_lshlrev_b32_e32 v11, v37, v38
	v_cmp_lt_u16_sdwa vcc, v37, v10 src0_sel:BYTE_0 src1_sel:DWORD
	v_or_b32_e32 v9, 0xe00, v0
	v_cndmask_b32_e32 v11, 0, v11, vcc
	v_perm_b32 v11, v1, v11, s7
	v_cmp_gt_i32_e32 vcc, s38, v9
	v_cndmask_b32_e32 v1, v1, v11, vcc
	v_lshlrev_b32_e32 v8, v39, v8
	v_cmp_lt_u16_sdwa vcc, v39, v10 src0_sel:BYTE_0 src1_sel:DWORD
	v_and_b32_sdwa v9, v1, s2 dst_sel:DWORD dst_unused:UNUSED_PAD src0_sel:WORD_1 src1_sel:DWORD
	v_cndmask_b32_sdwa v7, v7, v8, vcc dst_sel:BYTE_1 dst_unused:UNUSED_PAD src0_sel:DWORD src1_sel:DWORD
	v_or_b32_e32 v11, 0xf00, v0
	v_or_b32_sdwa v7, v9, v7 dst_sel:WORD_1 dst_unused:UNUSED_PAD src0_sel:DWORD src1_sel:DWORD
	v_and_or_b32 v7, v1, s3, v7
	v_cmp_gt_i32_e32 vcc, s38, v11
	v_cndmask_b32_e32 v1, v1, v7, vcc
	s_and_saveexec_b64 s[2:3], s[0:1]
	s_cbranch_execnz .LBB43_55
; %bb.38:
	s_or_b64 exec, exec, s[2:3]
	v_cmp_gt_i32_e32 vcc, s38, v0
	s_and_saveexec_b64 s[0:1], vcc
	s_cbranch_execnz .LBB43_56
.LBB43_39:
	s_or_b64 exec, exec, s[0:1]
	v_cmp_gt_i32_e32 vcc, s38, v0
	s_and_saveexec_b64 s[0:1], vcc
	s_cbranch_execnz .LBB43_57
.LBB43_40:
	s_or_b64 exec, exec, s[0:1]
	v_cmp_gt_i32_e32 vcc, s38, v0
	s_and_saveexec_b64 s[0:1], vcc
	s_cbranch_execnz .LBB43_58
.LBB43_41:
	s_or_b64 exec, exec, s[0:1]
	v_cmp_gt_i32_e32 vcc, s38, v0
	s_and_saveexec_b64 s[0:1], vcc
	s_cbranch_execnz .LBB43_59
.LBB43_42:
	s_or_b64 exec, exec, s[0:1]
	v_cmp_gt_i32_e32 vcc, s38, v0
	s_and_saveexec_b64 s[0:1], vcc
	s_cbranch_execnz .LBB43_60
.LBB43_43:
	s_or_b64 exec, exec, s[0:1]
	v_cmp_gt_i32_e32 vcc, s38, v0
	s_and_saveexec_b64 s[0:1], vcc
	s_cbranch_execnz .LBB43_61
.LBB43_44:
	s_or_b64 exec, exec, s[0:1]
	v_cmp_gt_i32_e32 vcc, s38, v0
	s_and_saveexec_b64 s[0:1], vcc
	s_cbranch_execnz .LBB43_62
.LBB43_45:
	s_or_b64 exec, exec, s[0:1]
	v_cmp_gt_i32_e32 vcc, s38, v0
	s_and_saveexec_b64 s[0:1], vcc
	s_cbranch_execnz .LBB43_63
.LBB43_46:
	s_or_b64 exec, exec, s[0:1]
	v_cmp_gt_i32_e32 vcc, s38, v0
	s_and_saveexec_b64 s[0:1], vcc
	s_cbranch_execnz .LBB43_64
.LBB43_47:
	s_or_b64 exec, exec, s[0:1]
	v_cmp_gt_i32_e32 vcc, s38, v0
	s_and_saveexec_b64 s[0:1], vcc
	s_cbranch_execnz .LBB43_65
.LBB43_48:
	s_or_b64 exec, exec, s[0:1]
	v_cmp_gt_i32_e32 vcc, s38, v0
	s_and_saveexec_b64 s[0:1], vcc
	s_cbranch_execnz .LBB43_66
.LBB43_49:
	s_or_b64 exec, exec, s[0:1]
	v_cmp_gt_i32_e32 vcc, s38, v0
	s_and_saveexec_b64 s[0:1], vcc
	s_cbranch_execnz .LBB43_67
.LBB43_50:
	s_or_b64 exec, exec, s[0:1]
	v_cmp_gt_i32_e32 vcc, s38, v0
	s_and_saveexec_b64 s[0:1], vcc
	s_cbranch_execnz .LBB43_68
.LBB43_51:
	s_or_b64 exec, exec, s[0:1]
	v_cmp_gt_i32_e32 vcc, s38, v0
	s_and_saveexec_b64 s[0:1], vcc
	s_cbranch_execnz .LBB43_69
.LBB43_52:
	s_or_b64 exec, exec, s[0:1]
	v_cmp_gt_i32_e32 vcc, s38, v0
	s_and_saveexec_b64 s[0:1], vcc
	s_cbranch_execz .LBB43_54
.LBB43_53:
	v_lshrrev_b32_e32 v1, 24, v1
	v_add_u32_e32 v0, s33, v0
	global_store_byte v0, v1, s[8:9]
.LBB43_54:
	s_endpgm
.LBB43_55:
	v_mov_b32_e32 v0, v5
	global_store_byte v6, v4, s[8:9]
	s_or_b64 exec, exec, s[2:3]
	v_cmp_gt_i32_e32 vcc, s38, v0
	s_and_saveexec_b64 s[0:1], vcc
	s_cbranch_execz .LBB43_39
.LBB43_56:
	v_lshrrev_b32_e32 v5, 8, v4
	v_add_u32_e32 v6, s33, v0
	v_add_u32_e32 v0, 0x100, v0
	global_store_byte v6, v5, s[8:9]
	s_or_b64 exec, exec, s[0:1]
	v_cmp_gt_i32_e32 vcc, s38, v0
	s_and_saveexec_b64 s[0:1], vcc
	s_cbranch_execz .LBB43_40
.LBB43_57:
	v_add_u32_e32 v5, s33, v0
	v_add_u32_e32 v0, 0x100, v0
	global_store_byte_d16_hi v5, v4, s[8:9]
	s_or_b64 exec, exec, s[0:1]
	v_cmp_gt_i32_e32 vcc, s38, v0
	s_and_saveexec_b64 s[0:1], vcc
	s_cbranch_execz .LBB43_41
.LBB43_58:
	v_lshrrev_b32_e32 v4, 24, v4
	v_add_u32_e32 v5, s33, v0
	v_add_u32_e32 v0, 0x100, v0
	global_store_byte v5, v4, s[8:9]
	s_or_b64 exec, exec, s[0:1]
	v_cmp_gt_i32_e32 vcc, s38, v0
	s_and_saveexec_b64 s[0:1], vcc
	s_cbranch_execz .LBB43_42
.LBB43_59:
	v_add_u32_e32 v4, s33, v0
	v_add_u32_e32 v0, 0x100, v0
	global_store_byte v4, v3, s[8:9]
	s_or_b64 exec, exec, s[0:1]
	v_cmp_gt_i32_e32 vcc, s38, v0
	s_and_saveexec_b64 s[0:1], vcc
	s_cbranch_execz .LBB43_43
.LBB43_60:
	v_lshrrev_b32_e32 v4, 8, v3
	v_add_u32_e32 v5, s33, v0
	v_add_u32_e32 v0, 0x100, v0
	global_store_byte v5, v4, s[8:9]
	s_or_b64 exec, exec, s[0:1]
	v_cmp_gt_i32_e32 vcc, s38, v0
	s_and_saveexec_b64 s[0:1], vcc
	s_cbranch_execz .LBB43_44
.LBB43_61:
	v_add_u32_e32 v4, s33, v0
	v_add_u32_e32 v0, 0x100, v0
	global_store_byte_d16_hi v4, v3, s[8:9]
	s_or_b64 exec, exec, s[0:1]
	v_cmp_gt_i32_e32 vcc, s38, v0
	s_and_saveexec_b64 s[0:1], vcc
	s_cbranch_execz .LBB43_45
.LBB43_62:
	v_lshrrev_b32_e32 v3, 24, v3
	v_add_u32_e32 v4, s33, v0
	v_add_u32_e32 v0, 0x100, v0
	global_store_byte v4, v3, s[8:9]
	s_or_b64 exec, exec, s[0:1]
	v_cmp_gt_i32_e32 vcc, s38, v0
	s_and_saveexec_b64 s[0:1], vcc
	s_cbranch_execz .LBB43_46
.LBB43_63:
	v_add_u32_e32 v3, s33, v0
	v_add_u32_e32 v0, 0x100, v0
	global_store_byte v3, v2, s[8:9]
	s_or_b64 exec, exec, s[0:1]
	v_cmp_gt_i32_e32 vcc, s38, v0
	s_and_saveexec_b64 s[0:1], vcc
	s_cbranch_execz .LBB43_47
.LBB43_64:
	v_lshrrev_b32_e32 v3, 8, v2
	v_add_u32_e32 v4, s33, v0
	v_add_u32_e32 v0, 0x100, v0
	global_store_byte v4, v3, s[8:9]
	s_or_b64 exec, exec, s[0:1]
	v_cmp_gt_i32_e32 vcc, s38, v0
	s_and_saveexec_b64 s[0:1], vcc
	s_cbranch_execz .LBB43_48
.LBB43_65:
	v_add_u32_e32 v3, s33, v0
	v_add_u32_e32 v0, 0x100, v0
	global_store_byte_d16_hi v3, v2, s[8:9]
	s_or_b64 exec, exec, s[0:1]
	v_cmp_gt_i32_e32 vcc, s38, v0
	s_and_saveexec_b64 s[0:1], vcc
	s_cbranch_execz .LBB43_49
.LBB43_66:
	v_lshrrev_b32_e32 v2, 24, v2
	v_add_u32_e32 v3, s33, v0
	v_add_u32_e32 v0, 0x100, v0
	global_store_byte v3, v2, s[8:9]
	s_or_b64 exec, exec, s[0:1]
	v_cmp_gt_i32_e32 vcc, s38, v0
	s_and_saveexec_b64 s[0:1], vcc
	s_cbranch_execz .LBB43_50
.LBB43_67:
	v_add_u32_e32 v2, s33, v0
	v_add_u32_e32 v0, 0x100, v0
	global_store_byte v2, v1, s[8:9]
	s_or_b64 exec, exec, s[0:1]
	v_cmp_gt_i32_e32 vcc, s38, v0
	s_and_saveexec_b64 s[0:1], vcc
	s_cbranch_execz .LBB43_51
.LBB43_68:
	v_lshrrev_b32_e32 v2, 8, v1
	v_add_u32_e32 v3, s33, v0
	v_add_u32_e32 v0, 0x100, v0
	global_store_byte v3, v2, s[8:9]
	s_or_b64 exec, exec, s[0:1]
	v_cmp_gt_i32_e32 vcc, s38, v0
	s_and_saveexec_b64 s[0:1], vcc
	s_cbranch_execz .LBB43_52
.LBB43_69:
	v_add_u32_e32 v2, s33, v0
	v_add_u32_e32 v0, 0x100, v0
	global_store_byte_d16_hi v2, v1, s[8:9]
	s_or_b64 exec, exec, s[0:1]
	v_cmp_gt_i32_e32 vcc, s38, v0
	s_and_saveexec_b64 s[0:1], vcc
	s_cbranch_execnz .LBB43_53
	s_branch .LBB43_54
	.section	.rodata,"a",@progbits
	.p2align	6, 0x0
	.amdhsa_kernel _ZN2at6native29vectorized_elementwise_kernelILi2ENS0_13BinaryFunctorIaaaZZZNS0_18lshift_kernel_cudaERNS_18TensorIteratorBaseEENKUlvE_clEvENKUlvE0_clEvEUlaaE_EESt5arrayIPcLm3EEEEviT0_T1_
		.amdhsa_group_segment_fixed_size 0
		.amdhsa_private_segment_fixed_size 0
		.amdhsa_kernarg_size 32
		.amdhsa_user_sgpr_count 6
		.amdhsa_user_sgpr_private_segment_buffer 1
		.amdhsa_user_sgpr_dispatch_ptr 0
		.amdhsa_user_sgpr_queue_ptr 0
		.amdhsa_user_sgpr_kernarg_segment_ptr 1
		.amdhsa_user_sgpr_dispatch_id 0
		.amdhsa_user_sgpr_flat_scratch_init 0
		.amdhsa_user_sgpr_private_segment_size 0
		.amdhsa_uses_dynamic_stack 0
		.amdhsa_system_sgpr_private_segment_wavefront_offset 0
		.amdhsa_system_sgpr_workgroup_id_x 1
		.amdhsa_system_sgpr_workgroup_id_y 0
		.amdhsa_system_sgpr_workgroup_id_z 0
		.amdhsa_system_sgpr_workgroup_info 0
		.amdhsa_system_vgpr_workitem_id 0
		.amdhsa_next_free_vgpr 40
		.amdhsa_next_free_sgpr 39
		.amdhsa_reserve_vcc 1
		.amdhsa_reserve_flat_scratch 0
		.amdhsa_float_round_mode_32 0
		.amdhsa_float_round_mode_16_64 0
		.amdhsa_float_denorm_mode_32 3
		.amdhsa_float_denorm_mode_16_64 3
		.amdhsa_dx10_clamp 1
		.amdhsa_ieee_mode 1
		.amdhsa_fp16_overflow 0
		.amdhsa_exception_fp_ieee_invalid_op 0
		.amdhsa_exception_fp_denorm_src 0
		.amdhsa_exception_fp_ieee_div_zero 0
		.amdhsa_exception_fp_ieee_overflow 0
		.amdhsa_exception_fp_ieee_underflow 0
		.amdhsa_exception_fp_ieee_inexact 0
		.amdhsa_exception_int_div_zero 0
	.end_amdhsa_kernel
	.section	.text._ZN2at6native29vectorized_elementwise_kernelILi2ENS0_13BinaryFunctorIaaaZZZNS0_18lshift_kernel_cudaERNS_18TensorIteratorBaseEENKUlvE_clEvENKUlvE0_clEvEUlaaE_EESt5arrayIPcLm3EEEEviT0_T1_,"axG",@progbits,_ZN2at6native29vectorized_elementwise_kernelILi2ENS0_13BinaryFunctorIaaaZZZNS0_18lshift_kernel_cudaERNS_18TensorIteratorBaseEENKUlvE_clEvENKUlvE0_clEvEUlaaE_EESt5arrayIPcLm3EEEEviT0_T1_,comdat
.Lfunc_end43:
	.size	_ZN2at6native29vectorized_elementwise_kernelILi2ENS0_13BinaryFunctorIaaaZZZNS0_18lshift_kernel_cudaERNS_18TensorIteratorBaseEENKUlvE_clEvENKUlvE0_clEvEUlaaE_EESt5arrayIPcLm3EEEEviT0_T1_, .Lfunc_end43-_ZN2at6native29vectorized_elementwise_kernelILi2ENS0_13BinaryFunctorIaaaZZZNS0_18lshift_kernel_cudaERNS_18TensorIteratorBaseEENKUlvE_clEvENKUlvE0_clEvEUlaaE_EESt5arrayIPcLm3EEEEviT0_T1_
                                        ; -- End function
	.set _ZN2at6native29vectorized_elementwise_kernelILi2ENS0_13BinaryFunctorIaaaZZZNS0_18lshift_kernel_cudaERNS_18TensorIteratorBaseEENKUlvE_clEvENKUlvE0_clEvEUlaaE_EESt5arrayIPcLm3EEEEviT0_T1_.num_vgpr, 40
	.set _ZN2at6native29vectorized_elementwise_kernelILi2ENS0_13BinaryFunctorIaaaZZZNS0_18lshift_kernel_cudaERNS_18TensorIteratorBaseEENKUlvE_clEvENKUlvE0_clEvEUlaaE_EESt5arrayIPcLm3EEEEviT0_T1_.num_agpr, 0
	.set _ZN2at6native29vectorized_elementwise_kernelILi2ENS0_13BinaryFunctorIaaaZZZNS0_18lshift_kernel_cudaERNS_18TensorIteratorBaseEENKUlvE_clEvENKUlvE0_clEvEUlaaE_EESt5arrayIPcLm3EEEEviT0_T1_.numbered_sgpr, 39
	.set _ZN2at6native29vectorized_elementwise_kernelILi2ENS0_13BinaryFunctorIaaaZZZNS0_18lshift_kernel_cudaERNS_18TensorIteratorBaseEENKUlvE_clEvENKUlvE0_clEvEUlaaE_EESt5arrayIPcLm3EEEEviT0_T1_.num_named_barrier, 0
	.set _ZN2at6native29vectorized_elementwise_kernelILi2ENS0_13BinaryFunctorIaaaZZZNS0_18lshift_kernel_cudaERNS_18TensorIteratorBaseEENKUlvE_clEvENKUlvE0_clEvEUlaaE_EESt5arrayIPcLm3EEEEviT0_T1_.private_seg_size, 0
	.set _ZN2at6native29vectorized_elementwise_kernelILi2ENS0_13BinaryFunctorIaaaZZZNS0_18lshift_kernel_cudaERNS_18TensorIteratorBaseEENKUlvE_clEvENKUlvE0_clEvEUlaaE_EESt5arrayIPcLm3EEEEviT0_T1_.uses_vcc, 1
	.set _ZN2at6native29vectorized_elementwise_kernelILi2ENS0_13BinaryFunctorIaaaZZZNS0_18lshift_kernel_cudaERNS_18TensorIteratorBaseEENKUlvE_clEvENKUlvE0_clEvEUlaaE_EESt5arrayIPcLm3EEEEviT0_T1_.uses_flat_scratch, 0
	.set _ZN2at6native29vectorized_elementwise_kernelILi2ENS0_13BinaryFunctorIaaaZZZNS0_18lshift_kernel_cudaERNS_18TensorIteratorBaseEENKUlvE_clEvENKUlvE0_clEvEUlaaE_EESt5arrayIPcLm3EEEEviT0_T1_.has_dyn_sized_stack, 0
	.set _ZN2at6native29vectorized_elementwise_kernelILi2ENS0_13BinaryFunctorIaaaZZZNS0_18lshift_kernel_cudaERNS_18TensorIteratorBaseEENKUlvE_clEvENKUlvE0_clEvEUlaaE_EESt5arrayIPcLm3EEEEviT0_T1_.has_recursion, 0
	.set _ZN2at6native29vectorized_elementwise_kernelILi2ENS0_13BinaryFunctorIaaaZZZNS0_18lshift_kernel_cudaERNS_18TensorIteratorBaseEENKUlvE_clEvENKUlvE0_clEvEUlaaE_EESt5arrayIPcLm3EEEEviT0_T1_.has_indirect_call, 0
	.section	.AMDGPU.csdata,"",@progbits
; Kernel info:
; codeLenInByte = 4240
; TotalNumSgprs: 43
; NumVgprs: 40
; ScratchSize: 0
; MemoryBound: 0
; FloatMode: 240
; IeeeMode: 1
; LDSByteSize: 0 bytes/workgroup (compile time only)
; SGPRBlocks: 5
; VGPRBlocks: 9
; NumSGPRsForWavesPerEU: 43
; NumVGPRsForWavesPerEU: 40
; Occupancy: 6
; WaveLimiterHint : 1
; COMPUTE_PGM_RSRC2:SCRATCH_EN: 0
; COMPUTE_PGM_RSRC2:USER_SGPR: 6
; COMPUTE_PGM_RSRC2:TRAP_HANDLER: 0
; COMPUTE_PGM_RSRC2:TGID_X_EN: 1
; COMPUTE_PGM_RSRC2:TGID_Y_EN: 0
; COMPUTE_PGM_RSRC2:TGID_Z_EN: 0
; COMPUTE_PGM_RSRC2:TIDIG_COMP_CNT: 0
	.section	.text._ZN2at6native27unrolled_elementwise_kernelINS0_13BinaryFunctorIaaaZZZNS0_18lshift_kernel_cudaERNS_18TensorIteratorBaseEENKUlvE_clEvENKUlvE0_clEvEUlaaE_EESt5arrayIPcLm3EELi4E23TrivialOffsetCalculatorILi2EjESC_ILi1EjENS0_6memory15LoadWithoutCastENSF_16StoreWithoutCastEEEviT_T0_T2_T3_T4_T5_,"axG",@progbits,_ZN2at6native27unrolled_elementwise_kernelINS0_13BinaryFunctorIaaaZZZNS0_18lshift_kernel_cudaERNS_18TensorIteratorBaseEENKUlvE_clEvENKUlvE0_clEvEUlaaE_EESt5arrayIPcLm3EELi4E23TrivialOffsetCalculatorILi2EjESC_ILi1EjENS0_6memory15LoadWithoutCastENSF_16StoreWithoutCastEEEviT_T0_T2_T3_T4_T5_,comdat
	.globl	_ZN2at6native27unrolled_elementwise_kernelINS0_13BinaryFunctorIaaaZZZNS0_18lshift_kernel_cudaERNS_18TensorIteratorBaseEENKUlvE_clEvENKUlvE0_clEvEUlaaE_EESt5arrayIPcLm3EELi4E23TrivialOffsetCalculatorILi2EjESC_ILi1EjENS0_6memory15LoadWithoutCastENSF_16StoreWithoutCastEEEviT_T0_T2_T3_T4_T5_ ; -- Begin function _ZN2at6native27unrolled_elementwise_kernelINS0_13BinaryFunctorIaaaZZZNS0_18lshift_kernel_cudaERNS_18TensorIteratorBaseEENKUlvE_clEvENKUlvE0_clEvEUlaaE_EESt5arrayIPcLm3EELi4E23TrivialOffsetCalculatorILi2EjESC_ILi1EjENS0_6memory15LoadWithoutCastENSF_16StoreWithoutCastEEEviT_T0_T2_T3_T4_T5_
	.p2align	8
	.type	_ZN2at6native27unrolled_elementwise_kernelINS0_13BinaryFunctorIaaaZZZNS0_18lshift_kernel_cudaERNS_18TensorIteratorBaseEENKUlvE_clEvENKUlvE0_clEvEUlaaE_EESt5arrayIPcLm3EELi4E23TrivialOffsetCalculatorILi2EjESC_ILi1EjENS0_6memory15LoadWithoutCastENSF_16StoreWithoutCastEEEviT_T0_T2_T3_T4_T5_,@function
_ZN2at6native27unrolled_elementwise_kernelINS0_13BinaryFunctorIaaaZZZNS0_18lshift_kernel_cudaERNS_18TensorIteratorBaseEENKUlvE_clEvENKUlvE0_clEvEUlaaE_EESt5arrayIPcLm3EELi4E23TrivialOffsetCalculatorILi2EjESC_ILi1EjENS0_6memory15LoadWithoutCastENSF_16StoreWithoutCastEEEviT_T0_T2_T3_T4_T5_: ; @_ZN2at6native27unrolled_elementwise_kernelINS0_13BinaryFunctorIaaaZZZNS0_18lshift_kernel_cudaERNS_18TensorIteratorBaseEENKUlvE_clEvENKUlvE0_clEvEUlaaE_EESt5arrayIPcLm3EELi4E23TrivialOffsetCalculatorILi2EjESC_ILi1EjENS0_6memory15LoadWithoutCastENSF_16StoreWithoutCastEEEviT_T0_T2_T3_T4_T5_
; %bb.0:
	s_load_dword s0, s[4:5], 0x0
	s_load_dwordx4 s[8:11], s[4:5], 0x8
	s_load_dwordx2 s[12:13], s[4:5], 0x18
	s_lshl_b32 s16, s6, 10
                                        ; implicit-def: $vgpr1
	s_waitcnt lgkmcnt(0)
	s_sub_i32 s17, s0, s16
	v_cmp_gt_i32_e64 s[0:1], s17, v0
	v_cmp_le_i32_e32 vcc, s17, v0
	s_and_saveexec_b64 s[2:3], vcc
	s_xor_b64 s[2:3], exec, s[2:3]
; %bb.1:
	v_or_b32_e32 v1, 0x100, v0
; %bb.2:
	s_or_saveexec_b64 s[2:3], s[2:3]
	v_mov_b32_e32 v5, 0
	v_mov_b32_e32 v3, 0
	v_or_b32_e32 v2, s16, v0
	v_mov_b32_e32 v4, 0
	v_mov_b32_e32 v9, 0
	;; [unrolled: 1-line block ×7, first 2 shown]
	s_xor_b64 exec, exec, s[2:3]
	s_cbranch_execz .LBB44_10
; %bb.3:
	global_load_ubyte v10, v2, s[10:11]
	global_load_ubyte v11, v2, s[12:13]
	v_or_b32_e32 v1, 0x100, v0
	v_cmp_gt_u32_e32 vcc, s17, v1
	v_mov_b32_e32 v4, 0
	v_mov_b32_e32 v7, 0
	;; [unrolled: 1-line block ×6, first 2 shown]
	s_and_saveexec_b64 s[4:5], vcc
	s_cbranch_execz .LBB44_9
; %bb.4:
	v_add_u32_e32 v4, s16, v1
	global_load_ubyte v8, v4, s[10:11]
	global_load_ubyte v7, v4, s[12:13]
	v_or_b32_e32 v12, 0x200, v0
	v_cmp_gt_u32_e32 vcc, s17, v12
	v_mov_b32_e32 v4, 0
	v_mov_b32_e32 v6, 0
	;; [unrolled: 1-line block ×4, first 2 shown]
	s_and_saveexec_b64 s[6:7], vcc
	s_cbranch_execz .LBB44_8
; %bb.5:
	v_add_u32_e32 v4, s16, v12
	global_load_ubyte v9, v4, s[10:11]
	global_load_ubyte v6, v4, s[12:13]
	v_or_b32_e32 v12, 0x300, v0
	v_cmp_gt_u32_e32 vcc, s17, v12
	v_mov_b32_e32 v4, 0
	v_mov_b32_e32 v5, 0
	s_and_saveexec_b64 s[14:15], vcc
	s_cbranch_execz .LBB44_7
; %bb.6:
	v_add_u32_e32 v12, s16, v12
	global_load_ubyte v4, v12, s[10:11]
	global_load_ubyte v5, v12, s[12:13]
.LBB44_7:
	s_or_b64 exec, exec, s[14:15]
.LBB44_8:
	s_or_b64 exec, exec, s[6:7]
.LBB44_9:
	s_or_b64 exec, exec, s[4:5]
.LBB44_10:
	s_or_b64 exec, exec, s[2:3]
	v_mov_b32_e32 v12, 8
	s_waitcnt vmcnt(0)
	v_lshlrev_b32_e32 v10, v11, v10
	v_cmp_lt_u16_sdwa vcc, v11, v12 src0_sel:BYTE_0 src1_sel:DWORD
	v_cndmask_b32_e32 v10, 0, v10, vcc
	s_mov_b32 s3, 0xffff
	v_lshlrev_b32_e32 v8, v7, v8
	v_cmp_lt_u16_sdwa vcc, v7, v12 src0_sel:BYTE_0 src1_sel:DWORD
	v_and_b32_sdwa v10, s3, v10 dst_sel:DWORD dst_unused:UNUSED_PAD src0_sel:DWORD src1_sel:BYTE_0
	v_cndmask_b32_e32 v7, 0, v8, vcc
	v_cndmask_b32_e64 v10, 0, v10, s[0:1]
	v_lshlrev_b16_e32 v7, 8, v7
	v_or_b32_e32 v7, v10, v7
	v_and_b32_e32 v7, 0xffff, v7
	v_cmp_gt_i32_e32 vcc, s17, v1
	v_cndmask_b32_e32 v7, v10, v7, vcc
	v_lshlrev_b32_e32 v9, v6, v9
	v_cmp_lt_u16_sdwa vcc, v6, v12 src0_sel:BYTE_0 src1_sel:DWORD
	v_cndmask_b32_e32 v6, 0, v9, vcc
	s_mov_b32 s4, 0xc0c0304
	v_or_b32_e32 v8, 0x200, v0
	v_perm_b32 v6, v6, v7, s4
	v_lshl_or_b32 v6, v6, 16, v7
	v_cmp_gt_i32_e32 vcc, s17, v8
	s_movk_i32 s2, 0xff
	v_cndmask_b32_e32 v6, v7, v6, vcc
	v_lshlrev_b32_e32 v4, v5, v4
	v_cmp_lt_u16_sdwa vcc, v5, v12 src0_sel:BYTE_0 src1_sel:DWORD
	v_and_b32_sdwa v7, v6, s2 dst_sel:DWORD dst_unused:UNUSED_PAD src0_sel:WORD_1 src1_sel:DWORD
	v_cndmask_b32_sdwa v3, v3, v4, vcc dst_sel:BYTE_1 dst_unused:UNUSED_PAD src0_sel:DWORD src1_sel:DWORD
	v_or_b32_e32 v8, 0x300, v0
	v_or_b32_sdwa v3, v7, v3 dst_sel:WORD_1 dst_unused:UNUSED_PAD src0_sel:DWORD src1_sel:DWORD
	v_and_or_b32 v3, v6, s3, v3
	v_cmp_gt_i32_e32 vcc, s17, v8
	v_cndmask_b32_e32 v3, v6, v3, vcc
	s_and_saveexec_b64 s[2:3], s[0:1]
	s_cbranch_execnz .LBB44_15
; %bb.11:
	s_or_b64 exec, exec, s[2:3]
	v_cmp_gt_i32_e32 vcc, s17, v0
	s_and_saveexec_b64 s[0:1], vcc
	s_cbranch_execnz .LBB44_16
.LBB44_12:
	s_or_b64 exec, exec, s[0:1]
	v_cmp_gt_i32_e32 vcc, s17, v0
	s_and_saveexec_b64 s[0:1], vcc
	s_cbranch_execnz .LBB44_17
.LBB44_13:
	s_or_b64 exec, exec, s[0:1]
	v_cmp_gt_i32_e32 vcc, s17, v0
	s_and_saveexec_b64 s[0:1], vcc
	s_cbranch_execnz .LBB44_18
.LBB44_14:
	s_endpgm
.LBB44_15:
	v_mov_b32_e32 v0, v1
	global_store_byte v2, v3, s[8:9]
	s_or_b64 exec, exec, s[2:3]
	v_cmp_gt_i32_e32 vcc, s17, v0
	s_and_saveexec_b64 s[0:1], vcc
	s_cbranch_execz .LBB44_12
.LBB44_16:
	v_add_u32_e32 v1, 0x100, v0
	v_add_u32_e32 v0, s16, v0
	v_lshrrev_b32_e32 v2, 8, v3
	global_store_byte v0, v2, s[8:9]
	v_mov_b32_e32 v0, v1
	s_or_b64 exec, exec, s[0:1]
	v_cmp_gt_i32_e32 vcc, s17, v0
	s_and_saveexec_b64 s[0:1], vcc
	s_cbranch_execz .LBB44_13
.LBB44_17:
	v_add_u32_e32 v1, 0x100, v0
	v_add_u32_e32 v0, s16, v0
	global_store_byte_d16_hi v0, v3, s[8:9]
	v_mov_b32_e32 v0, v1
	s_or_b64 exec, exec, s[0:1]
	v_cmp_gt_i32_e32 vcc, s17, v0
	s_and_saveexec_b64 s[0:1], vcc
	s_cbranch_execz .LBB44_14
.LBB44_18:
	v_add_u32_e32 v0, s16, v0
	v_lshrrev_b32_e32 v1, 24, v3
	global_store_byte v0, v1, s[8:9]
	s_endpgm
	.section	.rodata,"a",@progbits
	.p2align	6, 0x0
	.amdhsa_kernel _ZN2at6native27unrolled_elementwise_kernelINS0_13BinaryFunctorIaaaZZZNS0_18lshift_kernel_cudaERNS_18TensorIteratorBaseEENKUlvE_clEvENKUlvE0_clEvEUlaaE_EESt5arrayIPcLm3EELi4E23TrivialOffsetCalculatorILi2EjESC_ILi1EjENS0_6memory15LoadWithoutCastENSF_16StoreWithoutCastEEEviT_T0_T2_T3_T4_T5_
		.amdhsa_group_segment_fixed_size 0
		.amdhsa_private_segment_fixed_size 0
		.amdhsa_kernarg_size 36
		.amdhsa_user_sgpr_count 6
		.amdhsa_user_sgpr_private_segment_buffer 1
		.amdhsa_user_sgpr_dispatch_ptr 0
		.amdhsa_user_sgpr_queue_ptr 0
		.amdhsa_user_sgpr_kernarg_segment_ptr 1
		.amdhsa_user_sgpr_dispatch_id 0
		.amdhsa_user_sgpr_flat_scratch_init 0
		.amdhsa_user_sgpr_private_segment_size 0
		.amdhsa_uses_dynamic_stack 0
		.amdhsa_system_sgpr_private_segment_wavefront_offset 0
		.amdhsa_system_sgpr_workgroup_id_x 1
		.amdhsa_system_sgpr_workgroup_id_y 0
		.amdhsa_system_sgpr_workgroup_id_z 0
		.amdhsa_system_sgpr_workgroup_info 0
		.amdhsa_system_vgpr_workitem_id 0
		.amdhsa_next_free_vgpr 13
		.amdhsa_next_free_sgpr 18
		.amdhsa_reserve_vcc 1
		.amdhsa_reserve_flat_scratch 0
		.amdhsa_float_round_mode_32 0
		.amdhsa_float_round_mode_16_64 0
		.amdhsa_float_denorm_mode_32 3
		.amdhsa_float_denorm_mode_16_64 3
		.amdhsa_dx10_clamp 1
		.amdhsa_ieee_mode 1
		.amdhsa_fp16_overflow 0
		.amdhsa_exception_fp_ieee_invalid_op 0
		.amdhsa_exception_fp_denorm_src 0
		.amdhsa_exception_fp_ieee_div_zero 0
		.amdhsa_exception_fp_ieee_overflow 0
		.amdhsa_exception_fp_ieee_underflow 0
		.amdhsa_exception_fp_ieee_inexact 0
		.amdhsa_exception_int_div_zero 0
	.end_amdhsa_kernel
	.section	.text._ZN2at6native27unrolled_elementwise_kernelINS0_13BinaryFunctorIaaaZZZNS0_18lshift_kernel_cudaERNS_18TensorIteratorBaseEENKUlvE_clEvENKUlvE0_clEvEUlaaE_EESt5arrayIPcLm3EELi4E23TrivialOffsetCalculatorILi2EjESC_ILi1EjENS0_6memory15LoadWithoutCastENSF_16StoreWithoutCastEEEviT_T0_T2_T3_T4_T5_,"axG",@progbits,_ZN2at6native27unrolled_elementwise_kernelINS0_13BinaryFunctorIaaaZZZNS0_18lshift_kernel_cudaERNS_18TensorIteratorBaseEENKUlvE_clEvENKUlvE0_clEvEUlaaE_EESt5arrayIPcLm3EELi4E23TrivialOffsetCalculatorILi2EjESC_ILi1EjENS0_6memory15LoadWithoutCastENSF_16StoreWithoutCastEEEviT_T0_T2_T3_T4_T5_,comdat
.Lfunc_end44:
	.size	_ZN2at6native27unrolled_elementwise_kernelINS0_13BinaryFunctorIaaaZZZNS0_18lshift_kernel_cudaERNS_18TensorIteratorBaseEENKUlvE_clEvENKUlvE0_clEvEUlaaE_EESt5arrayIPcLm3EELi4E23TrivialOffsetCalculatorILi2EjESC_ILi1EjENS0_6memory15LoadWithoutCastENSF_16StoreWithoutCastEEEviT_T0_T2_T3_T4_T5_, .Lfunc_end44-_ZN2at6native27unrolled_elementwise_kernelINS0_13BinaryFunctorIaaaZZZNS0_18lshift_kernel_cudaERNS_18TensorIteratorBaseEENKUlvE_clEvENKUlvE0_clEvEUlaaE_EESt5arrayIPcLm3EELi4E23TrivialOffsetCalculatorILi2EjESC_ILi1EjENS0_6memory15LoadWithoutCastENSF_16StoreWithoutCastEEEviT_T0_T2_T3_T4_T5_
                                        ; -- End function
	.set _ZN2at6native27unrolled_elementwise_kernelINS0_13BinaryFunctorIaaaZZZNS0_18lshift_kernel_cudaERNS_18TensorIteratorBaseEENKUlvE_clEvENKUlvE0_clEvEUlaaE_EESt5arrayIPcLm3EELi4E23TrivialOffsetCalculatorILi2EjESC_ILi1EjENS0_6memory15LoadWithoutCastENSF_16StoreWithoutCastEEEviT_T0_T2_T3_T4_T5_.num_vgpr, 13
	.set _ZN2at6native27unrolled_elementwise_kernelINS0_13BinaryFunctorIaaaZZZNS0_18lshift_kernel_cudaERNS_18TensorIteratorBaseEENKUlvE_clEvENKUlvE0_clEvEUlaaE_EESt5arrayIPcLm3EELi4E23TrivialOffsetCalculatorILi2EjESC_ILi1EjENS0_6memory15LoadWithoutCastENSF_16StoreWithoutCastEEEviT_T0_T2_T3_T4_T5_.num_agpr, 0
	.set _ZN2at6native27unrolled_elementwise_kernelINS0_13BinaryFunctorIaaaZZZNS0_18lshift_kernel_cudaERNS_18TensorIteratorBaseEENKUlvE_clEvENKUlvE0_clEvEUlaaE_EESt5arrayIPcLm3EELi4E23TrivialOffsetCalculatorILi2EjESC_ILi1EjENS0_6memory15LoadWithoutCastENSF_16StoreWithoutCastEEEviT_T0_T2_T3_T4_T5_.numbered_sgpr, 18
	.set _ZN2at6native27unrolled_elementwise_kernelINS0_13BinaryFunctorIaaaZZZNS0_18lshift_kernel_cudaERNS_18TensorIteratorBaseEENKUlvE_clEvENKUlvE0_clEvEUlaaE_EESt5arrayIPcLm3EELi4E23TrivialOffsetCalculatorILi2EjESC_ILi1EjENS0_6memory15LoadWithoutCastENSF_16StoreWithoutCastEEEviT_T0_T2_T3_T4_T5_.num_named_barrier, 0
	.set _ZN2at6native27unrolled_elementwise_kernelINS0_13BinaryFunctorIaaaZZZNS0_18lshift_kernel_cudaERNS_18TensorIteratorBaseEENKUlvE_clEvENKUlvE0_clEvEUlaaE_EESt5arrayIPcLm3EELi4E23TrivialOffsetCalculatorILi2EjESC_ILi1EjENS0_6memory15LoadWithoutCastENSF_16StoreWithoutCastEEEviT_T0_T2_T3_T4_T5_.private_seg_size, 0
	.set _ZN2at6native27unrolled_elementwise_kernelINS0_13BinaryFunctorIaaaZZZNS0_18lshift_kernel_cudaERNS_18TensorIteratorBaseEENKUlvE_clEvENKUlvE0_clEvEUlaaE_EESt5arrayIPcLm3EELi4E23TrivialOffsetCalculatorILi2EjESC_ILi1EjENS0_6memory15LoadWithoutCastENSF_16StoreWithoutCastEEEviT_T0_T2_T3_T4_T5_.uses_vcc, 1
	.set _ZN2at6native27unrolled_elementwise_kernelINS0_13BinaryFunctorIaaaZZZNS0_18lshift_kernel_cudaERNS_18TensorIteratorBaseEENKUlvE_clEvENKUlvE0_clEvEUlaaE_EESt5arrayIPcLm3EELi4E23TrivialOffsetCalculatorILi2EjESC_ILi1EjENS0_6memory15LoadWithoutCastENSF_16StoreWithoutCastEEEviT_T0_T2_T3_T4_T5_.uses_flat_scratch, 0
	.set _ZN2at6native27unrolled_elementwise_kernelINS0_13BinaryFunctorIaaaZZZNS0_18lshift_kernel_cudaERNS_18TensorIteratorBaseEENKUlvE_clEvENKUlvE0_clEvEUlaaE_EESt5arrayIPcLm3EELi4E23TrivialOffsetCalculatorILi2EjESC_ILi1EjENS0_6memory15LoadWithoutCastENSF_16StoreWithoutCastEEEviT_T0_T2_T3_T4_T5_.has_dyn_sized_stack, 0
	.set _ZN2at6native27unrolled_elementwise_kernelINS0_13BinaryFunctorIaaaZZZNS0_18lshift_kernel_cudaERNS_18TensorIteratorBaseEENKUlvE_clEvENKUlvE0_clEvEUlaaE_EESt5arrayIPcLm3EELi4E23TrivialOffsetCalculatorILi2EjESC_ILi1EjENS0_6memory15LoadWithoutCastENSF_16StoreWithoutCastEEEviT_T0_T2_T3_T4_T5_.has_recursion, 0
	.set _ZN2at6native27unrolled_elementwise_kernelINS0_13BinaryFunctorIaaaZZZNS0_18lshift_kernel_cudaERNS_18TensorIteratorBaseEENKUlvE_clEvENKUlvE0_clEvEUlaaE_EESt5arrayIPcLm3EELi4E23TrivialOffsetCalculatorILi2EjESC_ILi1EjENS0_6memory15LoadWithoutCastENSF_16StoreWithoutCastEEEviT_T0_T2_T3_T4_T5_.has_indirect_call, 0
	.section	.AMDGPU.csdata,"",@progbits
; Kernel info:
; codeLenInByte = 716
; TotalNumSgprs: 22
; NumVgprs: 13
; ScratchSize: 0
; MemoryBound: 0
; FloatMode: 240
; IeeeMode: 1
; LDSByteSize: 0 bytes/workgroup (compile time only)
; SGPRBlocks: 2
; VGPRBlocks: 3
; NumSGPRsForWavesPerEU: 22
; NumVGPRsForWavesPerEU: 13
; Occupancy: 10
; WaveLimiterHint : 0
; COMPUTE_PGM_RSRC2:SCRATCH_EN: 0
; COMPUTE_PGM_RSRC2:USER_SGPR: 6
; COMPUTE_PGM_RSRC2:TRAP_HANDLER: 0
; COMPUTE_PGM_RSRC2:TGID_X_EN: 1
; COMPUTE_PGM_RSRC2:TGID_Y_EN: 0
; COMPUTE_PGM_RSRC2:TGID_Z_EN: 0
; COMPUTE_PGM_RSRC2:TIDIG_COMP_CNT: 0
	.section	.text._ZN2at6native32elementwise_kernel_manual_unrollILi128ELi8EZNS0_22gpu_kernel_impl_nocastINS0_13BinaryFunctorIaaaZZZNS0_18lshift_kernel_cudaERNS_18TensorIteratorBaseEENKUlvE_clEvENKUlvE0_clEvEUlaaE_EEEEvS5_RKT_EUlibE_EEviT1_,"axG",@progbits,_ZN2at6native32elementwise_kernel_manual_unrollILi128ELi8EZNS0_22gpu_kernel_impl_nocastINS0_13BinaryFunctorIaaaZZZNS0_18lshift_kernel_cudaERNS_18TensorIteratorBaseEENKUlvE_clEvENKUlvE0_clEvEUlaaE_EEEEvS5_RKT_EUlibE_EEviT1_,comdat
	.globl	_ZN2at6native32elementwise_kernel_manual_unrollILi128ELi8EZNS0_22gpu_kernel_impl_nocastINS0_13BinaryFunctorIaaaZZZNS0_18lshift_kernel_cudaERNS_18TensorIteratorBaseEENKUlvE_clEvENKUlvE0_clEvEUlaaE_EEEEvS5_RKT_EUlibE_EEviT1_ ; -- Begin function _ZN2at6native32elementwise_kernel_manual_unrollILi128ELi8EZNS0_22gpu_kernel_impl_nocastINS0_13BinaryFunctorIaaaZZZNS0_18lshift_kernel_cudaERNS_18TensorIteratorBaseEENKUlvE_clEvENKUlvE0_clEvEUlaaE_EEEEvS5_RKT_EUlibE_EEviT1_
	.p2align	8
	.type	_ZN2at6native32elementwise_kernel_manual_unrollILi128ELi8EZNS0_22gpu_kernel_impl_nocastINS0_13BinaryFunctorIaaaZZZNS0_18lshift_kernel_cudaERNS_18TensorIteratorBaseEENKUlvE_clEvENKUlvE0_clEvEUlaaE_EEEEvS5_RKT_EUlibE_EEviT1_,@function
_ZN2at6native32elementwise_kernel_manual_unrollILi128ELi8EZNS0_22gpu_kernel_impl_nocastINS0_13BinaryFunctorIaaaZZZNS0_18lshift_kernel_cudaERNS_18TensorIteratorBaseEENKUlvE_clEvENKUlvE0_clEvEUlaaE_EEEEvS5_RKT_EUlibE_EEviT1_: ; @_ZN2at6native32elementwise_kernel_manual_unrollILi128ELi8EZNS0_22gpu_kernel_impl_nocastINS0_13BinaryFunctorIaaaZZZNS0_18lshift_kernel_cudaERNS_18TensorIteratorBaseEENKUlvE_clEvENKUlvE0_clEvEUlaaE_EEEEvS5_RKT_EUlibE_EEviT1_
; %bb.0:
	s_load_dword s36, s[4:5], 0x0
	s_load_dword s33, s[4:5], 0x8
	s_add_u32 s12, s4, 8
	s_addc_u32 s13, s5, 0
	v_lshl_or_b32 v31, s6, 10, v0
	v_or_b32_e32 v41, 0x380, v31
	s_waitcnt lgkmcnt(0)
	s_add_i32 s34, s33, -1
	s_cmp_gt_u32 s34, 1
	v_cmp_le_i32_e32 vcc, s36, v41
	s_cselect_b64 s[14:15], -1, 0
	s_and_saveexec_b64 s[0:1], vcc
	s_xor_b64 s[16:17], exec, s[0:1]
	s_cbranch_execz .LBB45_106
; %bb.1:
	s_load_dwordx4 s[8:11], s[12:13], 0x4
	s_load_dwordx2 s[22:23], s[12:13], 0x14
	s_load_dwordx4 s[4:7], s[12:13], 0xc4
	s_load_dwordx2 s[20:21], s[12:13], 0xd4
	s_load_dwordx2 s[18:19], s[12:13], 0x198
	s_load_dwordx4 s[0:3], s[12:13], 0x188
	s_cmp_lg_u32 s33, 0
	s_cselect_b64 s[26:27], -1, 0
	s_min_u32 s35, s34, 15
	s_cmp_gt_u32 s33, 1
	s_cselect_b64 s[24:25], -1, 0
	v_cmp_gt_i32_e32 vcc, s36, v31
	s_and_saveexec_b64 s[28:29], vcc
	s_cbranch_execnz .LBB45_9
; %bb.2:
	s_or_b64 exec, exec, s[28:29]
	v_cmp_gt_i32_e32 vcc, s36, v31
	s_and_saveexec_b64 s[28:29], vcc
	s_cbranch_execnz .LBB45_21
.LBB45_3:
	s_or_b64 exec, exec, s[28:29]
	v_cmp_gt_i32_e32 vcc, s36, v31
	s_and_saveexec_b64 s[28:29], vcc
	s_cbranch_execnz .LBB45_33
.LBB45_4:
	s_or_b64 exec, exec, s[28:29]
	v_cmp_gt_i32_e32 vcc, s36, v31
	s_and_saveexec_b64 s[28:29], vcc
	s_cbranch_execnz .LBB45_45
.LBB45_5:
	s_or_b64 exec, exec, s[28:29]
	v_cmp_gt_i32_e32 vcc, s36, v31
	s_and_saveexec_b64 s[28:29], vcc
	s_cbranch_execnz .LBB45_57
.LBB45_6:
	s_or_b64 exec, exec, s[28:29]
	v_cmp_gt_i32_e32 vcc, s36, v31
	s_and_saveexec_b64 s[28:29], vcc
	s_cbranch_execnz .LBB45_69
.LBB45_7:
	s_or_b64 exec, exec, s[28:29]
	v_cmp_gt_i32_e32 vcc, s36, v31
	s_and_saveexec_b64 s[28:29], vcc
	s_cbranch_execnz .LBB45_81
.LBB45_8:
	s_or_b64 exec, exec, s[28:29]
	v_cmp_gt_i32_e32 vcc, s36, v31
	s_and_saveexec_b64 s[28:29], vcc
	s_cbranch_execnz .LBB45_93
	s_branch .LBB45_105
.LBB45_9:
	s_andn2_b64 vcc, exec, s[14:15]
	s_cbranch_vccnz .LBB45_15
; %bb.10:
	s_andn2_b64 vcc, exec, s[26:27]
	s_cbranch_vccnz .LBB45_16
; %bb.11:
	s_add_i32 s30, s35, 1
	s_and_b32 s37, s30, 30
	s_add_u32 s30, s12, 0xffffffe8
	s_addc_u32 s31, s13, -1
	v_mov_b32_e32 v2, 0
	v_mov_b32_e32 v4, 0
	;; [unrolled: 1-line block ×4, first 2 shown]
.LBB45_12:                              ; =>This Inner Loop Header: Depth=1
	s_load_dwordx4 s[40:43], s[30:31], 0x1c
	s_load_dwordx2 s[38:39], s[30:31], 0x2c
	s_load_dwordx2 s[48:49], s[30:31], 0xec
	s_load_dwordx4 s[44:47], s[30:31], 0xdc
	s_add_u32 s30, s30, 24
	s_waitcnt lgkmcnt(0)
	v_mul_hi_u32 v3, s41, v1
	s_addc_u32 s31, s31, 0
	s_add_i32 s37, s37, -2
	s_cmp_lg_u32 s37, 0
	v_add_u32_e32 v3, v1, v3
	v_lshrrev_b32_e32 v3, s42, v3
	v_mul_lo_u32 v5, v3, s40
	v_mul_hi_u32 v6, s38, v3
	v_sub_u32_e32 v5, v1, v5
	v_add_u32_e32 v1, v3, v6
	v_lshrrev_b32_e32 v1, s39, v1
	v_mul_lo_u32 v8, v1, s43
	v_mul_lo_u32 v6, v5, s44
	;; [unrolled: 1-line block ×4, first 2 shown]
	v_sub_u32_e32 v3, v3, v8
	v_mul_lo_u32 v8, v3, s47
	v_mul_lo_u32 v9, v3, s48
	;; [unrolled: 1-line block ×3, first 2 shown]
	v_add3_u32 v0, v6, v0, v8
	v_add3_u32 v4, v7, v4, v9
	;; [unrolled: 1-line block ×3, first 2 shown]
	s_cbranch_scc1 .LBB45_12
; %bb.13:
	s_bitcmp1_b32 s35, 0
	s_cselect_b64 s[38:39], -1, 0
	s_and_b64 vcc, exec, s[38:39]
	s_cbranch_vccnz .LBB45_17
; %bb.14:
	s_load_dwordx2 s[38:39], s[30:31], 0x1c
	s_load_dword s37, s[30:31], 0x24
	s_load_dwordx2 s[40:41], s[30:31], 0xdc
	s_waitcnt lgkmcnt(0)
	v_mul_hi_u32 v3, s39, v1
	v_add_u32_e32 v3, v1, v3
	v_lshrrev_b32_e32 v3, s37, v3
	v_mul_lo_u32 v3, v3, s38
	s_load_dword s37, s[30:31], 0xe4
	v_sub_u32_e32 v3, v1, v3
	v_mad_u64_u32 v[0:1], s[30:31], v3, s40, v[0:1]
	v_mad_u64_u32 v[4:5], s[30:31], v3, s41, v[4:5]
	s_waitcnt lgkmcnt(0)
	v_mad_u64_u32 v[2:3], s[30:31], v3, s37, v[2:3]
	s_cbranch_execz .LBB45_18
	s_branch .LBB45_20
.LBB45_15:
                                        ; implicit-def: $vgpr0
                                        ; implicit-def: $vgpr4
                                        ; implicit-def: $vgpr2
	s_branch .LBB45_18
.LBB45_16:
	v_mov_b32_e32 v0, 0
	v_mov_b32_e32 v4, 0
	;; [unrolled: 1-line block ×3, first 2 shown]
.LBB45_17:
	s_cbranch_execnz .LBB45_20
.LBB45_18:
	s_waitcnt lgkmcnt(0)
	v_mul_hi_u32 v0, s9, v31
	s_andn2_b64 vcc, exec, s[24:25]
	v_add_u32_e32 v0, v31, v0
	v_lshrrev_b32_e32 v1, s10, v0
	v_mul_lo_u32 v0, v1, s8
	v_sub_u32_e32 v2, v31, v0
	v_mul_lo_u32 v0, v2, s4
	v_mul_lo_u32 v4, v2, s5
	;; [unrolled: 1-line block ×3, first 2 shown]
	s_cbranch_vccnz .LBB45_20
; %bb.19:
	v_mul_hi_u32 v3, s22, v1
	v_add_u32_e32 v3, v1, v3
	v_lshrrev_b32_e32 v3, s23, v3
	v_mul_lo_u32 v3, v3, s11
	v_sub_u32_e32 v3, v1, v3
	v_mad_u64_u32 v[0:1], s[30:31], v3, s7, v[0:1]
	v_mad_u64_u32 v[4:5], s[30:31], v3, s20, v[4:5]
	;; [unrolled: 1-line block ×3, first 2 shown]
.LBB45_20:
	s_waitcnt lgkmcnt(0)
	global_load_ubyte v1, v2, s[18:19]
	global_load_ubyte v3, v4, s[2:3]
	v_add_u32_e32 v31, 0x80, v31
	s_waitcnt vmcnt(1)
	v_cmp_gt_u32_e32 vcc, 8, v1
	s_waitcnt vmcnt(0)
	v_lshlrev_b32_e32 v2, v1, v3
	v_cndmask_b32_e32 v1, 0, v2, vcc
	global_store_byte v0, v1, s[0:1]
	s_or_b64 exec, exec, s[28:29]
	v_cmp_gt_i32_e32 vcc, s36, v31
	s_and_saveexec_b64 s[28:29], vcc
	s_cbranch_execz .LBB45_3
.LBB45_21:
	s_andn2_b64 vcc, exec, s[14:15]
	s_cbranch_vccnz .LBB45_27
; %bb.22:
	s_andn2_b64 vcc, exec, s[26:27]
	s_cbranch_vccnz .LBB45_28
; %bb.23:
	s_add_i32 s30, s35, 1
	s_and_b32 s37, s30, 30
	s_add_u32 s30, s12, 0xffffffe8
	s_addc_u32 s31, s13, -1
	v_mov_b32_e32 v2, 0
	v_mov_b32_e32 v4, 0
	;; [unrolled: 1-line block ×4, first 2 shown]
.LBB45_24:                              ; =>This Inner Loop Header: Depth=1
	s_load_dwordx4 s[40:43], s[30:31], 0x1c
	s_load_dwordx2 s[38:39], s[30:31], 0x2c
	s_load_dwordx2 s[48:49], s[30:31], 0xec
	s_load_dwordx4 s[44:47], s[30:31], 0xdc
	s_add_u32 s30, s30, 24
	s_waitcnt lgkmcnt(0)
	v_mul_hi_u32 v3, s41, v1
	s_addc_u32 s31, s31, 0
	s_add_i32 s37, s37, -2
	s_cmp_eq_u32 s37, 0
	v_add_u32_e32 v3, v1, v3
	v_lshrrev_b32_e32 v3, s42, v3
	v_mul_lo_u32 v5, v3, s40
	v_mul_hi_u32 v6, s38, v3
	v_sub_u32_e32 v5, v1, v5
	v_add_u32_e32 v1, v3, v6
	v_lshrrev_b32_e32 v1, s39, v1
	v_mul_lo_u32 v8, v1, s43
	v_mul_lo_u32 v6, v5, s44
	;; [unrolled: 1-line block ×4, first 2 shown]
	v_sub_u32_e32 v3, v3, v8
	v_mul_lo_u32 v8, v3, s47
	v_mul_lo_u32 v9, v3, s48
	;; [unrolled: 1-line block ×3, first 2 shown]
	v_add3_u32 v0, v6, v0, v8
	v_add3_u32 v4, v7, v4, v9
	;; [unrolled: 1-line block ×3, first 2 shown]
	s_cbranch_scc0 .LBB45_24
; %bb.25:
	s_bitcmp1_b32 s35, 0
	s_cselect_b64 s[38:39], -1, 0
	s_and_b64 vcc, exec, s[38:39]
	s_cbranch_vccnz .LBB45_29
; %bb.26:
	s_load_dwordx2 s[38:39], s[30:31], 0x1c
	s_load_dword s37, s[30:31], 0x24
	s_load_dwordx2 s[40:41], s[30:31], 0xdc
	s_waitcnt lgkmcnt(0)
	v_mul_hi_u32 v3, s39, v1
	v_add_u32_e32 v3, v1, v3
	v_lshrrev_b32_e32 v3, s37, v3
	v_mul_lo_u32 v3, v3, s38
	s_load_dword s37, s[30:31], 0xe4
	v_sub_u32_e32 v3, v1, v3
	v_mad_u64_u32 v[0:1], s[30:31], v3, s40, v[0:1]
	v_mad_u64_u32 v[4:5], s[30:31], v3, s41, v[4:5]
	s_waitcnt lgkmcnt(0)
	v_mad_u64_u32 v[2:3], s[30:31], v3, s37, v[2:3]
	s_branch .LBB45_29
.LBB45_27:
                                        ; implicit-def: $vgpr0
                                        ; implicit-def: $vgpr4
                                        ; implicit-def: $vgpr2
	s_branch .LBB45_30
.LBB45_28:
	v_mov_b32_e32 v0, 0
	v_mov_b32_e32 v4, 0
	;; [unrolled: 1-line block ×3, first 2 shown]
.LBB45_29:
	s_cbranch_execnz .LBB45_32
.LBB45_30:
	s_waitcnt lgkmcnt(0)
	v_mul_hi_u32 v0, s9, v31
	s_andn2_b64 vcc, exec, s[24:25]
	v_add_u32_e32 v0, v31, v0
	v_lshrrev_b32_e32 v1, s10, v0
	v_mul_lo_u32 v0, v1, s8
	v_sub_u32_e32 v2, v31, v0
	v_mul_lo_u32 v0, v2, s4
	v_mul_lo_u32 v4, v2, s5
	;; [unrolled: 1-line block ×3, first 2 shown]
	s_cbranch_vccnz .LBB45_32
; %bb.31:
	v_mul_hi_u32 v3, s22, v1
	v_add_u32_e32 v3, v1, v3
	v_lshrrev_b32_e32 v3, s23, v3
	v_mul_lo_u32 v3, v3, s11
	v_sub_u32_e32 v3, v1, v3
	v_mad_u64_u32 v[0:1], s[30:31], v3, s7, v[0:1]
	v_mad_u64_u32 v[4:5], s[30:31], v3, s20, v[4:5]
	;; [unrolled: 1-line block ×3, first 2 shown]
.LBB45_32:
	s_waitcnt lgkmcnt(0)
	global_load_ubyte v1, v2, s[18:19]
	global_load_ubyte v3, v4, s[2:3]
	v_add_u32_e32 v31, 0x80, v31
	s_waitcnt vmcnt(1)
	v_cmp_gt_u32_e32 vcc, 8, v1
	s_waitcnt vmcnt(0)
	v_lshlrev_b32_e32 v2, v1, v3
	v_cndmask_b32_e32 v1, 0, v2, vcc
	global_store_byte v0, v1, s[0:1]
	s_or_b64 exec, exec, s[28:29]
	v_cmp_gt_i32_e32 vcc, s36, v31
	s_and_saveexec_b64 s[28:29], vcc
	s_cbranch_execz .LBB45_4
.LBB45_33:
	s_andn2_b64 vcc, exec, s[14:15]
	s_cbranch_vccnz .LBB45_39
; %bb.34:
	s_andn2_b64 vcc, exec, s[26:27]
	s_cbranch_vccnz .LBB45_40
; %bb.35:
	s_add_i32 s30, s35, 1
	s_and_b32 s37, s30, 30
	s_add_u32 s30, s12, 0xffffffe8
	s_addc_u32 s31, s13, -1
	v_mov_b32_e32 v2, 0
	v_mov_b32_e32 v4, 0
	;; [unrolled: 1-line block ×4, first 2 shown]
.LBB45_36:                              ; =>This Inner Loop Header: Depth=1
	s_load_dwordx4 s[40:43], s[30:31], 0x1c
	s_load_dwordx2 s[38:39], s[30:31], 0x2c
	s_load_dwordx2 s[48:49], s[30:31], 0xec
	s_load_dwordx4 s[44:47], s[30:31], 0xdc
	s_add_u32 s30, s30, 24
	s_waitcnt lgkmcnt(0)
	v_mul_hi_u32 v3, s41, v1
	s_addc_u32 s31, s31, 0
	s_add_i32 s37, s37, -2
	s_cmp_eq_u32 s37, 0
	v_add_u32_e32 v3, v1, v3
	v_lshrrev_b32_e32 v3, s42, v3
	v_mul_lo_u32 v5, v3, s40
	v_mul_hi_u32 v6, s38, v3
	v_sub_u32_e32 v5, v1, v5
	v_add_u32_e32 v1, v3, v6
	v_lshrrev_b32_e32 v1, s39, v1
	v_mul_lo_u32 v8, v1, s43
	v_mul_lo_u32 v6, v5, s44
	;; [unrolled: 1-line block ×4, first 2 shown]
	v_sub_u32_e32 v3, v3, v8
	v_mul_lo_u32 v8, v3, s47
	v_mul_lo_u32 v9, v3, s48
	;; [unrolled: 1-line block ×3, first 2 shown]
	v_add3_u32 v0, v6, v0, v8
	v_add3_u32 v4, v7, v4, v9
	;; [unrolled: 1-line block ×3, first 2 shown]
	s_cbranch_scc0 .LBB45_36
; %bb.37:
	s_bitcmp1_b32 s35, 0
	s_cselect_b64 s[38:39], -1, 0
	s_and_b64 vcc, exec, s[38:39]
	s_cbranch_vccnz .LBB45_41
; %bb.38:
	s_load_dwordx2 s[38:39], s[30:31], 0x1c
	s_load_dword s37, s[30:31], 0x24
	s_load_dwordx2 s[40:41], s[30:31], 0xdc
	s_waitcnt lgkmcnt(0)
	v_mul_hi_u32 v3, s39, v1
	v_add_u32_e32 v3, v1, v3
	v_lshrrev_b32_e32 v3, s37, v3
	v_mul_lo_u32 v3, v3, s38
	s_load_dword s37, s[30:31], 0xe4
	v_sub_u32_e32 v3, v1, v3
	v_mad_u64_u32 v[0:1], s[30:31], v3, s40, v[0:1]
	v_mad_u64_u32 v[4:5], s[30:31], v3, s41, v[4:5]
	s_waitcnt lgkmcnt(0)
	v_mad_u64_u32 v[2:3], s[30:31], v3, s37, v[2:3]
	s_branch .LBB45_41
.LBB45_39:
                                        ; implicit-def: $vgpr0
                                        ; implicit-def: $vgpr4
                                        ; implicit-def: $vgpr2
	s_branch .LBB45_42
.LBB45_40:
	v_mov_b32_e32 v0, 0
	v_mov_b32_e32 v4, 0
	;; [unrolled: 1-line block ×3, first 2 shown]
.LBB45_41:
	s_cbranch_execnz .LBB45_44
.LBB45_42:
	s_waitcnt lgkmcnt(0)
	v_mul_hi_u32 v0, s9, v31
	s_andn2_b64 vcc, exec, s[24:25]
	v_add_u32_e32 v0, v31, v0
	v_lshrrev_b32_e32 v1, s10, v0
	v_mul_lo_u32 v0, v1, s8
	v_sub_u32_e32 v2, v31, v0
	v_mul_lo_u32 v0, v2, s4
	v_mul_lo_u32 v4, v2, s5
	;; [unrolled: 1-line block ×3, first 2 shown]
	s_cbranch_vccnz .LBB45_44
; %bb.43:
	v_mul_hi_u32 v3, s22, v1
	v_add_u32_e32 v3, v1, v3
	v_lshrrev_b32_e32 v3, s23, v3
	v_mul_lo_u32 v3, v3, s11
	v_sub_u32_e32 v3, v1, v3
	v_mad_u64_u32 v[0:1], s[30:31], v3, s7, v[0:1]
	v_mad_u64_u32 v[4:5], s[30:31], v3, s20, v[4:5]
	;; [unrolled: 1-line block ×3, first 2 shown]
.LBB45_44:
	s_waitcnt lgkmcnt(0)
	global_load_ubyte v1, v2, s[18:19]
	global_load_ubyte v3, v4, s[2:3]
	v_add_u32_e32 v31, 0x80, v31
	s_waitcnt vmcnt(1)
	v_cmp_gt_u32_e32 vcc, 8, v1
	s_waitcnt vmcnt(0)
	v_lshlrev_b32_e32 v2, v1, v3
	v_cndmask_b32_e32 v1, 0, v2, vcc
	global_store_byte v0, v1, s[0:1]
	s_or_b64 exec, exec, s[28:29]
	v_cmp_gt_i32_e32 vcc, s36, v31
	s_and_saveexec_b64 s[28:29], vcc
	s_cbranch_execz .LBB45_5
.LBB45_45:
	s_andn2_b64 vcc, exec, s[14:15]
	s_cbranch_vccnz .LBB45_51
; %bb.46:
	s_andn2_b64 vcc, exec, s[26:27]
	s_cbranch_vccnz .LBB45_52
; %bb.47:
	s_add_i32 s30, s35, 1
	s_and_b32 s37, s30, 30
	s_add_u32 s30, s12, 0xffffffe8
	s_addc_u32 s31, s13, -1
	v_mov_b32_e32 v2, 0
	v_mov_b32_e32 v4, 0
	;; [unrolled: 1-line block ×4, first 2 shown]
.LBB45_48:                              ; =>This Inner Loop Header: Depth=1
	s_load_dwordx4 s[40:43], s[30:31], 0x1c
	s_load_dwordx2 s[38:39], s[30:31], 0x2c
	s_load_dwordx2 s[48:49], s[30:31], 0xec
	s_load_dwordx4 s[44:47], s[30:31], 0xdc
	s_add_u32 s30, s30, 24
	s_waitcnt lgkmcnt(0)
	v_mul_hi_u32 v3, s41, v1
	s_addc_u32 s31, s31, 0
	s_add_i32 s37, s37, -2
	s_cmp_eq_u32 s37, 0
	v_add_u32_e32 v3, v1, v3
	v_lshrrev_b32_e32 v3, s42, v3
	v_mul_lo_u32 v5, v3, s40
	v_mul_hi_u32 v6, s38, v3
	v_sub_u32_e32 v5, v1, v5
	v_add_u32_e32 v1, v3, v6
	v_lshrrev_b32_e32 v1, s39, v1
	v_mul_lo_u32 v8, v1, s43
	v_mul_lo_u32 v6, v5, s44
	;; [unrolled: 1-line block ×4, first 2 shown]
	v_sub_u32_e32 v3, v3, v8
	v_mul_lo_u32 v8, v3, s47
	v_mul_lo_u32 v9, v3, s48
	;; [unrolled: 1-line block ×3, first 2 shown]
	v_add3_u32 v0, v6, v0, v8
	v_add3_u32 v4, v7, v4, v9
	;; [unrolled: 1-line block ×3, first 2 shown]
	s_cbranch_scc0 .LBB45_48
; %bb.49:
	s_bitcmp1_b32 s35, 0
	s_cselect_b64 s[38:39], -1, 0
	s_and_b64 vcc, exec, s[38:39]
	s_cbranch_vccnz .LBB45_53
; %bb.50:
	s_load_dwordx2 s[38:39], s[30:31], 0x1c
	s_load_dword s37, s[30:31], 0x24
	s_load_dwordx2 s[40:41], s[30:31], 0xdc
	s_waitcnt lgkmcnt(0)
	v_mul_hi_u32 v3, s39, v1
	v_add_u32_e32 v3, v1, v3
	v_lshrrev_b32_e32 v3, s37, v3
	v_mul_lo_u32 v3, v3, s38
	s_load_dword s37, s[30:31], 0xe4
	v_sub_u32_e32 v3, v1, v3
	v_mad_u64_u32 v[0:1], s[30:31], v3, s40, v[0:1]
	v_mad_u64_u32 v[4:5], s[30:31], v3, s41, v[4:5]
	s_waitcnt lgkmcnt(0)
	v_mad_u64_u32 v[2:3], s[30:31], v3, s37, v[2:3]
	s_branch .LBB45_53
.LBB45_51:
                                        ; implicit-def: $vgpr0
                                        ; implicit-def: $vgpr4
                                        ; implicit-def: $vgpr2
	s_branch .LBB45_54
.LBB45_52:
	v_mov_b32_e32 v0, 0
	v_mov_b32_e32 v4, 0
	v_mov_b32_e32 v2, 0
.LBB45_53:
	s_cbranch_execnz .LBB45_56
.LBB45_54:
	s_waitcnt lgkmcnt(0)
	v_mul_hi_u32 v0, s9, v31
	s_andn2_b64 vcc, exec, s[24:25]
	v_add_u32_e32 v0, v31, v0
	v_lshrrev_b32_e32 v1, s10, v0
	v_mul_lo_u32 v0, v1, s8
	v_sub_u32_e32 v2, v31, v0
	v_mul_lo_u32 v0, v2, s4
	v_mul_lo_u32 v4, v2, s5
	v_mul_lo_u32 v2, v2, s6
	s_cbranch_vccnz .LBB45_56
; %bb.55:
	v_mul_hi_u32 v3, s22, v1
	v_add_u32_e32 v3, v1, v3
	v_lshrrev_b32_e32 v3, s23, v3
	v_mul_lo_u32 v3, v3, s11
	v_sub_u32_e32 v3, v1, v3
	v_mad_u64_u32 v[0:1], s[30:31], v3, s7, v[0:1]
	v_mad_u64_u32 v[4:5], s[30:31], v3, s20, v[4:5]
	;; [unrolled: 1-line block ×3, first 2 shown]
.LBB45_56:
	s_waitcnt lgkmcnt(0)
	global_load_ubyte v1, v2, s[18:19]
	global_load_ubyte v3, v4, s[2:3]
	v_add_u32_e32 v31, 0x80, v31
	s_waitcnt vmcnt(1)
	v_cmp_gt_u32_e32 vcc, 8, v1
	s_waitcnt vmcnt(0)
	v_lshlrev_b32_e32 v2, v1, v3
	v_cndmask_b32_e32 v1, 0, v2, vcc
	global_store_byte v0, v1, s[0:1]
	s_or_b64 exec, exec, s[28:29]
	v_cmp_gt_i32_e32 vcc, s36, v31
	s_and_saveexec_b64 s[28:29], vcc
	s_cbranch_execz .LBB45_6
.LBB45_57:
	s_andn2_b64 vcc, exec, s[14:15]
	s_cbranch_vccnz .LBB45_63
; %bb.58:
	s_andn2_b64 vcc, exec, s[26:27]
	s_cbranch_vccnz .LBB45_64
; %bb.59:
	s_add_i32 s30, s35, 1
	s_and_b32 s37, s30, 30
	s_add_u32 s30, s12, 0xffffffe8
	s_addc_u32 s31, s13, -1
	v_mov_b32_e32 v2, 0
	v_mov_b32_e32 v4, 0
	v_mov_b32_e32 v0, 0
	v_mov_b32_e32 v1, v31
.LBB45_60:                              ; =>This Inner Loop Header: Depth=1
	s_load_dwordx4 s[40:43], s[30:31], 0x1c
	s_load_dwordx2 s[38:39], s[30:31], 0x2c
	s_load_dwordx2 s[48:49], s[30:31], 0xec
	s_load_dwordx4 s[44:47], s[30:31], 0xdc
	s_add_u32 s30, s30, 24
	s_waitcnt lgkmcnt(0)
	v_mul_hi_u32 v3, s41, v1
	s_addc_u32 s31, s31, 0
	s_add_i32 s37, s37, -2
	s_cmp_eq_u32 s37, 0
	v_add_u32_e32 v3, v1, v3
	v_lshrrev_b32_e32 v3, s42, v3
	v_mul_lo_u32 v5, v3, s40
	v_mul_hi_u32 v6, s38, v3
	v_sub_u32_e32 v5, v1, v5
	v_add_u32_e32 v1, v3, v6
	v_lshrrev_b32_e32 v1, s39, v1
	v_mul_lo_u32 v8, v1, s43
	v_mul_lo_u32 v6, v5, s44
	;; [unrolled: 1-line block ×4, first 2 shown]
	v_sub_u32_e32 v3, v3, v8
	v_mul_lo_u32 v8, v3, s47
	v_mul_lo_u32 v9, v3, s48
	;; [unrolled: 1-line block ×3, first 2 shown]
	v_add3_u32 v0, v6, v0, v8
	v_add3_u32 v4, v7, v4, v9
	v_add3_u32 v2, v5, v2, v3
	s_cbranch_scc0 .LBB45_60
; %bb.61:
	s_bitcmp1_b32 s35, 0
	s_cselect_b64 s[38:39], -1, 0
	s_and_b64 vcc, exec, s[38:39]
	s_cbranch_vccnz .LBB45_65
; %bb.62:
	s_load_dwordx2 s[38:39], s[30:31], 0x1c
	s_load_dword s37, s[30:31], 0x24
	s_load_dwordx2 s[40:41], s[30:31], 0xdc
	s_waitcnt lgkmcnt(0)
	v_mul_hi_u32 v3, s39, v1
	v_add_u32_e32 v3, v1, v3
	v_lshrrev_b32_e32 v3, s37, v3
	v_mul_lo_u32 v3, v3, s38
	s_load_dword s37, s[30:31], 0xe4
	v_sub_u32_e32 v3, v1, v3
	v_mad_u64_u32 v[0:1], s[30:31], v3, s40, v[0:1]
	v_mad_u64_u32 v[4:5], s[30:31], v3, s41, v[4:5]
	s_waitcnt lgkmcnt(0)
	v_mad_u64_u32 v[2:3], s[30:31], v3, s37, v[2:3]
	s_branch .LBB45_65
.LBB45_63:
                                        ; implicit-def: $vgpr0
                                        ; implicit-def: $vgpr4
                                        ; implicit-def: $vgpr2
	s_branch .LBB45_66
.LBB45_64:
	v_mov_b32_e32 v0, 0
	v_mov_b32_e32 v4, 0
	;; [unrolled: 1-line block ×3, first 2 shown]
.LBB45_65:
	s_cbranch_execnz .LBB45_68
.LBB45_66:
	s_waitcnt lgkmcnt(0)
	v_mul_hi_u32 v0, s9, v31
	s_andn2_b64 vcc, exec, s[24:25]
	v_add_u32_e32 v0, v31, v0
	v_lshrrev_b32_e32 v1, s10, v0
	v_mul_lo_u32 v0, v1, s8
	v_sub_u32_e32 v2, v31, v0
	v_mul_lo_u32 v0, v2, s4
	v_mul_lo_u32 v4, v2, s5
	;; [unrolled: 1-line block ×3, first 2 shown]
	s_cbranch_vccnz .LBB45_68
; %bb.67:
	v_mul_hi_u32 v3, s22, v1
	v_add_u32_e32 v3, v1, v3
	v_lshrrev_b32_e32 v3, s23, v3
	v_mul_lo_u32 v3, v3, s11
	v_sub_u32_e32 v3, v1, v3
	v_mad_u64_u32 v[0:1], s[30:31], v3, s7, v[0:1]
	v_mad_u64_u32 v[4:5], s[30:31], v3, s20, v[4:5]
	;; [unrolled: 1-line block ×3, first 2 shown]
.LBB45_68:
	s_waitcnt lgkmcnt(0)
	global_load_ubyte v1, v2, s[18:19]
	global_load_ubyte v3, v4, s[2:3]
	v_add_u32_e32 v31, 0x80, v31
	s_waitcnt vmcnt(1)
	v_cmp_gt_u32_e32 vcc, 8, v1
	s_waitcnt vmcnt(0)
	v_lshlrev_b32_e32 v2, v1, v3
	v_cndmask_b32_e32 v1, 0, v2, vcc
	global_store_byte v0, v1, s[0:1]
	s_or_b64 exec, exec, s[28:29]
	v_cmp_gt_i32_e32 vcc, s36, v31
	s_and_saveexec_b64 s[28:29], vcc
	s_cbranch_execz .LBB45_7
.LBB45_69:
	s_andn2_b64 vcc, exec, s[14:15]
	s_cbranch_vccnz .LBB45_75
; %bb.70:
	s_andn2_b64 vcc, exec, s[26:27]
	s_cbranch_vccnz .LBB45_76
; %bb.71:
	s_add_i32 s30, s35, 1
	s_and_b32 s37, s30, 30
	s_add_u32 s30, s12, 0xffffffe8
	s_addc_u32 s31, s13, -1
	v_mov_b32_e32 v2, 0
	v_mov_b32_e32 v4, 0
	;; [unrolled: 1-line block ×4, first 2 shown]
.LBB45_72:                              ; =>This Inner Loop Header: Depth=1
	s_load_dwordx4 s[40:43], s[30:31], 0x1c
	s_load_dwordx2 s[38:39], s[30:31], 0x2c
	s_load_dwordx2 s[48:49], s[30:31], 0xec
	s_load_dwordx4 s[44:47], s[30:31], 0xdc
	s_add_u32 s30, s30, 24
	s_waitcnt lgkmcnt(0)
	v_mul_hi_u32 v3, s41, v1
	s_addc_u32 s31, s31, 0
	s_add_i32 s37, s37, -2
	s_cmp_eq_u32 s37, 0
	v_add_u32_e32 v3, v1, v3
	v_lshrrev_b32_e32 v3, s42, v3
	v_mul_lo_u32 v5, v3, s40
	v_mul_hi_u32 v6, s38, v3
	v_sub_u32_e32 v5, v1, v5
	v_add_u32_e32 v1, v3, v6
	v_lshrrev_b32_e32 v1, s39, v1
	v_mul_lo_u32 v8, v1, s43
	v_mul_lo_u32 v6, v5, s44
	;; [unrolled: 1-line block ×4, first 2 shown]
	v_sub_u32_e32 v3, v3, v8
	v_mul_lo_u32 v8, v3, s47
	v_mul_lo_u32 v9, v3, s48
	;; [unrolled: 1-line block ×3, first 2 shown]
	v_add3_u32 v0, v6, v0, v8
	v_add3_u32 v4, v7, v4, v9
	;; [unrolled: 1-line block ×3, first 2 shown]
	s_cbranch_scc0 .LBB45_72
; %bb.73:
	s_bitcmp1_b32 s35, 0
	s_cselect_b64 s[38:39], -1, 0
	s_and_b64 vcc, exec, s[38:39]
	s_cbranch_vccnz .LBB45_77
; %bb.74:
	s_load_dwordx2 s[38:39], s[30:31], 0x1c
	s_load_dword s37, s[30:31], 0x24
	s_load_dwordx2 s[40:41], s[30:31], 0xdc
	s_waitcnt lgkmcnt(0)
	v_mul_hi_u32 v3, s39, v1
	v_add_u32_e32 v3, v1, v3
	v_lshrrev_b32_e32 v3, s37, v3
	v_mul_lo_u32 v3, v3, s38
	s_load_dword s37, s[30:31], 0xe4
	v_sub_u32_e32 v3, v1, v3
	v_mad_u64_u32 v[0:1], s[30:31], v3, s40, v[0:1]
	v_mad_u64_u32 v[4:5], s[30:31], v3, s41, v[4:5]
	s_waitcnt lgkmcnt(0)
	v_mad_u64_u32 v[2:3], s[30:31], v3, s37, v[2:3]
	s_branch .LBB45_77
.LBB45_75:
                                        ; implicit-def: $vgpr0
                                        ; implicit-def: $vgpr4
                                        ; implicit-def: $vgpr2
	s_branch .LBB45_78
.LBB45_76:
	v_mov_b32_e32 v0, 0
	v_mov_b32_e32 v4, 0
	;; [unrolled: 1-line block ×3, first 2 shown]
.LBB45_77:
	s_cbranch_execnz .LBB45_80
.LBB45_78:
	s_waitcnt lgkmcnt(0)
	v_mul_hi_u32 v0, s9, v31
	s_andn2_b64 vcc, exec, s[24:25]
	v_add_u32_e32 v0, v31, v0
	v_lshrrev_b32_e32 v1, s10, v0
	v_mul_lo_u32 v0, v1, s8
	v_sub_u32_e32 v2, v31, v0
	v_mul_lo_u32 v0, v2, s4
	v_mul_lo_u32 v4, v2, s5
	v_mul_lo_u32 v2, v2, s6
	s_cbranch_vccnz .LBB45_80
; %bb.79:
	v_mul_hi_u32 v3, s22, v1
	v_add_u32_e32 v3, v1, v3
	v_lshrrev_b32_e32 v3, s23, v3
	v_mul_lo_u32 v3, v3, s11
	v_sub_u32_e32 v3, v1, v3
	v_mad_u64_u32 v[0:1], s[30:31], v3, s7, v[0:1]
	v_mad_u64_u32 v[4:5], s[30:31], v3, s20, v[4:5]
	;; [unrolled: 1-line block ×3, first 2 shown]
.LBB45_80:
	s_waitcnt lgkmcnt(0)
	global_load_ubyte v1, v2, s[18:19]
	global_load_ubyte v3, v4, s[2:3]
	v_add_u32_e32 v31, 0x80, v31
	s_waitcnt vmcnt(1)
	v_cmp_gt_u32_e32 vcc, 8, v1
	s_waitcnt vmcnt(0)
	v_lshlrev_b32_e32 v2, v1, v3
	v_cndmask_b32_e32 v1, 0, v2, vcc
	global_store_byte v0, v1, s[0:1]
	s_or_b64 exec, exec, s[28:29]
	v_cmp_gt_i32_e32 vcc, s36, v31
	s_and_saveexec_b64 s[28:29], vcc
	s_cbranch_execz .LBB45_8
.LBB45_81:
	s_andn2_b64 vcc, exec, s[14:15]
	s_cbranch_vccnz .LBB45_87
; %bb.82:
	s_andn2_b64 vcc, exec, s[26:27]
	s_cbranch_vccnz .LBB45_88
; %bb.83:
	s_add_i32 s30, s35, 1
	s_and_b32 s37, s30, 30
	s_add_u32 s30, s12, 0xffffffe8
	s_addc_u32 s31, s13, -1
	v_mov_b32_e32 v2, 0
	v_mov_b32_e32 v4, 0
	;; [unrolled: 1-line block ×4, first 2 shown]
.LBB45_84:                              ; =>This Inner Loop Header: Depth=1
	s_load_dwordx4 s[40:43], s[30:31], 0x1c
	s_load_dwordx2 s[38:39], s[30:31], 0x2c
	s_load_dwordx2 s[48:49], s[30:31], 0xec
	s_load_dwordx4 s[44:47], s[30:31], 0xdc
	s_add_u32 s30, s30, 24
	s_waitcnt lgkmcnt(0)
	v_mul_hi_u32 v3, s41, v1
	s_addc_u32 s31, s31, 0
	s_add_i32 s37, s37, -2
	s_cmp_eq_u32 s37, 0
	v_add_u32_e32 v3, v1, v3
	v_lshrrev_b32_e32 v3, s42, v3
	v_mul_lo_u32 v5, v3, s40
	v_mul_hi_u32 v6, s38, v3
	v_sub_u32_e32 v5, v1, v5
	v_add_u32_e32 v1, v3, v6
	v_lshrrev_b32_e32 v1, s39, v1
	v_mul_lo_u32 v8, v1, s43
	v_mul_lo_u32 v6, v5, s44
	;; [unrolled: 1-line block ×4, first 2 shown]
	v_sub_u32_e32 v3, v3, v8
	v_mul_lo_u32 v8, v3, s47
	v_mul_lo_u32 v9, v3, s48
	;; [unrolled: 1-line block ×3, first 2 shown]
	v_add3_u32 v0, v6, v0, v8
	v_add3_u32 v4, v7, v4, v9
	;; [unrolled: 1-line block ×3, first 2 shown]
	s_cbranch_scc0 .LBB45_84
; %bb.85:
	s_bitcmp1_b32 s35, 0
	s_cselect_b64 s[38:39], -1, 0
	s_and_b64 vcc, exec, s[38:39]
	s_cbranch_vccnz .LBB45_89
; %bb.86:
	s_load_dwordx2 s[38:39], s[30:31], 0x1c
	s_load_dword s37, s[30:31], 0x24
	s_load_dwordx2 s[40:41], s[30:31], 0xdc
	s_waitcnt lgkmcnt(0)
	v_mul_hi_u32 v3, s39, v1
	v_add_u32_e32 v3, v1, v3
	v_lshrrev_b32_e32 v3, s37, v3
	v_mul_lo_u32 v3, v3, s38
	s_load_dword s37, s[30:31], 0xe4
	v_sub_u32_e32 v3, v1, v3
	v_mad_u64_u32 v[0:1], s[30:31], v3, s40, v[0:1]
	v_mad_u64_u32 v[4:5], s[30:31], v3, s41, v[4:5]
	s_waitcnt lgkmcnt(0)
	v_mad_u64_u32 v[2:3], s[30:31], v3, s37, v[2:3]
	s_branch .LBB45_89
.LBB45_87:
                                        ; implicit-def: $vgpr0
                                        ; implicit-def: $vgpr4
                                        ; implicit-def: $vgpr2
	s_branch .LBB45_90
.LBB45_88:
	v_mov_b32_e32 v0, 0
	v_mov_b32_e32 v4, 0
	;; [unrolled: 1-line block ×3, first 2 shown]
.LBB45_89:
	s_cbranch_execnz .LBB45_92
.LBB45_90:
	s_waitcnt lgkmcnt(0)
	v_mul_hi_u32 v0, s9, v31
	s_andn2_b64 vcc, exec, s[24:25]
	v_add_u32_e32 v0, v31, v0
	v_lshrrev_b32_e32 v1, s10, v0
	v_mul_lo_u32 v0, v1, s8
	v_sub_u32_e32 v2, v31, v0
	v_mul_lo_u32 v0, v2, s4
	v_mul_lo_u32 v4, v2, s5
	v_mul_lo_u32 v2, v2, s6
	s_cbranch_vccnz .LBB45_92
; %bb.91:
	v_mul_hi_u32 v3, s22, v1
	v_add_u32_e32 v3, v1, v3
	v_lshrrev_b32_e32 v3, s23, v3
	v_mul_lo_u32 v3, v3, s11
	v_sub_u32_e32 v3, v1, v3
	v_mad_u64_u32 v[0:1], s[30:31], v3, s7, v[0:1]
	v_mad_u64_u32 v[4:5], s[30:31], v3, s20, v[4:5]
	;; [unrolled: 1-line block ×3, first 2 shown]
.LBB45_92:
	s_waitcnt lgkmcnt(0)
	global_load_ubyte v1, v2, s[18:19]
	global_load_ubyte v3, v4, s[2:3]
	v_add_u32_e32 v31, 0x80, v31
	s_waitcnt vmcnt(1)
	v_cmp_gt_u32_e32 vcc, 8, v1
	s_waitcnt vmcnt(0)
	v_lshlrev_b32_e32 v2, v1, v3
	v_cndmask_b32_e32 v1, 0, v2, vcc
	global_store_byte v0, v1, s[0:1]
	s_or_b64 exec, exec, s[28:29]
	v_cmp_gt_i32_e32 vcc, s36, v31
	s_and_saveexec_b64 s[28:29], vcc
	s_cbranch_execz .LBB45_105
.LBB45_93:
	s_andn2_b64 vcc, exec, s[14:15]
	s_cbranch_vccnz .LBB45_99
; %bb.94:
	s_andn2_b64 vcc, exec, s[26:27]
	s_cbranch_vccnz .LBB45_100
; %bb.95:
	s_add_i32 s26, s35, 1
	s_and_b32 s30, s26, 30
	s_add_u32 s26, s12, 0xffffffe8
	s_addc_u32 s27, s13, -1
	v_mov_b32_e32 v2, 0
	v_mov_b32_e32 v4, 0
	;; [unrolled: 1-line block ×4, first 2 shown]
.LBB45_96:                              ; =>This Inner Loop Header: Depth=1
	s_load_dwordx4 s[36:39], s[26:27], 0x1c
	s_load_dwordx2 s[44:45], s[26:27], 0x2c
	s_load_dwordx2 s[46:47], s[26:27], 0xec
	s_load_dwordx4 s[40:43], s[26:27], 0xdc
	s_add_u32 s26, s26, 24
	s_waitcnt lgkmcnt(0)
	v_mul_hi_u32 v3, s37, v1
	s_addc_u32 s27, s27, 0
	s_add_i32 s30, s30, -2
	s_cmp_eq_u32 s30, 0
	v_add_u32_e32 v3, v1, v3
	v_lshrrev_b32_e32 v3, s38, v3
	v_mul_lo_u32 v5, v3, s36
	v_mul_hi_u32 v6, s44, v3
	v_sub_u32_e32 v5, v1, v5
	v_add_u32_e32 v1, v3, v6
	v_lshrrev_b32_e32 v1, s45, v1
	v_mul_lo_u32 v8, v1, s39
	v_mul_lo_u32 v6, v5, s40
	;; [unrolled: 1-line block ×4, first 2 shown]
	v_sub_u32_e32 v3, v3, v8
	v_mul_lo_u32 v8, v3, s43
	v_mul_lo_u32 v9, v3, s46
	v_mul_lo_u32 v3, v3, s47
	v_add3_u32 v0, v6, v0, v8
	v_add3_u32 v4, v7, v4, v9
	;; [unrolled: 1-line block ×3, first 2 shown]
	s_cbranch_scc0 .LBB45_96
; %bb.97:
	s_bitcmp1_b32 s35, 0
	s_cselect_b64 s[30:31], -1, 0
	s_and_b64 vcc, exec, s[30:31]
	s_cbranch_vccnz .LBB45_101
; %bb.98:
	s_load_dwordx2 s[30:31], s[26:27], 0x1c
	s_load_dword s35, s[26:27], 0x24
	s_load_dwordx2 s[36:37], s[26:27], 0xdc
	s_waitcnt lgkmcnt(0)
	v_mul_hi_u32 v3, s31, v1
	v_add_u32_e32 v3, v1, v3
	v_lshrrev_b32_e32 v3, s35, v3
	v_mul_lo_u32 v3, v3, s30
	s_load_dword s30, s[26:27], 0xe4
	v_sub_u32_e32 v3, v1, v3
	v_mad_u64_u32 v[0:1], s[26:27], v3, s36, v[0:1]
	v_mad_u64_u32 v[4:5], s[26:27], v3, s37, v[4:5]
	s_waitcnt lgkmcnt(0)
	v_mad_u64_u32 v[2:3], s[26:27], v3, s30, v[2:3]
	s_branch .LBB45_101
.LBB45_99:
                                        ; implicit-def: $vgpr0
                                        ; implicit-def: $vgpr4
                                        ; implicit-def: $vgpr2
	s_branch .LBB45_102
.LBB45_100:
	v_mov_b32_e32 v0, 0
	v_mov_b32_e32 v4, 0
	;; [unrolled: 1-line block ×3, first 2 shown]
.LBB45_101:
	s_cbranch_execnz .LBB45_104
.LBB45_102:
	s_waitcnt lgkmcnt(0)
	v_mul_hi_u32 v0, s9, v31
	s_andn2_b64 vcc, exec, s[24:25]
	v_add_u32_e32 v0, v31, v0
	v_lshrrev_b32_e32 v1, s10, v0
	v_mul_lo_u32 v0, v1, s8
	v_sub_u32_e32 v2, v31, v0
	v_mul_lo_u32 v0, v2, s4
	v_mul_lo_u32 v4, v2, s5
	;; [unrolled: 1-line block ×3, first 2 shown]
	s_cbranch_vccnz .LBB45_104
; %bb.103:
	v_mul_hi_u32 v3, s22, v1
	v_add_u32_e32 v3, v1, v3
	v_lshrrev_b32_e32 v3, s23, v3
	v_mul_lo_u32 v3, v3, s11
	v_sub_u32_e32 v3, v1, v3
	v_mad_u64_u32 v[0:1], s[4:5], v3, s7, v[0:1]
	v_mad_u64_u32 v[4:5], s[4:5], v3, s20, v[4:5]
	;; [unrolled: 1-line block ×3, first 2 shown]
.LBB45_104:
	s_waitcnt lgkmcnt(0)
	global_load_ubyte v1, v2, s[18:19]
	global_load_ubyte v3, v4, s[2:3]
	s_waitcnt vmcnt(1)
	v_cmp_gt_u32_e32 vcc, 8, v1
	s_waitcnt vmcnt(0)
	v_lshlrev_b32_e32 v2, v1, v3
	v_cndmask_b32_e32 v1, 0, v2, vcc
	global_store_byte v0, v1, s[0:1]
.LBB45_105:
	s_or_b64 exec, exec, s[28:29]
                                        ; implicit-def: $vgpr41
                                        ; implicit-def: $vgpr31
.LBB45_106:
	s_waitcnt lgkmcnt(0)
	s_andn2_saveexec_b64 s[0:1], s[16:17]
	s_cbranch_execz .LBB45_113
; %bb.107:
	v_cndmask_b32_e64 v0, 0, 1, s[14:15]
	v_cmp_ne_u32_e64 s[0:1], 1, v0
	s_andn2_b64 vcc, exec, s[14:15]
	s_cbranch_vccnz .LBB45_114
; %bb.108:
	s_cmp_lg_u32 s33, 0
	s_cbranch_scc0 .LBB45_115
; %bb.109:
	s_min_u32 s4, s34, 15
	s_add_i32 s2, s4, 1
	s_and_b32 s5, s2, 30
	s_add_u32 s2, s12, 0xffffffe8
	s_addc_u32 s3, s13, -1
	v_mov_b32_e32 v4, 0
	v_mov_b32_e32 v2, 0
	;; [unrolled: 1-line block ×4, first 2 shown]
.LBB45_110:                             ; =>This Inner Loop Header: Depth=1
	s_load_dwordx4 s[8:11], s[2:3], 0x1c
	s_load_dwordx2 s[6:7], s[2:3], 0x2c
	s_load_dwordx2 s[14:15], s[2:3], 0xec
	s_load_dwordx4 s[16:19], s[2:3], 0xdc
	s_add_u32 s2, s2, 24
	s_waitcnt lgkmcnt(0)
	v_mul_hi_u32 v3, s9, v1
	s_addc_u32 s3, s3, 0
	s_add_i32 s5, s5, -2
	s_cmp_lg_u32 s5, 0
	v_add_u32_e32 v3, v1, v3
	v_lshrrev_b32_e32 v3, s10, v3
	v_mul_lo_u32 v5, v3, s8
	v_mul_hi_u32 v6, s6, v3
	v_sub_u32_e32 v5, v1, v5
	v_add_u32_e32 v1, v3, v6
	v_lshrrev_b32_e32 v1, s7, v1
	v_mul_lo_u32 v8, v1, s11
	v_mul_lo_u32 v6, v5, s16
	;; [unrolled: 1-line block ×4, first 2 shown]
	v_sub_u32_e32 v3, v3, v8
	v_mul_lo_u32 v8, v3, s19
	v_mul_lo_u32 v9, v3, s14
	;; [unrolled: 1-line block ×3, first 2 shown]
	v_add3_u32 v0, v6, v0, v8
	v_add3_u32 v2, v7, v2, v9
	;; [unrolled: 1-line block ×3, first 2 shown]
	s_cbranch_scc1 .LBB45_110
; %bb.111:
	s_bitcmp1_b32 s4, 0
	s_cselect_b64 s[4:5], -1, 0
	s_and_b64 vcc, exec, s[4:5]
	s_cbranch_vccnz .LBB45_116
; %bb.112:
	s_load_dwordx2 s[4:5], s[2:3], 0x1c
	s_load_dword s8, s[2:3], 0x24
	s_load_dwordx2 s[6:7], s[2:3], 0xdc
	s_waitcnt lgkmcnt(0)
	v_mul_hi_u32 v3, s5, v1
	v_add_u32_e32 v3, v1, v3
	v_lshrrev_b32_e32 v3, s8, v3
	v_mul_lo_u32 v3, v3, s4
	s_load_dword s4, s[2:3], 0xe4
	v_sub_u32_e32 v5, v1, v3
	v_mad_u64_u32 v[0:1], s[2:3], v5, s6, v[0:1]
	v_mad_u64_u32 v[2:3], s[2:3], v5, s7, v[2:3]
	s_waitcnt lgkmcnt(0)
	v_mad_u64_u32 v[4:5], s[2:3], v5, s4, v[4:5]
	s_cbranch_execz .LBB45_117
	s_branch .LBB45_119
.LBB45_113:
	s_endpgm
.LBB45_114:
                                        ; implicit-def: $vgpr0
                                        ; implicit-def: $vgpr2
                                        ; implicit-def: $vgpr4
	s_branch .LBB45_117
.LBB45_115:
	v_mov_b32_e32 v0, 0
	v_mov_b32_e32 v2, 0
	;; [unrolled: 1-line block ×3, first 2 shown]
.LBB45_116:
	s_cbranch_execnz .LBB45_119
.LBB45_117:
	s_load_dwordx4 s[4:7], s[12:13], 0x4
	s_load_dwordx4 s[8:11], s[12:13], 0xc4
	s_cmp_lt_u32 s33, 2
	s_waitcnt lgkmcnt(0)
	v_mul_hi_u32 v0, s5, v31
	v_add_u32_e32 v0, v31, v0
	v_lshrrev_b32_e32 v1, s6, v0
	v_mul_lo_u32 v0, v1, s4
	v_sub_u32_e32 v3, v31, v0
	v_mul_lo_u32 v0, v3, s8
	v_mul_lo_u32 v2, v3, s9
	;; [unrolled: 1-line block ×3, first 2 shown]
	s_cbranch_scc1 .LBB45_119
; %bb.118:
	s_load_dwordx4 s[4:7], s[12:13], 0x10
	s_load_dwordx4 s[8:11], s[12:13], 0xd0
	s_waitcnt lgkmcnt(0)
	v_mul_hi_u32 v3, s5, v1
	v_add_u32_e32 v3, v1, v3
	v_lshrrev_b32_e32 v3, s6, v3
	v_mul_lo_u32 v3, v3, s4
	v_sub_u32_e32 v5, v1, v3
	v_mad_u64_u32 v[0:1], s[2:3], v5, s8, v[0:1]
	v_mad_u64_u32 v[2:3], s[2:3], v5, s9, v[2:3]
	;; [unrolled: 1-line block ×3, first 2 shown]
.LBB45_119:
	s_and_b64 vcc, exec, s[0:1]
	v_add_u32_e32 v1, 0x80, v31
	s_cbranch_vccnz .LBB45_125
; %bb.120:
	s_cmp_lg_u32 s33, 0
	s_cbranch_scc0 .LBB45_126
; %bb.121:
	s_min_u32 s4, s34, 15
	s_add_i32 s2, s4, 1
	s_and_b32 s5, s2, 30
	s_add_u32 s2, s12, 0xffffffe8
	s_addc_u32 s3, s13, -1
	v_mov_b32_e32 v9, 0
	v_mov_b32_e32 v7, 0
	;; [unrolled: 1-line block ×4, first 2 shown]
.LBB45_122:                             ; =>This Inner Loop Header: Depth=1
	s_load_dwordx4 s[8:11], s[2:3], 0x1c
	s_load_dwordx2 s[6:7], s[2:3], 0x2c
	s_load_dwordx2 s[14:15], s[2:3], 0xec
	s_load_dwordx4 s[16:19], s[2:3], 0xdc
	s_add_u32 s2, s2, 24
	s_waitcnt lgkmcnt(0)
	v_mul_hi_u32 v6, s9, v3
	s_addc_u32 s3, s3, 0
	s_add_i32 s5, s5, -2
	s_cmp_lg_u32 s5, 0
	v_add_u32_e32 v6, v3, v6
	v_lshrrev_b32_e32 v6, s10, v6
	v_mul_lo_u32 v8, v6, s8
	v_mul_hi_u32 v10, s6, v6
	v_sub_u32_e32 v8, v3, v8
	v_add_u32_e32 v3, v6, v10
	v_lshrrev_b32_e32 v3, s7, v3
	v_mul_lo_u32 v12, v3, s11
	v_mul_lo_u32 v10, v8, s16
	;; [unrolled: 1-line block ×4, first 2 shown]
	v_sub_u32_e32 v6, v6, v12
	v_mul_lo_u32 v12, v6, s19
	v_mul_lo_u32 v13, v6, s14
	;; [unrolled: 1-line block ×3, first 2 shown]
	v_add3_u32 v5, v10, v5, v12
	v_add3_u32 v7, v11, v7, v13
	;; [unrolled: 1-line block ×3, first 2 shown]
	s_cbranch_scc1 .LBB45_122
; %bb.123:
	s_bitcmp1_b32 s4, 0
	s_cselect_b64 s[4:5], -1, 0
	s_and_b64 vcc, exec, s[4:5]
	s_cbranch_vccnz .LBB45_127
; %bb.124:
	s_load_dwordx2 s[4:5], s[2:3], 0x1c
	s_load_dword s8, s[2:3], 0x24
	s_load_dwordx2 s[6:7], s[2:3], 0xdc
	s_waitcnt lgkmcnt(0)
	v_mul_hi_u32 v6, s5, v3
	v_add_u32_e32 v6, v3, v6
	v_lshrrev_b32_e32 v6, s8, v6
	v_mul_lo_u32 v6, v6, s4
	s_load_dword s4, s[2:3], 0xe4
	v_sub_u32_e32 v3, v3, v6
	v_mad_u64_u32 v[5:6], s[2:3], v3, s6, v[5:6]
	v_mad_u64_u32 v[7:8], s[2:3], v3, s7, v[7:8]
	s_waitcnt lgkmcnt(0)
	v_mad_u64_u32 v[9:10], s[2:3], v3, s4, v[9:10]
	s_cbranch_execz .LBB45_128
	s_branch .LBB45_130
.LBB45_125:
                                        ; implicit-def: $vgpr5
                                        ; implicit-def: $vgpr7
                                        ; implicit-def: $vgpr9
	s_branch .LBB45_128
.LBB45_126:
	v_mov_b32_e32 v5, 0
	v_mov_b32_e32 v7, 0
	;; [unrolled: 1-line block ×3, first 2 shown]
.LBB45_127:
	s_cbranch_execnz .LBB45_130
.LBB45_128:
	s_load_dwordx4 s[4:7], s[12:13], 0x4
	s_load_dwordx4 s[8:11], s[12:13], 0xc4
	s_cmp_lt_u32 s33, 2
	s_waitcnt lgkmcnt(0)
	v_mul_hi_u32 v3, s5, v1
	v_add_u32_e32 v3, v1, v3
	v_lshrrev_b32_e32 v3, s6, v3
	v_mul_lo_u32 v5, v3, s4
	v_sub_u32_e32 v1, v1, v5
	v_mul_lo_u32 v5, v1, s8
	v_mul_lo_u32 v7, v1, s9
	;; [unrolled: 1-line block ×3, first 2 shown]
	s_cbranch_scc1 .LBB45_130
; %bb.129:
	s_load_dwordx4 s[4:7], s[12:13], 0x10
	s_load_dwordx4 s[8:11], s[12:13], 0xd0
	s_waitcnt lgkmcnt(0)
	v_mul_hi_u32 v1, s5, v3
	v_add_u32_e32 v1, v3, v1
	v_lshrrev_b32_e32 v1, s6, v1
	v_mul_lo_u32 v1, v1, s4
	v_sub_u32_e32 v1, v3, v1
	v_mad_u64_u32 v[5:6], s[2:3], v1, s8, v[5:6]
	v_mad_u64_u32 v[7:8], s[2:3], v1, s9, v[7:8]
	;; [unrolled: 1-line block ×3, first 2 shown]
.LBB45_130:
	s_and_b64 vcc, exec, s[0:1]
	v_add_u32_e32 v1, 0x100, v31
	s_cbranch_vccnz .LBB45_136
; %bb.131:
	s_cmp_lg_u32 s33, 0
	s_cbranch_scc0 .LBB45_137
; %bb.132:
	s_min_u32 s4, s34, 15
	s_add_i32 s2, s4, 1
	s_and_b32 s5, s2, 30
	s_add_u32 s2, s12, 0xffffffe8
	s_addc_u32 s3, s13, -1
	v_mov_b32_e32 v12, 0
	v_mov_b32_e32 v14, 0
	;; [unrolled: 1-line block ×4, first 2 shown]
.LBB45_133:                             ; =>This Inner Loop Header: Depth=1
	s_load_dwordx4 s[8:11], s[2:3], 0x1c
	s_load_dwordx2 s[6:7], s[2:3], 0x2c
	s_load_dwordx2 s[14:15], s[2:3], 0xec
	s_load_dwordx4 s[16:19], s[2:3], 0xdc
	s_add_u32 s2, s2, 24
	s_waitcnt lgkmcnt(0)
	v_mul_hi_u32 v6, s9, v3
	s_addc_u32 s3, s3, 0
	s_add_i32 s5, s5, -2
	s_cmp_lg_u32 s5, 0
	v_add_u32_e32 v6, v3, v6
	v_lshrrev_b32_e32 v6, s10, v6
	v_mul_lo_u32 v8, v6, s8
	v_mul_hi_u32 v11, s6, v6
	v_sub_u32_e32 v8, v3, v8
	v_add_u32_e32 v3, v6, v11
	v_lshrrev_b32_e32 v3, s7, v3
	v_mul_lo_u32 v15, v3, s11
	v_mul_lo_u32 v11, v8, s16
	;; [unrolled: 1-line block ×4, first 2 shown]
	v_sub_u32_e32 v6, v6, v15
	v_mul_lo_u32 v15, v6, s19
	v_mul_lo_u32 v16, v6, s14
	;; [unrolled: 1-line block ×3, first 2 shown]
	v_add3_u32 v10, v11, v10, v15
	v_add3_u32 v14, v13, v14, v16
	;; [unrolled: 1-line block ×3, first 2 shown]
	s_cbranch_scc1 .LBB45_133
; %bb.134:
	s_bitcmp1_b32 s4, 0
	s_cselect_b64 s[4:5], -1, 0
	s_and_b64 vcc, exec, s[4:5]
	s_cbranch_vccnz .LBB45_138
; %bb.135:
	s_load_dwordx2 s[4:5], s[2:3], 0x1c
	s_load_dword s8, s[2:3], 0x24
	s_load_dwordx2 s[6:7], s[2:3], 0xdc
	s_waitcnt lgkmcnt(0)
	v_mul_hi_u32 v6, s5, v3
	v_add_u32_e32 v6, v3, v6
	v_lshrrev_b32_e32 v6, s8, v6
	v_mul_lo_u32 v6, v6, s4
	s_load_dword s4, s[2:3], 0xe4
	v_sub_u32_e32 v3, v3, v6
	v_mad_u64_u32 v[10:11], s[2:3], v3, s6, v[10:11]
	v_mad_u64_u32 v[14:15], s[2:3], v3, s7, v[14:15]
	s_waitcnt lgkmcnt(0)
	v_mad_u64_u32 v[12:13], s[2:3], v3, s4, v[12:13]
	s_cbranch_execz .LBB45_139
	s_branch .LBB45_141
.LBB45_136:
                                        ; implicit-def: $vgpr10
                                        ; implicit-def: $vgpr14
                                        ; implicit-def: $vgpr12
	s_branch .LBB45_139
.LBB45_137:
	v_mov_b32_e32 v10, 0
	v_mov_b32_e32 v14, 0
	;; [unrolled: 1-line block ×3, first 2 shown]
.LBB45_138:
	s_cbranch_execnz .LBB45_141
.LBB45_139:
	s_load_dwordx4 s[4:7], s[12:13], 0x4
	s_load_dwordx4 s[8:11], s[12:13], 0xc4
	s_cmp_lt_u32 s33, 2
	s_waitcnt lgkmcnt(0)
	v_mul_hi_u32 v3, s5, v1
	v_add_u32_e32 v3, v1, v3
	v_lshrrev_b32_e32 v3, s6, v3
	v_mul_lo_u32 v6, v3, s4
	v_sub_u32_e32 v1, v1, v6
	v_mul_lo_u32 v10, v1, s8
	v_mul_lo_u32 v14, v1, s9
	v_mul_lo_u32 v12, v1, s10
	s_cbranch_scc1 .LBB45_141
; %bb.140:
	s_load_dwordx4 s[4:7], s[12:13], 0x10
	s_load_dwordx4 s[8:11], s[12:13], 0xd0
	s_waitcnt lgkmcnt(0)
	v_mul_hi_u32 v1, s5, v3
	v_add_u32_e32 v1, v3, v1
	v_lshrrev_b32_e32 v1, s6, v1
	v_mul_lo_u32 v1, v1, s4
	v_sub_u32_e32 v1, v3, v1
	v_mad_u64_u32 v[10:11], s[2:3], v1, s8, v[10:11]
	v_mad_u64_u32 v[14:15], s[2:3], v1, s9, v[14:15]
	;; [unrolled: 1-line block ×3, first 2 shown]
.LBB45_141:
	s_and_b64 vcc, exec, s[0:1]
	v_add_u32_e32 v1, 0x180, v31
	s_cbranch_vccnz .LBB45_147
; %bb.142:
	s_cmp_lg_u32 s33, 0
	s_cbranch_scc0 .LBB45_148
; %bb.143:
	s_min_u32 s4, s34, 15
	s_add_i32 s2, s4, 1
	s_and_b32 s5, s2, 30
	s_add_u32 s2, s12, 0xffffffe8
	s_addc_u32 s3, s13, -1
	v_mov_b32_e32 v17, 0
	v_mov_b32_e32 v19, 0
	;; [unrolled: 1-line block ×4, first 2 shown]
.LBB45_144:                             ; =>This Inner Loop Header: Depth=1
	s_load_dwordx4 s[8:11], s[2:3], 0x1c
	s_load_dwordx2 s[6:7], s[2:3], 0x2c
	s_load_dwordx2 s[14:15], s[2:3], 0xec
	s_load_dwordx4 s[16:19], s[2:3], 0xdc
	s_add_u32 s2, s2, 24
	s_waitcnt lgkmcnt(0)
	v_mul_hi_u32 v6, s9, v3
	s_addc_u32 s3, s3, 0
	s_add_i32 s5, s5, -2
	s_cmp_lg_u32 s5, 0
	v_add_u32_e32 v6, v3, v6
	v_lshrrev_b32_e32 v6, s10, v6
	v_mul_lo_u32 v8, v6, s8
	v_mul_hi_u32 v11, s6, v6
	v_sub_u32_e32 v8, v3, v8
	v_add_u32_e32 v3, v6, v11
	v_lshrrev_b32_e32 v3, s7, v3
	v_mul_lo_u32 v16, v3, s11
	v_mul_lo_u32 v11, v8, s16
	;; [unrolled: 1-line block ×4, first 2 shown]
	v_sub_u32_e32 v6, v6, v16
	v_mul_lo_u32 v16, v6, s19
	v_mul_lo_u32 v18, v6, s14
	;; [unrolled: 1-line block ×3, first 2 shown]
	v_add3_u32 v15, v11, v15, v16
	v_add3_u32 v19, v13, v19, v18
	;; [unrolled: 1-line block ×3, first 2 shown]
	s_cbranch_scc1 .LBB45_144
; %bb.145:
	s_bitcmp1_b32 s4, 0
	s_cselect_b64 s[4:5], -1, 0
	s_and_b64 vcc, exec, s[4:5]
	s_cbranch_vccnz .LBB45_149
; %bb.146:
	s_load_dwordx2 s[4:5], s[2:3], 0x1c
	s_load_dword s8, s[2:3], 0x24
	s_load_dwordx2 s[6:7], s[2:3], 0xdc
	s_waitcnt lgkmcnt(0)
	v_mul_hi_u32 v6, s5, v3
	v_add_u32_e32 v6, v3, v6
	v_lshrrev_b32_e32 v6, s8, v6
	v_mul_lo_u32 v6, v6, s4
	s_load_dword s4, s[2:3], 0xe4
	v_sub_u32_e32 v3, v3, v6
	v_mad_u64_u32 v[15:16], s[2:3], v3, s6, v[15:16]
	v_mad_u64_u32 v[19:20], s[2:3], v3, s7, v[19:20]
	s_waitcnt lgkmcnt(0)
	v_mad_u64_u32 v[17:18], s[2:3], v3, s4, v[17:18]
	s_cbranch_execz .LBB45_150
	s_branch .LBB45_152
.LBB45_147:
                                        ; implicit-def: $vgpr15
                                        ; implicit-def: $vgpr19
                                        ; implicit-def: $vgpr17
	s_branch .LBB45_150
.LBB45_148:
	v_mov_b32_e32 v15, 0
	v_mov_b32_e32 v19, 0
	;; [unrolled: 1-line block ×3, first 2 shown]
.LBB45_149:
	s_cbranch_execnz .LBB45_152
.LBB45_150:
	s_load_dwordx4 s[4:7], s[12:13], 0x4
	s_load_dwordx4 s[8:11], s[12:13], 0xc4
	s_cmp_lt_u32 s33, 2
	s_waitcnt lgkmcnt(0)
	v_mul_hi_u32 v3, s5, v1
	v_add_u32_e32 v3, v1, v3
	v_lshrrev_b32_e32 v3, s6, v3
	v_mul_lo_u32 v6, v3, s4
	v_sub_u32_e32 v1, v1, v6
	v_mul_lo_u32 v15, v1, s8
	v_mul_lo_u32 v19, v1, s9
	;; [unrolled: 1-line block ×3, first 2 shown]
	s_cbranch_scc1 .LBB45_152
; %bb.151:
	s_load_dwordx4 s[4:7], s[12:13], 0x10
	s_load_dwordx4 s[8:11], s[12:13], 0xd0
	s_waitcnt lgkmcnt(0)
	v_mul_hi_u32 v1, s5, v3
	v_add_u32_e32 v1, v3, v1
	v_lshrrev_b32_e32 v1, s6, v1
	v_mul_lo_u32 v1, v1, s4
	v_sub_u32_e32 v1, v3, v1
	v_mad_u64_u32 v[15:16], s[2:3], v1, s8, v[15:16]
	v_mad_u64_u32 v[19:20], s[2:3], v1, s9, v[19:20]
	;; [unrolled: 1-line block ×3, first 2 shown]
.LBB45_152:
	s_and_b64 vcc, exec, s[0:1]
	v_add_u32_e32 v1, 0x200, v31
	s_cbranch_vccnz .LBB45_158
; %bb.153:
	s_cmp_lg_u32 s33, 0
	s_cbranch_scc0 .LBB45_159
; %bb.154:
	s_min_u32 s4, s34, 15
	s_add_i32 s2, s4, 1
	s_and_b32 s5, s2, 30
	s_add_u32 s2, s12, 0xffffffe8
	s_addc_u32 s3, s13, -1
	v_mov_b32_e32 v22, 0
	v_mov_b32_e32 v24, 0
	;; [unrolled: 1-line block ×4, first 2 shown]
.LBB45_155:                             ; =>This Inner Loop Header: Depth=1
	s_load_dwordx4 s[8:11], s[2:3], 0x1c
	s_load_dwordx2 s[6:7], s[2:3], 0x2c
	s_load_dwordx2 s[14:15], s[2:3], 0xec
	s_load_dwordx4 s[16:19], s[2:3], 0xdc
	s_add_u32 s2, s2, 24
	s_waitcnt lgkmcnt(0)
	v_mul_hi_u32 v6, s9, v3
	s_addc_u32 s3, s3, 0
	s_add_i32 s5, s5, -2
	s_cmp_lg_u32 s5, 0
	v_add_u32_e32 v6, v3, v6
	v_lshrrev_b32_e32 v6, s10, v6
	v_mul_lo_u32 v8, v6, s8
	v_mul_hi_u32 v11, s6, v6
	v_sub_u32_e32 v8, v3, v8
	v_add_u32_e32 v3, v6, v11
	v_lshrrev_b32_e32 v3, s7, v3
	v_mul_lo_u32 v16, v3, s11
	v_mul_lo_u32 v11, v8, s16
	;; [unrolled: 1-line block ×4, first 2 shown]
	v_sub_u32_e32 v6, v6, v16
	v_mul_lo_u32 v16, v6, s19
	v_mul_lo_u32 v18, v6, s14
	;; [unrolled: 1-line block ×3, first 2 shown]
	v_add3_u32 v20, v11, v20, v16
	v_add3_u32 v24, v13, v24, v18
	;; [unrolled: 1-line block ×3, first 2 shown]
	s_cbranch_scc1 .LBB45_155
; %bb.156:
	s_bitcmp1_b32 s4, 0
	s_cselect_b64 s[4:5], -1, 0
	s_and_b64 vcc, exec, s[4:5]
	s_cbranch_vccnz .LBB45_160
; %bb.157:
	s_load_dwordx2 s[4:5], s[2:3], 0x1c
	s_load_dword s8, s[2:3], 0x24
	s_load_dwordx2 s[6:7], s[2:3], 0xdc
	s_waitcnt lgkmcnt(0)
	v_mul_hi_u32 v6, s5, v3
	v_add_u32_e32 v6, v3, v6
	v_lshrrev_b32_e32 v6, s8, v6
	v_mul_lo_u32 v6, v6, s4
	s_load_dword s4, s[2:3], 0xe4
	v_sub_u32_e32 v3, v3, v6
	v_mad_u64_u32 v[20:21], s[2:3], v3, s6, v[20:21]
	v_mad_u64_u32 v[24:25], s[2:3], v3, s7, v[24:25]
	s_waitcnt lgkmcnt(0)
	v_mad_u64_u32 v[22:23], s[2:3], v3, s4, v[22:23]
	s_cbranch_execz .LBB45_161
	s_branch .LBB45_163
.LBB45_158:
                                        ; implicit-def: $vgpr20
                                        ; implicit-def: $vgpr24
                                        ; implicit-def: $vgpr22
	s_branch .LBB45_161
.LBB45_159:
	v_mov_b32_e32 v20, 0
	v_mov_b32_e32 v24, 0
	;; [unrolled: 1-line block ×3, first 2 shown]
.LBB45_160:
	s_cbranch_execnz .LBB45_163
.LBB45_161:
	s_load_dwordx4 s[4:7], s[12:13], 0x4
	s_load_dwordx4 s[8:11], s[12:13], 0xc4
	s_cmp_lt_u32 s33, 2
	s_waitcnt lgkmcnt(0)
	v_mul_hi_u32 v3, s5, v1
	v_add_u32_e32 v3, v1, v3
	v_lshrrev_b32_e32 v3, s6, v3
	v_mul_lo_u32 v6, v3, s4
	v_sub_u32_e32 v1, v1, v6
	v_mul_lo_u32 v20, v1, s8
	v_mul_lo_u32 v24, v1, s9
	;; [unrolled: 1-line block ×3, first 2 shown]
	s_cbranch_scc1 .LBB45_163
; %bb.162:
	s_load_dwordx4 s[4:7], s[12:13], 0x10
	s_load_dwordx4 s[8:11], s[12:13], 0xd0
	s_waitcnt lgkmcnt(0)
	v_mul_hi_u32 v1, s5, v3
	v_add_u32_e32 v1, v3, v1
	v_lshrrev_b32_e32 v1, s6, v1
	v_mul_lo_u32 v1, v1, s4
	v_sub_u32_e32 v1, v3, v1
	v_mad_u64_u32 v[20:21], s[2:3], v1, s8, v[20:21]
	v_mad_u64_u32 v[24:25], s[2:3], v1, s9, v[24:25]
	;; [unrolled: 1-line block ×3, first 2 shown]
.LBB45_163:
	s_and_b64 vcc, exec, s[0:1]
	v_add_u32_e32 v1, 0x280, v31
	s_cbranch_vccnz .LBB45_169
; %bb.164:
	s_cmp_lg_u32 s33, 0
	s_cbranch_scc0 .LBB45_170
; %bb.165:
	s_min_u32 s4, s34, 15
	s_add_i32 s2, s4, 1
	s_and_b32 s5, s2, 30
	s_add_u32 s2, s12, 0xffffffe8
	s_addc_u32 s3, s13, -1
	v_mov_b32_e32 v27, 0
	v_mov_b32_e32 v29, 0
	;; [unrolled: 1-line block ×4, first 2 shown]
.LBB45_166:                             ; =>This Inner Loop Header: Depth=1
	s_load_dwordx4 s[8:11], s[2:3], 0x1c
	s_load_dwordx2 s[6:7], s[2:3], 0x2c
	s_load_dwordx2 s[14:15], s[2:3], 0xec
	s_load_dwordx4 s[16:19], s[2:3], 0xdc
	s_add_u32 s2, s2, 24
	s_waitcnt lgkmcnt(0)
	v_mul_hi_u32 v6, s9, v3
	s_addc_u32 s3, s3, 0
	s_add_i32 s5, s5, -2
	s_cmp_lg_u32 s5, 0
	v_add_u32_e32 v6, v3, v6
	v_lshrrev_b32_e32 v6, s10, v6
	v_mul_lo_u32 v8, v6, s8
	v_mul_hi_u32 v11, s6, v6
	v_sub_u32_e32 v8, v3, v8
	v_add_u32_e32 v3, v6, v11
	v_lshrrev_b32_e32 v3, s7, v3
	v_mul_lo_u32 v16, v3, s11
	v_mul_lo_u32 v11, v8, s16
	;; [unrolled: 1-line block ×4, first 2 shown]
	v_sub_u32_e32 v6, v6, v16
	v_mul_lo_u32 v16, v6, s19
	v_mul_lo_u32 v18, v6, s14
	;; [unrolled: 1-line block ×3, first 2 shown]
	v_add3_u32 v25, v11, v25, v16
	v_add3_u32 v29, v13, v29, v18
	;; [unrolled: 1-line block ×3, first 2 shown]
	s_cbranch_scc1 .LBB45_166
; %bb.167:
	s_bitcmp1_b32 s4, 0
	s_cselect_b64 s[4:5], -1, 0
	s_and_b64 vcc, exec, s[4:5]
	s_cbranch_vccnz .LBB45_171
; %bb.168:
	s_load_dwordx2 s[4:5], s[2:3], 0x1c
	s_load_dword s8, s[2:3], 0x24
	s_load_dwordx2 s[6:7], s[2:3], 0xdc
	s_waitcnt lgkmcnt(0)
	v_mul_hi_u32 v6, s5, v3
	v_add_u32_e32 v6, v3, v6
	v_lshrrev_b32_e32 v6, s8, v6
	v_mul_lo_u32 v6, v6, s4
	s_load_dword s4, s[2:3], 0xe4
	v_sub_u32_e32 v3, v3, v6
	v_mad_u64_u32 v[25:26], s[2:3], v3, s6, v[25:26]
	v_mad_u64_u32 v[29:30], s[2:3], v3, s7, v[29:30]
	s_waitcnt lgkmcnt(0)
	v_mad_u64_u32 v[27:28], s[2:3], v3, s4, v[27:28]
	s_cbranch_execz .LBB45_172
	s_branch .LBB45_174
.LBB45_169:
                                        ; implicit-def: $vgpr25
                                        ; implicit-def: $vgpr29
                                        ; implicit-def: $vgpr27
	s_branch .LBB45_172
.LBB45_170:
	v_mov_b32_e32 v25, 0
	v_mov_b32_e32 v29, 0
	;; [unrolled: 1-line block ×3, first 2 shown]
.LBB45_171:
	s_cbranch_execnz .LBB45_174
.LBB45_172:
	s_load_dwordx4 s[4:7], s[12:13], 0x4
	s_load_dwordx4 s[8:11], s[12:13], 0xc4
	s_cmp_lt_u32 s33, 2
	s_waitcnt lgkmcnt(0)
	v_mul_hi_u32 v3, s5, v1
	v_add_u32_e32 v3, v1, v3
	v_lshrrev_b32_e32 v3, s6, v3
	v_mul_lo_u32 v6, v3, s4
	v_sub_u32_e32 v1, v1, v6
	v_mul_lo_u32 v25, v1, s8
	v_mul_lo_u32 v29, v1, s9
	;; [unrolled: 1-line block ×3, first 2 shown]
	s_cbranch_scc1 .LBB45_174
; %bb.173:
	s_load_dwordx4 s[4:7], s[12:13], 0x10
	s_load_dwordx4 s[8:11], s[12:13], 0xd0
	s_waitcnt lgkmcnt(0)
	v_mul_hi_u32 v1, s5, v3
	v_add_u32_e32 v1, v3, v1
	v_lshrrev_b32_e32 v1, s6, v1
	v_mul_lo_u32 v1, v1, s4
	v_sub_u32_e32 v1, v3, v1
	v_mad_u64_u32 v[25:26], s[2:3], v1, s8, v[25:26]
	v_mad_u64_u32 v[29:30], s[2:3], v1, s9, v[29:30]
	;; [unrolled: 1-line block ×3, first 2 shown]
.LBB45_174:
	s_and_b64 vcc, exec, s[0:1]
	v_add_u32_e32 v1, 0x300, v31
	s_cbranch_vccnz .LBB45_180
; %bb.175:
	s_cmp_lg_u32 s33, 0
	s_cbranch_scc0 .LBB45_181
; %bb.176:
	s_min_u32 s4, s34, 15
	s_add_i32 s2, s4, 1
	s_and_b32 s5, s2, 30
	s_add_u32 s2, s12, 0xffffffe8
	s_addc_u32 s3, s13, -1
	v_mov_b32_e32 v32, 0
	v_mov_b32_e32 v34, 0
	;; [unrolled: 1-line block ×4, first 2 shown]
.LBB45_177:                             ; =>This Inner Loop Header: Depth=1
	s_load_dwordx4 s[8:11], s[2:3], 0x1c
	s_load_dwordx2 s[6:7], s[2:3], 0x2c
	s_load_dwordx2 s[14:15], s[2:3], 0xec
	s_load_dwordx4 s[16:19], s[2:3], 0xdc
	s_add_u32 s2, s2, 24
	s_waitcnt lgkmcnt(0)
	v_mul_hi_u32 v6, s9, v3
	s_addc_u32 s3, s3, 0
	s_add_i32 s5, s5, -2
	s_cmp_lg_u32 s5, 0
	v_add_u32_e32 v6, v3, v6
	v_lshrrev_b32_e32 v6, s10, v6
	v_mul_lo_u32 v8, v6, s8
	v_mul_hi_u32 v11, s6, v6
	v_sub_u32_e32 v8, v3, v8
	v_add_u32_e32 v3, v6, v11
	v_lshrrev_b32_e32 v3, s7, v3
	v_mul_lo_u32 v16, v3, s11
	v_mul_lo_u32 v11, v8, s16
	;; [unrolled: 1-line block ×4, first 2 shown]
	v_sub_u32_e32 v6, v6, v16
	v_mul_lo_u32 v16, v6, s19
	v_mul_lo_u32 v18, v6, s14
	;; [unrolled: 1-line block ×3, first 2 shown]
	v_add3_u32 v30, v11, v30, v16
	v_add3_u32 v34, v13, v34, v18
	;; [unrolled: 1-line block ×3, first 2 shown]
	s_cbranch_scc1 .LBB45_177
; %bb.178:
	s_bitcmp1_b32 s4, 0
	s_cselect_b64 s[4:5], -1, 0
	s_and_b64 vcc, exec, s[4:5]
	s_cbranch_vccnz .LBB45_182
; %bb.179:
	s_load_dwordx2 s[4:5], s[2:3], 0x1c
	s_load_dword s8, s[2:3], 0x24
	s_load_dwordx2 s[6:7], s[2:3], 0xdc
	s_waitcnt lgkmcnt(0)
	v_mul_hi_u32 v6, s5, v3
	v_add_u32_e32 v6, v3, v6
	v_lshrrev_b32_e32 v6, s8, v6
	v_mul_lo_u32 v6, v6, s4
	s_load_dword s4, s[2:3], 0xe4
	v_sub_u32_e32 v3, v3, v6
	v_mad_u64_u32 v[30:31], s[2:3], v3, s6, v[30:31]
	v_mad_u64_u32 v[34:35], s[2:3], v3, s7, v[34:35]
	s_waitcnt lgkmcnt(0)
	v_mad_u64_u32 v[32:33], s[2:3], v3, s4, v[32:33]
	s_cbranch_execz .LBB45_183
	s_branch .LBB45_185
.LBB45_180:
                                        ; implicit-def: $vgpr30
                                        ; implicit-def: $vgpr34
                                        ; implicit-def: $vgpr32
	s_branch .LBB45_183
.LBB45_181:
	v_mov_b32_e32 v30, 0
	v_mov_b32_e32 v34, 0
	;; [unrolled: 1-line block ×3, first 2 shown]
.LBB45_182:
	s_cbranch_execnz .LBB45_185
.LBB45_183:
	s_load_dwordx4 s[4:7], s[12:13], 0x4
	s_load_dwordx4 s[8:11], s[12:13], 0xc4
	s_cmp_lt_u32 s33, 2
	s_waitcnt lgkmcnt(0)
	v_mul_hi_u32 v3, s5, v1
	v_add_u32_e32 v3, v1, v3
	v_lshrrev_b32_e32 v3, s6, v3
	v_mul_lo_u32 v6, v3, s4
	v_sub_u32_e32 v1, v1, v6
	v_mul_lo_u32 v30, v1, s8
	v_mul_lo_u32 v34, v1, s9
	;; [unrolled: 1-line block ×3, first 2 shown]
	s_cbranch_scc1 .LBB45_185
; %bb.184:
	s_load_dwordx4 s[4:7], s[12:13], 0x10
	s_load_dwordx4 s[8:11], s[12:13], 0xd0
	s_waitcnt lgkmcnt(0)
	v_mul_hi_u32 v1, s5, v3
	v_add_u32_e32 v1, v3, v1
	v_lshrrev_b32_e32 v1, s6, v1
	v_mul_lo_u32 v1, v1, s4
	v_sub_u32_e32 v1, v3, v1
	v_mad_u64_u32 v[30:31], s[2:3], v1, s8, v[30:31]
	v_mad_u64_u32 v[34:35], s[2:3], v1, s9, v[34:35]
	v_mad_u64_u32 v[32:33], s[2:3], v1, s10, v[32:33]
.LBB45_185:
	s_and_b64 vcc, exec, s[0:1]
	s_cbranch_vccnz .LBB45_191
; %bb.186:
	s_cmp_lg_u32 s33, 0
	s_cbranch_scc0 .LBB45_192
; %bb.187:
	s_min_u32 s2, s34, 15
	s_add_i32 s0, s2, 1
	s_and_b32 s3, s0, 30
	s_add_u32 s0, s12, 0xffffffe8
	s_addc_u32 s1, s13, -1
	v_mov_b32_e32 v37, 0
	v_mov_b32_e32 v39, 0
	;; [unrolled: 1-line block ×4, first 2 shown]
.LBB45_188:                             ; =>This Inner Loop Header: Depth=1
	s_load_dwordx4 s[4:7], s[0:1], 0x1c
	s_load_dwordx2 s[14:15], s[0:1], 0x2c
	s_load_dwordx2 s[16:17], s[0:1], 0xec
	s_load_dwordx4 s[8:11], s[0:1], 0xdc
	s_add_u32 s0, s0, 24
	s_waitcnt lgkmcnt(0)
	v_mul_hi_u32 v3, s5, v1
	s_addc_u32 s1, s1, 0
	s_add_i32 s3, s3, -2
	s_cmp_lg_u32 s3, 0
	v_add_u32_e32 v3, v1, v3
	v_lshrrev_b32_e32 v3, s6, v3
	v_mul_lo_u32 v6, v3, s4
	v_mul_hi_u32 v8, s14, v3
	v_sub_u32_e32 v6, v1, v6
	v_add_u32_e32 v1, v3, v8
	v_lshrrev_b32_e32 v1, s15, v1
	v_mul_lo_u32 v13, v1, s7
	v_mul_lo_u32 v8, v6, s8
	;; [unrolled: 1-line block ×4, first 2 shown]
	v_sub_u32_e32 v3, v3, v13
	v_mul_lo_u32 v13, v3, s11
	v_mul_lo_u32 v16, v3, s16
	;; [unrolled: 1-line block ×3, first 2 shown]
	v_add3_u32 v35, v8, v35, v13
	v_add3_u32 v39, v11, v39, v16
	;; [unrolled: 1-line block ×3, first 2 shown]
	s_cbranch_scc1 .LBB45_188
; %bb.189:
	s_bitcmp1_b32 s2, 0
	s_cselect_b64 s[2:3], -1, 0
	s_and_b64 vcc, exec, s[2:3]
	s_cbranch_vccnz .LBB45_193
; %bb.190:
	s_load_dwordx2 s[2:3], s[0:1], 0x1c
	s_load_dword s6, s[0:1], 0x24
	s_load_dwordx2 s[4:5], s[0:1], 0xdc
	s_waitcnt lgkmcnt(0)
	v_mul_hi_u32 v3, s3, v1
	v_add_u32_e32 v3, v1, v3
	v_lshrrev_b32_e32 v3, s6, v3
	v_mul_lo_u32 v3, v3, s2
	s_load_dword s2, s[0:1], 0xe4
	v_sub_u32_e32 v1, v1, v3
	v_mad_u64_u32 v[35:36], s[0:1], v1, s4, v[35:36]
	v_mad_u64_u32 v[39:40], s[0:1], v1, s5, v[39:40]
	s_waitcnt lgkmcnt(0)
	v_mad_u64_u32 v[37:38], s[0:1], v1, s2, v[37:38]
	s_cbranch_execz .LBB45_194
	s_branch .LBB45_196
.LBB45_191:
                                        ; implicit-def: $vgpr35
                                        ; implicit-def: $vgpr39
                                        ; implicit-def: $vgpr37
	s_branch .LBB45_194
.LBB45_192:
	v_mov_b32_e32 v35, 0
	v_mov_b32_e32 v39, 0
	;; [unrolled: 1-line block ×3, first 2 shown]
.LBB45_193:
	s_cbranch_execnz .LBB45_196
.LBB45_194:
	s_load_dwordx4 s[0:3], s[12:13], 0x4
	s_load_dwordx4 s[4:7], s[12:13], 0xc4
	s_cmp_lt_u32 s33, 2
	s_waitcnt lgkmcnt(0)
	v_mul_hi_u32 v1, s1, v41
	v_add_u32_e32 v1, v41, v1
	v_lshrrev_b32_e32 v1, s2, v1
	v_mul_lo_u32 v3, v1, s0
	v_sub_u32_e32 v3, v41, v3
	v_mul_lo_u32 v35, v3, s4
	v_mul_lo_u32 v39, v3, s5
	;; [unrolled: 1-line block ×3, first 2 shown]
	s_cbranch_scc1 .LBB45_196
; %bb.195:
	s_load_dwordx4 s[0:3], s[12:13], 0x10
	s_load_dwordx4 s[4:7], s[12:13], 0xd0
	s_waitcnt lgkmcnt(0)
	v_mul_hi_u32 v3, s1, v1
	v_add_u32_e32 v3, v1, v3
	v_lshrrev_b32_e32 v3, s2, v3
	v_mul_lo_u32 v3, v3, s0
	v_sub_u32_e32 v1, v1, v3
	v_mad_u64_u32 v[35:36], s[0:1], v1, s4, v[35:36]
	v_mad_u64_u32 v[39:40], s[0:1], v1, s5, v[39:40]
	;; [unrolled: 1-line block ×3, first 2 shown]
.LBB45_196:
	s_load_dwordx2 s[4:5], s[12:13], 0x198
	s_load_dwordx4 s[0:3], s[12:13], 0x188
	s_waitcnt lgkmcnt(0)
	global_load_ubyte v1, v4, s[4:5]
	global_load_ubyte v3, v2, s[2:3]
	;; [unrolled: 1-line block ×8, first 2 shown]
                                        ; kill: killed $vgpr4
                                        ; kill: killed $vgpr14
                                        ; kill: killed $vgpr9
                                        ; kill: killed $vgpr19
                                        ; kill: killed $vgpr12
                                        ; kill: killed $vgpr17
                                        ; kill: killed $vgpr2
                                        ; kill: killed $vgpr7
	global_load_ubyte v2, v22, s[4:5]
	global_load_ubyte v4, v24, s[2:3]
	;; [unrolled: 1-line block ×8, first 2 shown]
	s_waitcnt vmcnt(15)
	v_cmp_gt_u32_e32 vcc, 8, v1
	s_waitcnt vmcnt(14)
	v_lshlrev_b32_e32 v3, v1, v3
	v_cndmask_b32_e32 v1, 0, v3, vcc
	s_waitcnt vmcnt(12)
	v_lshlrev_b32_e32 v8, v6, v8
	v_cmp_gt_u32_e32 vcc, 8, v6
	s_waitcnt vmcnt(10)
	v_lshlrev_b32_e32 v13, v11, v13
	v_cndmask_b32_e32 v3, 0, v8, vcc
	v_cmp_gt_u32_e32 vcc, 8, v11
	s_waitcnt vmcnt(8)
	v_lshlrev_b32_e32 v18, v16, v18
	v_cndmask_b32_e32 v6, 0, v13, vcc
	v_cmp_gt_u32_e32 vcc, 8, v16
	v_cndmask_b32_e32 v8, 0, v18, vcc
	s_waitcnt vmcnt(7)
	v_cmp_gt_u32_e32 vcc, 8, v2
	s_waitcnt vmcnt(6)
	v_lshlrev_b32_e32 v4, v2, v4
	v_cndmask_b32_e32 v2, 0, v4, vcc
	s_waitcnt vmcnt(4)
	v_lshlrev_b32_e32 v9, v7, v9
	v_cmp_gt_u32_e32 vcc, 8, v7
	s_waitcnt vmcnt(2)
	v_lshlrev_b32_e32 v14, v12, v14
	v_cndmask_b32_e32 v4, 0, v9, vcc
	v_cmp_gt_u32_e32 vcc, 8, v12
	s_waitcnt vmcnt(0)
	v_lshlrev_b32_e32 v19, v17, v19
	v_cndmask_b32_e32 v7, 0, v14, vcc
	v_cmp_gt_u32_e32 vcc, 8, v17
	v_cndmask_b32_e32 v9, 0, v19, vcc
	global_store_byte v0, v1, s[0:1]
	global_store_byte v5, v3, s[0:1]
	;; [unrolled: 1-line block ×8, first 2 shown]
	s_endpgm
	.section	.rodata,"a",@progbits
	.p2align	6, 0x0
	.amdhsa_kernel _ZN2at6native32elementwise_kernel_manual_unrollILi128ELi8EZNS0_22gpu_kernel_impl_nocastINS0_13BinaryFunctorIaaaZZZNS0_18lshift_kernel_cudaERNS_18TensorIteratorBaseEENKUlvE_clEvENKUlvE0_clEvEUlaaE_EEEEvS5_RKT_EUlibE_EEviT1_
		.amdhsa_group_segment_fixed_size 0
		.amdhsa_private_segment_fixed_size 0
		.amdhsa_kernarg_size 432
		.amdhsa_user_sgpr_count 6
		.amdhsa_user_sgpr_private_segment_buffer 1
		.amdhsa_user_sgpr_dispatch_ptr 0
		.amdhsa_user_sgpr_queue_ptr 0
		.amdhsa_user_sgpr_kernarg_segment_ptr 1
		.amdhsa_user_sgpr_dispatch_id 0
		.amdhsa_user_sgpr_flat_scratch_init 0
		.amdhsa_user_sgpr_private_segment_size 0
		.amdhsa_uses_dynamic_stack 0
		.amdhsa_system_sgpr_private_segment_wavefront_offset 0
		.amdhsa_system_sgpr_workgroup_id_x 1
		.amdhsa_system_sgpr_workgroup_id_y 0
		.amdhsa_system_sgpr_workgroup_id_z 0
		.amdhsa_system_sgpr_workgroup_info 0
		.amdhsa_system_vgpr_workitem_id 0
		.amdhsa_next_free_vgpr 42
		.amdhsa_next_free_sgpr 50
		.amdhsa_reserve_vcc 1
		.amdhsa_reserve_flat_scratch 0
		.amdhsa_float_round_mode_32 0
		.amdhsa_float_round_mode_16_64 0
		.amdhsa_float_denorm_mode_32 3
		.amdhsa_float_denorm_mode_16_64 3
		.amdhsa_dx10_clamp 1
		.amdhsa_ieee_mode 1
		.amdhsa_fp16_overflow 0
		.amdhsa_exception_fp_ieee_invalid_op 0
		.amdhsa_exception_fp_denorm_src 0
		.amdhsa_exception_fp_ieee_div_zero 0
		.amdhsa_exception_fp_ieee_overflow 0
		.amdhsa_exception_fp_ieee_underflow 0
		.amdhsa_exception_fp_ieee_inexact 0
		.amdhsa_exception_int_div_zero 0
	.end_amdhsa_kernel
	.section	.text._ZN2at6native32elementwise_kernel_manual_unrollILi128ELi8EZNS0_22gpu_kernel_impl_nocastINS0_13BinaryFunctorIaaaZZZNS0_18lshift_kernel_cudaERNS_18TensorIteratorBaseEENKUlvE_clEvENKUlvE0_clEvEUlaaE_EEEEvS5_RKT_EUlibE_EEviT1_,"axG",@progbits,_ZN2at6native32elementwise_kernel_manual_unrollILi128ELi8EZNS0_22gpu_kernel_impl_nocastINS0_13BinaryFunctorIaaaZZZNS0_18lshift_kernel_cudaERNS_18TensorIteratorBaseEENKUlvE_clEvENKUlvE0_clEvEUlaaE_EEEEvS5_RKT_EUlibE_EEviT1_,comdat
.Lfunc_end45:
	.size	_ZN2at6native32elementwise_kernel_manual_unrollILi128ELi8EZNS0_22gpu_kernel_impl_nocastINS0_13BinaryFunctorIaaaZZZNS0_18lshift_kernel_cudaERNS_18TensorIteratorBaseEENKUlvE_clEvENKUlvE0_clEvEUlaaE_EEEEvS5_RKT_EUlibE_EEviT1_, .Lfunc_end45-_ZN2at6native32elementwise_kernel_manual_unrollILi128ELi8EZNS0_22gpu_kernel_impl_nocastINS0_13BinaryFunctorIaaaZZZNS0_18lshift_kernel_cudaERNS_18TensorIteratorBaseEENKUlvE_clEvENKUlvE0_clEvEUlaaE_EEEEvS5_RKT_EUlibE_EEviT1_
                                        ; -- End function
	.set _ZN2at6native32elementwise_kernel_manual_unrollILi128ELi8EZNS0_22gpu_kernel_impl_nocastINS0_13BinaryFunctorIaaaZZZNS0_18lshift_kernel_cudaERNS_18TensorIteratorBaseEENKUlvE_clEvENKUlvE0_clEvEUlaaE_EEEEvS5_RKT_EUlibE_EEviT1_.num_vgpr, 42
	.set _ZN2at6native32elementwise_kernel_manual_unrollILi128ELi8EZNS0_22gpu_kernel_impl_nocastINS0_13BinaryFunctorIaaaZZZNS0_18lshift_kernel_cudaERNS_18TensorIteratorBaseEENKUlvE_clEvENKUlvE0_clEvEUlaaE_EEEEvS5_RKT_EUlibE_EEviT1_.num_agpr, 0
	.set _ZN2at6native32elementwise_kernel_manual_unrollILi128ELi8EZNS0_22gpu_kernel_impl_nocastINS0_13BinaryFunctorIaaaZZZNS0_18lshift_kernel_cudaERNS_18TensorIteratorBaseEENKUlvE_clEvENKUlvE0_clEvEUlaaE_EEEEvS5_RKT_EUlibE_EEviT1_.numbered_sgpr, 50
	.set _ZN2at6native32elementwise_kernel_manual_unrollILi128ELi8EZNS0_22gpu_kernel_impl_nocastINS0_13BinaryFunctorIaaaZZZNS0_18lshift_kernel_cudaERNS_18TensorIteratorBaseEENKUlvE_clEvENKUlvE0_clEvEUlaaE_EEEEvS5_RKT_EUlibE_EEviT1_.num_named_barrier, 0
	.set _ZN2at6native32elementwise_kernel_manual_unrollILi128ELi8EZNS0_22gpu_kernel_impl_nocastINS0_13BinaryFunctorIaaaZZZNS0_18lshift_kernel_cudaERNS_18TensorIteratorBaseEENKUlvE_clEvENKUlvE0_clEvEUlaaE_EEEEvS5_RKT_EUlibE_EEviT1_.private_seg_size, 0
	.set _ZN2at6native32elementwise_kernel_manual_unrollILi128ELi8EZNS0_22gpu_kernel_impl_nocastINS0_13BinaryFunctorIaaaZZZNS0_18lshift_kernel_cudaERNS_18TensorIteratorBaseEENKUlvE_clEvENKUlvE0_clEvEUlaaE_EEEEvS5_RKT_EUlibE_EEviT1_.uses_vcc, 1
	.set _ZN2at6native32elementwise_kernel_manual_unrollILi128ELi8EZNS0_22gpu_kernel_impl_nocastINS0_13BinaryFunctorIaaaZZZNS0_18lshift_kernel_cudaERNS_18TensorIteratorBaseEENKUlvE_clEvENKUlvE0_clEvEUlaaE_EEEEvS5_RKT_EUlibE_EEviT1_.uses_flat_scratch, 0
	.set _ZN2at6native32elementwise_kernel_manual_unrollILi128ELi8EZNS0_22gpu_kernel_impl_nocastINS0_13BinaryFunctorIaaaZZZNS0_18lshift_kernel_cudaERNS_18TensorIteratorBaseEENKUlvE_clEvENKUlvE0_clEvEUlaaE_EEEEvS5_RKT_EUlibE_EEviT1_.has_dyn_sized_stack, 0
	.set _ZN2at6native32elementwise_kernel_manual_unrollILi128ELi8EZNS0_22gpu_kernel_impl_nocastINS0_13BinaryFunctorIaaaZZZNS0_18lshift_kernel_cudaERNS_18TensorIteratorBaseEENKUlvE_clEvENKUlvE0_clEvEUlaaE_EEEEvS5_RKT_EUlibE_EEviT1_.has_recursion, 0
	.set _ZN2at6native32elementwise_kernel_manual_unrollILi128ELi8EZNS0_22gpu_kernel_impl_nocastINS0_13BinaryFunctorIaaaZZZNS0_18lshift_kernel_cudaERNS_18TensorIteratorBaseEENKUlvE_clEvENKUlvE0_clEvEUlaaE_EEEEvS5_RKT_EUlibE_EEviT1_.has_indirect_call, 0
	.section	.AMDGPU.csdata,"",@progbits
; Kernel info:
; codeLenInByte = 9356
; TotalNumSgprs: 54
; NumVgprs: 42
; ScratchSize: 0
; MemoryBound: 0
; FloatMode: 240
; IeeeMode: 1
; LDSByteSize: 0 bytes/workgroup (compile time only)
; SGPRBlocks: 6
; VGPRBlocks: 10
; NumSGPRsForWavesPerEU: 54
; NumVGPRsForWavesPerEU: 42
; Occupancy: 5
; WaveLimiterHint : 1
; COMPUTE_PGM_RSRC2:SCRATCH_EN: 0
; COMPUTE_PGM_RSRC2:USER_SGPR: 6
; COMPUTE_PGM_RSRC2:TRAP_HANDLER: 0
; COMPUTE_PGM_RSRC2:TGID_X_EN: 1
; COMPUTE_PGM_RSRC2:TGID_Y_EN: 0
; COMPUTE_PGM_RSRC2:TGID_Z_EN: 0
; COMPUTE_PGM_RSRC2:TIDIG_COMP_CNT: 0
	.section	.text._ZN2at6native32elementwise_kernel_manual_unrollILi128ELi4EZNS0_15gpu_kernel_implINS0_13BinaryFunctorIaaaZZZNS0_18lshift_kernel_cudaERNS_18TensorIteratorBaseEENKUlvE_clEvENKUlvE0_clEvEUlaaE_EEEEvS5_RKT_EUlibE_EEviT1_,"axG",@progbits,_ZN2at6native32elementwise_kernel_manual_unrollILi128ELi4EZNS0_15gpu_kernel_implINS0_13BinaryFunctorIaaaZZZNS0_18lshift_kernel_cudaERNS_18TensorIteratorBaseEENKUlvE_clEvENKUlvE0_clEvEUlaaE_EEEEvS5_RKT_EUlibE_EEviT1_,comdat
	.globl	_ZN2at6native32elementwise_kernel_manual_unrollILi128ELi4EZNS0_15gpu_kernel_implINS0_13BinaryFunctorIaaaZZZNS0_18lshift_kernel_cudaERNS_18TensorIteratorBaseEENKUlvE_clEvENKUlvE0_clEvEUlaaE_EEEEvS5_RKT_EUlibE_EEviT1_ ; -- Begin function _ZN2at6native32elementwise_kernel_manual_unrollILi128ELi4EZNS0_15gpu_kernel_implINS0_13BinaryFunctorIaaaZZZNS0_18lshift_kernel_cudaERNS_18TensorIteratorBaseEENKUlvE_clEvENKUlvE0_clEvEUlaaE_EEEEvS5_RKT_EUlibE_EEviT1_
	.p2align	8
	.type	_ZN2at6native32elementwise_kernel_manual_unrollILi128ELi4EZNS0_15gpu_kernel_implINS0_13BinaryFunctorIaaaZZZNS0_18lshift_kernel_cudaERNS_18TensorIteratorBaseEENKUlvE_clEvENKUlvE0_clEvEUlaaE_EEEEvS5_RKT_EUlibE_EEviT1_,@function
_ZN2at6native32elementwise_kernel_manual_unrollILi128ELi4EZNS0_15gpu_kernel_implINS0_13BinaryFunctorIaaaZZZNS0_18lshift_kernel_cudaERNS_18TensorIteratorBaseEENKUlvE_clEvENKUlvE0_clEvEUlaaE_EEEEvS5_RKT_EUlibE_EEviT1_: ; @_ZN2at6native32elementwise_kernel_manual_unrollILi128ELi4EZNS0_15gpu_kernel_implINS0_13BinaryFunctorIaaaZZZNS0_18lshift_kernel_cudaERNS_18TensorIteratorBaseEENKUlvE_clEvENKUlvE0_clEvEUlaaE_EEEEvS5_RKT_EUlibE_EEviT1_
; %bb.0:
	v_mov_b32_e32 v1, 0
	global_load_ushort v2, v1, s[4:5] offset:45
	global_load_sbyte v3, v1, s[4:5] offset:47
	s_load_dword s48, s[4:5], 0x0
	s_load_dwordx4 s[8:11], s[4:5], 0x8
	s_load_dwordx2 s[2:3], s[4:5], 0x18
	s_load_dwordx4 s[12:15], s[4:5], 0x20
	v_lshl_or_b32 v14, s6, 9, v0
	v_or_b32_e32 v0, 0x180, v14
	s_mov_b64 s[16:17], 0
	s_waitcnt lgkmcnt(0)
	v_cmp_le_i32_e32 vcc, s48, v0
	s_mov_b64 s[6:7], 0
	s_waitcnt vmcnt(1)
	v_readfirstlane_b32 s33, v2
	s_waitcnt vmcnt(0)
	v_readfirstlane_b32 s15, v3
	s_lshr_b32 s54, s33, 8
	s_and_saveexec_b64 s[0:1], vcc
	s_xor_b64 s[4:5], exec, s[0:1]
	s_cbranch_execz .LBB46_1512
; %bb.1:
	v_cmp_gt_i32_e32 vcc, s48, v14
	s_mov_b64 s[0:1], -1
	s_mov_b64 s[26:27], 0
	s_mov_b64 s[20:21], 0
	;; [unrolled: 1-line block ×3, first 2 shown]
	s_and_saveexec_b64 s[22:23], vcc
	s_cbranch_execz .LBB46_375
; %bb.2:
	v_mul_lo_u32 v0, v14, s13
	v_mov_b32_e32 v1, s11
	s_and_b32 s18, s54, 0xff
	s_cmp_lt_i32 s18, 11
	v_ashrrev_i32_e32 v3, 31, v0
	v_add_co_u32_e32 v2, vcc, s10, v0
	v_addc_co_u32_e32 v3, vcc, v1, v3, vcc
	s_cbranch_scc1 .LBB46_9
; %bb.3:
	s_and_b32 s19, 0xffff, s18
	s_cmp_gt_i32 s19, 25
	s_cbranch_scc0 .LBB46_18
; %bb.4:
	s_cmp_gt_i32 s19, 28
	s_cbranch_scc0 .LBB46_28
; %bb.5:
	;; [unrolled: 3-line block ×4, first 2 shown]
	s_cmp_eq_u32 s19, 46
	s_cbranch_scc0 .LBB46_37
; %bb.8:
	global_load_dword v0, v[2:3], off
	s_waitcnt vmcnt(0)
	v_lshlrev_b32_e32 v0, 16, v0
	v_cvt_i32_f32_e32 v0, v0
	s_branch .LBB46_39
.LBB46_9:
                                        ; implicit-def: $vgpr0
	s_mov_b64 s[0:1], 0
	s_cbranch_execnz .LBB46_101
.LBB46_10:
	s_andn2_b64 vcc, exec, s[0:1]
	s_cbranch_vccnz .LBB46_148
.LBB46_11:
	s_waitcnt vmcnt(0)
	v_mul_lo_u32 v1, v14, s14
	v_mov_b32_e32 v2, s3
	s_and_b32 s24, s15, 0xff
	s_cmp_lt_i32 s24, 11
	v_ashrrev_i32_e32 v3, 31, v1
	v_add_co_u32_e32 v1, vcc, s2, v1
	v_addc_co_u32_e32 v2, vcc, v2, v3, vcc
	s_cbranch_scc1 .LBB46_19
; %bb.12:
	s_and_b32 s25, 0xffff, s24
	s_cmp_gt_i32 s25, 25
	s_cbranch_scc0 .LBB46_29
; %bb.13:
	s_cmp_gt_i32 s25, 28
	s_cbranch_scc0 .LBB46_32
; %bb.14:
	;; [unrolled: 3-line block ×4, first 2 shown]
	s_cmp_eq_u32 s25, 46
	s_mov_b64 s[6:7], 0
	s_cbranch_scc0 .LBB46_149
; %bb.17:
	global_load_dword v3, v[1:2], off
	s_mov_b64 s[0:1], -1
	s_mov_b64 s[18:19], 0
	s_waitcnt vmcnt(0)
	v_lshlrev_b32_e32 v3, 16, v3
	v_cvt_i32_f32_e32 v3, v3
	s_branch .LBB46_151
.LBB46_18:
	s_mov_b64 s[0:1], 0
                                        ; implicit-def: $vgpr0
	s_cbranch_execnz .LBB46_68
	s_branch .LBB46_100
.LBB46_19:
	s_mov_b64 s[18:19], 0
                                        ; implicit-def: $vgpr3
	s_mov_b64 s[0:1], 0
	s_cbranch_execnz .LBB46_324
.LBB46_20:
	s_andn2_b64 vcc, exec, s[0:1]
	s_cbranch_vccnz .LBB46_372
.LBB46_21:
	v_mul_lo_u32 v1, v14, s12
	v_mov_b32_e32 v2, 8
	s_waitcnt vmcnt(0)
	v_lshlrev_b32_e32 v0, v3, v0
	v_cmp_lt_u16_sdwa vcc, v3, v2 src0_sel:BYTE_0 src1_sel:DWORD
	v_cndmask_b32_e32 v2, 0, v0, vcc
	v_ashrrev_i32_e32 v3, 31, v1
	v_mov_b32_e32 v4, s9
	s_and_b32 s30, s33, 0xff
	v_add_co_u32_e32 v0, vcc, s8, v1
	s_cmp_lt_i32 s30, 11
	v_addc_co_u32_e32 v1, vcc, v4, v3, vcc
	s_cbranch_scc1 .LBB46_30
; %bb.22:
	s_and_b32 s31, 0xffff, s30
	s_cmp_gt_i32 s31, 25
	s_cbranch_scc0 .LBB46_33
; %bb.23:
	s_cmp_gt_i32 s31, 28
	s_cbranch_scc0 .LBB46_36
; %bb.24:
	;; [unrolled: 3-line block ×4, first 2 shown]
	s_mov_b64 s[24:25], 0
	s_mov_b64 s[0:1], -1
	s_cmp_eq_u32 s31, 46
	s_mov_b64 s[6:7], 0
	s_cbranch_scc0 .LBB46_155
; %bb.27:
	v_bfe_i32 v3, v2, 0, 8
	v_cvt_f32_i32_sdwa v3, sext(v3) dst_sel:DWORD dst_unused:UNUSED_PAD src0_sel:WORD_0
	s_movk_i32 s0, 0x7fff
	s_mov_b64 s[6:7], -1
	v_bfe_u32 v4, v3, 16, 1
	v_add3_u32 v3, v3, v4, s0
	v_lshrrev_b32_e32 v3, 16, v3
	global_store_dword v[0:1], v3, off
	s_mov_b64 s[0:1], 0
	s_branch .LBB46_155
.LBB46_28:
	s_mov_b64 s[6:7], -1
	s_mov_b64 s[0:1], 0
                                        ; implicit-def: $vgpr0
	s_branch .LBB46_51
.LBB46_29:
	s_mov_b64 s[6:7], -1
	s_mov_b64 s[18:19], 0
	s_mov_b64 s[0:1], 0
                                        ; implicit-def: $vgpr3
	s_branch .LBB46_290
.LBB46_30:
	s_mov_b64 s[24:25], -1
	s_mov_b64 s[0:1], 0
	s_mov_b64 s[6:7], 0
	s_branch .LBB46_224
.LBB46_31:
	s_mov_b64 s[6:7], -1
	s_mov_b64 s[0:1], 0
                                        ; implicit-def: $vgpr0
	s_branch .LBB46_46
.LBB46_32:
	s_mov_b64 s[6:7], -1
	s_mov_b64 s[18:19], 0
	s_mov_b64 s[0:1], 0
                                        ; implicit-def: $vgpr3
	s_branch .LBB46_273
.LBB46_33:
	s_mov_b64 s[24:25], -1
	s_mov_b64 s[0:1], 0
	s_mov_b64 s[6:7], 0
	s_branch .LBB46_182
.LBB46_34:
	s_mov_b64 s[6:7], -1
	s_branch .LBB46_38
.LBB46_35:
	s_mov_b64 s[6:7], -1
	s_mov_b64 s[18:19], 0
	s_mov_b64 s[0:1], 0
                                        ; implicit-def: $vgpr3
	s_branch .LBB46_268
.LBB46_36:
	s_mov_b64 s[24:25], -1
	s_mov_b64 s[0:1], 0
	s_mov_b64 s[6:7], 0
	s_branch .LBB46_165
.LBB46_37:
	s_mov_b64 s[20:21], -1
.LBB46_38:
	s_mov_b64 s[0:1], 0
                                        ; implicit-def: $vgpr0
.LBB46_39:
	s_and_b64 vcc, exec, s[6:7]
	s_cbranch_vccz .LBB46_45
; %bb.40:
	s_cmp_eq_u32 s19, 44
	s_cbranch_scc0 .LBB46_44
; %bb.41:
	global_load_ubyte v0, v[2:3], off
	s_mov_b64 s[0:1], -1
	s_mov_b64 s[20:21], 0
	s_waitcnt vmcnt(0)
	v_lshlrev_b32_e32 v1, 23, v0
	v_cvt_i32_f32_e32 v1, v1
	v_cmp_ne_u32_e32 vcc, 0, v0
	v_cndmask_b32_e32 v0, 0, v1, vcc
	s_branch .LBB46_45
.LBB46_42:
	s_mov_b64 s[6:7], -1
	s_mov_b64 s[18:19], 0
	s_branch .LBB46_150
.LBB46_43:
	s_mov_b64 s[24:25], -1
	s_mov_b64 s[0:1], 0
	s_mov_b64 s[6:7], 0
	s_branch .LBB46_161
.LBB46_44:
	s_mov_b64 s[20:21], -1
                                        ; implicit-def: $vgpr0
.LBB46_45:
	s_mov_b64 s[6:7], 0
.LBB46_46:
	s_and_b64 vcc, exec, s[6:7]
	s_cbranch_vccz .LBB46_50
; %bb.47:
	s_cmp_eq_u32 s19, 29
	s_cbranch_scc0 .LBB46_49
; %bb.48:
	global_load_dwordx2 v[0:1], v[2:3], off
	s_mov_b64 s[0:1], -1
	s_mov_b64 s[20:21], 0
	s_branch .LBB46_50
.LBB46_49:
	s_mov_b64 s[20:21], -1
                                        ; implicit-def: $vgpr0
.LBB46_50:
	s_mov_b64 s[6:7], 0
.LBB46_51:
	s_and_b64 vcc, exec, s[6:7]
	s_cbranch_vccz .LBB46_67
; %bb.52:
	s_cmp_lt_i32 s19, 27
	s_cbranch_scc1 .LBB46_55
; %bb.53:
	s_cmp_gt_i32 s19, 27
	s_cbranch_scc0 .LBB46_56
; %bb.54:
	global_load_dword v0, v[2:3], off
	s_mov_b64 s[0:1], 0
	s_branch .LBB46_57
.LBB46_55:
	s_mov_b64 s[0:1], -1
                                        ; implicit-def: $vgpr0
	s_branch .LBB46_60
.LBB46_56:
	s_mov_b64 s[0:1], -1
                                        ; implicit-def: $vgpr0
.LBB46_57:
	s_andn2_b64 vcc, exec, s[0:1]
	s_cbranch_vccnz .LBB46_59
; %bb.58:
	global_load_ushort v0, v[2:3], off
.LBB46_59:
	s_mov_b64 s[0:1], 0
.LBB46_60:
	s_andn2_b64 vcc, exec, s[0:1]
	s_cbranch_vccnz .LBB46_66
; %bb.61:
	global_load_ubyte v1, v[2:3], off
	s_movk_i32 s0, 0x7f
	s_mov_b64 s[6:7], 0
	s_waitcnt vmcnt(0)
	v_cmp_lt_i16_e32 vcc, s0, v1
	s_and_saveexec_b64 s[0:1], vcc
	s_xor_b64 s[0:1], exec, s[0:1]
	s_cbranch_execz .LBB46_77
; %bb.62:
	s_movk_i32 s6, 0x80
	v_cmp_ne_u16_e32 vcc, s6, v1
	s_and_b64 s[6:7], vcc, exec
	s_andn2_saveexec_b64 s[0:1], s[0:1]
	s_cbranch_execnz .LBB46_78
.LBB46_63:
	s_or_b64 exec, exec, s[0:1]
	v_mov_b32_e32 v0, 0
	s_and_saveexec_b64 s[0:1], s[6:7]
	s_cbranch_execz .LBB46_65
.LBB46_64:
	v_lshlrev_b32_e32 v0, 24, v1
	v_and_b32_e32 v1, 0xffff, v1
	v_and_b32_e32 v4, 7, v1
	v_ffbh_u32_e32 v6, v4
	v_min_u32_e32 v6, 32, v6
	v_subrev_u32_e32 v7, 28, v6
	v_bfe_u32 v5, v1, 3, 4
	v_lshlrev_b32_e32 v1, v7, v1
	v_sub_u32_e32 v6, 29, v6
	v_and_b32_e32 v1, 7, v1
	v_cmp_eq_u32_e32 vcc, 0, v5
	v_cndmask_b32_e32 v5, v5, v6, vcc
	v_cndmask_b32_e32 v1, v4, v1, vcc
	v_mov_b32_e32 v4, 0x3b800000
	v_lshlrev_b32_e32 v1, 20, v1
	v_and_b32_e32 v0, 0x80000000, v0
	v_lshl_add_u32 v4, v5, 23, v4
	v_or3_b32 v0, v0, v4, v1
	v_cvt_i32_f32_e32 v0, v0
.LBB46_65:
	s_or_b64 exec, exec, s[0:1]
.LBB46_66:
	s_mov_b64 s[0:1], -1
.LBB46_67:
	s_branch .LBB46_100
.LBB46_68:
	s_cmp_gt_i32 s19, 22
	s_cbranch_scc0 .LBB46_76
; %bb.69:
	s_cmp_lt_i32 s19, 24
	s_cbranch_scc1 .LBB46_79
; %bb.70:
	s_cmp_gt_i32 s19, 24
	s_cbranch_scc0 .LBB46_80
; %bb.71:
	global_load_ubyte v1, v[2:3], off
	s_movk_i32 s0, 0x7f
	s_mov_b64 s[6:7], 0
	s_waitcnt vmcnt(0)
	v_cmp_lt_i16_e32 vcc, s0, v1
	s_and_saveexec_b64 s[0:1], vcc
	s_xor_b64 s[0:1], exec, s[0:1]
	s_cbranch_execz .LBB46_92
; %bb.72:
	s_movk_i32 s6, 0x80
	v_cmp_ne_u16_e32 vcc, s6, v1
	s_and_b64 s[6:7], vcc, exec
	s_andn2_saveexec_b64 s[0:1], s[0:1]
	s_cbranch_execnz .LBB46_93
.LBB46_73:
	s_or_b64 exec, exec, s[0:1]
	v_mov_b32_e32 v0, 0
	s_and_saveexec_b64 s[0:1], s[6:7]
	s_cbranch_execz .LBB46_75
.LBB46_74:
	v_lshlrev_b32_e32 v0, 24, v1
	v_and_b32_e32 v1, 0xffff, v1
	v_and_b32_e32 v4, 3, v1
	v_ffbh_u32_e32 v6, v4
	v_min_u32_e32 v6, 32, v6
	v_subrev_u32_e32 v7, 29, v6
	v_bfe_u32 v5, v1, 2, 5
	v_lshlrev_b32_e32 v1, v7, v1
	v_sub_u32_e32 v6, 30, v6
	v_and_b32_e32 v1, 3, v1
	v_cmp_eq_u32_e32 vcc, 0, v5
	v_cndmask_b32_e32 v5, v5, v6, vcc
	v_cndmask_b32_e32 v1, v4, v1, vcc
	v_mov_b32_e32 v4, 0x37800000
	v_lshlrev_b32_e32 v1, 21, v1
	v_and_b32_e32 v0, 0x80000000, v0
	v_lshl_add_u32 v4, v5, 23, v4
	v_or3_b32 v0, v0, v4, v1
	v_cvt_i32_f32_e32 v0, v0
.LBB46_75:
	s_or_b64 exec, exec, s[0:1]
	s_mov_b64 s[0:1], 0
	s_branch .LBB46_81
.LBB46_76:
	s_mov_b64 s[6:7], -1
                                        ; implicit-def: $vgpr0
	s_branch .LBB46_87
.LBB46_77:
	s_andn2_saveexec_b64 s[0:1], s[0:1]
	s_cbranch_execz .LBB46_63
.LBB46_78:
	v_cmp_ne_u16_e32 vcc, 0, v1
	s_andn2_b64 s[6:7], s[6:7], exec
	s_and_b64 s[24:25], vcc, exec
	s_or_b64 s[6:7], s[6:7], s[24:25]
	s_or_b64 exec, exec, s[0:1]
	v_mov_b32_e32 v0, 0
	s_and_saveexec_b64 s[0:1], s[6:7]
	s_cbranch_execnz .LBB46_64
	s_branch .LBB46_65
.LBB46_79:
	s_mov_b64 s[0:1], -1
                                        ; implicit-def: $vgpr0
	s_branch .LBB46_84
.LBB46_80:
	s_mov_b64 s[0:1], -1
                                        ; implicit-def: $vgpr0
.LBB46_81:
	s_and_b64 vcc, exec, s[0:1]
	s_cbranch_vccz .LBB46_83
; %bb.82:
	global_load_ubyte v0, v[2:3], off
	s_mov_b32 s0, 0x7f800000
	s_waitcnt vmcnt(0)
	v_lshlrev_b32_e32 v0, 24, v0
	v_and_b32_e32 v1, 0x7f000000, v0
	v_ffbh_u32_e32 v4, v1
	v_min_u32_e32 v4, 32, v4
	v_sub_u32_e64 v4, v4, 4 clamp
	v_lshlrev_b32_e32 v6, v4, v1
	v_lshlrev_b32_e32 v4, 23, v4
	v_lshrrev_b32_e32 v6, 4, v6
	v_add_u32_e32 v5, 0x1000000, v1
	v_sub_u32_e32 v4, v6, v4
	v_ashrrev_i32_e32 v5, 8, v5
	v_add_u32_e32 v4, 0x3c000000, v4
	v_and_or_b32 v4, v5, s0, v4
	v_cmp_ne_u32_e32 vcc, 0, v1
	v_cndmask_b32_e32 v1, 0, v4, vcc
	s_brev_b32 s0, 1
	v_and_or_b32 v0, v0, s0, v1
	v_cvt_i32_f32_e32 v0, v0
.LBB46_83:
	s_mov_b64 s[0:1], 0
.LBB46_84:
	s_andn2_b64 vcc, exec, s[0:1]
	s_cbranch_vccnz .LBB46_86
; %bb.85:
	global_load_ubyte v0, v[2:3], off
	s_movk_i32 s0, 0x7f00
	s_brev_b32 s1, 16
	s_waitcnt vmcnt(0)
	v_lshlrev_b16_e32 v1, 8, v0
	v_lshlrev_b32_e32 v0, 25, v0
	v_lshrrev_b32_e32 v4, 4, v0
	v_and_or_b32 v5, v1, s0, 0.5
	v_or_b32_e32 v4, 0x70000000, v4
	v_add_f32_e32 v5, -0.5, v5
	v_mul_f32_e32 v4, 0x7800000, v4
	v_cmp_gt_u32_e32 vcc, s1, v0
	v_bfe_i32 v1, v1, 0, 16
	v_cndmask_b32_e32 v0, v4, v5, vcc
	s_brev_b32 s0, 1
	v_and_or_b32 v0, v1, s0, v0
	v_cvt_i32_f32_e32 v0, v0
.LBB46_86:
	s_mov_b64 s[6:7], 0
	s_mov_b64 s[0:1], -1
.LBB46_87:
	s_andn2_b64 vcc, exec, s[6:7]
	s_cbranch_vccnz .LBB46_100
; %bb.88:
	s_cmp_gt_i32 s19, 14
	s_cbranch_scc0 .LBB46_91
; %bb.89:
	s_cmp_eq_u32 s19, 15
	s_cbranch_scc0 .LBB46_94
; %bb.90:
	global_load_ushort v0, v[2:3], off
	s_mov_b64 s[0:1], -1
	s_mov_b64 s[20:21], 0
	s_waitcnt vmcnt(0)
	v_lshlrev_b32_e32 v0, 16, v0
	v_cvt_i32_f32_e32 v0, v0
	s_branch .LBB46_95
.LBB46_91:
	s_mov_b64 s[6:7], -1
                                        ; implicit-def: $vgpr0
	s_branch .LBB46_96
.LBB46_92:
	s_andn2_saveexec_b64 s[0:1], s[0:1]
	s_cbranch_execz .LBB46_73
.LBB46_93:
	v_cmp_ne_u16_e32 vcc, 0, v1
	s_andn2_b64 s[6:7], s[6:7], exec
	s_and_b64 s[24:25], vcc, exec
	s_or_b64 s[6:7], s[6:7], s[24:25]
	s_or_b64 exec, exec, s[0:1]
	v_mov_b32_e32 v0, 0
	s_and_saveexec_b64 s[0:1], s[6:7]
	s_cbranch_execnz .LBB46_74
	s_branch .LBB46_75
.LBB46_94:
	s_mov_b64 s[20:21], -1
                                        ; implicit-def: $vgpr0
.LBB46_95:
	s_mov_b64 s[6:7], 0
.LBB46_96:
	s_and_b64 vcc, exec, s[6:7]
	s_cbranch_vccz .LBB46_100
; %bb.97:
	s_cmp_eq_u32 s19, 11
	s_cbranch_scc0 .LBB46_99
; %bb.98:
	global_load_ubyte v0, v[2:3], off
	s_mov_b64 s[0:1], -1
	s_mov_b64 s[20:21], 0
	s_waitcnt vmcnt(0)
	v_cmp_ne_u16_e32 vcc, 0, v0
	v_cndmask_b32_e64 v0, 0, 1, vcc
	s_branch .LBB46_100
.LBB46_99:
	s_mov_b64 s[20:21], -1
                                        ; implicit-def: $vgpr0
.LBB46_100:
	s_branch .LBB46_10
.LBB46_101:
	s_and_b32 s6, 0xffff, s18
	s_cmp_lt_i32 s6, 5
	s_cbranch_scc1 .LBB46_106
; %bb.102:
	s_cmp_lt_i32 s6, 8
	s_cbranch_scc1 .LBB46_107
; %bb.103:
	;; [unrolled: 3-line block ×3, first 2 shown]
	s_cmp_gt_i32 s6, 9
	s_cbranch_scc0 .LBB46_109
; %bb.105:
	global_load_dwordx2 v[0:1], v[2:3], off
	s_mov_b64 s[0:1], 0
	s_waitcnt vmcnt(0)
	v_cvt_i32_f64_e32 v0, v[0:1]
	s_branch .LBB46_110
.LBB46_106:
                                        ; implicit-def: $vgpr0
	s_branch .LBB46_128
.LBB46_107:
	s_mov_b64 s[0:1], -1
                                        ; implicit-def: $vgpr0
	s_branch .LBB46_116
.LBB46_108:
	s_mov_b64 s[0:1], -1
                                        ; implicit-def: $vgpr0
	s_branch .LBB46_113
.LBB46_109:
	s_mov_b64 s[0:1], -1
                                        ; implicit-def: $vgpr0
.LBB46_110:
	s_andn2_b64 vcc, exec, s[0:1]
	s_cbranch_vccnz .LBB46_112
; %bb.111:
	global_load_dword v0, v[2:3], off
	s_waitcnt vmcnt(0)
	v_cvt_i32_f32_e32 v0, v0
.LBB46_112:
	s_mov_b64 s[0:1], 0
.LBB46_113:
	s_andn2_b64 vcc, exec, s[0:1]
	s_cbranch_vccnz .LBB46_115
; %bb.114:
	global_load_dword v0, v[2:3], off
	s_waitcnt vmcnt(0)
	v_cvt_i16_f16_e32 v0, v0
.LBB46_115:
	s_mov_b64 s[0:1], 0
.LBB46_116:
	s_andn2_b64 vcc, exec, s[0:1]
	s_cbranch_vccnz .LBB46_127
; %bb.117:
	s_cmp_lt_i32 s6, 6
	s_cbranch_scc1 .LBB46_120
; %bb.118:
	s_cmp_gt_i32 s6, 6
	s_cbranch_scc0 .LBB46_121
; %bb.119:
	global_load_dwordx2 v[0:1], v[2:3], off
	s_mov_b64 s[0:1], 0
	s_waitcnt vmcnt(0)
	v_cvt_i32_f64_e32 v0, v[0:1]
	s_branch .LBB46_122
.LBB46_120:
	s_mov_b64 s[0:1], -1
                                        ; implicit-def: $vgpr0
	s_branch .LBB46_125
.LBB46_121:
	s_mov_b64 s[0:1], -1
                                        ; implicit-def: $vgpr0
.LBB46_122:
	s_andn2_b64 vcc, exec, s[0:1]
	s_cbranch_vccnz .LBB46_124
; %bb.123:
	global_load_dword v0, v[2:3], off
	s_waitcnt vmcnt(0)
	v_cvt_i32_f32_e32 v0, v0
.LBB46_124:
	s_mov_b64 s[0:1], 0
.LBB46_125:
	s_andn2_b64 vcc, exec, s[0:1]
	s_cbranch_vccnz .LBB46_127
; %bb.126:
	global_load_ushort v0, v[2:3], off
	s_waitcnt vmcnt(0)
	v_cvt_i16_f16_e32 v0, v0
.LBB46_127:
	s_cbranch_execnz .LBB46_147
.LBB46_128:
	s_cmp_lt_i32 s6, 2
	s_cbranch_scc1 .LBB46_132
; %bb.129:
	s_cmp_lt_i32 s6, 3
	s_cbranch_scc1 .LBB46_133
; %bb.130:
	s_cmp_gt_i32 s6, 3
	s_cbranch_scc0 .LBB46_134
; %bb.131:
	global_load_dwordx2 v[0:1], v[2:3], off
	s_mov_b64 s[0:1], 0
	s_branch .LBB46_135
.LBB46_132:
	s_mov_b64 s[0:1], -1
                                        ; implicit-def: $vgpr0
	s_branch .LBB46_141
.LBB46_133:
	s_mov_b64 s[0:1], -1
                                        ; implicit-def: $vgpr0
	s_branch .LBB46_138
.LBB46_134:
	s_mov_b64 s[0:1], -1
                                        ; implicit-def: $vgpr0
.LBB46_135:
	s_andn2_b64 vcc, exec, s[0:1]
	s_cbranch_vccnz .LBB46_137
; %bb.136:
	global_load_dword v0, v[2:3], off
.LBB46_137:
	s_mov_b64 s[0:1], 0
.LBB46_138:
	s_andn2_b64 vcc, exec, s[0:1]
	s_cbranch_vccnz .LBB46_140
; %bb.139:
	global_load_ushort v0, v[2:3], off
.LBB46_140:
	s_mov_b64 s[0:1], 0
.LBB46_141:
	s_andn2_b64 vcc, exec, s[0:1]
	s_cbranch_vccnz .LBB46_147
; %bb.142:
	s_cmp_gt_i32 s6, 0
	s_cbranch_scc0 .LBB46_144
; %bb.143:
	global_load_ubyte v0, v[2:3], off
	s_mov_b64 s[0:1], 0
	s_branch .LBB46_145
.LBB46_144:
	s_mov_b64 s[0:1], -1
                                        ; implicit-def: $vgpr0
.LBB46_145:
	s_andn2_b64 vcc, exec, s[0:1]
	s_cbranch_vccnz .LBB46_147
; %bb.146:
	global_load_ubyte v0, v[2:3], off
.LBB46_147:
	s_branch .LBB46_11
.LBB46_148:
	s_mov_b64 s[0:1], 0
	s_mov_b64 s[18:19], 0
	s_branch .LBB46_373
.LBB46_149:
	s_mov_b64 s[18:19], -1
.LBB46_150:
	s_mov_b64 s[0:1], 0
                                        ; implicit-def: $vgpr3
.LBB46_151:
	s_and_b64 vcc, exec, s[6:7]
	s_cbranch_vccz .LBB46_267
; %bb.152:
	s_cmp_eq_u32 s25, 44
	s_cbranch_scc0 .LBB46_266
; %bb.153:
	global_load_ubyte v3, v[1:2], off
	s_mov_b64 s[0:1], -1
	s_mov_b64 s[18:19], 0
	s_waitcnt vmcnt(0)
	v_lshlrev_b32_e32 v4, 23, v3
	v_cvt_i32_f32_e32 v4, v4
	v_cmp_ne_u32_e32 vcc, 0, v3
	v_cndmask_b32_e32 v3, 0, v4, vcc
	s_branch .LBB46_267
.LBB46_154:
	s_mov_b64 s[24:25], -1
	s_mov_b64 s[0:1], 0
	s_mov_b64 s[6:7], 0
.LBB46_155:
	s_and_b64 vcc, exec, s[24:25]
	s_cbranch_vccz .LBB46_160
; %bb.156:
	s_cmp_eq_u32 s31, 44
	s_mov_b64 s[0:1], -1
	s_cbranch_scc0 .LBB46_160
; %bb.157:
	v_bfe_i32 v3, v2, 0, 8
	v_cvt_f32_i32_sdwa v3, sext(v3) dst_sel:DWORD dst_unused:UNUSED_PAD src0_sel:WORD_0
	s_movk_i32 s0, 0xff
	v_mov_b32_e32 v5, 0xff
	v_bfe_u32 v4, v3, 23, 8
	v_cmp_ne_u32_e32 vcc, s0, v4
	s_and_saveexec_b64 s[6:7], vcc
; %bb.158:
	s_mov_b32 s0, 0x3fffff
	v_lshrrev_b32_e32 v5, 23, v3
	v_and_b32_e32 v6, 0x400000, v3
	v_and_or_b32 v3, v3, s0, v4
	v_cmp_ne_u32_e32 vcc, 0, v6
	v_cmp_ne_u32_e64 s[0:1], 0, v3
	s_and_b64 s[0:1], vcc, s[0:1]
	v_cndmask_b32_e64 v3, 0, 1, s[0:1]
	v_add_u32_e32 v5, v5, v3
; %bb.159:
	s_or_b64 exec, exec, s[6:7]
	s_mov_b64 s[6:7], -1
	s_mov_b64 s[0:1], 0
	global_store_byte v[0:1], v5, off
.LBB46_160:
	s_mov_b64 s[24:25], 0
.LBB46_161:
	s_and_b64 vcc, exec, s[24:25]
	s_cbranch_vccz .LBB46_164
; %bb.162:
	s_cmp_eq_u32 s31, 29
	s_mov_b64 s[0:1], -1
	s_cbranch_scc0 .LBB46_164
; %bb.163:
	v_bfe_i32 v3, v2, 0, 8
	v_ashrrev_i32_e32 v4, 31, v3
	global_store_dwordx2 v[0:1], v[3:4], off
	s_mov_b64 s[6:7], -1
	s_mov_b64 s[0:1], 0
.LBB46_164:
	s_mov_b64 s[24:25], 0
.LBB46_165:
	s_and_b64 vcc, exec, s[24:25]
	s_cbranch_vccz .LBB46_181
; %bb.166:
	s_cmp_lt_i32 s31, 27
	s_mov_b64 s[6:7], -1
	s_cbranch_scc1 .LBB46_172
; %bb.167:
	s_cmp_gt_i32 s31, 27
	s_cbranch_scc0 .LBB46_169
; %bb.168:
	v_bfe_i32 v3, v2, 0, 8
	s_mov_b64 s[6:7], 0
	global_store_dword v[0:1], v3, off
.LBB46_169:
	s_andn2_b64 vcc, exec, s[6:7]
	s_cbranch_vccnz .LBB46_171
; %bb.170:
	v_bfe_i32 v3, v2, 0, 8
	global_store_short v[0:1], v3, off
.LBB46_171:
	s_mov_b64 s[6:7], 0
.LBB46_172:
	s_andn2_b64 vcc, exec, s[6:7]
	s_cbranch_vccnz .LBB46_180
; %bb.173:
	v_bfe_i32 v3, v2, 0, 8
	v_cvt_f32_i32_sdwa v3, sext(v3) dst_sel:DWORD dst_unused:UNUSED_PAD src0_sel:WORD_0
	s_mov_b32 s6, 0x43800000
	v_mov_b32_e32 v5, 0x80
	v_and_b32_e32 v4, 0x7fffffff, v3
	v_cmp_gt_u32_e32 vcc, s6, v4
	s_and_saveexec_b64 s[6:7], vcc
	s_cbranch_execz .LBB46_179
; %bb.174:
	s_mov_b32 s24, 0x3bffffff
	v_cmp_lt_u32_e32 vcc, s24, v4
	s_mov_b64 s[24:25], 0
                                        ; implicit-def: $vgpr4
	s_and_saveexec_b64 s[28:29], vcc
	s_xor_b64 s[28:29], exec, s[28:29]
	s_cbranch_execz .LBB46_404
; %bb.175:
	v_bfe_u32 v4, v3, 20, 1
	s_mov_b32 s34, 0x487ffff
	v_add3_u32 v4, v3, v4, s34
	s_mov_b64 s[24:25], exec
	v_lshrrev_b32_e32 v4, 20, v4
	s_andn2_saveexec_b64 s[28:29], s[28:29]
	s_cbranch_execnz .LBB46_405
.LBB46_176:
	s_or_b64 exec, exec, s[28:29]
	v_mov_b32_e32 v5, 0
	s_and_saveexec_b64 s[28:29], s[24:25]
.LBB46_177:
	v_lshrrev_b32_e32 v3, 24, v3
	s_movk_i32 s24, 0x80
	v_and_or_b32 v5, v3, s24, v4
.LBB46_178:
	s_or_b64 exec, exec, s[28:29]
.LBB46_179:
	s_or_b64 exec, exec, s[6:7]
	global_store_byte v[0:1], v5, off
.LBB46_180:
	s_mov_b64 s[6:7], -1
.LBB46_181:
	s_mov_b64 s[24:25], 0
.LBB46_182:
	s_and_b64 vcc, exec, s[24:25]
	s_cbranch_vccz .LBB46_223
; %bb.183:
	s_cmp_gt_i32 s31, 22
	s_mov_b64 s[24:25], -1
	s_cbranch_scc0 .LBB46_215
; %bb.184:
	s_cmp_lt_i32 s31, 24
	s_mov_b64 s[6:7], -1
	s_cbranch_scc1 .LBB46_204
; %bb.185:
	s_cmp_gt_i32 s31, 24
	s_cbranch_scc0 .LBB46_193
; %bb.186:
	v_bfe_i32 v3, v2, 0, 8
	v_cvt_f32_i32_sdwa v3, sext(v3) dst_sel:DWORD dst_unused:UNUSED_PAD src0_sel:WORD_0
	s_mov_b32 s6, 0x47800000
	v_mov_b32_e32 v5, 0x80
	v_and_b32_e32 v4, 0x7fffffff, v3
	v_cmp_gt_u32_e32 vcc, s6, v4
	s_and_saveexec_b64 s[6:7], vcc
	s_cbranch_execz .LBB46_192
; %bb.187:
	s_mov_b32 s24, 0x37ffffff
	v_cmp_lt_u32_e32 vcc, s24, v4
	s_mov_b64 s[24:25], 0
                                        ; implicit-def: $vgpr4
	s_and_saveexec_b64 s[28:29], vcc
	s_xor_b64 s[28:29], exec, s[28:29]
	s_cbranch_execz .LBB46_519
; %bb.188:
	v_bfe_u32 v4, v3, 21, 1
	s_mov_b32 s34, 0x88fffff
	v_add3_u32 v4, v3, v4, s34
	s_mov_b64 s[24:25], exec
	v_lshrrev_b32_e32 v4, 21, v4
	s_andn2_saveexec_b64 s[28:29], s[28:29]
	s_cbranch_execnz .LBB46_520
.LBB46_189:
	s_or_b64 exec, exec, s[28:29]
	v_mov_b32_e32 v5, 0
	s_and_saveexec_b64 s[28:29], s[24:25]
.LBB46_190:
	v_lshrrev_b32_e32 v3, 24, v3
	s_movk_i32 s24, 0x80
	v_and_or_b32 v5, v3, s24, v4
.LBB46_191:
	s_or_b64 exec, exec, s[28:29]
.LBB46_192:
	s_or_b64 exec, exec, s[6:7]
	s_mov_b64 s[6:7], 0
	global_store_byte v[0:1], v5, off
.LBB46_193:
	s_and_b64 vcc, exec, s[6:7]
	s_cbranch_vccz .LBB46_203
; %bb.194:
	v_bfe_i32 v3, v2, 0, 8
	v_cvt_f32_i32_sdwa v3, sext(v3) dst_sel:DWORD dst_unused:UNUSED_PAD src0_sel:WORD_0
	s_mov_b32 s6, 0x43f00000
                                        ; implicit-def: $vgpr4
	v_and_b32_e32 v5, 0x7fffffff, v3
	v_cmp_gt_u32_e32 vcc, s6, v5
	s_and_saveexec_b64 s[6:7], vcc
	s_xor_b64 s[6:7], exec, s[6:7]
	s_cbranch_execz .LBB46_200
; %bb.195:
	s_mov_b32 s24, 0x3c7fffff
	v_cmp_lt_u32_e32 vcc, s24, v5
                                        ; implicit-def: $vgpr4
	s_and_saveexec_b64 s[24:25], vcc
	s_xor_b64 s[24:25], exec, s[24:25]
; %bb.196:
	v_bfe_u32 v4, v3, 20, 1
	s_mov_b32 s28, 0x407ffff
	v_add3_u32 v4, v3, v4, s28
	v_lshrrev_b32_e32 v5, 20, v4
	v_and_b32_e32 v4, 0xff00000, v4
	s_mov_b32 s28, 0x7f00000
	v_mov_b32_e32 v6, 0x7e
	v_cmp_ne_u32_e32 vcc, s28, v4
	v_cndmask_b32_e32 v4, v6, v5, vcc
; %bb.197:
	s_andn2_saveexec_b64 s[24:25], s[24:25]
; %bb.198:
	s_mov_b32 s28, 0x46800000
	v_add_f32_e64 v4, |v3|, s28
; %bb.199:
	s_or_b64 exec, exec, s[24:25]
                                        ; implicit-def: $vgpr5
.LBB46_200:
	s_andn2_saveexec_b64 s[6:7], s[6:7]
; %bb.201:
	s_mov_b32 s24, 0x7f800000
	v_mov_b32_e32 v4, 0x7e
	v_mov_b32_e32 v6, 0x7f
	v_cmp_lt_u32_e32 vcc, s24, v5
	v_cndmask_b32_e32 v4, v4, v6, vcc
; %bb.202:
	s_or_b64 exec, exec, s[6:7]
	v_lshrrev_b32_e32 v3, 24, v3
	s_movk_i32 s6, 0x80
	v_and_or_b32 v3, v3, s6, v4
	global_store_byte v[0:1], v3, off
.LBB46_203:
	s_mov_b64 s[6:7], 0
.LBB46_204:
	s_andn2_b64 vcc, exec, s[6:7]
	s_cbranch_vccnz .LBB46_214
; %bb.205:
	v_bfe_i32 v3, v2, 0, 8
	v_cvt_f32_i32_sdwa v3, sext(v3) dst_sel:DWORD dst_unused:UNUSED_PAD src0_sel:WORD_0
	s_mov_b32 s6, 0x47800000
                                        ; implicit-def: $vgpr4
	v_and_b32_e32 v5, 0x7fffffff, v3
	v_cmp_gt_u32_e32 vcc, s6, v5
	s_and_saveexec_b64 s[6:7], vcc
	s_xor_b64 s[6:7], exec, s[6:7]
	s_cbranch_execz .LBB46_211
; %bb.206:
	s_mov_b32 s24, 0x387fffff
	v_cmp_lt_u32_e32 vcc, s24, v5
                                        ; implicit-def: $vgpr4
	s_and_saveexec_b64 s[24:25], vcc
	s_xor_b64 s[24:25], exec, s[24:25]
; %bb.207:
	v_bfe_u32 v4, v3, 21, 1
	s_mov_b32 s28, 0x80fffff
	v_add3_u32 v4, v3, v4, s28
	v_lshrrev_b32_e32 v4, 21, v4
; %bb.208:
	s_andn2_saveexec_b64 s[24:25], s[24:25]
; %bb.209:
	s_mov_b32 s28, 0x43000000
	v_add_f32_e64 v4, |v3|, s28
; %bb.210:
	s_or_b64 exec, exec, s[24:25]
                                        ; implicit-def: $vgpr5
.LBB46_211:
	s_andn2_saveexec_b64 s[6:7], s[6:7]
; %bb.212:
	s_mov_b32 s24, 0x7f800000
	v_mov_b32_e32 v4, 0x7c
	v_mov_b32_e32 v6, 0x7f
	v_cmp_lt_u32_e32 vcc, s24, v5
	v_cndmask_b32_e32 v4, v4, v6, vcc
; %bb.213:
	s_or_b64 exec, exec, s[6:7]
	v_lshrrev_b32_e32 v3, 24, v3
	s_movk_i32 s6, 0x80
	v_and_or_b32 v3, v3, s6, v4
	global_store_byte v[0:1], v3, off
.LBB46_214:
	s_mov_b64 s[24:25], 0
	s_mov_b64 s[6:7], -1
.LBB46_215:
	s_andn2_b64 vcc, exec, s[24:25]
	s_cbranch_vccnz .LBB46_223
; %bb.216:
	s_cmp_gt_i32 s31, 14
	s_mov_b64 s[24:25], -1
	s_cbranch_scc0 .LBB46_220
; %bb.217:
	s_cmp_eq_u32 s31, 15
	s_mov_b64 s[0:1], -1
	s_cbranch_scc0 .LBB46_219
; %bb.218:
	v_bfe_i32 v3, v2, 0, 8
	v_cvt_f32_i32_sdwa v3, sext(v3) dst_sel:DWORD dst_unused:UNUSED_PAD src0_sel:WORD_0
	s_movk_i32 s0, 0x7fff
	s_mov_b64 s[6:7], -1
	v_bfe_u32 v4, v3, 16, 1
	v_add3_u32 v3, v3, v4, s0
	global_store_short_d16_hi v[0:1], v3, off
	s_mov_b64 s[0:1], 0
.LBB46_219:
	s_mov_b64 s[24:25], 0
.LBB46_220:
	s_and_b64 vcc, exec, s[24:25]
	s_cbranch_vccz .LBB46_223
; %bb.221:
	s_cmp_eq_u32 s31, 11
	s_mov_b64 s[0:1], -1
	s_cbranch_scc0 .LBB46_223
; %bb.222:
	v_mov_b32_e32 v3, 0
	v_cmp_ne_u16_sdwa s[0:1], v2, v3 src0_sel:BYTE_0 src1_sel:DWORD
	v_cndmask_b32_e64 v3, 0, 1, s[0:1]
	s_mov_b64 s[6:7], -1
	s_mov_b64 s[0:1], 0
	global_store_byte v[0:1], v3, off
.LBB46_223:
	s_mov_b64 s[24:25], 0
.LBB46_224:
	s_and_b64 vcc, exec, s[24:25]
	s_cbranch_vccz .LBB46_263
; %bb.225:
	s_and_b32 s24, 0xffff, s30
	s_cmp_lt_i32 s24, 5
	s_mov_b64 s[6:7], -1
	s_cbranch_scc1 .LBB46_246
; %bb.226:
	s_cmp_lt_i32 s24, 8
	s_cbranch_scc1 .LBB46_236
; %bb.227:
	s_cmp_lt_i32 s24, 9
	s_cbranch_scc1 .LBB46_233
; %bb.228:
	s_cmp_gt_i32 s24, 9
	s_cbranch_scc0 .LBB46_230
; %bb.229:
	v_bfe_i32 v3, v2, 0, 8
	v_bfe_i32 v3, v3, 0, 16
	v_cvt_f64_i32_e32 v[3:4], v3
	v_mov_b32_e32 v5, 0
	v_mov_b32_e32 v6, v5
	s_mov_b64 s[6:7], 0
	global_store_dwordx4 v[0:1], v[3:6], off
.LBB46_230:
	s_andn2_b64 vcc, exec, s[6:7]
	s_cbranch_vccnz .LBB46_232
; %bb.231:
	v_bfe_i32 v3, v2, 0, 8
	v_cvt_f32_i32_sdwa v3, sext(v3) dst_sel:DWORD dst_unused:UNUSED_PAD src0_sel:WORD_0
	v_mov_b32_e32 v4, 0
	global_store_dwordx2 v[0:1], v[3:4], off
.LBB46_232:
	s_mov_b64 s[6:7], 0
.LBB46_233:
	s_andn2_b64 vcc, exec, s[6:7]
	s_cbranch_vccnz .LBB46_235
; %bb.234:
	v_cvt_f16_i16_sdwa v3, sext(v2) dst_sel:DWORD dst_unused:UNUSED_PAD src0_sel:BYTE_0
	global_store_dword v[0:1], v3, off
.LBB46_235:
	s_mov_b64 s[6:7], 0
.LBB46_236:
	s_andn2_b64 vcc, exec, s[6:7]
	s_cbranch_vccnz .LBB46_245
; %bb.237:
	s_cmp_lt_i32 s24, 6
	s_mov_b64 s[6:7], -1
	s_cbranch_scc1 .LBB46_243
; %bb.238:
	s_cmp_gt_i32 s24, 6
	s_cbranch_scc0 .LBB46_240
; %bb.239:
	v_bfe_i32 v3, v2, 0, 8
	v_bfe_i32 v3, v3, 0, 16
	v_cvt_f64_i32_e32 v[3:4], v3
	s_mov_b64 s[6:7], 0
	global_store_dwordx2 v[0:1], v[3:4], off
.LBB46_240:
	s_andn2_b64 vcc, exec, s[6:7]
	s_cbranch_vccnz .LBB46_242
; %bb.241:
	v_bfe_i32 v3, v2, 0, 8
	v_cvt_f32_i32_sdwa v3, sext(v3) dst_sel:DWORD dst_unused:UNUSED_PAD src0_sel:WORD_0
	global_store_dword v[0:1], v3, off
.LBB46_242:
	s_mov_b64 s[6:7], 0
.LBB46_243:
	s_andn2_b64 vcc, exec, s[6:7]
	s_cbranch_vccnz .LBB46_245
; %bb.244:
	v_cvt_f16_i16_sdwa v3, sext(v2) dst_sel:DWORD dst_unused:UNUSED_PAD src0_sel:BYTE_0
	global_store_short v[0:1], v3, off
.LBB46_245:
	s_mov_b64 s[6:7], 0
.LBB46_246:
	s_andn2_b64 vcc, exec, s[6:7]
	s_cbranch_vccnz .LBB46_262
; %bb.247:
	s_cmp_lt_i32 s24, 2
	s_mov_b64 s[6:7], -1
	s_cbranch_scc1 .LBB46_257
; %bb.248:
	s_cmp_lt_i32 s24, 3
	s_cbranch_scc1 .LBB46_254
; %bb.249:
	s_cmp_gt_i32 s24, 3
	s_cbranch_scc0 .LBB46_251
; %bb.250:
	v_bfe_i32 v3, v2, 0, 8
	v_ashrrev_i32_e32 v4, 31, v3
	global_store_dwordx2 v[0:1], v[3:4], off
	s_mov_b64 s[6:7], 0
.LBB46_251:
	s_andn2_b64 vcc, exec, s[6:7]
	s_cbranch_vccnz .LBB46_253
; %bb.252:
	v_bfe_i32 v3, v2, 0, 8
	global_store_dword v[0:1], v3, off
.LBB46_253:
	s_mov_b64 s[6:7], 0
.LBB46_254:
	s_andn2_b64 vcc, exec, s[6:7]
	s_cbranch_vccnz .LBB46_256
; %bb.255:
	v_bfe_i32 v3, v2, 0, 8
	global_store_short v[0:1], v3, off
.LBB46_256:
	s_mov_b64 s[6:7], 0
.LBB46_257:
	s_andn2_b64 vcc, exec, s[6:7]
	s_cbranch_vccnz .LBB46_262
; %bb.258:
	s_cmp_gt_i32 s24, 0
	s_mov_b64 s[6:7], -1
	s_cbranch_scc0 .LBB46_260
; %bb.259:
	global_store_byte v[0:1], v2, off
	s_mov_b64 s[6:7], 0
.LBB46_260:
	s_andn2_b64 vcc, exec, s[6:7]
	s_cbranch_vccnz .LBB46_262
; %bb.261:
	global_store_byte v[0:1], v2, off
.LBB46_262:
	s_mov_b64 s[6:7], -1
.LBB46_263:
	s_andn2_b64 vcc, exec, s[6:7]
	s_cbranch_vccnz .LBB46_265
; %bb.264:
	v_add_u32_e32 v14, 0x80, v14
	s_mov_b64 s[24:25], -1
	s_branch .LBB46_374
.LBB46_265:
	s_mov_b64 s[24:25], 0
                                        ; implicit-def: $vgpr14
	s_branch .LBB46_374
.LBB46_266:
	s_mov_b64 s[18:19], -1
                                        ; implicit-def: $vgpr3
.LBB46_267:
	s_mov_b64 s[6:7], 0
.LBB46_268:
	s_and_b64 vcc, exec, s[6:7]
	s_cbranch_vccz .LBB46_272
; %bb.269:
	s_cmp_eq_u32 s25, 29
	s_cbranch_scc0 .LBB46_271
; %bb.270:
	global_load_dwordx2 v[3:4], v[1:2], off
	s_mov_b64 s[0:1], -1
	s_mov_b64 s[18:19], 0
	s_branch .LBB46_272
.LBB46_271:
	s_mov_b64 s[18:19], -1
                                        ; implicit-def: $vgpr3
.LBB46_272:
	s_mov_b64 s[6:7], 0
.LBB46_273:
	s_and_b64 vcc, exec, s[6:7]
	s_cbranch_vccz .LBB46_289
; %bb.274:
	s_cmp_lt_i32 s25, 27
	s_cbranch_scc1 .LBB46_277
; %bb.275:
	s_cmp_gt_i32 s25, 27
	s_cbranch_scc0 .LBB46_278
; %bb.276:
	global_load_dword v3, v[1:2], off
	s_mov_b64 s[0:1], 0
	s_branch .LBB46_279
.LBB46_277:
	s_mov_b64 s[0:1], -1
                                        ; implicit-def: $vgpr3
	s_branch .LBB46_282
.LBB46_278:
	s_mov_b64 s[0:1], -1
                                        ; implicit-def: $vgpr3
.LBB46_279:
	s_andn2_b64 vcc, exec, s[0:1]
	s_cbranch_vccnz .LBB46_281
; %bb.280:
	global_load_ushort v3, v[1:2], off
.LBB46_281:
	s_mov_b64 s[0:1], 0
.LBB46_282:
	s_andn2_b64 vcc, exec, s[0:1]
	s_cbranch_vccnz .LBB46_288
; %bb.283:
	global_load_ubyte v4, v[1:2], off
	s_movk_i32 s0, 0x7f
	s_mov_b64 s[6:7], 0
	s_waitcnt vmcnt(0)
	v_cmp_lt_i16_e32 vcc, s0, v4
	s_and_saveexec_b64 s[0:1], vcc
	s_xor_b64 s[0:1], exec, s[0:1]
	s_cbranch_execz .LBB46_300
; %bb.284:
	s_movk_i32 s6, 0x80
	v_cmp_ne_u16_e32 vcc, s6, v4
	s_and_b64 s[6:7], vcc, exec
	s_andn2_saveexec_b64 s[0:1], s[0:1]
	s_cbranch_execnz .LBB46_301
.LBB46_285:
	s_or_b64 exec, exec, s[0:1]
	v_mov_b32_e32 v3, 0
	s_and_saveexec_b64 s[0:1], s[6:7]
	s_cbranch_execz .LBB46_287
.LBB46_286:
	v_lshlrev_b32_e32 v3, 24, v4
	v_and_b32_e32 v4, 0xffff, v4
	v_and_b32_e32 v5, 7, v4
	v_ffbh_u32_e32 v7, v5
	v_min_u32_e32 v7, 32, v7
	v_subrev_u32_e32 v8, 28, v7
	v_bfe_u32 v6, v4, 3, 4
	v_lshlrev_b32_e32 v4, v8, v4
	v_sub_u32_e32 v7, 29, v7
	v_and_b32_e32 v4, 7, v4
	v_cmp_eq_u32_e32 vcc, 0, v6
	v_cndmask_b32_e32 v6, v6, v7, vcc
	v_cndmask_b32_e32 v4, v5, v4, vcc
	v_mov_b32_e32 v5, 0x3b800000
	v_lshlrev_b32_e32 v4, 20, v4
	v_and_b32_e32 v3, 0x80000000, v3
	v_lshl_add_u32 v5, v6, 23, v5
	v_or3_b32 v3, v3, v5, v4
	v_cvt_i32_f32_e32 v3, v3
.LBB46_287:
	s_or_b64 exec, exec, s[0:1]
.LBB46_288:
	s_mov_b64 s[0:1], -1
.LBB46_289:
	s_mov_b64 s[6:7], 0
.LBB46_290:
	s_and_b64 vcc, exec, s[6:7]
	s_cbranch_vccz .LBB46_323
; %bb.291:
	s_cmp_gt_i32 s25, 22
	s_cbranch_scc0 .LBB46_299
; %bb.292:
	s_cmp_lt_i32 s25, 24
	s_cbranch_scc1 .LBB46_302
; %bb.293:
	s_cmp_gt_i32 s25, 24
	s_cbranch_scc0 .LBB46_303
; %bb.294:
	global_load_ubyte v4, v[1:2], off
	s_movk_i32 s0, 0x7f
	s_mov_b64 s[6:7], 0
	s_waitcnt vmcnt(0)
	v_cmp_lt_i16_e32 vcc, s0, v4
	s_and_saveexec_b64 s[0:1], vcc
	s_xor_b64 s[0:1], exec, s[0:1]
	s_cbranch_execz .LBB46_315
; %bb.295:
	s_movk_i32 s6, 0x80
	v_cmp_ne_u16_e32 vcc, s6, v4
	s_and_b64 s[6:7], vcc, exec
	s_andn2_saveexec_b64 s[0:1], s[0:1]
	s_cbranch_execnz .LBB46_316
.LBB46_296:
	s_or_b64 exec, exec, s[0:1]
	v_mov_b32_e32 v3, 0
	s_and_saveexec_b64 s[0:1], s[6:7]
	s_cbranch_execz .LBB46_298
.LBB46_297:
	v_lshlrev_b32_e32 v3, 24, v4
	v_and_b32_e32 v4, 0xffff, v4
	v_and_b32_e32 v5, 3, v4
	v_ffbh_u32_e32 v7, v5
	v_min_u32_e32 v7, 32, v7
	v_subrev_u32_e32 v8, 29, v7
	v_bfe_u32 v6, v4, 2, 5
	v_lshlrev_b32_e32 v4, v8, v4
	v_sub_u32_e32 v7, 30, v7
	v_and_b32_e32 v4, 3, v4
	v_cmp_eq_u32_e32 vcc, 0, v6
	v_cndmask_b32_e32 v6, v6, v7, vcc
	v_cndmask_b32_e32 v4, v5, v4, vcc
	v_mov_b32_e32 v5, 0x37800000
	v_lshlrev_b32_e32 v4, 21, v4
	v_and_b32_e32 v3, 0x80000000, v3
	v_lshl_add_u32 v5, v6, 23, v5
	v_or3_b32 v3, v3, v5, v4
	v_cvt_i32_f32_e32 v3, v3
.LBB46_298:
	s_or_b64 exec, exec, s[0:1]
	s_mov_b64 s[0:1], 0
	s_branch .LBB46_304
.LBB46_299:
	s_mov_b64 s[6:7], -1
                                        ; implicit-def: $vgpr3
	s_branch .LBB46_310
.LBB46_300:
	s_andn2_saveexec_b64 s[0:1], s[0:1]
	s_cbranch_execz .LBB46_285
.LBB46_301:
	v_cmp_ne_u16_e32 vcc, 0, v4
	s_andn2_b64 s[6:7], s[6:7], exec
	s_and_b64 s[28:29], vcc, exec
	s_or_b64 s[6:7], s[6:7], s[28:29]
	s_or_b64 exec, exec, s[0:1]
	v_mov_b32_e32 v3, 0
	s_and_saveexec_b64 s[0:1], s[6:7]
	s_cbranch_execnz .LBB46_286
	s_branch .LBB46_287
.LBB46_302:
	s_mov_b64 s[0:1], -1
                                        ; implicit-def: $vgpr3
	s_branch .LBB46_307
.LBB46_303:
	s_mov_b64 s[0:1], -1
                                        ; implicit-def: $vgpr3
.LBB46_304:
	s_and_b64 vcc, exec, s[0:1]
	s_cbranch_vccz .LBB46_306
; %bb.305:
	global_load_ubyte v3, v[1:2], off
	s_mov_b32 s0, 0x7f800000
	s_waitcnt vmcnt(0)
	v_lshlrev_b32_e32 v3, 24, v3
	v_and_b32_e32 v4, 0x7f000000, v3
	v_ffbh_u32_e32 v5, v4
	v_min_u32_e32 v5, 32, v5
	v_sub_u32_e64 v5, v5, 4 clamp
	v_lshlrev_b32_e32 v7, v5, v4
	v_lshlrev_b32_e32 v5, 23, v5
	v_lshrrev_b32_e32 v7, 4, v7
	v_add_u32_e32 v6, 0x1000000, v4
	v_sub_u32_e32 v5, v7, v5
	v_ashrrev_i32_e32 v6, 8, v6
	v_add_u32_e32 v5, 0x3c000000, v5
	v_and_or_b32 v5, v6, s0, v5
	v_cmp_ne_u32_e32 vcc, 0, v4
	v_cndmask_b32_e32 v4, 0, v5, vcc
	s_brev_b32 s0, 1
	v_and_or_b32 v3, v3, s0, v4
	v_cvt_i32_f32_e32 v3, v3
.LBB46_306:
	s_mov_b64 s[0:1], 0
.LBB46_307:
	s_andn2_b64 vcc, exec, s[0:1]
	s_cbranch_vccnz .LBB46_309
; %bb.308:
	global_load_ubyte v3, v[1:2], off
	s_movk_i32 s0, 0x7f00
	s_brev_b32 s1, 16
	s_waitcnt vmcnt(0)
	v_lshlrev_b16_e32 v4, 8, v3
	v_lshlrev_b32_e32 v3, 25, v3
	v_lshrrev_b32_e32 v5, 4, v3
	v_and_or_b32 v6, v4, s0, 0.5
	v_or_b32_e32 v5, 0x70000000, v5
	v_add_f32_e32 v6, -0.5, v6
	v_mul_f32_e32 v5, 0x7800000, v5
	v_cmp_gt_u32_e32 vcc, s1, v3
	v_bfe_i32 v4, v4, 0, 16
	v_cndmask_b32_e32 v3, v5, v6, vcc
	s_brev_b32 s0, 1
	v_and_or_b32 v3, v4, s0, v3
	v_cvt_i32_f32_e32 v3, v3
.LBB46_309:
	s_mov_b64 s[6:7], 0
	s_mov_b64 s[0:1], -1
.LBB46_310:
	s_andn2_b64 vcc, exec, s[6:7]
	s_cbranch_vccnz .LBB46_323
; %bb.311:
	s_cmp_gt_i32 s25, 14
	s_cbranch_scc0 .LBB46_314
; %bb.312:
	s_cmp_eq_u32 s25, 15
	s_cbranch_scc0 .LBB46_317
; %bb.313:
	global_load_ushort v3, v[1:2], off
	s_mov_b64 s[0:1], -1
	s_mov_b64 s[18:19], 0
	s_waitcnt vmcnt(0)
	v_lshlrev_b32_e32 v3, 16, v3
	v_cvt_i32_f32_e32 v3, v3
	s_branch .LBB46_318
.LBB46_314:
	s_mov_b64 s[6:7], -1
                                        ; implicit-def: $vgpr3
	s_branch .LBB46_319
.LBB46_315:
	s_andn2_saveexec_b64 s[0:1], s[0:1]
	s_cbranch_execz .LBB46_296
.LBB46_316:
	v_cmp_ne_u16_e32 vcc, 0, v4
	s_andn2_b64 s[6:7], s[6:7], exec
	s_and_b64 s[28:29], vcc, exec
	s_or_b64 s[6:7], s[6:7], s[28:29]
	s_or_b64 exec, exec, s[0:1]
	v_mov_b32_e32 v3, 0
	s_and_saveexec_b64 s[0:1], s[6:7]
	s_cbranch_execnz .LBB46_297
	s_branch .LBB46_298
.LBB46_317:
	s_mov_b64 s[18:19], -1
                                        ; implicit-def: $vgpr3
.LBB46_318:
	s_mov_b64 s[6:7], 0
.LBB46_319:
	s_and_b64 vcc, exec, s[6:7]
	s_cbranch_vccz .LBB46_323
; %bb.320:
	s_cmp_eq_u32 s25, 11
	s_cbranch_scc0 .LBB46_322
; %bb.321:
	global_load_ubyte v3, v[1:2], off
	s_mov_b64 s[0:1], -1
	s_mov_b64 s[18:19], 0
	s_waitcnt vmcnt(0)
	v_cmp_ne_u16_e32 vcc, 0, v3
	v_cndmask_b32_e64 v3, 0, 1, vcc
	s_branch .LBB46_323
.LBB46_322:
	s_mov_b64 s[18:19], -1
                                        ; implicit-def: $vgpr3
.LBB46_323:
	s_branch .LBB46_20
.LBB46_324:
	s_and_b32 s6, 0xffff, s24
	s_cmp_lt_i32 s6, 5
	s_cbranch_scc1 .LBB46_329
; %bb.325:
	s_cmp_lt_i32 s6, 8
	s_cbranch_scc1 .LBB46_330
; %bb.326:
	;; [unrolled: 3-line block ×3, first 2 shown]
	s_cmp_gt_i32 s6, 9
	s_cbranch_scc0 .LBB46_332
; %bb.328:
	global_load_dwordx2 v[3:4], v[1:2], off
	s_mov_b64 s[0:1], 0
	s_waitcnt vmcnt(0)
	v_cvt_i32_f64_e32 v3, v[3:4]
	s_branch .LBB46_333
.LBB46_329:
	s_mov_b64 s[0:1], -1
                                        ; implicit-def: $vgpr3
	s_branch .LBB46_351
.LBB46_330:
	s_mov_b64 s[0:1], -1
                                        ; implicit-def: $vgpr3
	s_branch .LBB46_339
.LBB46_331:
	s_mov_b64 s[0:1], -1
                                        ; implicit-def: $vgpr3
	s_branch .LBB46_336
.LBB46_332:
	s_mov_b64 s[0:1], -1
                                        ; implicit-def: $vgpr3
.LBB46_333:
	s_andn2_b64 vcc, exec, s[0:1]
	s_cbranch_vccnz .LBB46_335
; %bb.334:
	global_load_dword v3, v[1:2], off
	s_waitcnt vmcnt(0)
	v_cvt_i32_f32_e32 v3, v3
.LBB46_335:
	s_mov_b64 s[0:1], 0
.LBB46_336:
	s_andn2_b64 vcc, exec, s[0:1]
	s_cbranch_vccnz .LBB46_338
; %bb.337:
	global_load_dword v3, v[1:2], off
	s_waitcnt vmcnt(0)
	v_cvt_i16_f16_e32 v3, v3
.LBB46_338:
	s_mov_b64 s[0:1], 0
.LBB46_339:
	s_andn2_b64 vcc, exec, s[0:1]
	s_cbranch_vccnz .LBB46_350
; %bb.340:
	s_cmp_lt_i32 s6, 6
	s_cbranch_scc1 .LBB46_343
; %bb.341:
	s_cmp_gt_i32 s6, 6
	s_cbranch_scc0 .LBB46_344
; %bb.342:
	global_load_dwordx2 v[3:4], v[1:2], off
	s_mov_b64 s[0:1], 0
	s_waitcnt vmcnt(0)
	v_cvt_i32_f64_e32 v3, v[3:4]
	s_branch .LBB46_345
.LBB46_343:
	s_mov_b64 s[0:1], -1
                                        ; implicit-def: $vgpr3
	s_branch .LBB46_348
.LBB46_344:
	s_mov_b64 s[0:1], -1
                                        ; implicit-def: $vgpr3
.LBB46_345:
	s_andn2_b64 vcc, exec, s[0:1]
	s_cbranch_vccnz .LBB46_347
; %bb.346:
	global_load_dword v3, v[1:2], off
	s_waitcnt vmcnt(0)
	v_cvt_i32_f32_e32 v3, v3
.LBB46_347:
	s_mov_b64 s[0:1], 0
.LBB46_348:
	s_andn2_b64 vcc, exec, s[0:1]
	s_cbranch_vccnz .LBB46_350
; %bb.349:
	global_load_ushort v3, v[1:2], off
	s_waitcnt vmcnt(0)
	v_cvt_i16_f16_e32 v3, v3
.LBB46_350:
	s_mov_b64 s[0:1], 0
.LBB46_351:
	s_andn2_b64 vcc, exec, s[0:1]
	s_cbranch_vccnz .LBB46_371
; %bb.352:
	s_cmp_lt_i32 s6, 2
	s_cbranch_scc1 .LBB46_356
; %bb.353:
	s_cmp_lt_i32 s6, 3
	s_cbranch_scc1 .LBB46_357
; %bb.354:
	s_cmp_gt_i32 s6, 3
	s_cbranch_scc0 .LBB46_358
; %bb.355:
	global_load_dwordx2 v[3:4], v[1:2], off
	s_mov_b64 s[0:1], 0
	s_branch .LBB46_359
.LBB46_356:
	s_mov_b64 s[0:1], -1
                                        ; implicit-def: $vgpr3
	s_branch .LBB46_365
.LBB46_357:
	s_mov_b64 s[0:1], -1
                                        ; implicit-def: $vgpr3
	s_branch .LBB46_362
.LBB46_358:
	s_mov_b64 s[0:1], -1
                                        ; implicit-def: $vgpr3
.LBB46_359:
	s_andn2_b64 vcc, exec, s[0:1]
	s_cbranch_vccnz .LBB46_361
; %bb.360:
	global_load_dword v3, v[1:2], off
.LBB46_361:
	s_mov_b64 s[0:1], 0
.LBB46_362:
	s_andn2_b64 vcc, exec, s[0:1]
	s_cbranch_vccnz .LBB46_364
; %bb.363:
	global_load_ushort v3, v[1:2], off
.LBB46_364:
	s_mov_b64 s[0:1], 0
.LBB46_365:
	s_andn2_b64 vcc, exec, s[0:1]
	s_cbranch_vccnz .LBB46_371
; %bb.366:
	s_cmp_gt_i32 s6, 0
	s_cbranch_scc0 .LBB46_368
; %bb.367:
	global_load_ubyte v3, v[1:2], off
	s_mov_b64 s[0:1], 0
	s_branch .LBB46_369
.LBB46_368:
	s_mov_b64 s[0:1], -1
                                        ; implicit-def: $vgpr3
.LBB46_369:
	s_andn2_b64 vcc, exec, s[0:1]
	s_cbranch_vccnz .LBB46_371
; %bb.370:
	global_load_ubyte v3, v[1:2], off
.LBB46_371:
	s_branch .LBB46_21
.LBB46_372:
	s_mov_b64 s[0:1], 0
.LBB46_373:
                                        ; implicit-def: $vgpr14
	s_mov_b64 s[24:25], 0
.LBB46_374:
	s_and_b64 s[6:7], s[0:1], exec
	s_and_b64 s[18:19], s[18:19], exec
	;; [unrolled: 1-line block ×3, first 2 shown]
	s_orn2_b64 s[0:1], s[24:25], exec
.LBB46_375:
	s_or_b64 exec, exec, s[22:23]
	s_mov_b64 s[30:31], 0
	s_mov_b64 s[28:29], 0
                                        ; implicit-def: $sgpr55
                                        ; implicit-def: $vgpr2_vgpr3
                                        ; implicit-def: $vgpr0
	s_and_saveexec_b64 s[22:23], s[0:1]
	s_cbranch_execz .LBB46_384
; %bb.376:
	v_cmp_gt_i32_e32 vcc, s48, v14
	s_mov_b64 s[0:1], -1
	s_mov_b64 s[24:25], s[20:21]
	s_mov_b64 s[26:27], s[18:19]
	;; [unrolled: 1-line block ×3, first 2 shown]
	s_and_saveexec_b64 s[30:31], vcc
	s_cbranch_execz .LBB46_757
; %bb.377:
	s_waitcnt vmcnt(0)
	v_mul_lo_u32 v0, v14, s13
	v_mov_b32_e32 v1, s11
	s_and_b32 s28, s54, 0xff
	s_cmp_lt_i32 s28, 11
	v_ashrrev_i32_e32 v3, 31, v0
	v_add_co_u32_e32 v2, vcc, s10, v0
	v_addc_co_u32_e32 v3, vcc, v1, v3, vcc
	s_cbranch_scc1 .LBB46_387
; %bb.378:
	s_and_b32 s29, 0xffff, s28
	s_cmp_gt_i32 s29, 25
	s_cbranch_scc0 .LBB46_396
; %bb.379:
	s_cmp_gt_i32 s29, 28
	s_cbranch_scc0 .LBB46_398
; %bb.380:
	;; [unrolled: 3-line block ×4, first 2 shown]
	s_cmp_eq_u32 s29, 46
	s_mov_b64 s[26:27], 0
	s_cbranch_scc0 .LBB46_406
; %bb.383:
	global_load_dword v0, v[2:3], off
	s_mov_b64 s[24:25], 0
	s_waitcnt vmcnt(0)
	v_lshlrev_b32_e32 v0, 16, v0
	v_cvt_i32_f32_e32 v0, v0
	s_branch .LBB46_407
.LBB46_384:
	s_or_b64 exec, exec, s[22:23]
	s_mov_b64 s[22:23], 0
	s_and_saveexec_b64 s[0:1], s[20:21]
	s_cbranch_execnz .LBB46_1220
.LBB46_385:
	s_or_b64 exec, exec, s[0:1]
	s_and_saveexec_b64 s[0:1], s[26:27]
	s_xor_b64 s[0:1], exec, s[0:1]
	s_cbranch_execz .LBB46_1221
.LBB46_386:
	s_waitcnt vmcnt(0)
	global_load_ubyte v0, v[2:3], off
	s_or_b64 s[28:29], s[28:29], exec
	s_waitcnt vmcnt(0)
	v_cmp_ne_u16_e32 vcc, 0, v0
	v_cndmask_b32_e64 v0, 0, 1, vcc
	s_or_b64 exec, exec, s[0:1]
	s_and_saveexec_b64 s[0:1], s[30:31]
	s_cbranch_execz .LBB46_1267
	s_branch .LBB46_1222
.LBB46_387:
	s_mov_b64 s[0:1], 0
                                        ; implicit-def: $vgpr0
	s_mov_b64 s[24:25], s[20:21]
	s_cbranch_execnz .LBB46_469
.LBB46_388:
	s_andn2_b64 vcc, exec, s[0:1]
	s_cbranch_vccnz .LBB46_517
.LBB46_389:
	s_waitcnt vmcnt(0)
	v_mul_lo_u32 v1, v14, s14
	v_mov_b32_e32 v2, s3
	s_and_b32 s34, s15, 0xff
	s_cmp_lt_i32 s34, 11
	v_ashrrev_i32_e32 v3, 31, v1
	v_add_co_u32_e32 v1, vcc, s2, v1
	v_addc_co_u32_e32 v2, vcc, v2, v3, vcc
	s_cbranch_scc1 .LBB46_397
; %bb.390:
	s_and_b32 s35, 0xffff, s34
	s_cmp_gt_i32 s35, 25
	s_cbranch_scc0 .LBB46_399
; %bb.391:
	s_cmp_gt_i32 s35, 28
	s_cbranch_scc0 .LBB46_401
; %bb.392:
	;; [unrolled: 3-line block ×4, first 2 shown]
	s_cmp_eq_u32 s35, 46
	s_mov_b64 s[28:29], 0
	s_cbranch_scc0 .LBB46_521
; %bb.395:
	global_load_dword v3, v[1:2], off
	s_mov_b64 s[0:1], -1
	s_mov_b64 s[26:27], 0
	s_waitcnt vmcnt(0)
	v_lshlrev_b32_e32 v3, 16, v3
	v_cvt_i32_f32_e32 v3, v3
	s_branch .LBB46_522
.LBB46_396:
	s_mov_b64 s[26:27], -1
	s_mov_b64 s[0:1], 0
	s_mov_b64 s[24:25], s[20:21]
                                        ; implicit-def: $vgpr0
	s_branch .LBB46_435
.LBB46_397:
	s_mov_b64 s[28:29], -1
	s_mov_b64 s[0:1], 0
                                        ; implicit-def: $vgpr3
	s_mov_b64 s[26:27], s[18:19]
	s_branch .LBB46_583
.LBB46_398:
	s_mov_b64 s[26:27], -1
	s_mov_b64 s[0:1], 0
	s_mov_b64 s[24:25], s[20:21]
                                        ; implicit-def: $vgpr0
	s_branch .LBB46_418
.LBB46_399:
	s_mov_b64 s[28:29], -1
	s_mov_b64 s[0:1], 0
	s_mov_b64 s[26:27], s[18:19]
                                        ; implicit-def: $vgpr3
	s_branch .LBB46_549
.LBB46_400:
	s_mov_b64 s[26:27], -1
	s_mov_b64 s[0:1], 0
	s_mov_b64 s[24:25], s[20:21]
                                        ; implicit-def: $vgpr0
	s_branch .LBB46_413
.LBB46_401:
	s_mov_b64 s[28:29], -1
	s_mov_b64 s[0:1], 0
	s_mov_b64 s[26:27], s[18:19]
                                        ; implicit-def: $vgpr3
	s_branch .LBB46_532
.LBB46_402:
	s_mov_b64 s[26:27], -1
	s_mov_b64 s[0:1], 0
	s_mov_b64 s[24:25], s[20:21]
                                        ; implicit-def: $vgpr0
	s_branch .LBB46_407
.LBB46_403:
	s_mov_b64 s[28:29], -1
	s_mov_b64 s[0:1], 0
	s_mov_b64 s[26:27], s[18:19]
                                        ; implicit-def: $vgpr3
	s_branch .LBB46_527
.LBB46_404:
	s_andn2_saveexec_b64 s[28:29], s[28:29]
	s_cbranch_execz .LBB46_176
.LBB46_405:
	s_mov_b32 s34, 0x46000000
	v_add_f32_e64 v4, |v3|, s34
	v_and_b32_e32 v4, 0xff, v4
	v_cmp_ne_u32_e32 vcc, 0, v4
	s_andn2_b64 s[24:25], s[24:25], exec
	s_and_b64 s[34:35], vcc, exec
	s_or_b64 s[24:25], s[24:25], s[34:35]
	s_or_b64 exec, exec, s[28:29]
	v_mov_b32_e32 v5, 0
	s_and_saveexec_b64 s[28:29], s[24:25]
	s_cbranch_execnz .LBB46_177
	s_branch .LBB46_178
.LBB46_406:
	s_mov_b64 s[24:25], -1
                                        ; implicit-def: $vgpr0
	s_mov_b64 s[0:1], 0
.LBB46_407:
	s_and_b64 vcc, exec, s[26:27]
	s_cbranch_vccz .LBB46_412
; %bb.408:
	s_cmp_eq_u32 s29, 44
	s_cbranch_scc0 .LBB46_411
; %bb.409:
	global_load_ubyte v0, v[2:3], off
	s_mov_b64 s[0:1], -1
	s_mov_b64 s[24:25], 0
	s_waitcnt vmcnt(0)
	v_lshlrev_b32_e32 v1, 23, v0
	v_cvt_i32_f32_e32 v1, v1
	v_cmp_ne_u32_e32 vcc, 0, v0
	v_cndmask_b32_e32 v0, 0, v1, vcc
	s_branch .LBB46_412
.LBB46_410:
	s_mov_b64 s[28:29], -1
	s_mov_b64 s[0:1], 0
	s_mov_b64 s[26:27], s[18:19]
                                        ; implicit-def: $vgpr3
	s_branch .LBB46_522
.LBB46_411:
	s_mov_b64 s[24:25], -1
                                        ; implicit-def: $vgpr0
.LBB46_412:
	s_mov_b64 s[26:27], 0
.LBB46_413:
	s_and_b64 vcc, exec, s[26:27]
	s_cbranch_vccz .LBB46_417
; %bb.414:
	s_cmp_eq_u32 s29, 29
	s_cbranch_scc0 .LBB46_416
; %bb.415:
	global_load_dwordx2 v[0:1], v[2:3], off
	s_mov_b64 s[0:1], -1
	s_mov_b64 s[24:25], 0
	s_branch .LBB46_417
.LBB46_416:
	s_mov_b64 s[24:25], -1
                                        ; implicit-def: $vgpr0
.LBB46_417:
	s_mov_b64 s[26:27], 0
.LBB46_418:
	s_and_b64 vcc, exec, s[26:27]
	s_cbranch_vccz .LBB46_434
; %bb.419:
	s_cmp_lt_i32 s29, 27
	s_cbranch_scc1 .LBB46_422
; %bb.420:
	s_cmp_gt_i32 s29, 27
	s_cbranch_scc0 .LBB46_423
; %bb.421:
	global_load_dword v0, v[2:3], off
	s_mov_b64 s[0:1], 0
	s_branch .LBB46_424
.LBB46_422:
	s_mov_b64 s[0:1], -1
                                        ; implicit-def: $vgpr0
	s_branch .LBB46_427
.LBB46_423:
	s_mov_b64 s[0:1], -1
                                        ; implicit-def: $vgpr0
.LBB46_424:
	s_andn2_b64 vcc, exec, s[0:1]
	s_cbranch_vccnz .LBB46_426
; %bb.425:
	global_load_ushort v0, v[2:3], off
.LBB46_426:
	s_mov_b64 s[0:1], 0
.LBB46_427:
	s_andn2_b64 vcc, exec, s[0:1]
	s_cbranch_vccnz .LBB46_433
; %bb.428:
	global_load_ubyte v1, v[2:3], off
	s_movk_i32 s0, 0x7f
	s_mov_b64 s[26:27], 0
	s_waitcnt vmcnt(0)
	v_cmp_lt_i16_e32 vcc, s0, v1
	s_and_saveexec_b64 s[0:1], vcc
	s_xor_b64 s[0:1], exec, s[0:1]
	s_cbranch_execz .LBB46_445
; %bb.429:
	s_movk_i32 s26, 0x80
	v_cmp_ne_u16_e32 vcc, s26, v1
	s_and_b64 s[26:27], vcc, exec
	s_andn2_saveexec_b64 s[0:1], s[0:1]
	s_cbranch_execnz .LBB46_446
.LBB46_430:
	s_or_b64 exec, exec, s[0:1]
	v_mov_b32_e32 v0, 0
	s_and_saveexec_b64 s[0:1], s[26:27]
	s_cbranch_execz .LBB46_432
.LBB46_431:
	v_lshlrev_b32_e32 v0, 24, v1
	v_and_b32_e32 v1, 0xffff, v1
	v_and_b32_e32 v4, 7, v1
	v_ffbh_u32_e32 v6, v4
	v_min_u32_e32 v6, 32, v6
	v_subrev_u32_e32 v7, 28, v6
	v_bfe_u32 v5, v1, 3, 4
	v_lshlrev_b32_e32 v1, v7, v1
	v_sub_u32_e32 v6, 29, v6
	v_and_b32_e32 v1, 7, v1
	v_cmp_eq_u32_e32 vcc, 0, v5
	v_cndmask_b32_e32 v5, v5, v6, vcc
	v_cndmask_b32_e32 v1, v4, v1, vcc
	v_mov_b32_e32 v4, 0x3b800000
	v_lshlrev_b32_e32 v1, 20, v1
	v_and_b32_e32 v0, 0x80000000, v0
	v_lshl_add_u32 v4, v5, 23, v4
	v_or3_b32 v0, v0, v4, v1
	v_cvt_i32_f32_e32 v0, v0
.LBB46_432:
	s_or_b64 exec, exec, s[0:1]
.LBB46_433:
	s_mov_b64 s[0:1], -1
.LBB46_434:
	s_mov_b64 s[26:27], 0
.LBB46_435:
	s_and_b64 vcc, exec, s[26:27]
	s_cbranch_vccz .LBB46_468
; %bb.436:
	s_cmp_gt_i32 s29, 22
	s_cbranch_scc0 .LBB46_444
; %bb.437:
	s_cmp_lt_i32 s29, 24
	s_cbranch_scc1 .LBB46_447
; %bb.438:
	s_cmp_gt_i32 s29, 24
	s_cbranch_scc0 .LBB46_448
; %bb.439:
	global_load_ubyte v1, v[2:3], off
	s_movk_i32 s0, 0x7f
	s_mov_b64 s[26:27], 0
	s_waitcnt vmcnt(0)
	v_cmp_lt_i16_e32 vcc, s0, v1
	s_and_saveexec_b64 s[0:1], vcc
	s_xor_b64 s[0:1], exec, s[0:1]
	s_cbranch_execz .LBB46_460
; %bb.440:
	s_movk_i32 s26, 0x80
	v_cmp_ne_u16_e32 vcc, s26, v1
	s_and_b64 s[26:27], vcc, exec
	s_andn2_saveexec_b64 s[0:1], s[0:1]
	s_cbranch_execnz .LBB46_461
.LBB46_441:
	s_or_b64 exec, exec, s[0:1]
	v_mov_b32_e32 v0, 0
	s_and_saveexec_b64 s[0:1], s[26:27]
	s_cbranch_execz .LBB46_443
.LBB46_442:
	v_lshlrev_b32_e32 v0, 24, v1
	v_and_b32_e32 v1, 0xffff, v1
	v_and_b32_e32 v4, 3, v1
	v_ffbh_u32_e32 v6, v4
	v_min_u32_e32 v6, 32, v6
	v_subrev_u32_e32 v7, 29, v6
	v_bfe_u32 v5, v1, 2, 5
	v_lshlrev_b32_e32 v1, v7, v1
	v_sub_u32_e32 v6, 30, v6
	v_and_b32_e32 v1, 3, v1
	v_cmp_eq_u32_e32 vcc, 0, v5
	v_cndmask_b32_e32 v5, v5, v6, vcc
	v_cndmask_b32_e32 v1, v4, v1, vcc
	v_mov_b32_e32 v4, 0x37800000
	v_lshlrev_b32_e32 v1, 21, v1
	v_and_b32_e32 v0, 0x80000000, v0
	v_lshl_add_u32 v4, v5, 23, v4
	v_or3_b32 v0, v0, v4, v1
	v_cvt_i32_f32_e32 v0, v0
.LBB46_443:
	s_or_b64 exec, exec, s[0:1]
	s_mov_b64 s[0:1], 0
	s_branch .LBB46_449
.LBB46_444:
	s_mov_b64 s[26:27], -1
                                        ; implicit-def: $vgpr0
	s_branch .LBB46_455
.LBB46_445:
	s_andn2_saveexec_b64 s[0:1], s[0:1]
	s_cbranch_execz .LBB46_430
.LBB46_446:
	v_cmp_ne_u16_e32 vcc, 0, v1
	s_andn2_b64 s[26:27], s[26:27], exec
	s_and_b64 s[34:35], vcc, exec
	s_or_b64 s[26:27], s[26:27], s[34:35]
	s_or_b64 exec, exec, s[0:1]
	v_mov_b32_e32 v0, 0
	s_and_saveexec_b64 s[0:1], s[26:27]
	s_cbranch_execnz .LBB46_431
	s_branch .LBB46_432
.LBB46_447:
	s_mov_b64 s[0:1], -1
                                        ; implicit-def: $vgpr0
	s_branch .LBB46_452
.LBB46_448:
	s_mov_b64 s[0:1], -1
                                        ; implicit-def: $vgpr0
.LBB46_449:
	s_and_b64 vcc, exec, s[0:1]
	s_cbranch_vccz .LBB46_451
; %bb.450:
	global_load_ubyte v0, v[2:3], off
	s_mov_b32 s0, 0x7f800000
	s_waitcnt vmcnt(0)
	v_lshlrev_b32_e32 v0, 24, v0
	v_and_b32_e32 v1, 0x7f000000, v0
	v_ffbh_u32_e32 v4, v1
	v_min_u32_e32 v4, 32, v4
	v_sub_u32_e64 v4, v4, 4 clamp
	v_lshlrev_b32_e32 v6, v4, v1
	v_lshlrev_b32_e32 v4, 23, v4
	v_lshrrev_b32_e32 v6, 4, v6
	v_add_u32_e32 v5, 0x1000000, v1
	v_sub_u32_e32 v4, v6, v4
	v_ashrrev_i32_e32 v5, 8, v5
	v_add_u32_e32 v4, 0x3c000000, v4
	v_and_or_b32 v4, v5, s0, v4
	v_cmp_ne_u32_e32 vcc, 0, v1
	v_cndmask_b32_e32 v1, 0, v4, vcc
	s_brev_b32 s0, 1
	v_and_or_b32 v0, v0, s0, v1
	v_cvt_i32_f32_e32 v0, v0
.LBB46_451:
	s_mov_b64 s[0:1], 0
.LBB46_452:
	s_andn2_b64 vcc, exec, s[0:1]
	s_cbranch_vccnz .LBB46_454
; %bb.453:
	global_load_ubyte v0, v[2:3], off
	s_movk_i32 s0, 0x7f00
	s_brev_b32 s1, 16
	s_waitcnt vmcnt(0)
	v_lshlrev_b16_e32 v1, 8, v0
	v_lshlrev_b32_e32 v0, 25, v0
	v_lshrrev_b32_e32 v4, 4, v0
	v_and_or_b32 v5, v1, s0, 0.5
	v_or_b32_e32 v4, 0x70000000, v4
	v_add_f32_e32 v5, -0.5, v5
	v_mul_f32_e32 v4, 0x7800000, v4
	v_cmp_gt_u32_e32 vcc, s1, v0
	v_bfe_i32 v1, v1, 0, 16
	v_cndmask_b32_e32 v0, v4, v5, vcc
	s_brev_b32 s0, 1
	v_and_or_b32 v0, v1, s0, v0
	v_cvt_i32_f32_e32 v0, v0
.LBB46_454:
	s_mov_b64 s[26:27], 0
	s_mov_b64 s[0:1], -1
.LBB46_455:
	s_andn2_b64 vcc, exec, s[26:27]
	s_cbranch_vccnz .LBB46_468
; %bb.456:
	s_cmp_gt_i32 s29, 14
	s_cbranch_scc0 .LBB46_459
; %bb.457:
	s_cmp_eq_u32 s29, 15
	s_cbranch_scc0 .LBB46_462
; %bb.458:
	global_load_ushort v0, v[2:3], off
	s_mov_b64 s[0:1], -1
	s_mov_b64 s[24:25], 0
	s_waitcnt vmcnt(0)
	v_lshlrev_b32_e32 v0, 16, v0
	v_cvt_i32_f32_e32 v0, v0
	s_branch .LBB46_463
.LBB46_459:
	s_mov_b64 s[26:27], -1
                                        ; implicit-def: $vgpr0
	s_branch .LBB46_464
.LBB46_460:
	s_andn2_saveexec_b64 s[0:1], s[0:1]
	s_cbranch_execz .LBB46_441
.LBB46_461:
	v_cmp_ne_u16_e32 vcc, 0, v1
	s_andn2_b64 s[26:27], s[26:27], exec
	s_and_b64 s[34:35], vcc, exec
	s_or_b64 s[26:27], s[26:27], s[34:35]
	s_or_b64 exec, exec, s[0:1]
	v_mov_b32_e32 v0, 0
	s_and_saveexec_b64 s[0:1], s[26:27]
	s_cbranch_execnz .LBB46_442
	s_branch .LBB46_443
.LBB46_462:
	s_mov_b64 s[24:25], -1
                                        ; implicit-def: $vgpr0
.LBB46_463:
	s_mov_b64 s[26:27], 0
.LBB46_464:
	s_and_b64 vcc, exec, s[26:27]
	s_cbranch_vccz .LBB46_468
; %bb.465:
	s_cmp_eq_u32 s29, 11
	s_cbranch_scc0 .LBB46_467
; %bb.466:
	global_load_ubyte v0, v[2:3], off
	s_mov_b64 s[0:1], -1
	s_mov_b64 s[24:25], 0
	s_waitcnt vmcnt(0)
	v_cmp_ne_u16_e32 vcc, 0, v0
	v_cndmask_b32_e64 v0, 0, 1, vcc
	s_branch .LBB46_468
.LBB46_467:
	s_mov_b64 s[24:25], -1
                                        ; implicit-def: $vgpr0
.LBB46_468:
	s_branch .LBB46_388
.LBB46_469:
	s_and_b32 s26, 0xffff, s28
	s_cmp_lt_i32 s26, 5
	s_cbranch_scc1 .LBB46_474
; %bb.470:
	s_cmp_lt_i32 s26, 8
	s_cbranch_scc1 .LBB46_475
; %bb.471:
	s_cmp_lt_i32 s26, 9
	s_cbranch_scc1 .LBB46_476
; %bb.472:
	s_cmp_gt_i32 s26, 9
	s_cbranch_scc0 .LBB46_477
; %bb.473:
	global_load_dwordx2 v[0:1], v[2:3], off
	s_mov_b64 s[0:1], 0
	s_waitcnt vmcnt(0)
	v_cvt_i32_f64_e32 v0, v[0:1]
	s_branch .LBB46_478
.LBB46_474:
	s_mov_b64 s[0:1], -1
                                        ; implicit-def: $vgpr0
	s_branch .LBB46_496
.LBB46_475:
	s_mov_b64 s[0:1], -1
                                        ; implicit-def: $vgpr0
	s_branch .LBB46_484
.LBB46_476:
	s_mov_b64 s[0:1], -1
                                        ; implicit-def: $vgpr0
	s_branch .LBB46_481
.LBB46_477:
	s_mov_b64 s[0:1], -1
                                        ; implicit-def: $vgpr0
.LBB46_478:
	s_andn2_b64 vcc, exec, s[0:1]
	s_cbranch_vccnz .LBB46_480
; %bb.479:
	global_load_dword v0, v[2:3], off
	s_waitcnt vmcnt(0)
	v_cvt_i32_f32_e32 v0, v0
.LBB46_480:
	s_mov_b64 s[0:1], 0
.LBB46_481:
	s_andn2_b64 vcc, exec, s[0:1]
	s_cbranch_vccnz .LBB46_483
; %bb.482:
	global_load_dword v0, v[2:3], off
	s_waitcnt vmcnt(0)
	v_cvt_i16_f16_e32 v0, v0
.LBB46_483:
	s_mov_b64 s[0:1], 0
.LBB46_484:
	s_andn2_b64 vcc, exec, s[0:1]
	s_cbranch_vccnz .LBB46_495
; %bb.485:
	s_cmp_lt_i32 s26, 6
	s_cbranch_scc1 .LBB46_488
; %bb.486:
	s_cmp_gt_i32 s26, 6
	s_cbranch_scc0 .LBB46_489
; %bb.487:
	global_load_dwordx2 v[0:1], v[2:3], off
	s_mov_b64 s[0:1], 0
	s_waitcnt vmcnt(0)
	v_cvt_i32_f64_e32 v0, v[0:1]
	s_branch .LBB46_490
.LBB46_488:
	s_mov_b64 s[0:1], -1
                                        ; implicit-def: $vgpr0
	s_branch .LBB46_493
.LBB46_489:
	s_mov_b64 s[0:1], -1
                                        ; implicit-def: $vgpr0
.LBB46_490:
	s_andn2_b64 vcc, exec, s[0:1]
	s_cbranch_vccnz .LBB46_492
; %bb.491:
	global_load_dword v0, v[2:3], off
	s_waitcnt vmcnt(0)
	v_cvt_i32_f32_e32 v0, v0
.LBB46_492:
	s_mov_b64 s[0:1], 0
.LBB46_493:
	s_andn2_b64 vcc, exec, s[0:1]
	s_cbranch_vccnz .LBB46_495
; %bb.494:
	global_load_ushort v0, v[2:3], off
	s_waitcnt vmcnt(0)
	v_cvt_i16_f16_e32 v0, v0
.LBB46_495:
	s_mov_b64 s[0:1], 0
.LBB46_496:
	s_andn2_b64 vcc, exec, s[0:1]
	s_cbranch_vccnz .LBB46_516
; %bb.497:
	s_cmp_lt_i32 s26, 2
	s_cbranch_scc1 .LBB46_501
; %bb.498:
	s_cmp_lt_i32 s26, 3
	s_cbranch_scc1 .LBB46_502
; %bb.499:
	s_cmp_gt_i32 s26, 3
	s_cbranch_scc0 .LBB46_503
; %bb.500:
	global_load_dwordx2 v[0:1], v[2:3], off
	s_mov_b64 s[0:1], 0
	s_branch .LBB46_504
.LBB46_501:
	s_mov_b64 s[0:1], -1
                                        ; implicit-def: $vgpr0
	s_branch .LBB46_510
.LBB46_502:
	s_mov_b64 s[0:1], -1
                                        ; implicit-def: $vgpr0
	s_branch .LBB46_507
.LBB46_503:
	s_mov_b64 s[0:1], -1
                                        ; implicit-def: $vgpr0
.LBB46_504:
	s_andn2_b64 vcc, exec, s[0:1]
	s_cbranch_vccnz .LBB46_506
; %bb.505:
	global_load_dword v0, v[2:3], off
.LBB46_506:
	s_mov_b64 s[0:1], 0
.LBB46_507:
	s_andn2_b64 vcc, exec, s[0:1]
	s_cbranch_vccnz .LBB46_509
; %bb.508:
	global_load_ushort v0, v[2:3], off
.LBB46_509:
	s_mov_b64 s[0:1], 0
.LBB46_510:
	s_andn2_b64 vcc, exec, s[0:1]
	s_cbranch_vccnz .LBB46_516
; %bb.511:
	s_cmp_gt_i32 s26, 0
	s_cbranch_scc0 .LBB46_513
; %bb.512:
	global_load_ubyte v0, v[2:3], off
	s_mov_b64 s[0:1], 0
	s_branch .LBB46_514
.LBB46_513:
	s_mov_b64 s[0:1], -1
                                        ; implicit-def: $vgpr0
.LBB46_514:
	s_andn2_b64 vcc, exec, s[0:1]
	s_cbranch_vccnz .LBB46_516
; %bb.515:
	global_load_ubyte v0, v[2:3], off
.LBB46_516:
	s_branch .LBB46_389
.LBB46_517:
	s_mov_b64 s[34:35], 0
	s_mov_b64 s[0:1], s[6:7]
	;; [unrolled: 1-line block ×3, first 2 shown]
.LBB46_518:
                                        ; implicit-def: $vgpr14
	s_branch .LBB46_756
.LBB46_519:
	s_andn2_saveexec_b64 s[28:29], s[28:29]
	s_cbranch_execz .LBB46_189
.LBB46_520:
	s_mov_b32 s34, 0x42800000
	v_add_f32_e64 v4, |v3|, s34
	v_and_b32_e32 v4, 0xff, v4
	v_cmp_ne_u32_e32 vcc, 0, v4
	s_andn2_b64 s[24:25], s[24:25], exec
	s_and_b64 s[34:35], vcc, exec
	s_or_b64 s[24:25], s[24:25], s[34:35]
	s_or_b64 exec, exec, s[28:29]
	v_mov_b32_e32 v5, 0
	s_and_saveexec_b64 s[28:29], s[24:25]
	s_cbranch_execnz .LBB46_190
	s_branch .LBB46_191
.LBB46_521:
	s_mov_b64 s[26:27], -1
                                        ; implicit-def: $vgpr3
	s_mov_b64 s[0:1], 0
.LBB46_522:
	s_and_b64 vcc, exec, s[28:29]
	s_cbranch_vccz .LBB46_526
; %bb.523:
	s_cmp_eq_u32 s35, 44
	s_cbranch_scc0 .LBB46_525
; %bb.524:
	global_load_ubyte v3, v[1:2], off
	s_mov_b64 s[0:1], -1
	s_mov_b64 s[26:27], 0
	s_waitcnt vmcnt(0)
	v_lshlrev_b32_e32 v4, 23, v3
	v_cvt_i32_f32_e32 v4, v4
	v_cmp_ne_u32_e32 vcc, 0, v3
	v_cndmask_b32_e32 v3, 0, v4, vcc
	s_branch .LBB46_526
.LBB46_525:
	s_mov_b64 s[26:27], -1
                                        ; implicit-def: $vgpr3
.LBB46_526:
	s_mov_b64 s[28:29], 0
.LBB46_527:
	s_and_b64 vcc, exec, s[28:29]
	s_cbranch_vccz .LBB46_531
; %bb.528:
	s_cmp_eq_u32 s35, 29
	s_cbranch_scc0 .LBB46_530
; %bb.529:
	global_load_dwordx2 v[3:4], v[1:2], off
	s_mov_b64 s[0:1], -1
	s_mov_b64 s[26:27], 0
	s_branch .LBB46_531
.LBB46_530:
	s_mov_b64 s[26:27], -1
                                        ; implicit-def: $vgpr3
.LBB46_531:
	s_mov_b64 s[28:29], 0
.LBB46_532:
	s_and_b64 vcc, exec, s[28:29]
	s_cbranch_vccz .LBB46_548
; %bb.533:
	s_cmp_lt_i32 s35, 27
	s_cbranch_scc1 .LBB46_536
; %bb.534:
	s_cmp_gt_i32 s35, 27
	s_cbranch_scc0 .LBB46_537
; %bb.535:
	global_load_dword v3, v[1:2], off
	s_mov_b64 s[0:1], 0
	s_branch .LBB46_538
.LBB46_536:
	s_mov_b64 s[0:1], -1
                                        ; implicit-def: $vgpr3
	s_branch .LBB46_541
.LBB46_537:
	s_mov_b64 s[0:1], -1
                                        ; implicit-def: $vgpr3
.LBB46_538:
	s_andn2_b64 vcc, exec, s[0:1]
	s_cbranch_vccnz .LBB46_540
; %bb.539:
	global_load_ushort v3, v[1:2], off
.LBB46_540:
	s_mov_b64 s[0:1], 0
.LBB46_541:
	s_andn2_b64 vcc, exec, s[0:1]
	s_cbranch_vccnz .LBB46_547
; %bb.542:
	global_load_ubyte v4, v[1:2], off
	s_movk_i32 s0, 0x7f
	s_mov_b64 s[28:29], 0
	s_waitcnt vmcnt(0)
	v_cmp_lt_i16_e32 vcc, s0, v4
	s_and_saveexec_b64 s[0:1], vcc
	s_xor_b64 s[0:1], exec, s[0:1]
	s_cbranch_execz .LBB46_559
; %bb.543:
	s_movk_i32 s28, 0x80
	v_cmp_ne_u16_e32 vcc, s28, v4
	s_and_b64 s[28:29], vcc, exec
	s_andn2_saveexec_b64 s[0:1], s[0:1]
	s_cbranch_execnz .LBB46_560
.LBB46_544:
	s_or_b64 exec, exec, s[0:1]
	v_mov_b32_e32 v3, 0
	s_and_saveexec_b64 s[0:1], s[28:29]
	s_cbranch_execz .LBB46_546
.LBB46_545:
	v_lshlrev_b32_e32 v3, 24, v4
	v_and_b32_e32 v4, 0xffff, v4
	v_and_b32_e32 v5, 7, v4
	v_ffbh_u32_e32 v7, v5
	v_min_u32_e32 v7, 32, v7
	v_subrev_u32_e32 v8, 28, v7
	v_bfe_u32 v6, v4, 3, 4
	v_lshlrev_b32_e32 v4, v8, v4
	v_sub_u32_e32 v7, 29, v7
	v_and_b32_e32 v4, 7, v4
	v_cmp_eq_u32_e32 vcc, 0, v6
	v_cndmask_b32_e32 v6, v6, v7, vcc
	v_cndmask_b32_e32 v4, v5, v4, vcc
	v_mov_b32_e32 v5, 0x3b800000
	v_lshlrev_b32_e32 v4, 20, v4
	v_and_b32_e32 v3, 0x80000000, v3
	v_lshl_add_u32 v5, v6, 23, v5
	v_or3_b32 v3, v3, v5, v4
	v_cvt_i32_f32_e32 v3, v3
.LBB46_546:
	s_or_b64 exec, exec, s[0:1]
.LBB46_547:
	s_mov_b64 s[0:1], -1
.LBB46_548:
	s_mov_b64 s[28:29], 0
.LBB46_549:
	s_and_b64 vcc, exec, s[28:29]
	s_cbranch_vccz .LBB46_582
; %bb.550:
	s_cmp_gt_i32 s35, 22
	s_cbranch_scc0 .LBB46_558
; %bb.551:
	s_cmp_lt_i32 s35, 24
	s_cbranch_scc1 .LBB46_561
; %bb.552:
	s_cmp_gt_i32 s35, 24
	s_cbranch_scc0 .LBB46_562
; %bb.553:
	global_load_ubyte v4, v[1:2], off
	s_movk_i32 s0, 0x7f
	s_mov_b64 s[28:29], 0
	s_waitcnt vmcnt(0)
	v_cmp_lt_i16_e32 vcc, s0, v4
	s_and_saveexec_b64 s[0:1], vcc
	s_xor_b64 s[0:1], exec, s[0:1]
	s_cbranch_execz .LBB46_574
; %bb.554:
	s_movk_i32 s28, 0x80
	v_cmp_ne_u16_e32 vcc, s28, v4
	s_and_b64 s[28:29], vcc, exec
	s_andn2_saveexec_b64 s[0:1], s[0:1]
	s_cbranch_execnz .LBB46_575
.LBB46_555:
	s_or_b64 exec, exec, s[0:1]
	v_mov_b32_e32 v3, 0
	s_and_saveexec_b64 s[0:1], s[28:29]
	s_cbranch_execz .LBB46_557
.LBB46_556:
	v_lshlrev_b32_e32 v3, 24, v4
	v_and_b32_e32 v4, 0xffff, v4
	v_and_b32_e32 v5, 3, v4
	v_ffbh_u32_e32 v7, v5
	v_min_u32_e32 v7, 32, v7
	v_subrev_u32_e32 v8, 29, v7
	v_bfe_u32 v6, v4, 2, 5
	v_lshlrev_b32_e32 v4, v8, v4
	v_sub_u32_e32 v7, 30, v7
	v_and_b32_e32 v4, 3, v4
	v_cmp_eq_u32_e32 vcc, 0, v6
	v_cndmask_b32_e32 v6, v6, v7, vcc
	v_cndmask_b32_e32 v4, v5, v4, vcc
	v_mov_b32_e32 v5, 0x37800000
	v_lshlrev_b32_e32 v4, 21, v4
	v_and_b32_e32 v3, 0x80000000, v3
	v_lshl_add_u32 v5, v6, 23, v5
	v_or3_b32 v3, v3, v5, v4
	v_cvt_i32_f32_e32 v3, v3
.LBB46_557:
	s_or_b64 exec, exec, s[0:1]
	s_mov_b64 s[0:1], 0
	s_branch .LBB46_563
.LBB46_558:
	s_mov_b64 s[28:29], -1
                                        ; implicit-def: $vgpr3
	s_branch .LBB46_569
.LBB46_559:
	s_andn2_saveexec_b64 s[0:1], s[0:1]
	s_cbranch_execz .LBB46_544
.LBB46_560:
	v_cmp_ne_u16_e32 vcc, 0, v4
	s_andn2_b64 s[28:29], s[28:29], exec
	s_and_b64 s[36:37], vcc, exec
	s_or_b64 s[28:29], s[28:29], s[36:37]
	s_or_b64 exec, exec, s[0:1]
	v_mov_b32_e32 v3, 0
	s_and_saveexec_b64 s[0:1], s[28:29]
	s_cbranch_execnz .LBB46_545
	s_branch .LBB46_546
.LBB46_561:
	s_mov_b64 s[0:1], -1
                                        ; implicit-def: $vgpr3
	s_branch .LBB46_566
.LBB46_562:
	s_mov_b64 s[0:1], -1
                                        ; implicit-def: $vgpr3
.LBB46_563:
	s_and_b64 vcc, exec, s[0:1]
	s_cbranch_vccz .LBB46_565
; %bb.564:
	global_load_ubyte v3, v[1:2], off
	s_mov_b32 s0, 0x7f800000
	s_waitcnt vmcnt(0)
	v_lshlrev_b32_e32 v3, 24, v3
	v_and_b32_e32 v4, 0x7f000000, v3
	v_ffbh_u32_e32 v5, v4
	v_min_u32_e32 v5, 32, v5
	v_sub_u32_e64 v5, v5, 4 clamp
	v_lshlrev_b32_e32 v7, v5, v4
	v_lshlrev_b32_e32 v5, 23, v5
	v_lshrrev_b32_e32 v7, 4, v7
	v_add_u32_e32 v6, 0x1000000, v4
	v_sub_u32_e32 v5, v7, v5
	v_ashrrev_i32_e32 v6, 8, v6
	v_add_u32_e32 v5, 0x3c000000, v5
	v_and_or_b32 v5, v6, s0, v5
	v_cmp_ne_u32_e32 vcc, 0, v4
	v_cndmask_b32_e32 v4, 0, v5, vcc
	s_brev_b32 s0, 1
	v_and_or_b32 v3, v3, s0, v4
	v_cvt_i32_f32_e32 v3, v3
.LBB46_565:
	s_mov_b64 s[0:1], 0
.LBB46_566:
	s_andn2_b64 vcc, exec, s[0:1]
	s_cbranch_vccnz .LBB46_568
; %bb.567:
	global_load_ubyte v3, v[1:2], off
	s_movk_i32 s0, 0x7f00
	s_brev_b32 s1, 16
	s_waitcnt vmcnt(0)
	v_lshlrev_b16_e32 v4, 8, v3
	v_lshlrev_b32_e32 v3, 25, v3
	v_lshrrev_b32_e32 v5, 4, v3
	v_and_or_b32 v6, v4, s0, 0.5
	v_or_b32_e32 v5, 0x70000000, v5
	v_add_f32_e32 v6, -0.5, v6
	v_mul_f32_e32 v5, 0x7800000, v5
	v_cmp_gt_u32_e32 vcc, s1, v3
	v_bfe_i32 v4, v4, 0, 16
	v_cndmask_b32_e32 v3, v5, v6, vcc
	s_brev_b32 s0, 1
	v_and_or_b32 v3, v4, s0, v3
	v_cvt_i32_f32_e32 v3, v3
.LBB46_568:
	s_mov_b64 s[28:29], 0
	s_mov_b64 s[0:1], -1
.LBB46_569:
	s_andn2_b64 vcc, exec, s[28:29]
	s_cbranch_vccnz .LBB46_582
; %bb.570:
	s_cmp_gt_i32 s35, 14
	s_cbranch_scc0 .LBB46_573
; %bb.571:
	s_cmp_eq_u32 s35, 15
	s_cbranch_scc0 .LBB46_576
; %bb.572:
	global_load_ushort v3, v[1:2], off
	s_mov_b64 s[0:1], -1
	s_mov_b64 s[26:27], 0
	s_waitcnt vmcnt(0)
	v_lshlrev_b32_e32 v3, 16, v3
	v_cvt_i32_f32_e32 v3, v3
	s_branch .LBB46_577
.LBB46_573:
	s_mov_b64 s[28:29], -1
                                        ; implicit-def: $vgpr3
	s_branch .LBB46_578
.LBB46_574:
	s_andn2_saveexec_b64 s[0:1], s[0:1]
	s_cbranch_execz .LBB46_555
.LBB46_575:
	v_cmp_ne_u16_e32 vcc, 0, v4
	s_andn2_b64 s[28:29], s[28:29], exec
	s_and_b64 s[36:37], vcc, exec
	s_or_b64 s[28:29], s[28:29], s[36:37]
	s_or_b64 exec, exec, s[0:1]
	v_mov_b32_e32 v3, 0
	s_and_saveexec_b64 s[0:1], s[28:29]
	s_cbranch_execnz .LBB46_556
	s_branch .LBB46_557
.LBB46_576:
	s_mov_b64 s[26:27], -1
                                        ; implicit-def: $vgpr3
.LBB46_577:
	s_mov_b64 s[28:29], 0
.LBB46_578:
	s_and_b64 vcc, exec, s[28:29]
	s_cbranch_vccz .LBB46_582
; %bb.579:
	s_cmp_eq_u32 s35, 11
	s_cbranch_scc0 .LBB46_581
; %bb.580:
	global_load_ubyte v3, v[1:2], off
	s_mov_b64 s[0:1], -1
	s_mov_b64 s[26:27], 0
	s_waitcnt vmcnt(0)
	v_cmp_ne_u16_e32 vcc, 0, v3
	v_cndmask_b32_e64 v3, 0, 1, vcc
	s_branch .LBB46_582
.LBB46_581:
	s_mov_b64 s[26:27], -1
                                        ; implicit-def: $vgpr3
.LBB46_582:
	s_mov_b64 s[28:29], 0
.LBB46_583:
	s_and_b64 vcc, exec, s[28:29]
	s_cbranch_vccz .LBB46_632
; %bb.584:
	s_and_b32 s28, 0xffff, s34
	s_cmp_lt_i32 s28, 5
	s_cbranch_scc1 .LBB46_589
; %bb.585:
	s_cmp_lt_i32 s28, 8
	s_cbranch_scc1 .LBB46_590
; %bb.586:
	;; [unrolled: 3-line block ×3, first 2 shown]
	s_cmp_gt_i32 s28, 9
	s_cbranch_scc0 .LBB46_592
; %bb.588:
	global_load_dwordx2 v[3:4], v[1:2], off
	s_mov_b64 s[0:1], 0
	s_waitcnt vmcnt(0)
	v_cvt_i32_f64_e32 v3, v[3:4]
	s_branch .LBB46_593
.LBB46_589:
	s_mov_b64 s[0:1], -1
                                        ; implicit-def: $vgpr3
	s_branch .LBB46_611
.LBB46_590:
	s_mov_b64 s[0:1], -1
                                        ; implicit-def: $vgpr3
	s_branch .LBB46_599
.LBB46_591:
	s_mov_b64 s[0:1], -1
                                        ; implicit-def: $vgpr3
	s_branch .LBB46_596
.LBB46_592:
	s_mov_b64 s[0:1], -1
                                        ; implicit-def: $vgpr3
.LBB46_593:
	s_andn2_b64 vcc, exec, s[0:1]
	s_cbranch_vccnz .LBB46_595
; %bb.594:
	global_load_dword v3, v[1:2], off
	s_waitcnt vmcnt(0)
	v_cvt_i32_f32_e32 v3, v3
.LBB46_595:
	s_mov_b64 s[0:1], 0
.LBB46_596:
	s_andn2_b64 vcc, exec, s[0:1]
	s_cbranch_vccnz .LBB46_598
; %bb.597:
	global_load_dword v3, v[1:2], off
	s_waitcnt vmcnt(0)
	v_cvt_i16_f16_e32 v3, v3
.LBB46_598:
	s_mov_b64 s[0:1], 0
.LBB46_599:
	s_andn2_b64 vcc, exec, s[0:1]
	s_cbranch_vccnz .LBB46_610
; %bb.600:
	s_cmp_lt_i32 s28, 6
	s_cbranch_scc1 .LBB46_603
; %bb.601:
	s_cmp_gt_i32 s28, 6
	s_cbranch_scc0 .LBB46_604
; %bb.602:
	global_load_dwordx2 v[3:4], v[1:2], off
	s_mov_b64 s[0:1], 0
	s_waitcnt vmcnt(0)
	v_cvt_i32_f64_e32 v3, v[3:4]
	s_branch .LBB46_605
.LBB46_603:
	s_mov_b64 s[0:1], -1
                                        ; implicit-def: $vgpr3
	s_branch .LBB46_608
.LBB46_604:
	s_mov_b64 s[0:1], -1
                                        ; implicit-def: $vgpr3
.LBB46_605:
	s_andn2_b64 vcc, exec, s[0:1]
	s_cbranch_vccnz .LBB46_607
; %bb.606:
	global_load_dword v3, v[1:2], off
	s_waitcnt vmcnt(0)
	v_cvt_i32_f32_e32 v3, v3
.LBB46_607:
	s_mov_b64 s[0:1], 0
.LBB46_608:
	s_andn2_b64 vcc, exec, s[0:1]
	s_cbranch_vccnz .LBB46_610
; %bb.609:
	global_load_ushort v3, v[1:2], off
	s_waitcnt vmcnt(0)
	v_cvt_i16_f16_e32 v3, v3
.LBB46_610:
	s_mov_b64 s[0:1], 0
.LBB46_611:
	s_andn2_b64 vcc, exec, s[0:1]
	s_cbranch_vccnz .LBB46_631
; %bb.612:
	s_cmp_lt_i32 s28, 2
	s_cbranch_scc1 .LBB46_616
; %bb.613:
	s_cmp_lt_i32 s28, 3
	s_cbranch_scc1 .LBB46_617
; %bb.614:
	s_cmp_gt_i32 s28, 3
	s_cbranch_scc0 .LBB46_618
; %bb.615:
	global_load_dwordx2 v[3:4], v[1:2], off
	s_mov_b64 s[0:1], 0
	s_branch .LBB46_619
.LBB46_616:
	s_mov_b64 s[0:1], -1
                                        ; implicit-def: $vgpr3
	s_branch .LBB46_625
.LBB46_617:
	s_mov_b64 s[0:1], -1
                                        ; implicit-def: $vgpr3
	s_branch .LBB46_622
.LBB46_618:
	s_mov_b64 s[0:1], -1
                                        ; implicit-def: $vgpr3
.LBB46_619:
	s_andn2_b64 vcc, exec, s[0:1]
	s_cbranch_vccnz .LBB46_621
; %bb.620:
	global_load_dword v3, v[1:2], off
.LBB46_621:
	s_mov_b64 s[0:1], 0
.LBB46_622:
	s_andn2_b64 vcc, exec, s[0:1]
	s_cbranch_vccnz .LBB46_624
; %bb.623:
	global_load_ushort v3, v[1:2], off
.LBB46_624:
	s_mov_b64 s[0:1], 0
.LBB46_625:
	s_andn2_b64 vcc, exec, s[0:1]
	s_cbranch_vccnz .LBB46_631
; %bb.626:
	s_cmp_gt_i32 s28, 0
	s_cbranch_scc0 .LBB46_628
; %bb.627:
	global_load_ubyte v3, v[1:2], off
	s_mov_b64 s[0:1], 0
	s_branch .LBB46_629
.LBB46_628:
	s_mov_b64 s[0:1], -1
                                        ; implicit-def: $vgpr3
.LBB46_629:
	s_andn2_b64 vcc, exec, s[0:1]
	s_cbranch_vccnz .LBB46_631
; %bb.630:
	global_load_ubyte v3, v[1:2], off
.LBB46_631:
	s_mov_b64 s[0:1], -1
.LBB46_632:
	s_andn2_b64 vcc, exec, s[0:1]
	s_cbranch_vccnz .LBB46_640
; %bb.633:
	v_mul_lo_u32 v1, v14, s12
	v_mov_b32_e32 v2, 8
	s_waitcnt vmcnt(0)
	v_lshlrev_b32_e32 v0, v3, v0
	v_cmp_lt_u16_sdwa vcc, v3, v2 src0_sel:BYTE_0 src1_sel:DWORD
	v_cndmask_b32_e32 v2, 0, v0, vcc
	v_ashrrev_i32_e32 v3, 31, v1
	v_mov_b32_e32 v4, s9
	s_and_b32 s38, s33, 0xff
	v_add_co_u32_e32 v0, vcc, s8, v1
	s_cmp_lt_i32 s38, 11
	v_addc_co_u32_e32 v1, vcc, v4, v3, vcc
	s_cbranch_scc1 .LBB46_641
; %bb.634:
	s_and_b32 s39, 0xffff, s38
	s_cmp_gt_i32 s39, 25
	s_cbranch_scc0 .LBB46_642
; %bb.635:
	s_cmp_gt_i32 s39, 28
	s_cbranch_scc0 .LBB46_643
; %bb.636:
	;; [unrolled: 3-line block ×4, first 2 shown]
	s_mov_b64 s[34:35], 0
	s_mov_b64 s[0:1], -1
	s_cmp_eq_u32 s39, 46
	s_mov_b64 s[28:29], 0
	s_cbranch_scc0 .LBB46_646
; %bb.639:
	v_bfe_i32 v3, v2, 0, 8
	v_cvt_f32_i32_sdwa v3, sext(v3) dst_sel:DWORD dst_unused:UNUSED_PAD src0_sel:WORD_0
	s_movk_i32 s0, 0x7fff
	s_mov_b64 s[28:29], -1
	v_bfe_u32 v4, v3, 16, 1
	v_add3_u32 v3, v3, v4, s0
	v_lshrrev_b32_e32 v3, 16, v3
	global_store_dword v[0:1], v3, off
	s_mov_b64 s[0:1], 0
	s_branch .LBB46_646
.LBB46_640:
	s_mov_b64 s[34:35], 0
                                        ; implicit-def: $vgpr14
	s_mov_b64 s[0:1], s[6:7]
	s_branch .LBB46_756
.LBB46_641:
	s_mov_b64 s[34:35], -1
	s_mov_b64 s[28:29], 0
	s_mov_b64 s[0:1], s[6:7]
	s_branch .LBB46_715
.LBB46_642:
	s_mov_b64 s[34:35], -1
	s_mov_b64 s[28:29], 0
	s_mov_b64 s[0:1], s[6:7]
	s_branch .LBB46_673
.LBB46_643:
	s_mov_b64 s[34:35], -1
	s_mov_b64 s[28:29], 0
	s_mov_b64 s[0:1], s[6:7]
	s_branch .LBB46_656
.LBB46_644:
	s_mov_b64 s[34:35], -1
	s_mov_b64 s[28:29], 0
	s_mov_b64 s[0:1], s[6:7]
	s_branch .LBB46_652
.LBB46_645:
	s_mov_b64 s[34:35], -1
	s_mov_b64 s[28:29], 0
	s_mov_b64 s[0:1], s[6:7]
.LBB46_646:
	s_and_b64 vcc, exec, s[34:35]
	s_cbranch_vccz .LBB46_651
; %bb.647:
	s_cmp_eq_u32 s39, 44
	s_mov_b64 s[0:1], -1
	s_cbranch_scc0 .LBB46_651
; %bb.648:
	v_bfe_i32 v3, v2, 0, 8
	v_cvt_f32_i32_sdwa v3, sext(v3) dst_sel:DWORD dst_unused:UNUSED_PAD src0_sel:WORD_0
	s_movk_i32 s0, 0xff
	v_mov_b32_e32 v5, 0xff
	v_bfe_u32 v4, v3, 23, 8
	v_cmp_ne_u32_e32 vcc, s0, v4
	s_and_saveexec_b64 s[28:29], vcc
; %bb.649:
	s_mov_b32 s0, 0x3fffff
	v_lshrrev_b32_e32 v5, 23, v3
	v_and_b32_e32 v6, 0x400000, v3
	v_and_or_b32 v3, v3, s0, v4
	v_cmp_ne_u32_e32 vcc, 0, v6
	v_cmp_ne_u32_e64 s[0:1], 0, v3
	s_and_b64 s[0:1], vcc, s[0:1]
	v_cndmask_b32_e64 v3, 0, 1, s[0:1]
	v_add_u32_e32 v5, v5, v3
; %bb.650:
	s_or_b64 exec, exec, s[28:29]
	s_mov_b64 s[28:29], -1
	s_mov_b64 s[0:1], 0
	global_store_byte v[0:1], v5, off
.LBB46_651:
	s_mov_b64 s[34:35], 0
.LBB46_652:
	s_and_b64 vcc, exec, s[34:35]
	s_cbranch_vccz .LBB46_655
; %bb.653:
	s_cmp_eq_u32 s39, 29
	s_mov_b64 s[0:1], -1
	s_cbranch_scc0 .LBB46_655
; %bb.654:
	v_bfe_i32 v3, v2, 0, 8
	v_ashrrev_i32_e32 v4, 31, v3
	global_store_dwordx2 v[0:1], v[3:4], off
	s_mov_b64 s[28:29], -1
	s_mov_b64 s[0:1], 0
.LBB46_655:
	s_mov_b64 s[34:35], 0
.LBB46_656:
	s_and_b64 vcc, exec, s[34:35]
	s_cbranch_vccz .LBB46_672
; %bb.657:
	s_cmp_lt_i32 s39, 27
	s_mov_b64 s[28:29], -1
	s_cbranch_scc1 .LBB46_663
; %bb.658:
	s_cmp_gt_i32 s39, 27
	s_cbranch_scc0 .LBB46_660
; %bb.659:
	v_bfe_i32 v3, v2, 0, 8
	s_mov_b64 s[28:29], 0
	global_store_dword v[0:1], v3, off
.LBB46_660:
	s_andn2_b64 vcc, exec, s[28:29]
	s_cbranch_vccnz .LBB46_662
; %bb.661:
	v_bfe_i32 v3, v2, 0, 8
	global_store_short v[0:1], v3, off
.LBB46_662:
	s_mov_b64 s[28:29], 0
.LBB46_663:
	s_andn2_b64 vcc, exec, s[28:29]
	s_cbranch_vccnz .LBB46_671
; %bb.664:
	v_bfe_i32 v3, v2, 0, 8
	v_cvt_f32_i32_sdwa v3, sext(v3) dst_sel:DWORD dst_unused:UNUSED_PAD src0_sel:WORD_0
	s_mov_b32 s28, 0x43800000
	v_mov_b32_e32 v5, 0x80
	v_and_b32_e32 v4, 0x7fffffff, v3
	v_cmp_gt_u32_e32 vcc, s28, v4
	s_and_saveexec_b64 s[28:29], vcc
	s_cbranch_execz .LBB46_670
; %bb.665:
	s_mov_b32 s34, 0x3bffffff
	v_cmp_lt_u32_e32 vcc, s34, v4
	s_mov_b64 s[34:35], 0
                                        ; implicit-def: $vgpr4
	s_and_saveexec_b64 s[36:37], vcc
	s_xor_b64 s[36:37], exec, s[36:37]
	s_cbranch_execz .LBB46_772
; %bb.666:
	v_bfe_u32 v4, v3, 20, 1
	s_mov_b32 s40, 0x487ffff
	v_add3_u32 v4, v3, v4, s40
	s_mov_b64 s[34:35], exec
	v_lshrrev_b32_e32 v4, 20, v4
	s_andn2_saveexec_b64 s[36:37], s[36:37]
	s_cbranch_execnz .LBB46_773
.LBB46_667:
	s_or_b64 exec, exec, s[36:37]
	v_mov_b32_e32 v5, 0
	s_and_saveexec_b64 s[36:37], s[34:35]
.LBB46_668:
	v_lshrrev_b32_e32 v3, 24, v3
	s_movk_i32 s34, 0x80
	v_and_or_b32 v5, v3, s34, v4
.LBB46_669:
	s_or_b64 exec, exec, s[36:37]
.LBB46_670:
	s_or_b64 exec, exec, s[28:29]
	global_store_byte v[0:1], v5, off
.LBB46_671:
	s_mov_b64 s[28:29], -1
.LBB46_672:
	s_mov_b64 s[34:35], 0
.LBB46_673:
	s_and_b64 vcc, exec, s[34:35]
	s_cbranch_vccz .LBB46_714
; %bb.674:
	s_cmp_gt_i32 s39, 22
	s_mov_b64 s[34:35], -1
	s_cbranch_scc0 .LBB46_706
; %bb.675:
	s_cmp_lt_i32 s39, 24
	s_mov_b64 s[28:29], -1
	s_cbranch_scc1 .LBB46_695
; %bb.676:
	s_cmp_gt_i32 s39, 24
	s_cbranch_scc0 .LBB46_684
; %bb.677:
	v_bfe_i32 v3, v2, 0, 8
	v_cvt_f32_i32_sdwa v3, sext(v3) dst_sel:DWORD dst_unused:UNUSED_PAD src0_sel:WORD_0
	s_mov_b32 s28, 0x47800000
	v_mov_b32_e32 v5, 0x80
	v_and_b32_e32 v4, 0x7fffffff, v3
	v_cmp_gt_u32_e32 vcc, s28, v4
	s_and_saveexec_b64 s[28:29], vcc
	s_cbranch_execz .LBB46_683
; %bb.678:
	s_mov_b32 s34, 0x37ffffff
	v_cmp_lt_u32_e32 vcc, s34, v4
	s_mov_b64 s[34:35], 0
                                        ; implicit-def: $vgpr4
	s_and_saveexec_b64 s[36:37], vcc
	s_xor_b64 s[36:37], exec, s[36:37]
	s_cbranch_execz .LBB46_900
; %bb.679:
	v_bfe_u32 v4, v3, 21, 1
	s_mov_b32 s40, 0x88fffff
	v_add3_u32 v4, v3, v4, s40
	s_mov_b64 s[34:35], exec
	v_lshrrev_b32_e32 v4, 21, v4
	s_andn2_saveexec_b64 s[36:37], s[36:37]
	s_cbranch_execnz .LBB46_901
.LBB46_680:
	s_or_b64 exec, exec, s[36:37]
	v_mov_b32_e32 v5, 0
	s_and_saveexec_b64 s[36:37], s[34:35]
.LBB46_681:
	v_lshrrev_b32_e32 v3, 24, v3
	s_movk_i32 s34, 0x80
	v_and_or_b32 v5, v3, s34, v4
.LBB46_682:
	s_or_b64 exec, exec, s[36:37]
.LBB46_683:
	s_or_b64 exec, exec, s[28:29]
	s_mov_b64 s[28:29], 0
	global_store_byte v[0:1], v5, off
.LBB46_684:
	s_and_b64 vcc, exec, s[28:29]
	s_cbranch_vccz .LBB46_694
; %bb.685:
	v_bfe_i32 v3, v2, 0, 8
	v_cvt_f32_i32_sdwa v3, sext(v3) dst_sel:DWORD dst_unused:UNUSED_PAD src0_sel:WORD_0
	s_mov_b32 s28, 0x43f00000
                                        ; implicit-def: $vgpr4
	v_and_b32_e32 v5, 0x7fffffff, v3
	v_cmp_gt_u32_e32 vcc, s28, v5
	s_and_saveexec_b64 s[28:29], vcc
	s_xor_b64 s[28:29], exec, s[28:29]
	s_cbranch_execz .LBB46_691
; %bb.686:
	s_mov_b32 s34, 0x3c7fffff
	v_cmp_lt_u32_e32 vcc, s34, v5
                                        ; implicit-def: $vgpr4
	s_and_saveexec_b64 s[34:35], vcc
	s_xor_b64 s[34:35], exec, s[34:35]
; %bb.687:
	v_bfe_u32 v4, v3, 20, 1
	s_mov_b32 s36, 0x407ffff
	v_add3_u32 v4, v3, v4, s36
	v_lshrrev_b32_e32 v5, 20, v4
	v_and_b32_e32 v4, 0xff00000, v4
	s_mov_b32 s36, 0x7f00000
	v_mov_b32_e32 v6, 0x7e
	v_cmp_ne_u32_e32 vcc, s36, v4
	v_cndmask_b32_e32 v4, v6, v5, vcc
; %bb.688:
	s_andn2_saveexec_b64 s[34:35], s[34:35]
; %bb.689:
	s_mov_b32 s36, 0x46800000
	v_add_f32_e64 v4, |v3|, s36
; %bb.690:
	s_or_b64 exec, exec, s[34:35]
                                        ; implicit-def: $vgpr5
.LBB46_691:
	s_andn2_saveexec_b64 s[28:29], s[28:29]
; %bb.692:
	s_mov_b32 s34, 0x7f800000
	v_mov_b32_e32 v4, 0x7e
	v_mov_b32_e32 v6, 0x7f
	v_cmp_lt_u32_e32 vcc, s34, v5
	v_cndmask_b32_e32 v4, v4, v6, vcc
; %bb.693:
	s_or_b64 exec, exec, s[28:29]
	v_lshrrev_b32_e32 v3, 24, v3
	s_movk_i32 s28, 0x80
	v_and_or_b32 v3, v3, s28, v4
	global_store_byte v[0:1], v3, off
.LBB46_694:
	s_mov_b64 s[28:29], 0
.LBB46_695:
	s_andn2_b64 vcc, exec, s[28:29]
	s_cbranch_vccnz .LBB46_705
; %bb.696:
	v_bfe_i32 v3, v2, 0, 8
	v_cvt_f32_i32_sdwa v3, sext(v3) dst_sel:DWORD dst_unused:UNUSED_PAD src0_sel:WORD_0
	s_mov_b32 s28, 0x47800000
                                        ; implicit-def: $vgpr4
	v_and_b32_e32 v5, 0x7fffffff, v3
	v_cmp_gt_u32_e32 vcc, s28, v5
	s_and_saveexec_b64 s[28:29], vcc
	s_xor_b64 s[28:29], exec, s[28:29]
	s_cbranch_execz .LBB46_702
; %bb.697:
	s_mov_b32 s34, 0x387fffff
	v_cmp_lt_u32_e32 vcc, s34, v5
                                        ; implicit-def: $vgpr4
	s_and_saveexec_b64 s[34:35], vcc
	s_xor_b64 s[34:35], exec, s[34:35]
; %bb.698:
	v_bfe_u32 v4, v3, 21, 1
	s_mov_b32 s36, 0x80fffff
	v_add3_u32 v4, v3, v4, s36
	v_lshrrev_b32_e32 v4, 21, v4
; %bb.699:
	s_andn2_saveexec_b64 s[34:35], s[34:35]
; %bb.700:
	s_mov_b32 s36, 0x43000000
	v_add_f32_e64 v4, |v3|, s36
; %bb.701:
	s_or_b64 exec, exec, s[34:35]
                                        ; implicit-def: $vgpr5
.LBB46_702:
	s_andn2_saveexec_b64 s[28:29], s[28:29]
; %bb.703:
	s_mov_b32 s34, 0x7f800000
	v_mov_b32_e32 v4, 0x7c
	v_mov_b32_e32 v6, 0x7f
	v_cmp_lt_u32_e32 vcc, s34, v5
	v_cndmask_b32_e32 v4, v4, v6, vcc
; %bb.704:
	s_or_b64 exec, exec, s[28:29]
	v_lshrrev_b32_e32 v3, 24, v3
	s_movk_i32 s28, 0x80
	v_and_or_b32 v3, v3, s28, v4
	global_store_byte v[0:1], v3, off
.LBB46_705:
	s_mov_b64 s[34:35], 0
	s_mov_b64 s[28:29], -1
.LBB46_706:
	s_andn2_b64 vcc, exec, s[34:35]
	s_cbranch_vccnz .LBB46_714
; %bb.707:
	s_cmp_gt_i32 s39, 14
	s_mov_b64 s[34:35], -1
	s_cbranch_scc0 .LBB46_711
; %bb.708:
	s_cmp_eq_u32 s39, 15
	s_mov_b64 s[0:1], -1
	s_cbranch_scc0 .LBB46_710
; %bb.709:
	v_bfe_i32 v3, v2, 0, 8
	v_cvt_f32_i32_sdwa v3, sext(v3) dst_sel:DWORD dst_unused:UNUSED_PAD src0_sel:WORD_0
	s_movk_i32 s0, 0x7fff
	s_mov_b64 s[28:29], -1
	v_bfe_u32 v4, v3, 16, 1
	v_add3_u32 v3, v3, v4, s0
	global_store_short_d16_hi v[0:1], v3, off
	s_mov_b64 s[0:1], 0
.LBB46_710:
	s_mov_b64 s[34:35], 0
.LBB46_711:
	s_and_b64 vcc, exec, s[34:35]
	s_cbranch_vccz .LBB46_714
; %bb.712:
	s_cmp_eq_u32 s39, 11
	s_mov_b64 s[0:1], -1
	s_cbranch_scc0 .LBB46_714
; %bb.713:
	v_mov_b32_e32 v3, 0
	v_cmp_ne_u16_sdwa s[0:1], v2, v3 src0_sel:BYTE_0 src1_sel:DWORD
	v_cndmask_b32_e64 v3, 0, 1, s[0:1]
	s_mov_b64 s[28:29], -1
	s_mov_b64 s[0:1], 0
	global_store_byte v[0:1], v3, off
.LBB46_714:
	s_mov_b64 s[34:35], 0
.LBB46_715:
	s_and_b64 vcc, exec, s[34:35]
	s_cbranch_vccz .LBB46_754
; %bb.716:
	s_and_b32 s34, 0xffff, s38
	s_cmp_lt_i32 s34, 5
	s_mov_b64 s[28:29], -1
	s_cbranch_scc1 .LBB46_737
; %bb.717:
	s_cmp_lt_i32 s34, 8
	s_cbranch_scc1 .LBB46_727
; %bb.718:
	s_cmp_lt_i32 s34, 9
	s_cbranch_scc1 .LBB46_724
; %bb.719:
	s_cmp_gt_i32 s34, 9
	s_cbranch_scc0 .LBB46_721
; %bb.720:
	v_bfe_i32 v3, v2, 0, 8
	v_bfe_i32 v3, v3, 0, 16
	v_cvt_f64_i32_e32 v[3:4], v3
	v_mov_b32_e32 v5, 0
	v_mov_b32_e32 v6, v5
	s_mov_b64 s[28:29], 0
	global_store_dwordx4 v[0:1], v[3:6], off
.LBB46_721:
	s_andn2_b64 vcc, exec, s[28:29]
	s_cbranch_vccnz .LBB46_723
; %bb.722:
	v_bfe_i32 v3, v2, 0, 8
	v_cvt_f32_i32_sdwa v3, sext(v3) dst_sel:DWORD dst_unused:UNUSED_PAD src0_sel:WORD_0
	v_mov_b32_e32 v4, 0
	global_store_dwordx2 v[0:1], v[3:4], off
.LBB46_723:
	s_mov_b64 s[28:29], 0
.LBB46_724:
	s_andn2_b64 vcc, exec, s[28:29]
	s_cbranch_vccnz .LBB46_726
; %bb.725:
	v_cvt_f16_i16_sdwa v3, sext(v2) dst_sel:DWORD dst_unused:UNUSED_PAD src0_sel:BYTE_0
	global_store_dword v[0:1], v3, off
.LBB46_726:
	s_mov_b64 s[28:29], 0
.LBB46_727:
	s_andn2_b64 vcc, exec, s[28:29]
	s_cbranch_vccnz .LBB46_736
; %bb.728:
	s_cmp_lt_i32 s34, 6
	s_mov_b64 s[28:29], -1
	s_cbranch_scc1 .LBB46_734
; %bb.729:
	s_cmp_gt_i32 s34, 6
	s_cbranch_scc0 .LBB46_731
; %bb.730:
	v_bfe_i32 v3, v2, 0, 8
	v_bfe_i32 v3, v3, 0, 16
	v_cvt_f64_i32_e32 v[3:4], v3
	s_mov_b64 s[28:29], 0
	global_store_dwordx2 v[0:1], v[3:4], off
.LBB46_731:
	s_andn2_b64 vcc, exec, s[28:29]
	s_cbranch_vccnz .LBB46_733
; %bb.732:
	v_bfe_i32 v3, v2, 0, 8
	v_cvt_f32_i32_sdwa v3, sext(v3) dst_sel:DWORD dst_unused:UNUSED_PAD src0_sel:WORD_0
	global_store_dword v[0:1], v3, off
.LBB46_733:
	s_mov_b64 s[28:29], 0
.LBB46_734:
	s_andn2_b64 vcc, exec, s[28:29]
	s_cbranch_vccnz .LBB46_736
; %bb.735:
	v_cvt_f16_i16_sdwa v3, sext(v2) dst_sel:DWORD dst_unused:UNUSED_PAD src0_sel:BYTE_0
	global_store_short v[0:1], v3, off
.LBB46_736:
	s_mov_b64 s[28:29], 0
.LBB46_737:
	s_andn2_b64 vcc, exec, s[28:29]
	s_cbranch_vccnz .LBB46_753
; %bb.738:
	s_cmp_lt_i32 s34, 2
	s_mov_b64 s[28:29], -1
	s_cbranch_scc1 .LBB46_748
; %bb.739:
	s_cmp_lt_i32 s34, 3
	s_cbranch_scc1 .LBB46_745
; %bb.740:
	s_cmp_gt_i32 s34, 3
	s_cbranch_scc0 .LBB46_742
; %bb.741:
	v_bfe_i32 v3, v2, 0, 8
	v_ashrrev_i32_e32 v4, 31, v3
	s_mov_b64 s[28:29], 0
	global_store_dwordx2 v[0:1], v[3:4], off
.LBB46_742:
	s_andn2_b64 vcc, exec, s[28:29]
	s_cbranch_vccnz .LBB46_744
; %bb.743:
	v_bfe_i32 v3, v2, 0, 8
	global_store_dword v[0:1], v3, off
.LBB46_744:
	s_mov_b64 s[28:29], 0
.LBB46_745:
	s_andn2_b64 vcc, exec, s[28:29]
	s_cbranch_vccnz .LBB46_747
; %bb.746:
	v_bfe_i32 v3, v2, 0, 8
	global_store_short v[0:1], v3, off
.LBB46_747:
	s_mov_b64 s[28:29], 0
.LBB46_748:
	s_andn2_b64 vcc, exec, s[28:29]
	s_cbranch_vccnz .LBB46_753
; %bb.749:
	s_cmp_gt_i32 s34, 0
	s_mov_b64 s[28:29], -1
	s_cbranch_scc0 .LBB46_751
; %bb.750:
	s_mov_b64 s[28:29], 0
	global_store_byte v[0:1], v2, off
.LBB46_751:
	s_andn2_b64 vcc, exec, s[28:29]
	s_cbranch_vccnz .LBB46_753
; %bb.752:
	global_store_byte v[0:1], v2, off
.LBB46_753:
	s_mov_b64 s[28:29], -1
.LBB46_754:
	s_andn2_b64 vcc, exec, s[28:29]
	s_cbranch_vccnz .LBB46_767
; %bb.755:
	v_add_u32_e32 v14, 0x80, v14
	s_mov_b64 s[34:35], -1
.LBB46_756:
	s_andn2_b64 s[28:29], s[6:7], exec
	s_and_b64 s[0:1], s[0:1], exec
	s_or_b64 s[28:29], s[28:29], s[0:1]
	s_andn2_b64 s[0:1], s[18:19], exec
	s_and_b64 s[26:27], s[26:27], exec
	s_or_b64 s[26:27], s[0:1], s[26:27]
	;; [unrolled: 3-line block ×3, first 2 shown]
	s_orn2_b64 s[0:1], s[34:35], exec
.LBB46_757:
	s_or_b64 exec, exec, s[30:31]
	s_mov_b64 s[34:35], 0
	s_mov_b64 s[36:37], 0
	;; [unrolled: 1-line block ×3, first 2 shown]
                                        ; implicit-def: $sgpr55
                                        ; implicit-def: $vgpr2_vgpr3
                                        ; implicit-def: $vgpr0
	s_and_saveexec_b64 s[30:31], s[0:1]
	s_cbranch_execz .LBB46_1219
; %bb.758:
	v_cmp_gt_i32_e32 vcc, s48, v14
	s_mov_b64 s[46:47], -1
	s_mov_b64 s[0:1], s[24:25]
	s_mov_b64 s[38:39], s[26:27]
	;; [unrolled: 1-line block ×3, first 2 shown]
	s_and_saveexec_b64 s[34:35], vcc
	s_cbranch_execz .LBB46_1138
; %bb.759:
	s_waitcnt vmcnt(0)
	v_mul_lo_u32 v0, v14, s13
	v_mov_b32_e32 v1, s11
	s_and_b32 s40, s54, 0xff
	s_cmp_lt_i32 s40, 11
	v_ashrrev_i32_e32 v3, 31, v0
	v_add_co_u32_e32 v2, vcc, s10, v0
	v_addc_co_u32_e32 v3, vcc, v1, v3, vcc
	s_cbranch_scc1 .LBB46_766
; %bb.760:
	s_and_b32 s41, 0xffff, s40
	s_cmp_gt_i32 s41, 25
	s_cbranch_scc0 .LBB46_768
; %bb.761:
	s_cmp_gt_i32 s41, 28
	s_cbranch_scc0 .LBB46_769
; %bb.762:
	;; [unrolled: 3-line block ×4, first 2 shown]
	s_cmp_eq_u32 s41, 46
	s_mov_b64 s[38:39], 0
	s_cbranch_scc0 .LBB46_774
; %bb.765:
	global_load_dword v0, v[2:3], off
	s_mov_b64 s[0:1], -1
	s_waitcnt vmcnt(0)
	v_lshlrev_b32_e32 v0, 16, v0
	v_cvt_i32_f32_e32 v0, v0
	s_branch .LBB46_775
.LBB46_766:
	s_mov_b64 s[38:39], -1
	s_mov_b64 s[0:1], 0
                                        ; implicit-def: $vgpr0
	s_mov_b64 s[36:37], s[24:25]
	s_branch .LBB46_836
.LBB46_767:
	s_mov_b64 s[34:35], 0
	s_branch .LBB46_518
.LBB46_768:
	s_mov_b64 s[38:39], -1
	s_mov_b64 s[0:1], 0
	s_mov_b64 s[36:37], s[24:25]
                                        ; implicit-def: $vgpr0
	s_branch .LBB46_802
.LBB46_769:
	s_mov_b64 s[38:39], -1
	s_mov_b64 s[0:1], 0
	s_mov_b64 s[36:37], s[24:25]
                                        ; implicit-def: $vgpr0
	s_branch .LBB46_785
.LBB46_770:
	s_mov_b64 s[38:39], -1
	s_mov_b64 s[0:1], 0
	s_mov_b64 s[36:37], s[24:25]
                                        ; implicit-def: $vgpr0
	s_branch .LBB46_780
.LBB46_771:
	s_mov_b64 s[38:39], -1
	s_mov_b64 s[0:1], 0
	s_mov_b64 s[36:37], s[24:25]
                                        ; implicit-def: $vgpr0
	s_branch .LBB46_775
.LBB46_772:
	s_andn2_saveexec_b64 s[36:37], s[36:37]
	s_cbranch_execz .LBB46_667
.LBB46_773:
	s_mov_b32 s40, 0x46000000
	v_add_f32_e64 v4, |v3|, s40
	v_and_b32_e32 v4, 0xff, v4
	v_cmp_ne_u32_e32 vcc, 0, v4
	s_andn2_b64 s[34:35], s[34:35], exec
	s_and_b64 s[40:41], vcc, exec
	s_or_b64 s[34:35], s[34:35], s[40:41]
	s_or_b64 exec, exec, s[36:37]
	v_mov_b32_e32 v5, 0
	s_and_saveexec_b64 s[36:37], s[34:35]
	s_cbranch_execnz .LBB46_668
	s_branch .LBB46_669
.LBB46_774:
	s_mov_b64 s[36:37], -1
                                        ; implicit-def: $vgpr0
	s_mov_b64 s[0:1], 0
.LBB46_775:
	s_and_b64 vcc, exec, s[38:39]
	s_cbranch_vccz .LBB46_779
; %bb.776:
	s_cmp_eq_u32 s41, 44
	s_cbranch_scc0 .LBB46_778
; %bb.777:
	global_load_ubyte v0, v[2:3], off
	s_mov_b64 s[0:1], -1
	s_mov_b64 s[36:37], 0
	s_waitcnt vmcnt(0)
	v_lshlrev_b32_e32 v1, 23, v0
	v_cvt_i32_f32_e32 v1, v1
	v_cmp_ne_u32_e32 vcc, 0, v0
	v_cndmask_b32_e32 v0, 0, v1, vcc
	s_branch .LBB46_779
.LBB46_778:
	s_mov_b64 s[36:37], -1
                                        ; implicit-def: $vgpr0
.LBB46_779:
	s_mov_b64 s[38:39], 0
.LBB46_780:
	s_and_b64 vcc, exec, s[38:39]
	s_cbranch_vccz .LBB46_784
; %bb.781:
	s_cmp_eq_u32 s41, 29
	s_cbranch_scc0 .LBB46_783
; %bb.782:
	global_load_dwordx2 v[0:1], v[2:3], off
	s_mov_b64 s[0:1], -1
	s_mov_b64 s[36:37], 0
	s_branch .LBB46_784
.LBB46_783:
	s_mov_b64 s[36:37], -1
                                        ; implicit-def: $vgpr0
.LBB46_784:
	s_mov_b64 s[38:39], 0
.LBB46_785:
	s_and_b64 vcc, exec, s[38:39]
	s_cbranch_vccz .LBB46_801
; %bb.786:
	s_cmp_lt_i32 s41, 27
	s_cbranch_scc1 .LBB46_789
; %bb.787:
	s_cmp_gt_i32 s41, 27
	s_cbranch_scc0 .LBB46_790
; %bb.788:
	global_load_dword v0, v[2:3], off
	s_mov_b64 s[0:1], 0
	s_branch .LBB46_791
.LBB46_789:
	s_mov_b64 s[0:1], -1
                                        ; implicit-def: $vgpr0
	s_branch .LBB46_794
.LBB46_790:
	s_mov_b64 s[0:1], -1
                                        ; implicit-def: $vgpr0
.LBB46_791:
	s_andn2_b64 vcc, exec, s[0:1]
	s_cbranch_vccnz .LBB46_793
; %bb.792:
	global_load_ushort v0, v[2:3], off
.LBB46_793:
	s_mov_b64 s[0:1], 0
.LBB46_794:
	s_andn2_b64 vcc, exec, s[0:1]
	s_cbranch_vccnz .LBB46_800
; %bb.795:
	global_load_ubyte v1, v[2:3], off
	s_movk_i32 s0, 0x7f
	s_mov_b64 s[38:39], 0
	s_waitcnt vmcnt(0)
	v_cmp_lt_i16_e32 vcc, s0, v1
	s_and_saveexec_b64 s[0:1], vcc
	s_xor_b64 s[0:1], exec, s[0:1]
	s_cbranch_execz .LBB46_812
; %bb.796:
	s_movk_i32 s38, 0x80
	v_cmp_ne_u16_e32 vcc, s38, v1
	s_and_b64 s[38:39], vcc, exec
	s_andn2_saveexec_b64 s[0:1], s[0:1]
	s_cbranch_execnz .LBB46_813
.LBB46_797:
	s_or_b64 exec, exec, s[0:1]
	v_mov_b32_e32 v0, 0
	s_and_saveexec_b64 s[0:1], s[38:39]
	s_cbranch_execz .LBB46_799
.LBB46_798:
	v_lshlrev_b32_e32 v0, 24, v1
	v_and_b32_e32 v1, 0xffff, v1
	v_and_b32_e32 v4, 7, v1
	v_ffbh_u32_e32 v6, v4
	v_min_u32_e32 v6, 32, v6
	v_subrev_u32_e32 v7, 28, v6
	v_bfe_u32 v5, v1, 3, 4
	v_lshlrev_b32_e32 v1, v7, v1
	v_sub_u32_e32 v6, 29, v6
	v_and_b32_e32 v1, 7, v1
	v_cmp_eq_u32_e32 vcc, 0, v5
	v_cndmask_b32_e32 v5, v5, v6, vcc
	v_cndmask_b32_e32 v1, v4, v1, vcc
	v_mov_b32_e32 v4, 0x3b800000
	v_lshlrev_b32_e32 v1, 20, v1
	v_and_b32_e32 v0, 0x80000000, v0
	v_lshl_add_u32 v4, v5, 23, v4
	v_or3_b32 v0, v0, v4, v1
	v_cvt_i32_f32_e32 v0, v0
.LBB46_799:
	s_or_b64 exec, exec, s[0:1]
.LBB46_800:
	s_mov_b64 s[0:1], -1
.LBB46_801:
	s_mov_b64 s[38:39], 0
.LBB46_802:
	s_and_b64 vcc, exec, s[38:39]
	s_cbranch_vccz .LBB46_835
; %bb.803:
	s_cmp_gt_i32 s41, 22
	s_cbranch_scc0 .LBB46_811
; %bb.804:
	s_cmp_lt_i32 s41, 24
	s_cbranch_scc1 .LBB46_814
; %bb.805:
	s_cmp_gt_i32 s41, 24
	s_cbranch_scc0 .LBB46_815
; %bb.806:
	global_load_ubyte v1, v[2:3], off
	s_movk_i32 s0, 0x7f
	s_mov_b64 s[38:39], 0
	s_waitcnt vmcnt(0)
	v_cmp_lt_i16_e32 vcc, s0, v1
	s_and_saveexec_b64 s[0:1], vcc
	s_xor_b64 s[0:1], exec, s[0:1]
	s_cbranch_execz .LBB46_827
; %bb.807:
	s_movk_i32 s38, 0x80
	v_cmp_ne_u16_e32 vcc, s38, v1
	s_and_b64 s[38:39], vcc, exec
	s_andn2_saveexec_b64 s[0:1], s[0:1]
	s_cbranch_execnz .LBB46_828
.LBB46_808:
	s_or_b64 exec, exec, s[0:1]
	v_mov_b32_e32 v0, 0
	s_and_saveexec_b64 s[0:1], s[38:39]
	s_cbranch_execz .LBB46_810
.LBB46_809:
	v_lshlrev_b32_e32 v0, 24, v1
	v_and_b32_e32 v1, 0xffff, v1
	v_and_b32_e32 v4, 3, v1
	v_ffbh_u32_e32 v6, v4
	v_min_u32_e32 v6, 32, v6
	v_subrev_u32_e32 v7, 29, v6
	v_bfe_u32 v5, v1, 2, 5
	v_lshlrev_b32_e32 v1, v7, v1
	v_sub_u32_e32 v6, 30, v6
	v_and_b32_e32 v1, 3, v1
	v_cmp_eq_u32_e32 vcc, 0, v5
	v_cndmask_b32_e32 v5, v5, v6, vcc
	v_cndmask_b32_e32 v1, v4, v1, vcc
	v_mov_b32_e32 v4, 0x37800000
	v_lshlrev_b32_e32 v1, 21, v1
	v_and_b32_e32 v0, 0x80000000, v0
	v_lshl_add_u32 v4, v5, 23, v4
	v_or3_b32 v0, v0, v4, v1
	v_cvt_i32_f32_e32 v0, v0
.LBB46_810:
	s_or_b64 exec, exec, s[0:1]
	s_mov_b64 s[0:1], 0
	s_branch .LBB46_816
.LBB46_811:
	s_mov_b64 s[38:39], -1
                                        ; implicit-def: $vgpr0
	s_branch .LBB46_822
.LBB46_812:
	s_andn2_saveexec_b64 s[0:1], s[0:1]
	s_cbranch_execz .LBB46_797
.LBB46_813:
	v_cmp_ne_u16_e32 vcc, 0, v1
	s_andn2_b64 s[38:39], s[38:39], exec
	s_and_b64 s[42:43], vcc, exec
	s_or_b64 s[38:39], s[38:39], s[42:43]
	s_or_b64 exec, exec, s[0:1]
	v_mov_b32_e32 v0, 0
	s_and_saveexec_b64 s[0:1], s[38:39]
	s_cbranch_execnz .LBB46_798
	s_branch .LBB46_799
.LBB46_814:
	s_mov_b64 s[0:1], -1
                                        ; implicit-def: $vgpr0
	s_branch .LBB46_819
.LBB46_815:
	s_mov_b64 s[0:1], -1
                                        ; implicit-def: $vgpr0
.LBB46_816:
	s_and_b64 vcc, exec, s[0:1]
	s_cbranch_vccz .LBB46_818
; %bb.817:
	global_load_ubyte v0, v[2:3], off
	s_mov_b32 s0, 0x7f800000
	s_waitcnt vmcnt(0)
	v_lshlrev_b32_e32 v0, 24, v0
	v_and_b32_e32 v1, 0x7f000000, v0
	v_ffbh_u32_e32 v4, v1
	v_min_u32_e32 v4, 32, v4
	v_sub_u32_e64 v4, v4, 4 clamp
	v_lshlrev_b32_e32 v6, v4, v1
	v_lshlrev_b32_e32 v4, 23, v4
	v_lshrrev_b32_e32 v6, 4, v6
	v_add_u32_e32 v5, 0x1000000, v1
	v_sub_u32_e32 v4, v6, v4
	v_ashrrev_i32_e32 v5, 8, v5
	v_add_u32_e32 v4, 0x3c000000, v4
	v_and_or_b32 v4, v5, s0, v4
	v_cmp_ne_u32_e32 vcc, 0, v1
	v_cndmask_b32_e32 v1, 0, v4, vcc
	s_brev_b32 s0, 1
	v_and_or_b32 v0, v0, s0, v1
	v_cvt_i32_f32_e32 v0, v0
.LBB46_818:
	s_mov_b64 s[0:1], 0
.LBB46_819:
	s_andn2_b64 vcc, exec, s[0:1]
	s_cbranch_vccnz .LBB46_821
; %bb.820:
	global_load_ubyte v0, v[2:3], off
	s_movk_i32 s0, 0x7f00
	s_brev_b32 s1, 16
	s_waitcnt vmcnt(0)
	v_lshlrev_b16_e32 v1, 8, v0
	v_lshlrev_b32_e32 v0, 25, v0
	v_lshrrev_b32_e32 v4, 4, v0
	v_and_or_b32 v5, v1, s0, 0.5
	v_or_b32_e32 v4, 0x70000000, v4
	v_add_f32_e32 v5, -0.5, v5
	v_mul_f32_e32 v4, 0x7800000, v4
	v_cmp_gt_u32_e32 vcc, s1, v0
	v_bfe_i32 v1, v1, 0, 16
	v_cndmask_b32_e32 v0, v4, v5, vcc
	s_brev_b32 s0, 1
	v_and_or_b32 v0, v1, s0, v0
	v_cvt_i32_f32_e32 v0, v0
.LBB46_821:
	s_mov_b64 s[38:39], 0
	s_mov_b64 s[0:1], -1
.LBB46_822:
	s_andn2_b64 vcc, exec, s[38:39]
	s_cbranch_vccnz .LBB46_835
; %bb.823:
	s_cmp_gt_i32 s41, 14
	s_cbranch_scc0 .LBB46_826
; %bb.824:
	s_cmp_eq_u32 s41, 15
	s_cbranch_scc0 .LBB46_829
; %bb.825:
	global_load_ushort v0, v[2:3], off
	s_mov_b64 s[0:1], -1
	s_mov_b64 s[36:37], 0
	s_waitcnt vmcnt(0)
	v_lshlrev_b32_e32 v0, 16, v0
	v_cvt_i32_f32_e32 v0, v0
	s_branch .LBB46_830
.LBB46_826:
	s_mov_b64 s[38:39], -1
                                        ; implicit-def: $vgpr0
	s_branch .LBB46_831
.LBB46_827:
	s_andn2_saveexec_b64 s[0:1], s[0:1]
	s_cbranch_execz .LBB46_808
.LBB46_828:
	v_cmp_ne_u16_e32 vcc, 0, v1
	s_andn2_b64 s[38:39], s[38:39], exec
	s_and_b64 s[42:43], vcc, exec
	s_or_b64 s[38:39], s[38:39], s[42:43]
	s_or_b64 exec, exec, s[0:1]
	v_mov_b32_e32 v0, 0
	s_and_saveexec_b64 s[0:1], s[38:39]
	s_cbranch_execnz .LBB46_809
	s_branch .LBB46_810
.LBB46_829:
	s_mov_b64 s[36:37], -1
                                        ; implicit-def: $vgpr0
.LBB46_830:
	s_mov_b64 s[38:39], 0
.LBB46_831:
	s_and_b64 vcc, exec, s[38:39]
	s_cbranch_vccz .LBB46_835
; %bb.832:
	s_cmp_eq_u32 s41, 11
	s_cbranch_scc0 .LBB46_834
; %bb.833:
	global_load_ubyte v0, v[2:3], off
	s_mov_b64 s[0:1], -1
	s_mov_b64 s[36:37], 0
	s_waitcnt vmcnt(0)
	v_cmp_ne_u16_e32 vcc, 0, v0
	v_cndmask_b32_e64 v0, 0, 1, vcc
	s_branch .LBB46_835
.LBB46_834:
	s_mov_b64 s[36:37], -1
                                        ; implicit-def: $vgpr0
.LBB46_835:
	s_mov_b64 s[38:39], 0
.LBB46_836:
	s_and_b64 vcc, exec, s[38:39]
	s_cbranch_vccz .LBB46_885
; %bb.837:
	s_and_b32 s38, 0xffff, s40
	s_cmp_lt_i32 s38, 5
	s_cbranch_scc1 .LBB46_842
; %bb.838:
	s_cmp_lt_i32 s38, 8
	s_cbranch_scc1 .LBB46_843
; %bb.839:
	;; [unrolled: 3-line block ×3, first 2 shown]
	s_cmp_gt_i32 s38, 9
	s_cbranch_scc0 .LBB46_845
; %bb.841:
	global_load_dwordx2 v[0:1], v[2:3], off
	s_mov_b64 s[0:1], 0
	s_waitcnt vmcnt(0)
	v_cvt_i32_f64_e32 v0, v[0:1]
	s_branch .LBB46_846
.LBB46_842:
	s_mov_b64 s[0:1], -1
                                        ; implicit-def: $vgpr0
	s_branch .LBB46_864
.LBB46_843:
	s_mov_b64 s[0:1], -1
                                        ; implicit-def: $vgpr0
	s_branch .LBB46_852
.LBB46_844:
	s_mov_b64 s[0:1], -1
                                        ; implicit-def: $vgpr0
	s_branch .LBB46_849
.LBB46_845:
	s_mov_b64 s[0:1], -1
                                        ; implicit-def: $vgpr0
.LBB46_846:
	s_andn2_b64 vcc, exec, s[0:1]
	s_cbranch_vccnz .LBB46_848
; %bb.847:
	global_load_dword v0, v[2:3], off
	s_waitcnt vmcnt(0)
	v_cvt_i32_f32_e32 v0, v0
.LBB46_848:
	s_mov_b64 s[0:1], 0
.LBB46_849:
	s_andn2_b64 vcc, exec, s[0:1]
	s_cbranch_vccnz .LBB46_851
; %bb.850:
	global_load_dword v0, v[2:3], off
	s_waitcnt vmcnt(0)
	v_cvt_i16_f16_e32 v0, v0
.LBB46_851:
	s_mov_b64 s[0:1], 0
.LBB46_852:
	s_andn2_b64 vcc, exec, s[0:1]
	s_cbranch_vccnz .LBB46_863
; %bb.853:
	s_cmp_lt_i32 s38, 6
	s_cbranch_scc1 .LBB46_856
; %bb.854:
	s_cmp_gt_i32 s38, 6
	s_cbranch_scc0 .LBB46_857
; %bb.855:
	global_load_dwordx2 v[0:1], v[2:3], off
	s_mov_b64 s[0:1], 0
	s_waitcnt vmcnt(0)
	v_cvt_i32_f64_e32 v0, v[0:1]
	s_branch .LBB46_858
.LBB46_856:
	s_mov_b64 s[0:1], -1
                                        ; implicit-def: $vgpr0
	s_branch .LBB46_861
.LBB46_857:
	s_mov_b64 s[0:1], -1
                                        ; implicit-def: $vgpr0
.LBB46_858:
	s_andn2_b64 vcc, exec, s[0:1]
	s_cbranch_vccnz .LBB46_860
; %bb.859:
	global_load_dword v0, v[2:3], off
	s_waitcnt vmcnt(0)
	v_cvt_i32_f32_e32 v0, v0
.LBB46_860:
	s_mov_b64 s[0:1], 0
.LBB46_861:
	s_andn2_b64 vcc, exec, s[0:1]
	s_cbranch_vccnz .LBB46_863
; %bb.862:
	global_load_ushort v0, v[2:3], off
	s_waitcnt vmcnt(0)
	v_cvt_i16_f16_e32 v0, v0
.LBB46_863:
	s_mov_b64 s[0:1], 0
.LBB46_864:
	s_andn2_b64 vcc, exec, s[0:1]
	s_cbranch_vccnz .LBB46_884
; %bb.865:
	s_cmp_lt_i32 s38, 2
	s_cbranch_scc1 .LBB46_869
; %bb.866:
	s_cmp_lt_i32 s38, 3
	s_cbranch_scc1 .LBB46_870
; %bb.867:
	s_cmp_gt_i32 s38, 3
	s_cbranch_scc0 .LBB46_871
; %bb.868:
	global_load_dwordx2 v[0:1], v[2:3], off
	s_mov_b64 s[0:1], 0
	s_branch .LBB46_872
.LBB46_869:
	s_mov_b64 s[0:1], -1
                                        ; implicit-def: $vgpr0
	s_branch .LBB46_878
.LBB46_870:
	s_mov_b64 s[0:1], -1
                                        ; implicit-def: $vgpr0
	s_branch .LBB46_875
.LBB46_871:
	s_mov_b64 s[0:1], -1
                                        ; implicit-def: $vgpr0
.LBB46_872:
	s_andn2_b64 vcc, exec, s[0:1]
	s_cbranch_vccnz .LBB46_874
; %bb.873:
	global_load_dword v0, v[2:3], off
.LBB46_874:
	s_mov_b64 s[0:1], 0
.LBB46_875:
	s_andn2_b64 vcc, exec, s[0:1]
	s_cbranch_vccnz .LBB46_877
; %bb.876:
	global_load_ushort v0, v[2:3], off
.LBB46_877:
	s_mov_b64 s[0:1], 0
.LBB46_878:
	s_andn2_b64 vcc, exec, s[0:1]
	s_cbranch_vccnz .LBB46_884
; %bb.879:
	s_cmp_gt_i32 s38, 0
	s_cbranch_scc0 .LBB46_881
; %bb.880:
	global_load_ubyte v0, v[2:3], off
	s_mov_b64 s[0:1], 0
	s_branch .LBB46_882
.LBB46_881:
	s_mov_b64 s[0:1], -1
                                        ; implicit-def: $vgpr0
.LBB46_882:
	s_andn2_b64 vcc, exec, s[0:1]
	s_cbranch_vccnz .LBB46_884
; %bb.883:
	global_load_ubyte v0, v[2:3], off
.LBB46_884:
	s_mov_b64 s[0:1], -1
.LBB46_885:
	s_andn2_b64 vcc, exec, s[0:1]
	s_cbranch_vccnz .LBB46_893
; %bb.886:
	s_waitcnt vmcnt(0)
	v_mul_lo_u32 v1, v14, s14
	v_mov_b32_e32 v2, s3
	s_and_b32 s42, s15, 0xff
	s_cmp_lt_i32 s42, 11
	v_ashrrev_i32_e32 v3, 31, v1
	v_add_co_u32_e32 v1, vcc, s2, v1
	v_addc_co_u32_e32 v2, vcc, v2, v3, vcc
	s_cbranch_scc1 .LBB46_895
; %bb.887:
	s_and_b32 s43, 0xffff, s42
	s_cmp_gt_i32 s43, 25
	s_cbranch_scc0 .LBB46_896
; %bb.888:
	s_cmp_gt_i32 s43, 28
	s_cbranch_scc0 .LBB46_897
; %bb.889:
	;; [unrolled: 3-line block ×4, first 2 shown]
	s_cmp_eq_u32 s43, 46
	s_mov_b64 s[40:41], 0
	s_cbranch_scc0 .LBB46_902
; %bb.892:
	global_load_dword v3, v[1:2], off
	s_mov_b64 s[0:1], -1
	s_mov_b64 s[38:39], 0
	s_waitcnt vmcnt(0)
	v_lshlrev_b32_e32 v3, 16, v3
	v_cvt_i32_f32_e32 v3, v3
	s_branch .LBB46_903
.LBB46_893:
	s_mov_b64 s[42:43], 0
	s_mov_b64 s[0:1], s[28:29]
	;; [unrolled: 1-line block ×3, first 2 shown]
.LBB46_894:
                                        ; implicit-def: $vgpr14
	s_branch .LBB46_1137
.LBB46_895:
	s_mov_b64 s[40:41], -1
	s_mov_b64 s[0:1], 0
                                        ; implicit-def: $vgpr3
	s_mov_b64 s[38:39], s[26:27]
	s_branch .LBB46_964
.LBB46_896:
	s_mov_b64 s[40:41], -1
	s_mov_b64 s[0:1], 0
	s_mov_b64 s[38:39], s[26:27]
                                        ; implicit-def: $vgpr3
	s_branch .LBB46_930
.LBB46_897:
	s_mov_b64 s[40:41], -1
	s_mov_b64 s[0:1], 0
	s_mov_b64 s[38:39], s[26:27]
                                        ; implicit-def: $vgpr3
	s_branch .LBB46_913
.LBB46_898:
	s_mov_b64 s[40:41], -1
	s_mov_b64 s[0:1], 0
	s_mov_b64 s[38:39], s[26:27]
                                        ; implicit-def: $vgpr3
	s_branch .LBB46_908
.LBB46_899:
	s_mov_b64 s[40:41], -1
	s_mov_b64 s[0:1], 0
	s_mov_b64 s[38:39], s[26:27]
                                        ; implicit-def: $vgpr3
	s_branch .LBB46_903
.LBB46_900:
	s_andn2_saveexec_b64 s[36:37], s[36:37]
	s_cbranch_execz .LBB46_680
.LBB46_901:
	s_mov_b32 s40, 0x42800000
	v_add_f32_e64 v4, |v3|, s40
	v_and_b32_e32 v4, 0xff, v4
	v_cmp_ne_u32_e32 vcc, 0, v4
	s_andn2_b64 s[34:35], s[34:35], exec
	s_and_b64 s[40:41], vcc, exec
	s_or_b64 s[34:35], s[34:35], s[40:41]
	s_or_b64 exec, exec, s[36:37]
	v_mov_b32_e32 v5, 0
	s_and_saveexec_b64 s[36:37], s[34:35]
	s_cbranch_execnz .LBB46_681
	s_branch .LBB46_682
.LBB46_902:
	s_mov_b64 s[38:39], -1
                                        ; implicit-def: $vgpr3
	s_mov_b64 s[0:1], 0
.LBB46_903:
	s_and_b64 vcc, exec, s[40:41]
	s_cbranch_vccz .LBB46_907
; %bb.904:
	s_cmp_eq_u32 s43, 44
	s_cbranch_scc0 .LBB46_906
; %bb.905:
	global_load_ubyte v3, v[1:2], off
	s_mov_b64 s[0:1], -1
	s_mov_b64 s[38:39], 0
	s_waitcnt vmcnt(0)
	v_lshlrev_b32_e32 v4, 23, v3
	v_cvt_i32_f32_e32 v4, v4
	v_cmp_ne_u32_e32 vcc, 0, v3
	v_cndmask_b32_e32 v3, 0, v4, vcc
	s_branch .LBB46_907
.LBB46_906:
	s_mov_b64 s[38:39], -1
                                        ; implicit-def: $vgpr3
.LBB46_907:
	s_mov_b64 s[40:41], 0
.LBB46_908:
	s_and_b64 vcc, exec, s[40:41]
	s_cbranch_vccz .LBB46_912
; %bb.909:
	s_cmp_eq_u32 s43, 29
	s_cbranch_scc0 .LBB46_911
; %bb.910:
	global_load_dwordx2 v[3:4], v[1:2], off
	s_mov_b64 s[0:1], -1
	s_mov_b64 s[38:39], 0
	s_branch .LBB46_912
.LBB46_911:
	s_mov_b64 s[38:39], -1
                                        ; implicit-def: $vgpr3
.LBB46_912:
	s_mov_b64 s[40:41], 0
.LBB46_913:
	s_and_b64 vcc, exec, s[40:41]
	s_cbranch_vccz .LBB46_929
; %bb.914:
	s_cmp_lt_i32 s43, 27
	s_cbranch_scc1 .LBB46_917
; %bb.915:
	s_cmp_gt_i32 s43, 27
	s_cbranch_scc0 .LBB46_918
; %bb.916:
	global_load_dword v3, v[1:2], off
	s_mov_b64 s[0:1], 0
	s_branch .LBB46_919
.LBB46_917:
	s_mov_b64 s[0:1], -1
                                        ; implicit-def: $vgpr3
	s_branch .LBB46_922
.LBB46_918:
	s_mov_b64 s[0:1], -1
                                        ; implicit-def: $vgpr3
.LBB46_919:
	s_andn2_b64 vcc, exec, s[0:1]
	s_cbranch_vccnz .LBB46_921
; %bb.920:
	global_load_ushort v3, v[1:2], off
.LBB46_921:
	s_mov_b64 s[0:1], 0
.LBB46_922:
	s_andn2_b64 vcc, exec, s[0:1]
	s_cbranch_vccnz .LBB46_928
; %bb.923:
	global_load_ubyte v4, v[1:2], off
	s_movk_i32 s0, 0x7f
	s_mov_b64 s[40:41], 0
	s_waitcnt vmcnt(0)
	v_cmp_lt_i16_e32 vcc, s0, v4
	s_and_saveexec_b64 s[0:1], vcc
	s_xor_b64 s[0:1], exec, s[0:1]
	s_cbranch_execz .LBB46_940
; %bb.924:
	s_movk_i32 s40, 0x80
	v_cmp_ne_u16_e32 vcc, s40, v4
	s_and_b64 s[40:41], vcc, exec
	s_andn2_saveexec_b64 s[0:1], s[0:1]
	s_cbranch_execnz .LBB46_941
.LBB46_925:
	s_or_b64 exec, exec, s[0:1]
	v_mov_b32_e32 v3, 0
	s_and_saveexec_b64 s[0:1], s[40:41]
	s_cbranch_execz .LBB46_927
.LBB46_926:
	v_lshlrev_b32_e32 v3, 24, v4
	v_and_b32_e32 v4, 0xffff, v4
	v_and_b32_e32 v5, 7, v4
	v_ffbh_u32_e32 v7, v5
	v_min_u32_e32 v7, 32, v7
	v_subrev_u32_e32 v8, 28, v7
	v_bfe_u32 v6, v4, 3, 4
	v_lshlrev_b32_e32 v4, v8, v4
	v_sub_u32_e32 v7, 29, v7
	v_and_b32_e32 v4, 7, v4
	v_cmp_eq_u32_e32 vcc, 0, v6
	v_cndmask_b32_e32 v6, v6, v7, vcc
	v_cndmask_b32_e32 v4, v5, v4, vcc
	v_mov_b32_e32 v5, 0x3b800000
	v_lshlrev_b32_e32 v4, 20, v4
	v_and_b32_e32 v3, 0x80000000, v3
	v_lshl_add_u32 v5, v6, 23, v5
	v_or3_b32 v3, v3, v5, v4
	v_cvt_i32_f32_e32 v3, v3
.LBB46_927:
	s_or_b64 exec, exec, s[0:1]
.LBB46_928:
	s_mov_b64 s[0:1], -1
.LBB46_929:
	s_mov_b64 s[40:41], 0
.LBB46_930:
	s_and_b64 vcc, exec, s[40:41]
	s_cbranch_vccz .LBB46_963
; %bb.931:
	s_cmp_gt_i32 s43, 22
	s_cbranch_scc0 .LBB46_939
; %bb.932:
	s_cmp_lt_i32 s43, 24
	s_cbranch_scc1 .LBB46_942
; %bb.933:
	s_cmp_gt_i32 s43, 24
	s_cbranch_scc0 .LBB46_943
; %bb.934:
	global_load_ubyte v4, v[1:2], off
	s_movk_i32 s0, 0x7f
	s_mov_b64 s[40:41], 0
	s_waitcnt vmcnt(0)
	v_cmp_lt_i16_e32 vcc, s0, v4
	s_and_saveexec_b64 s[0:1], vcc
	s_xor_b64 s[0:1], exec, s[0:1]
	s_cbranch_execz .LBB46_955
; %bb.935:
	s_movk_i32 s40, 0x80
	v_cmp_ne_u16_e32 vcc, s40, v4
	s_and_b64 s[40:41], vcc, exec
	s_andn2_saveexec_b64 s[0:1], s[0:1]
	s_cbranch_execnz .LBB46_956
.LBB46_936:
	s_or_b64 exec, exec, s[0:1]
	v_mov_b32_e32 v3, 0
	s_and_saveexec_b64 s[0:1], s[40:41]
	s_cbranch_execz .LBB46_938
.LBB46_937:
	v_lshlrev_b32_e32 v3, 24, v4
	v_and_b32_e32 v4, 0xffff, v4
	v_and_b32_e32 v5, 3, v4
	v_ffbh_u32_e32 v7, v5
	v_min_u32_e32 v7, 32, v7
	v_subrev_u32_e32 v8, 29, v7
	v_bfe_u32 v6, v4, 2, 5
	v_lshlrev_b32_e32 v4, v8, v4
	v_sub_u32_e32 v7, 30, v7
	v_and_b32_e32 v4, 3, v4
	v_cmp_eq_u32_e32 vcc, 0, v6
	v_cndmask_b32_e32 v6, v6, v7, vcc
	v_cndmask_b32_e32 v4, v5, v4, vcc
	v_mov_b32_e32 v5, 0x37800000
	v_lshlrev_b32_e32 v4, 21, v4
	v_and_b32_e32 v3, 0x80000000, v3
	v_lshl_add_u32 v5, v6, 23, v5
	v_or3_b32 v3, v3, v5, v4
	v_cvt_i32_f32_e32 v3, v3
.LBB46_938:
	s_or_b64 exec, exec, s[0:1]
	s_mov_b64 s[0:1], 0
	s_branch .LBB46_944
.LBB46_939:
	s_mov_b64 s[40:41], -1
                                        ; implicit-def: $vgpr3
	s_branch .LBB46_950
.LBB46_940:
	s_andn2_saveexec_b64 s[0:1], s[0:1]
	s_cbranch_execz .LBB46_925
.LBB46_941:
	v_cmp_ne_u16_e32 vcc, 0, v4
	s_andn2_b64 s[40:41], s[40:41], exec
	s_and_b64 s[44:45], vcc, exec
	s_or_b64 s[40:41], s[40:41], s[44:45]
	s_or_b64 exec, exec, s[0:1]
	v_mov_b32_e32 v3, 0
	s_and_saveexec_b64 s[0:1], s[40:41]
	s_cbranch_execnz .LBB46_926
	s_branch .LBB46_927
.LBB46_942:
	s_mov_b64 s[0:1], -1
                                        ; implicit-def: $vgpr3
	s_branch .LBB46_947
.LBB46_943:
	s_mov_b64 s[0:1], -1
                                        ; implicit-def: $vgpr3
.LBB46_944:
	s_and_b64 vcc, exec, s[0:1]
	s_cbranch_vccz .LBB46_946
; %bb.945:
	global_load_ubyte v3, v[1:2], off
	s_mov_b32 s0, 0x7f800000
	s_waitcnt vmcnt(0)
	v_lshlrev_b32_e32 v3, 24, v3
	v_and_b32_e32 v4, 0x7f000000, v3
	v_ffbh_u32_e32 v5, v4
	v_min_u32_e32 v5, 32, v5
	v_sub_u32_e64 v5, v5, 4 clamp
	v_lshlrev_b32_e32 v7, v5, v4
	v_lshlrev_b32_e32 v5, 23, v5
	v_lshrrev_b32_e32 v7, 4, v7
	v_add_u32_e32 v6, 0x1000000, v4
	v_sub_u32_e32 v5, v7, v5
	v_ashrrev_i32_e32 v6, 8, v6
	v_add_u32_e32 v5, 0x3c000000, v5
	v_and_or_b32 v5, v6, s0, v5
	v_cmp_ne_u32_e32 vcc, 0, v4
	v_cndmask_b32_e32 v4, 0, v5, vcc
	s_brev_b32 s0, 1
	v_and_or_b32 v3, v3, s0, v4
	v_cvt_i32_f32_e32 v3, v3
.LBB46_946:
	s_mov_b64 s[0:1], 0
.LBB46_947:
	s_andn2_b64 vcc, exec, s[0:1]
	s_cbranch_vccnz .LBB46_949
; %bb.948:
	global_load_ubyte v3, v[1:2], off
	s_movk_i32 s0, 0x7f00
	s_brev_b32 s1, 16
	s_waitcnt vmcnt(0)
	v_lshlrev_b16_e32 v4, 8, v3
	v_lshlrev_b32_e32 v3, 25, v3
	v_lshrrev_b32_e32 v5, 4, v3
	v_and_or_b32 v6, v4, s0, 0.5
	v_or_b32_e32 v5, 0x70000000, v5
	v_add_f32_e32 v6, -0.5, v6
	v_mul_f32_e32 v5, 0x7800000, v5
	v_cmp_gt_u32_e32 vcc, s1, v3
	v_bfe_i32 v4, v4, 0, 16
	v_cndmask_b32_e32 v3, v5, v6, vcc
	s_brev_b32 s0, 1
	v_and_or_b32 v3, v4, s0, v3
	v_cvt_i32_f32_e32 v3, v3
.LBB46_949:
	s_mov_b64 s[40:41], 0
	s_mov_b64 s[0:1], -1
.LBB46_950:
	s_andn2_b64 vcc, exec, s[40:41]
	s_cbranch_vccnz .LBB46_963
; %bb.951:
	s_cmp_gt_i32 s43, 14
	s_cbranch_scc0 .LBB46_954
; %bb.952:
	s_cmp_eq_u32 s43, 15
	s_cbranch_scc0 .LBB46_957
; %bb.953:
	global_load_ushort v3, v[1:2], off
	s_mov_b64 s[0:1], -1
	s_mov_b64 s[38:39], 0
	s_waitcnt vmcnt(0)
	v_lshlrev_b32_e32 v3, 16, v3
	v_cvt_i32_f32_e32 v3, v3
	s_branch .LBB46_958
.LBB46_954:
	s_mov_b64 s[40:41], -1
                                        ; implicit-def: $vgpr3
	s_branch .LBB46_959
.LBB46_955:
	s_andn2_saveexec_b64 s[0:1], s[0:1]
	s_cbranch_execz .LBB46_936
.LBB46_956:
	v_cmp_ne_u16_e32 vcc, 0, v4
	s_andn2_b64 s[40:41], s[40:41], exec
	s_and_b64 s[44:45], vcc, exec
	s_or_b64 s[40:41], s[40:41], s[44:45]
	s_or_b64 exec, exec, s[0:1]
	v_mov_b32_e32 v3, 0
	s_and_saveexec_b64 s[0:1], s[40:41]
	s_cbranch_execnz .LBB46_937
	s_branch .LBB46_938
.LBB46_957:
	s_mov_b64 s[38:39], -1
                                        ; implicit-def: $vgpr3
.LBB46_958:
	s_mov_b64 s[40:41], 0
.LBB46_959:
	s_and_b64 vcc, exec, s[40:41]
	s_cbranch_vccz .LBB46_963
; %bb.960:
	s_cmp_eq_u32 s43, 11
	s_cbranch_scc0 .LBB46_962
; %bb.961:
	global_load_ubyte v3, v[1:2], off
	s_mov_b64 s[0:1], -1
	s_mov_b64 s[38:39], 0
	s_waitcnt vmcnt(0)
	v_cmp_ne_u16_e32 vcc, 0, v3
	v_cndmask_b32_e64 v3, 0, 1, vcc
	s_branch .LBB46_963
.LBB46_962:
	s_mov_b64 s[38:39], -1
                                        ; implicit-def: $vgpr3
.LBB46_963:
	s_mov_b64 s[40:41], 0
.LBB46_964:
	s_and_b64 vcc, exec, s[40:41]
	s_cbranch_vccz .LBB46_1013
; %bb.965:
	s_and_b32 s40, 0xffff, s42
	s_cmp_lt_i32 s40, 5
	s_cbranch_scc1 .LBB46_970
; %bb.966:
	s_cmp_lt_i32 s40, 8
	s_cbranch_scc1 .LBB46_971
; %bb.967:
	;; [unrolled: 3-line block ×3, first 2 shown]
	s_cmp_gt_i32 s40, 9
	s_cbranch_scc0 .LBB46_973
; %bb.969:
	global_load_dwordx2 v[3:4], v[1:2], off
	s_mov_b64 s[0:1], 0
	s_waitcnt vmcnt(0)
	v_cvt_i32_f64_e32 v3, v[3:4]
	s_branch .LBB46_974
.LBB46_970:
	s_mov_b64 s[0:1], -1
                                        ; implicit-def: $vgpr3
	s_branch .LBB46_992
.LBB46_971:
	s_mov_b64 s[0:1], -1
                                        ; implicit-def: $vgpr3
	s_branch .LBB46_980
.LBB46_972:
	s_mov_b64 s[0:1], -1
                                        ; implicit-def: $vgpr3
	s_branch .LBB46_977
.LBB46_973:
	s_mov_b64 s[0:1], -1
                                        ; implicit-def: $vgpr3
.LBB46_974:
	s_andn2_b64 vcc, exec, s[0:1]
	s_cbranch_vccnz .LBB46_976
; %bb.975:
	global_load_dword v3, v[1:2], off
	s_waitcnt vmcnt(0)
	v_cvt_i32_f32_e32 v3, v3
.LBB46_976:
	s_mov_b64 s[0:1], 0
.LBB46_977:
	s_andn2_b64 vcc, exec, s[0:1]
	s_cbranch_vccnz .LBB46_979
; %bb.978:
	global_load_dword v3, v[1:2], off
	s_waitcnt vmcnt(0)
	v_cvt_i16_f16_e32 v3, v3
.LBB46_979:
	s_mov_b64 s[0:1], 0
.LBB46_980:
	s_andn2_b64 vcc, exec, s[0:1]
	s_cbranch_vccnz .LBB46_991
; %bb.981:
	s_cmp_lt_i32 s40, 6
	s_cbranch_scc1 .LBB46_984
; %bb.982:
	s_cmp_gt_i32 s40, 6
	s_cbranch_scc0 .LBB46_985
; %bb.983:
	global_load_dwordx2 v[3:4], v[1:2], off
	s_mov_b64 s[0:1], 0
	s_waitcnt vmcnt(0)
	v_cvt_i32_f64_e32 v3, v[3:4]
	s_branch .LBB46_986
.LBB46_984:
	s_mov_b64 s[0:1], -1
                                        ; implicit-def: $vgpr3
	s_branch .LBB46_989
.LBB46_985:
	s_mov_b64 s[0:1], -1
                                        ; implicit-def: $vgpr3
.LBB46_986:
	s_andn2_b64 vcc, exec, s[0:1]
	s_cbranch_vccnz .LBB46_988
; %bb.987:
	global_load_dword v3, v[1:2], off
	s_waitcnt vmcnt(0)
	v_cvt_i32_f32_e32 v3, v3
.LBB46_988:
	s_mov_b64 s[0:1], 0
.LBB46_989:
	s_andn2_b64 vcc, exec, s[0:1]
	s_cbranch_vccnz .LBB46_991
; %bb.990:
	global_load_ushort v3, v[1:2], off
	s_waitcnt vmcnt(0)
	v_cvt_i16_f16_e32 v3, v3
.LBB46_991:
	s_mov_b64 s[0:1], 0
.LBB46_992:
	s_andn2_b64 vcc, exec, s[0:1]
	s_cbranch_vccnz .LBB46_1012
; %bb.993:
	s_cmp_lt_i32 s40, 2
	s_cbranch_scc1 .LBB46_997
; %bb.994:
	s_cmp_lt_i32 s40, 3
	s_cbranch_scc1 .LBB46_998
; %bb.995:
	s_cmp_gt_i32 s40, 3
	s_cbranch_scc0 .LBB46_999
; %bb.996:
	global_load_dwordx2 v[3:4], v[1:2], off
	s_mov_b64 s[0:1], 0
	s_branch .LBB46_1000
.LBB46_997:
	s_mov_b64 s[0:1], -1
                                        ; implicit-def: $vgpr3
	s_branch .LBB46_1006
.LBB46_998:
	s_mov_b64 s[0:1], -1
                                        ; implicit-def: $vgpr3
	s_branch .LBB46_1003
.LBB46_999:
	s_mov_b64 s[0:1], -1
                                        ; implicit-def: $vgpr3
.LBB46_1000:
	s_andn2_b64 vcc, exec, s[0:1]
	s_cbranch_vccnz .LBB46_1002
; %bb.1001:
	global_load_dword v3, v[1:2], off
.LBB46_1002:
	s_mov_b64 s[0:1], 0
.LBB46_1003:
	s_andn2_b64 vcc, exec, s[0:1]
	s_cbranch_vccnz .LBB46_1005
; %bb.1004:
	global_load_ushort v3, v[1:2], off
.LBB46_1005:
	s_mov_b64 s[0:1], 0
.LBB46_1006:
	s_andn2_b64 vcc, exec, s[0:1]
	s_cbranch_vccnz .LBB46_1012
; %bb.1007:
	s_cmp_gt_i32 s40, 0
	s_cbranch_scc0 .LBB46_1009
; %bb.1008:
	global_load_ubyte v3, v[1:2], off
	s_mov_b64 s[0:1], 0
	s_branch .LBB46_1010
.LBB46_1009:
	s_mov_b64 s[0:1], -1
                                        ; implicit-def: $vgpr3
.LBB46_1010:
	s_andn2_b64 vcc, exec, s[0:1]
	s_cbranch_vccnz .LBB46_1012
; %bb.1011:
	global_load_ubyte v3, v[1:2], off
.LBB46_1012:
	s_mov_b64 s[0:1], -1
.LBB46_1013:
	s_andn2_b64 vcc, exec, s[0:1]
	s_cbranch_vccnz .LBB46_1021
; %bb.1014:
	v_mul_lo_u32 v1, v14, s12
	v_mov_b32_e32 v2, 8
	s_waitcnt vmcnt(0)
	v_lshlrev_b32_e32 v0, v3, v0
	v_cmp_lt_u16_sdwa vcc, v3, v2 src0_sel:BYTE_0 src1_sel:DWORD
	v_cndmask_b32_e32 v2, 0, v0, vcc
	v_ashrrev_i32_e32 v3, 31, v1
	v_mov_b32_e32 v4, s9
	s_and_b32 s46, s33, 0xff
	v_add_co_u32_e32 v0, vcc, s8, v1
	s_cmp_lt_i32 s46, 11
	v_addc_co_u32_e32 v1, vcc, v4, v3, vcc
	s_cbranch_scc1 .LBB46_1022
; %bb.1015:
	s_and_b32 s47, 0xffff, s46
	s_cmp_gt_i32 s47, 25
	s_cbranch_scc0 .LBB46_1023
; %bb.1016:
	s_cmp_gt_i32 s47, 28
	s_cbranch_scc0 .LBB46_1024
; %bb.1017:
	;; [unrolled: 3-line block ×4, first 2 shown]
	s_mov_b64 s[42:43], 0
	s_mov_b64 s[0:1], -1
	s_cmp_eq_u32 s47, 46
	s_mov_b64 s[40:41], 0
	s_cbranch_scc0 .LBB46_1027
; %bb.1020:
	v_bfe_i32 v3, v2, 0, 8
	v_cvt_f32_i32_sdwa v3, sext(v3) dst_sel:DWORD dst_unused:UNUSED_PAD src0_sel:WORD_0
	s_movk_i32 s0, 0x7fff
	s_mov_b64 s[40:41], -1
	v_bfe_u32 v4, v3, 16, 1
	v_add3_u32 v3, v3, v4, s0
	v_lshrrev_b32_e32 v3, 16, v3
	global_store_dword v[0:1], v3, off
	s_mov_b64 s[0:1], 0
	s_branch .LBB46_1027
.LBB46_1021:
	s_mov_b64 s[42:43], 0
                                        ; implicit-def: $vgpr14
	s_mov_b64 s[0:1], s[28:29]
	s_branch .LBB46_1137
.LBB46_1022:
	s_mov_b64 s[42:43], -1
	s_mov_b64 s[40:41], 0
	s_mov_b64 s[0:1], s[28:29]
	s_branch .LBB46_1096
.LBB46_1023:
	s_mov_b64 s[42:43], -1
	s_mov_b64 s[40:41], 0
	s_mov_b64 s[0:1], s[28:29]
	s_branch .LBB46_1054
.LBB46_1024:
	s_mov_b64 s[42:43], -1
	s_mov_b64 s[40:41], 0
	s_mov_b64 s[0:1], s[28:29]
	s_branch .LBB46_1037
.LBB46_1025:
	s_mov_b64 s[42:43], -1
	s_mov_b64 s[40:41], 0
	s_mov_b64 s[0:1], s[28:29]
	s_branch .LBB46_1033
.LBB46_1026:
	s_mov_b64 s[42:43], -1
	s_mov_b64 s[40:41], 0
	s_mov_b64 s[0:1], s[28:29]
.LBB46_1027:
	s_and_b64 vcc, exec, s[42:43]
	s_cbranch_vccz .LBB46_1032
; %bb.1028:
	s_cmp_eq_u32 s47, 44
	s_mov_b64 s[0:1], -1
	s_cbranch_scc0 .LBB46_1032
; %bb.1029:
	v_bfe_i32 v3, v2, 0, 8
	v_cvt_f32_i32_sdwa v3, sext(v3) dst_sel:DWORD dst_unused:UNUSED_PAD src0_sel:WORD_0
	s_movk_i32 s0, 0xff
	v_mov_b32_e32 v5, 0xff
	v_bfe_u32 v4, v3, 23, 8
	v_cmp_ne_u32_e32 vcc, s0, v4
	s_and_saveexec_b64 s[40:41], vcc
; %bb.1030:
	s_mov_b32 s0, 0x3fffff
	v_lshrrev_b32_e32 v5, 23, v3
	v_and_b32_e32 v6, 0x400000, v3
	v_and_or_b32 v3, v3, s0, v4
	v_cmp_ne_u32_e32 vcc, 0, v6
	v_cmp_ne_u32_e64 s[0:1], 0, v3
	s_and_b64 s[0:1], vcc, s[0:1]
	v_cndmask_b32_e64 v3, 0, 1, s[0:1]
	v_add_u32_e32 v5, v5, v3
; %bb.1031:
	s_or_b64 exec, exec, s[40:41]
	s_mov_b64 s[40:41], -1
	s_mov_b64 s[0:1], 0
	global_store_byte v[0:1], v5, off
.LBB46_1032:
	s_mov_b64 s[42:43], 0
.LBB46_1033:
	s_and_b64 vcc, exec, s[42:43]
	s_cbranch_vccz .LBB46_1036
; %bb.1034:
	s_cmp_eq_u32 s47, 29
	s_mov_b64 s[0:1], -1
	s_cbranch_scc0 .LBB46_1036
; %bb.1035:
	v_bfe_i32 v3, v2, 0, 8
	v_ashrrev_i32_e32 v4, 31, v3
	global_store_dwordx2 v[0:1], v[3:4], off
	s_mov_b64 s[40:41], -1
	s_mov_b64 s[0:1], 0
.LBB46_1036:
	s_mov_b64 s[42:43], 0
.LBB46_1037:
	s_and_b64 vcc, exec, s[42:43]
	s_cbranch_vccz .LBB46_1053
; %bb.1038:
	s_cmp_lt_i32 s47, 27
	s_mov_b64 s[40:41], -1
	s_cbranch_scc1 .LBB46_1044
; %bb.1039:
	s_cmp_gt_i32 s47, 27
	s_cbranch_scc0 .LBB46_1041
; %bb.1040:
	v_bfe_i32 v3, v2, 0, 8
	s_mov_b64 s[40:41], 0
	global_store_dword v[0:1], v3, off
.LBB46_1041:
	s_andn2_b64 vcc, exec, s[40:41]
	s_cbranch_vccnz .LBB46_1043
; %bb.1042:
	v_bfe_i32 v3, v2, 0, 8
	global_store_short v[0:1], v3, off
.LBB46_1043:
	s_mov_b64 s[40:41], 0
.LBB46_1044:
	s_andn2_b64 vcc, exec, s[40:41]
	s_cbranch_vccnz .LBB46_1052
; %bb.1045:
	v_bfe_i32 v3, v2, 0, 8
	v_cvt_f32_i32_sdwa v3, sext(v3) dst_sel:DWORD dst_unused:UNUSED_PAD src0_sel:WORD_0
	s_mov_b32 s40, 0x43800000
	v_mov_b32_e32 v5, 0x80
	v_and_b32_e32 v4, 0x7fffffff, v3
	v_cmp_gt_u32_e32 vcc, s40, v4
	s_and_saveexec_b64 s[40:41], vcc
	s_cbranch_execz .LBB46_1051
; %bb.1046:
	s_mov_b32 s42, 0x3bffffff
	v_cmp_lt_u32_e32 vcc, s42, v4
	s_mov_b64 s[42:43], 0
                                        ; implicit-def: $vgpr4
	s_and_saveexec_b64 s[44:45], vcc
	s_xor_b64 s[44:45], exec, s[44:45]
	s_cbranch_execz .LBB46_1153
; %bb.1047:
	v_bfe_u32 v4, v3, 20, 1
	s_mov_b32 s49, 0x487ffff
	v_add3_u32 v4, v3, v4, s49
	s_mov_b64 s[42:43], exec
	v_lshrrev_b32_e32 v4, 20, v4
	s_andn2_saveexec_b64 s[44:45], s[44:45]
	s_cbranch_execnz .LBB46_1154
.LBB46_1048:
	s_or_b64 exec, exec, s[44:45]
	v_mov_b32_e32 v5, 0
	s_and_saveexec_b64 s[44:45], s[42:43]
.LBB46_1049:
	v_lshrrev_b32_e32 v3, 24, v3
	s_movk_i32 s42, 0x80
	v_and_or_b32 v5, v3, s42, v4
.LBB46_1050:
	s_or_b64 exec, exec, s[44:45]
.LBB46_1051:
	s_or_b64 exec, exec, s[40:41]
	global_store_byte v[0:1], v5, off
.LBB46_1052:
	s_mov_b64 s[40:41], -1
.LBB46_1053:
	s_mov_b64 s[42:43], 0
.LBB46_1054:
	s_and_b64 vcc, exec, s[42:43]
	s_cbranch_vccz .LBB46_1095
; %bb.1055:
	s_cmp_gt_i32 s47, 22
	s_mov_b64 s[42:43], -1
	s_cbranch_scc0 .LBB46_1087
; %bb.1056:
	s_cmp_lt_i32 s47, 24
	s_mov_b64 s[40:41], -1
	s_cbranch_scc1 .LBB46_1076
; %bb.1057:
	s_cmp_gt_i32 s47, 24
	s_cbranch_scc0 .LBB46_1065
; %bb.1058:
	v_bfe_i32 v3, v2, 0, 8
	v_cvt_f32_i32_sdwa v3, sext(v3) dst_sel:DWORD dst_unused:UNUSED_PAD src0_sel:WORD_0
	s_mov_b32 s40, 0x47800000
	v_mov_b32_e32 v5, 0x80
	v_and_b32_e32 v4, 0x7fffffff, v3
	v_cmp_gt_u32_e32 vcc, s40, v4
	s_and_saveexec_b64 s[40:41], vcc
	s_cbranch_execz .LBB46_1064
; %bb.1059:
	s_mov_b32 s42, 0x37ffffff
	v_cmp_lt_u32_e32 vcc, s42, v4
	s_mov_b64 s[42:43], 0
                                        ; implicit-def: $vgpr4
	s_and_saveexec_b64 s[44:45], vcc
	s_xor_b64 s[44:45], exec, s[44:45]
	s_cbranch_execz .LBB46_2147
; %bb.1060:
	v_bfe_u32 v4, v3, 21, 1
	s_mov_b32 s49, 0x88fffff
	v_add3_u32 v4, v3, v4, s49
	s_mov_b64 s[42:43], exec
	v_lshrrev_b32_e32 v4, 21, v4
	s_andn2_saveexec_b64 s[44:45], s[44:45]
	s_cbranch_execnz .LBB46_2148
.LBB46_1061:
	s_or_b64 exec, exec, s[44:45]
	v_mov_b32_e32 v5, 0
	s_and_saveexec_b64 s[44:45], s[42:43]
.LBB46_1062:
	v_lshrrev_b32_e32 v3, 24, v3
	s_movk_i32 s42, 0x80
	v_and_or_b32 v5, v3, s42, v4
.LBB46_1063:
	s_or_b64 exec, exec, s[44:45]
.LBB46_1064:
	s_or_b64 exec, exec, s[40:41]
	s_mov_b64 s[40:41], 0
	global_store_byte v[0:1], v5, off
.LBB46_1065:
	s_and_b64 vcc, exec, s[40:41]
	s_cbranch_vccz .LBB46_1075
; %bb.1066:
	v_bfe_i32 v3, v2, 0, 8
	v_cvt_f32_i32_sdwa v3, sext(v3) dst_sel:DWORD dst_unused:UNUSED_PAD src0_sel:WORD_0
	s_mov_b32 s40, 0x43f00000
                                        ; implicit-def: $vgpr4
	v_and_b32_e32 v5, 0x7fffffff, v3
	v_cmp_gt_u32_e32 vcc, s40, v5
	s_and_saveexec_b64 s[40:41], vcc
	s_xor_b64 s[40:41], exec, s[40:41]
	s_cbranch_execz .LBB46_1072
; %bb.1067:
	s_mov_b32 s42, 0x3c7fffff
	v_cmp_lt_u32_e32 vcc, s42, v5
                                        ; implicit-def: $vgpr4
	s_and_saveexec_b64 s[42:43], vcc
	s_xor_b64 s[42:43], exec, s[42:43]
; %bb.1068:
	v_bfe_u32 v4, v3, 20, 1
	s_mov_b32 s44, 0x407ffff
	v_add3_u32 v4, v3, v4, s44
	v_lshrrev_b32_e32 v5, 20, v4
	v_and_b32_e32 v4, 0xff00000, v4
	s_mov_b32 s44, 0x7f00000
	v_mov_b32_e32 v6, 0x7e
	v_cmp_ne_u32_e32 vcc, s44, v4
	v_cndmask_b32_e32 v4, v6, v5, vcc
; %bb.1069:
	s_andn2_saveexec_b64 s[42:43], s[42:43]
; %bb.1070:
	s_mov_b32 s44, 0x46800000
	v_add_f32_e64 v4, |v3|, s44
; %bb.1071:
	s_or_b64 exec, exec, s[42:43]
                                        ; implicit-def: $vgpr5
.LBB46_1072:
	s_andn2_saveexec_b64 s[40:41], s[40:41]
; %bb.1073:
	s_mov_b32 s42, 0x7f800000
	v_mov_b32_e32 v4, 0x7e
	v_mov_b32_e32 v6, 0x7f
	v_cmp_lt_u32_e32 vcc, s42, v5
	v_cndmask_b32_e32 v4, v4, v6, vcc
; %bb.1074:
	s_or_b64 exec, exec, s[40:41]
	v_lshrrev_b32_e32 v3, 24, v3
	s_movk_i32 s40, 0x80
	v_and_or_b32 v3, v3, s40, v4
	global_store_byte v[0:1], v3, off
.LBB46_1075:
	s_mov_b64 s[40:41], 0
.LBB46_1076:
	s_andn2_b64 vcc, exec, s[40:41]
	s_cbranch_vccnz .LBB46_1086
; %bb.1077:
	v_bfe_i32 v3, v2, 0, 8
	v_cvt_f32_i32_sdwa v3, sext(v3) dst_sel:DWORD dst_unused:UNUSED_PAD src0_sel:WORD_0
	s_mov_b32 s40, 0x47800000
                                        ; implicit-def: $vgpr4
	v_and_b32_e32 v5, 0x7fffffff, v3
	v_cmp_gt_u32_e32 vcc, s40, v5
	s_and_saveexec_b64 s[40:41], vcc
	s_xor_b64 s[40:41], exec, s[40:41]
	s_cbranch_execz .LBB46_1083
; %bb.1078:
	s_mov_b32 s42, 0x387fffff
	v_cmp_lt_u32_e32 vcc, s42, v5
                                        ; implicit-def: $vgpr4
	s_and_saveexec_b64 s[42:43], vcc
	s_xor_b64 s[42:43], exec, s[42:43]
; %bb.1079:
	v_bfe_u32 v4, v3, 21, 1
	s_mov_b32 s44, 0x80fffff
	v_add3_u32 v4, v3, v4, s44
	v_lshrrev_b32_e32 v4, 21, v4
; %bb.1080:
	s_andn2_saveexec_b64 s[42:43], s[42:43]
; %bb.1081:
	s_mov_b32 s44, 0x43000000
	v_add_f32_e64 v4, |v3|, s44
; %bb.1082:
	s_or_b64 exec, exec, s[42:43]
                                        ; implicit-def: $vgpr5
.LBB46_1083:
	s_andn2_saveexec_b64 s[40:41], s[40:41]
; %bb.1084:
	s_mov_b32 s42, 0x7f800000
	v_mov_b32_e32 v4, 0x7c
	v_mov_b32_e32 v6, 0x7f
	v_cmp_lt_u32_e32 vcc, s42, v5
	v_cndmask_b32_e32 v4, v4, v6, vcc
; %bb.1085:
	s_or_b64 exec, exec, s[40:41]
	v_lshrrev_b32_e32 v3, 24, v3
	s_movk_i32 s40, 0x80
	v_and_or_b32 v3, v3, s40, v4
	global_store_byte v[0:1], v3, off
.LBB46_1086:
	s_mov_b64 s[42:43], 0
	s_mov_b64 s[40:41], -1
.LBB46_1087:
	s_andn2_b64 vcc, exec, s[42:43]
	s_cbranch_vccnz .LBB46_1095
; %bb.1088:
	s_cmp_gt_i32 s47, 14
	s_mov_b64 s[42:43], -1
	s_cbranch_scc0 .LBB46_1092
; %bb.1089:
	s_cmp_eq_u32 s47, 15
	s_mov_b64 s[0:1], -1
	s_cbranch_scc0 .LBB46_1091
; %bb.1090:
	v_bfe_i32 v3, v2, 0, 8
	v_cvt_f32_i32_sdwa v3, sext(v3) dst_sel:DWORD dst_unused:UNUSED_PAD src0_sel:WORD_0
	s_movk_i32 s0, 0x7fff
	s_mov_b64 s[40:41], -1
	v_bfe_u32 v4, v3, 16, 1
	v_add3_u32 v3, v3, v4, s0
	global_store_short_d16_hi v[0:1], v3, off
	s_mov_b64 s[0:1], 0
.LBB46_1091:
	s_mov_b64 s[42:43], 0
.LBB46_1092:
	s_and_b64 vcc, exec, s[42:43]
	s_cbranch_vccz .LBB46_1095
; %bb.1093:
	s_cmp_eq_u32 s47, 11
	s_mov_b64 s[0:1], -1
	s_cbranch_scc0 .LBB46_1095
; %bb.1094:
	v_mov_b32_e32 v3, 0
	v_cmp_ne_u16_sdwa s[0:1], v2, v3 src0_sel:BYTE_0 src1_sel:DWORD
	v_cndmask_b32_e64 v3, 0, 1, s[0:1]
	s_mov_b64 s[40:41], -1
	s_mov_b64 s[0:1], 0
	global_store_byte v[0:1], v3, off
.LBB46_1095:
	s_mov_b64 s[42:43], 0
.LBB46_1096:
	s_and_b64 vcc, exec, s[42:43]
	s_cbranch_vccz .LBB46_1135
; %bb.1097:
	s_and_b32 s42, 0xffff, s46
	s_cmp_lt_i32 s42, 5
	s_mov_b64 s[40:41], -1
	s_cbranch_scc1 .LBB46_1118
; %bb.1098:
	s_cmp_lt_i32 s42, 8
	s_cbranch_scc1 .LBB46_1108
; %bb.1099:
	s_cmp_lt_i32 s42, 9
	s_cbranch_scc1 .LBB46_1105
; %bb.1100:
	s_cmp_gt_i32 s42, 9
	s_cbranch_scc0 .LBB46_1102
; %bb.1101:
	v_bfe_i32 v3, v2, 0, 8
	v_bfe_i32 v3, v3, 0, 16
	v_cvt_f64_i32_e32 v[3:4], v3
	v_mov_b32_e32 v5, 0
	v_mov_b32_e32 v6, v5
	s_mov_b64 s[40:41], 0
	global_store_dwordx4 v[0:1], v[3:6], off
.LBB46_1102:
	s_andn2_b64 vcc, exec, s[40:41]
	s_cbranch_vccnz .LBB46_1104
; %bb.1103:
	v_bfe_i32 v3, v2, 0, 8
	v_cvt_f32_i32_sdwa v3, sext(v3) dst_sel:DWORD dst_unused:UNUSED_PAD src0_sel:WORD_0
	v_mov_b32_e32 v4, 0
	global_store_dwordx2 v[0:1], v[3:4], off
.LBB46_1104:
	s_mov_b64 s[40:41], 0
.LBB46_1105:
	s_andn2_b64 vcc, exec, s[40:41]
	s_cbranch_vccnz .LBB46_1107
; %bb.1106:
	v_cvt_f16_i16_sdwa v3, sext(v2) dst_sel:DWORD dst_unused:UNUSED_PAD src0_sel:BYTE_0
	global_store_dword v[0:1], v3, off
.LBB46_1107:
	s_mov_b64 s[40:41], 0
.LBB46_1108:
	s_andn2_b64 vcc, exec, s[40:41]
	s_cbranch_vccnz .LBB46_1117
; %bb.1109:
	s_cmp_lt_i32 s42, 6
	s_mov_b64 s[40:41], -1
	s_cbranch_scc1 .LBB46_1115
; %bb.1110:
	s_cmp_gt_i32 s42, 6
	s_cbranch_scc0 .LBB46_1112
; %bb.1111:
	v_bfe_i32 v3, v2, 0, 8
	v_bfe_i32 v3, v3, 0, 16
	v_cvt_f64_i32_e32 v[3:4], v3
	s_mov_b64 s[40:41], 0
	global_store_dwordx2 v[0:1], v[3:4], off
.LBB46_1112:
	s_andn2_b64 vcc, exec, s[40:41]
	s_cbranch_vccnz .LBB46_1114
; %bb.1113:
	v_bfe_i32 v3, v2, 0, 8
	v_cvt_f32_i32_sdwa v3, sext(v3) dst_sel:DWORD dst_unused:UNUSED_PAD src0_sel:WORD_0
	global_store_dword v[0:1], v3, off
.LBB46_1114:
	s_mov_b64 s[40:41], 0
.LBB46_1115:
	s_andn2_b64 vcc, exec, s[40:41]
	s_cbranch_vccnz .LBB46_1117
; %bb.1116:
	v_cvt_f16_i16_sdwa v3, sext(v2) dst_sel:DWORD dst_unused:UNUSED_PAD src0_sel:BYTE_0
	global_store_short v[0:1], v3, off
.LBB46_1117:
	s_mov_b64 s[40:41], 0
.LBB46_1118:
	s_andn2_b64 vcc, exec, s[40:41]
	s_cbranch_vccnz .LBB46_1134
; %bb.1119:
	s_cmp_lt_i32 s42, 2
	s_mov_b64 s[40:41], -1
	s_cbranch_scc1 .LBB46_1129
; %bb.1120:
	s_cmp_lt_i32 s42, 3
	s_cbranch_scc1 .LBB46_1126
; %bb.1121:
	s_cmp_gt_i32 s42, 3
	s_cbranch_scc0 .LBB46_1123
; %bb.1122:
	v_bfe_i32 v3, v2, 0, 8
	v_ashrrev_i32_e32 v4, 31, v3
	s_mov_b64 s[40:41], 0
	global_store_dwordx2 v[0:1], v[3:4], off
.LBB46_1123:
	s_andn2_b64 vcc, exec, s[40:41]
	s_cbranch_vccnz .LBB46_1125
; %bb.1124:
	v_bfe_i32 v3, v2, 0, 8
	global_store_dword v[0:1], v3, off
.LBB46_1125:
	s_mov_b64 s[40:41], 0
.LBB46_1126:
	s_andn2_b64 vcc, exec, s[40:41]
	s_cbranch_vccnz .LBB46_1128
; %bb.1127:
	v_bfe_i32 v3, v2, 0, 8
	global_store_short v[0:1], v3, off
.LBB46_1128:
	s_mov_b64 s[40:41], 0
.LBB46_1129:
	s_andn2_b64 vcc, exec, s[40:41]
	s_cbranch_vccnz .LBB46_1134
; %bb.1130:
	s_cmp_gt_i32 s42, 0
	s_mov_b64 s[40:41], -1
	s_cbranch_scc0 .LBB46_1132
; %bb.1131:
	s_mov_b64 s[40:41], 0
	global_store_byte v[0:1], v2, off
.LBB46_1132:
	s_andn2_b64 vcc, exec, s[40:41]
	s_cbranch_vccnz .LBB46_1134
; %bb.1133:
	global_store_byte v[0:1], v2, off
.LBB46_1134:
	s_mov_b64 s[40:41], -1
.LBB46_1135:
	s_andn2_b64 vcc, exec, s[40:41]
	s_cbranch_vccnz .LBB46_1148
; %bb.1136:
	v_add_u32_e32 v14, 0x80, v14
	s_mov_b64 s[42:43], -1
.LBB46_1137:
	s_andn2_b64 s[40:41], s[28:29], exec
	s_and_b64 s[0:1], s[0:1], exec
	s_or_b64 s[40:41], s[40:41], s[0:1]
	s_andn2_b64 s[0:1], s[26:27], exec
	s_and_b64 s[38:39], s[38:39], exec
	s_or_b64 s[38:39], s[0:1], s[38:39]
	s_andn2_b64 s[0:1], s[24:25], exec
	s_and_b64 s[36:37], s[36:37], exec
	s_or_b64 s[0:1], s[0:1], s[36:37]
	s_orn2_b64 s[46:47], s[42:43], exec
.LBB46_1138:
	s_or_b64 exec, exec, s[34:35]
	s_mov_b64 s[42:43], 0
	s_mov_b64 s[36:37], 0
	;; [unrolled: 1-line block ×3, first 2 shown]
                                        ; implicit-def: $sgpr55
                                        ; implicit-def: $vgpr2_vgpr3
                                        ; implicit-def: $vgpr0
	s_and_saveexec_b64 s[34:35], s[46:47]
	s_cbranch_execz .LBB46_1218
; %bb.1139:
	v_cmp_gt_i32_e32 vcc, s48, v14
	s_mov_b64 s[46:47], 0
	s_mov_b64 s[48:49], s[0:1]
	;; [unrolled: 1-line block ×4, first 2 shown]
                                        ; implicit-def: $sgpr55
                                        ; implicit-def: $vgpr2_vgpr3
                                        ; implicit-def: $vgpr0
	s_and_saveexec_b64 s[36:37], vcc
	s_cbranch_execz .LBB46_1217
; %bb.1140:
	s_waitcnt vmcnt(0)
	v_mul_lo_u32 v0, v14, s13
	v_mov_b32_e32 v1, s11
	s_and_b32 s55, s54, 0xff
	s_cmp_lt_i32 s55, 11
	v_ashrrev_i32_e32 v3, 31, v0
	v_add_co_u32_e32 v2, vcc, s10, v0
	v_addc_co_u32_e32 v3, vcc, v1, v3, vcc
	s_cbranch_scc1 .LBB46_1147
; %bb.1141:
	s_and_b32 s50, 0xffff, s55
	s_cmp_gt_i32 s50, 25
	s_cbranch_scc0 .LBB46_1149
; %bb.1142:
	s_cmp_gt_i32 s50, 28
	s_cbranch_scc0 .LBB46_1150
; %bb.1143:
	;; [unrolled: 3-line block ×4, first 2 shown]
	s_cmp_eq_u32 s50, 46
	s_mov_b64 s[48:49], 0
	s_cbranch_scc0 .LBB46_1155
; %bb.1146:
	global_load_dword v0, v[2:3], off
	s_mov_b64 s[46:47], -1
	s_waitcnt vmcnt(0)
	v_lshlrev_b32_e32 v0, 16, v0
	v_cvt_i32_f32_e32 v0, v0
	s_branch .LBB46_1157
.LBB46_1147:
	s_mov_b64 s[48:49], -1
                                        ; implicit-def: $vgpr0
	s_mov_b64 s[42:43], s[0:1]
	s_branch .LBB46_1216
.LBB46_1148:
	s_mov_b64 s[42:43], 0
	s_branch .LBB46_894
.LBB46_1149:
	s_mov_b64 s[48:49], -1
	s_mov_b64 s[42:43], s[0:1]
                                        ; implicit-def: $vgpr0
	s_branch .LBB46_1184
.LBB46_1150:
	s_mov_b64 s[48:49], -1
	s_mov_b64 s[42:43], s[0:1]
                                        ; implicit-def: $vgpr0
	s_branch .LBB46_1167
.LBB46_1151:
	s_mov_b64 s[48:49], -1
	s_mov_b64 s[42:43], s[0:1]
                                        ; implicit-def: $vgpr0
	s_branch .LBB46_1162
.LBB46_1152:
	s_mov_b64 s[48:49], -1
	s_mov_b64 s[42:43], s[0:1]
	s_branch .LBB46_1156
.LBB46_1153:
	s_andn2_saveexec_b64 s[44:45], s[44:45]
	s_cbranch_execz .LBB46_1048
.LBB46_1154:
	s_mov_b32 s49, 0x46000000
	v_add_f32_e64 v4, |v3|, s49
	v_and_b32_e32 v4, 0xff, v4
	v_cmp_ne_u32_e32 vcc, 0, v4
	s_andn2_b64 s[42:43], s[42:43], exec
	s_and_b64 s[50:51], vcc, exec
	s_or_b64 s[42:43], s[42:43], s[50:51]
	s_or_b64 exec, exec, s[44:45]
	v_mov_b32_e32 v5, 0
	s_and_saveexec_b64 s[44:45], s[42:43]
	s_cbranch_execnz .LBB46_1049
	s_branch .LBB46_1050
.LBB46_1155:
	s_mov_b64 s[42:43], -1
.LBB46_1156:
                                        ; implicit-def: $vgpr0
.LBB46_1157:
	s_and_b64 vcc, exec, s[48:49]
	s_cbranch_vccz .LBB46_1161
; %bb.1158:
	s_cmp_eq_u32 s50, 44
	s_cbranch_scc0 .LBB46_1160
; %bb.1159:
	global_load_ubyte v0, v[2:3], off
	s_mov_b64 s[42:43], 0
	s_mov_b64 s[46:47], -1
	s_waitcnt vmcnt(0)
	v_lshlrev_b32_e32 v1, 23, v0
	v_cvt_i32_f32_e32 v1, v1
	v_cmp_ne_u32_e32 vcc, 0, v0
	v_cndmask_b32_e32 v0, 0, v1, vcc
	s_branch .LBB46_1161
.LBB46_1160:
	s_mov_b64 s[42:43], -1
                                        ; implicit-def: $vgpr0
.LBB46_1161:
	s_mov_b64 s[48:49], 0
.LBB46_1162:
	s_and_b64 vcc, exec, s[48:49]
	s_cbranch_vccz .LBB46_1166
; %bb.1163:
	s_cmp_eq_u32 s50, 29
	s_cbranch_scc0 .LBB46_1165
; %bb.1164:
	global_load_dwordx2 v[0:1], v[2:3], off
	s_mov_b64 s[42:43], 0
	s_mov_b64 s[46:47], -1
	s_branch .LBB46_1166
.LBB46_1165:
	s_mov_b64 s[42:43], -1
                                        ; implicit-def: $vgpr0
.LBB46_1166:
	s_mov_b64 s[48:49], 0
.LBB46_1167:
	s_and_b64 vcc, exec, s[48:49]
	s_cbranch_vccz .LBB46_1183
; %bb.1168:
	s_cmp_lt_i32 s50, 27
	s_cbranch_scc1 .LBB46_1171
; %bb.1169:
	s_cmp_gt_i32 s50, 27
	s_cbranch_scc0 .LBB46_1172
; %bb.1170:
	global_load_dword v0, v[2:3], off
	s_mov_b64 s[46:47], 0
	s_branch .LBB46_1173
.LBB46_1171:
	s_mov_b64 s[46:47], -1
                                        ; implicit-def: $vgpr0
	s_branch .LBB46_1176
.LBB46_1172:
	s_mov_b64 s[46:47], -1
                                        ; implicit-def: $vgpr0
.LBB46_1173:
	s_andn2_b64 vcc, exec, s[46:47]
	s_cbranch_vccnz .LBB46_1175
; %bb.1174:
	global_load_ushort v0, v[2:3], off
.LBB46_1175:
	s_mov_b64 s[46:47], 0
.LBB46_1176:
	s_andn2_b64 vcc, exec, s[46:47]
	s_cbranch_vccnz .LBB46_1182
; %bb.1177:
	global_load_ubyte v1, v[2:3], off
	s_movk_i32 s46, 0x7f
	s_mov_b64 s[48:49], 0
	s_waitcnt vmcnt(0)
	v_cmp_lt_i16_e32 vcc, s46, v1
	s_and_saveexec_b64 s[46:47], vcc
	s_xor_b64 s[46:47], exec, s[46:47]
	s_cbranch_execz .LBB46_1194
; %bb.1178:
	s_movk_i32 s48, 0x80
	v_cmp_ne_u16_e32 vcc, s48, v1
	s_and_b64 s[48:49], vcc, exec
	s_andn2_saveexec_b64 s[46:47], s[46:47]
	s_cbranch_execnz .LBB46_1195
.LBB46_1179:
	s_or_b64 exec, exec, s[46:47]
	v_mov_b32_e32 v0, 0
	s_and_saveexec_b64 s[46:47], s[48:49]
	s_cbranch_execz .LBB46_1181
.LBB46_1180:
	v_lshlrev_b32_e32 v0, 24, v1
	v_and_b32_e32 v1, 0xffff, v1
	v_and_b32_e32 v4, 7, v1
	v_ffbh_u32_e32 v6, v4
	v_min_u32_e32 v6, 32, v6
	v_subrev_u32_e32 v7, 28, v6
	v_bfe_u32 v5, v1, 3, 4
	v_lshlrev_b32_e32 v1, v7, v1
	v_sub_u32_e32 v6, 29, v6
	v_and_b32_e32 v1, 7, v1
	v_cmp_eq_u32_e32 vcc, 0, v5
	v_cndmask_b32_e32 v5, v5, v6, vcc
	v_cndmask_b32_e32 v1, v4, v1, vcc
	v_mov_b32_e32 v4, 0x3b800000
	v_lshlrev_b32_e32 v1, 20, v1
	v_and_b32_e32 v0, 0x80000000, v0
	v_lshl_add_u32 v4, v5, 23, v4
	v_or3_b32 v0, v0, v4, v1
	v_cvt_i32_f32_e32 v0, v0
.LBB46_1181:
	s_or_b64 exec, exec, s[46:47]
.LBB46_1182:
	s_mov_b64 s[46:47], -1
.LBB46_1183:
	s_mov_b64 s[48:49], 0
.LBB46_1184:
	s_and_b64 vcc, exec, s[48:49]
	s_cbranch_vccz .LBB46_1215
; %bb.1185:
	s_cmp_gt_i32 s50, 22
	s_cbranch_scc0 .LBB46_1193
; %bb.1186:
	s_cmp_lt_i32 s50, 24
	s_cbranch_scc1 .LBB46_1196
; %bb.1187:
	s_cmp_gt_i32 s50, 24
	s_cbranch_scc0 .LBB46_1197
; %bb.1188:
	global_load_ubyte v1, v[2:3], off
	s_movk_i32 s44, 0x7f
	s_mov_b64 s[46:47], 0
	s_waitcnt vmcnt(0)
	v_cmp_lt_i16_e32 vcc, s44, v1
	s_and_saveexec_b64 s[44:45], vcc
	s_xor_b64 s[44:45], exec, s[44:45]
	s_cbranch_execz .LBB46_1209
; %bb.1189:
	s_movk_i32 s46, 0x80
	v_cmp_ne_u16_e32 vcc, s46, v1
	s_and_b64 s[46:47], vcc, exec
	s_andn2_saveexec_b64 s[44:45], s[44:45]
	s_cbranch_execnz .LBB46_1210
.LBB46_1190:
	s_or_b64 exec, exec, s[44:45]
	v_mov_b32_e32 v0, 0
	s_and_saveexec_b64 s[44:45], s[46:47]
	s_cbranch_execz .LBB46_1192
.LBB46_1191:
	v_lshlrev_b32_e32 v0, 24, v1
	v_and_b32_e32 v1, 0xffff, v1
	v_and_b32_e32 v4, 3, v1
	v_ffbh_u32_e32 v6, v4
	v_min_u32_e32 v6, 32, v6
	v_subrev_u32_e32 v7, 29, v6
	v_bfe_u32 v5, v1, 2, 5
	v_lshlrev_b32_e32 v1, v7, v1
	v_sub_u32_e32 v6, 30, v6
	v_and_b32_e32 v1, 3, v1
	v_cmp_eq_u32_e32 vcc, 0, v5
	v_cndmask_b32_e32 v5, v5, v6, vcc
	v_cndmask_b32_e32 v1, v4, v1, vcc
	v_mov_b32_e32 v4, 0x37800000
	v_lshlrev_b32_e32 v1, 21, v1
	v_and_b32_e32 v0, 0x80000000, v0
	v_lshl_add_u32 v4, v5, 23, v4
	v_or3_b32 v0, v0, v4, v1
	v_cvt_i32_f32_e32 v0, v0
.LBB46_1192:
	s_or_b64 exec, exec, s[44:45]
	s_mov_b64 s[44:45], 0
	s_branch .LBB46_1198
.LBB46_1193:
	s_mov_b64 s[44:45], -1
                                        ; implicit-def: $vgpr0
	s_branch .LBB46_1204
.LBB46_1194:
	s_andn2_saveexec_b64 s[46:47], s[46:47]
	s_cbranch_execz .LBB46_1179
.LBB46_1195:
	v_cmp_ne_u16_e32 vcc, 0, v1
	s_andn2_b64 s[48:49], s[48:49], exec
	s_and_b64 s[52:53], vcc, exec
	s_or_b64 s[48:49], s[48:49], s[52:53]
	s_or_b64 exec, exec, s[46:47]
	v_mov_b32_e32 v0, 0
	s_and_saveexec_b64 s[46:47], s[48:49]
	s_cbranch_execnz .LBB46_1180
	s_branch .LBB46_1181
.LBB46_1196:
	s_mov_b64 s[44:45], -1
                                        ; implicit-def: $vgpr0
	s_branch .LBB46_1201
.LBB46_1197:
	s_mov_b64 s[44:45], -1
                                        ; implicit-def: $vgpr0
.LBB46_1198:
	s_and_b64 vcc, exec, s[44:45]
	s_cbranch_vccz .LBB46_1200
; %bb.1199:
	global_load_ubyte v0, v[2:3], off
	s_mov_b32 s44, 0x7f800000
	s_waitcnt vmcnt(0)
	v_lshlrev_b32_e32 v0, 24, v0
	v_and_b32_e32 v1, 0x7f000000, v0
	v_ffbh_u32_e32 v4, v1
	v_min_u32_e32 v4, 32, v4
	v_sub_u32_e64 v4, v4, 4 clamp
	v_lshlrev_b32_e32 v6, v4, v1
	v_lshlrev_b32_e32 v4, 23, v4
	v_lshrrev_b32_e32 v6, 4, v6
	v_add_u32_e32 v5, 0x1000000, v1
	v_sub_u32_e32 v4, v6, v4
	v_ashrrev_i32_e32 v5, 8, v5
	v_add_u32_e32 v4, 0x3c000000, v4
	v_and_or_b32 v4, v5, s44, v4
	v_cmp_ne_u32_e32 vcc, 0, v1
	v_cndmask_b32_e32 v1, 0, v4, vcc
	s_brev_b32 s44, 1
	v_and_or_b32 v0, v0, s44, v1
	v_cvt_i32_f32_e32 v0, v0
.LBB46_1200:
	s_mov_b64 s[44:45], 0
.LBB46_1201:
	s_andn2_b64 vcc, exec, s[44:45]
	s_cbranch_vccnz .LBB46_1203
; %bb.1202:
	global_load_ubyte v0, v[2:3], off
	s_movk_i32 s44, 0x7f00
	s_brev_b32 s45, 16
	s_waitcnt vmcnt(0)
	v_lshlrev_b16_e32 v1, 8, v0
	v_lshlrev_b32_e32 v0, 25, v0
	v_lshrrev_b32_e32 v4, 4, v0
	v_and_or_b32 v5, v1, s44, 0.5
	v_or_b32_e32 v4, 0x70000000, v4
	v_add_f32_e32 v5, -0.5, v5
	v_mul_f32_e32 v4, 0x7800000, v4
	v_cmp_gt_u32_e32 vcc, s45, v0
	v_bfe_i32 v1, v1, 0, 16
	v_cndmask_b32_e32 v0, v4, v5, vcc
	s_brev_b32 s44, 1
	v_and_or_b32 v0, v1, s44, v0
	v_cvt_i32_f32_e32 v0, v0
.LBB46_1203:
	s_mov_b64 s[44:45], 0
	s_mov_b64 s[46:47], -1
.LBB46_1204:
	s_andn2_b64 vcc, exec, s[44:45]
	s_mov_b64 s[44:45], 0
	s_cbranch_vccnz .LBB46_1215
; %bb.1205:
	s_cmp_gt_i32 s50, 14
	s_cbranch_scc0 .LBB46_1208
; %bb.1206:
	s_cmp_eq_u32 s50, 15
	s_cbranch_scc0 .LBB46_1211
; %bb.1207:
	global_load_ushort v0, v[2:3], off
	s_mov_b64 s[42:43], 0
	s_mov_b64 s[46:47], -1
	s_waitcnt vmcnt(0)
	v_lshlrev_b32_e32 v0, 16, v0
	v_cvt_i32_f32_e32 v0, v0
	s_branch .LBB46_1212
.LBB46_1208:
	s_mov_b64 s[48:49], -1
                                        ; implicit-def: $vgpr0
	s_branch .LBB46_1213
.LBB46_1209:
	s_andn2_saveexec_b64 s[44:45], s[44:45]
	s_cbranch_execz .LBB46_1190
.LBB46_1210:
	v_cmp_ne_u16_e32 vcc, 0, v1
	s_andn2_b64 s[46:47], s[46:47], exec
	s_and_b64 s[48:49], vcc, exec
	s_or_b64 s[46:47], s[46:47], s[48:49]
	s_or_b64 exec, exec, s[44:45]
	v_mov_b32_e32 v0, 0
	s_and_saveexec_b64 s[44:45], s[46:47]
	s_cbranch_execnz .LBB46_1191
	s_branch .LBB46_1192
.LBB46_1211:
	s_mov_b64 s[42:43], -1
                                        ; implicit-def: $vgpr0
.LBB46_1212:
	s_mov_b64 s[48:49], 0
.LBB46_1213:
	s_and_b64 vcc, exec, s[48:49]
	s_cbranch_vccz .LBB46_1215
; %bb.1214:
	s_cmp_lg_u32 s50, 11
	s_cselect_b64 s[48:49], -1, 0
	s_andn2_b64 s[42:43], s[42:43], exec
	s_and_b64 s[48:49], s[48:49], exec
	s_mov_b64 s[44:45], -1
	s_or_b64 s[42:43], s[42:43], s[48:49]
.LBB46_1215:
	s_mov_b64 s[48:49], 0
.LBB46_1216:
	s_and_b64 s[52:53], s[46:47], exec
	s_and_b64 s[46:47], s[44:45], exec
	s_andn2_b64 s[44:45], s[0:1], exec
	s_and_b64 s[42:43], s[42:43], exec
	s_and_b64 s[50:51], s[48:49], exec
	s_or_b64 s[48:49], s[44:45], s[42:43]
.LBB46_1217:
	s_or_b64 exec, exec, s[36:37]
	s_and_b64 s[42:43], s[46:47], exec
	s_andn2_b64 s[0:1], s[0:1], exec
	s_and_b64 s[46:47], s[48:49], exec
	s_and_b64 s[44:45], s[52:53], exec
	;; [unrolled: 1-line block ×3, first 2 shown]
	s_or_b64 s[0:1], s[0:1], s[46:47]
.LBB46_1218:
	s_or_b64 exec, exec, s[34:35]
	s_andn2_b64 s[28:29], s[28:29], exec
	s_and_b64 s[34:35], s[40:41], exec
	s_or_b64 s[28:29], s[28:29], s[34:35]
	s_andn2_b64 s[26:27], s[26:27], exec
	s_and_b64 s[34:35], s[38:39], exec
	s_andn2_b64 s[24:25], s[24:25], exec
	s_and_b64 s[0:1], s[0:1], exec
	s_or_b64 s[26:27], s[26:27], s[34:35]
	s_and_b64 s[38:39], s[44:45], exec
	s_and_b64 s[36:37], s[36:37], exec
	;; [unrolled: 1-line block ×3, first 2 shown]
	s_or_b64 s[24:25], s[24:25], s[0:1]
.LBB46_1219:
	s_or_b64 exec, exec, s[30:31]
	s_andn2_b64 s[0:1], s[6:7], exec
	s_and_b64 s[6:7], s[28:29], exec
	s_or_b64 s[6:7], s[0:1], s[6:7]
	s_andn2_b64 s[0:1], s[18:19], exec
	s_and_b64 s[18:19], s[26:27], exec
	s_or_b64 s[18:19], s[0:1], s[18:19]
	s_andn2_b64 s[0:1], s[20:21], exec
	s_and_b64 s[20:21], s[24:25], exec
	s_and_b64 s[28:29], s[38:39], exec
	;; [unrolled: 1-line block ×4, first 2 shown]
	s_or_b64 s[20:21], s[0:1], s[20:21]
	s_or_b64 exec, exec, s[22:23]
	s_mov_b64 s[22:23], 0
	s_and_saveexec_b64 s[0:1], s[20:21]
	s_cbranch_execz .LBB46_385
.LBB46_1220:
	s_mov_b64 s[22:23], exec
	s_andn2_b64 s[26:27], s[26:27], exec
	s_trap 2
	s_or_b64 exec, exec, s[0:1]
	s_and_saveexec_b64 s[0:1], s[26:27]
	s_xor_b64 s[0:1], exec, s[0:1]
	s_cbranch_execnz .LBB46_386
.LBB46_1221:
	s_or_b64 exec, exec, s[0:1]
	s_and_saveexec_b64 s[0:1], s[30:31]
	s_cbranch_execz .LBB46_1267
.LBB46_1222:
	s_sext_i32_i16 s20, s55
	s_cmp_lt_i32 s20, 5
	s_cbranch_scc1 .LBB46_1227
; %bb.1223:
	s_cmp_lt_i32 s20, 8
	s_cbranch_scc1 .LBB46_1228
; %bb.1224:
	;; [unrolled: 3-line block ×3, first 2 shown]
	s_cmp_gt_i32 s20, 9
	s_cbranch_scc0 .LBB46_1230
; %bb.1226:
	s_waitcnt vmcnt(0)
	global_load_dwordx2 v[0:1], v[2:3], off
	s_mov_b64 s[20:21], 0
	s_waitcnt vmcnt(0)
	v_cvt_i32_f64_e32 v0, v[0:1]
	s_branch .LBB46_1231
.LBB46_1227:
                                        ; implicit-def: $vgpr0
	s_branch .LBB46_1248
.LBB46_1228:
                                        ; implicit-def: $vgpr0
	s_branch .LBB46_1237
.LBB46_1229:
	s_mov_b64 s[20:21], -1
                                        ; implicit-def: $vgpr0
	s_branch .LBB46_1234
.LBB46_1230:
	s_mov_b64 s[20:21], -1
                                        ; implicit-def: $vgpr0
.LBB46_1231:
	s_andn2_b64 vcc, exec, s[20:21]
	s_cbranch_vccnz .LBB46_1233
; %bb.1232:
	s_waitcnt vmcnt(0)
	global_load_dword v0, v[2:3], off
	s_waitcnt vmcnt(0)
	v_cvt_i32_f32_e32 v0, v0
.LBB46_1233:
	s_mov_b64 s[20:21], 0
.LBB46_1234:
	s_andn2_b64 vcc, exec, s[20:21]
	s_cbranch_vccnz .LBB46_1236
; %bb.1235:
	s_waitcnt vmcnt(0)
	global_load_dword v0, v[2:3], off
	s_waitcnt vmcnt(0)
	v_cvt_i16_f16_e32 v0, v0
.LBB46_1236:
	s_cbranch_execnz .LBB46_1247
.LBB46_1237:
	s_sext_i32_i16 s20, s55
	s_cmp_lt_i32 s20, 6
	s_cbranch_scc1 .LBB46_1240
; %bb.1238:
	s_cmp_gt_i32 s20, 6
	s_cbranch_scc0 .LBB46_1241
; %bb.1239:
	s_waitcnt vmcnt(0)
	global_load_dwordx2 v[0:1], v[2:3], off
	s_mov_b64 s[20:21], 0
	s_waitcnt vmcnt(0)
	v_cvt_i32_f64_e32 v0, v[0:1]
	s_branch .LBB46_1242
.LBB46_1240:
	s_mov_b64 s[20:21], -1
                                        ; implicit-def: $vgpr0
	s_branch .LBB46_1245
.LBB46_1241:
	s_mov_b64 s[20:21], -1
                                        ; implicit-def: $vgpr0
.LBB46_1242:
	s_andn2_b64 vcc, exec, s[20:21]
	s_cbranch_vccnz .LBB46_1244
; %bb.1243:
	s_waitcnt vmcnt(0)
	global_load_dword v0, v[2:3], off
	s_waitcnt vmcnt(0)
	v_cvt_i32_f32_e32 v0, v0
.LBB46_1244:
	s_mov_b64 s[20:21], 0
.LBB46_1245:
	s_andn2_b64 vcc, exec, s[20:21]
	s_cbranch_vccnz .LBB46_1247
; %bb.1246:
	s_waitcnt vmcnt(0)
	global_load_ushort v0, v[2:3], off
	s_waitcnt vmcnt(0)
	v_cvt_i16_f16_e32 v0, v0
.LBB46_1247:
	s_cbranch_execnz .LBB46_1266
.LBB46_1248:
	s_sext_i32_i16 s20, s55
	s_cmp_lt_i32 s20, 2
	s_cbranch_scc1 .LBB46_1252
; %bb.1249:
	s_cmp_lt_i32 s20, 3
	s_cbranch_scc1 .LBB46_1253
; %bb.1250:
	s_cmp_gt_i32 s20, 3
	s_cbranch_scc0 .LBB46_1254
; %bb.1251:
	s_waitcnt vmcnt(0)
	global_load_dwordx2 v[0:1], v[2:3], off
	s_mov_b64 s[20:21], 0
	s_branch .LBB46_1255
.LBB46_1252:
                                        ; implicit-def: $vgpr0
	s_branch .LBB46_1261
.LBB46_1253:
	s_mov_b64 s[20:21], -1
                                        ; implicit-def: $vgpr0
	s_branch .LBB46_1258
.LBB46_1254:
	s_mov_b64 s[20:21], -1
                                        ; implicit-def: $vgpr0
.LBB46_1255:
	s_andn2_b64 vcc, exec, s[20:21]
	s_cbranch_vccnz .LBB46_1257
; %bb.1256:
	s_waitcnt vmcnt(0)
	global_load_dword v0, v[2:3], off
.LBB46_1257:
	s_mov_b64 s[20:21], 0
.LBB46_1258:
	s_andn2_b64 vcc, exec, s[20:21]
	s_cbranch_vccnz .LBB46_1260
; %bb.1259:
	s_waitcnt vmcnt(0)
	global_load_ushort v0, v[2:3], off
.LBB46_1260:
	s_cbranch_execnz .LBB46_1266
.LBB46_1261:
	s_sext_i32_i16 s20, s55
	s_cmp_gt_i32 s20, 0
	s_cbranch_scc0 .LBB46_1263
; %bb.1262:
	s_waitcnt vmcnt(0)
	global_load_ubyte v0, v[2:3], off
	s_mov_b64 s[20:21], 0
	s_branch .LBB46_1264
.LBB46_1263:
	s_mov_b64 s[20:21], -1
                                        ; implicit-def: $vgpr0
.LBB46_1264:
	s_andn2_b64 vcc, exec, s[20:21]
	s_cbranch_vccnz .LBB46_1266
; %bb.1265:
	s_waitcnt vmcnt(0)
	global_load_ubyte v0, v[2:3], off
.LBB46_1266:
	s_or_b64 s[28:29], s[28:29], exec
.LBB46_1267:
	s_or_b64 exec, exec, s[0:1]
	s_mov_b64 s[26:27], 0
	s_mov_b64 s[30:31], 0
	;; [unrolled: 1-line block ×3, first 2 shown]
                                        ; implicit-def: $sgpr34
                                        ; implicit-def: $vgpr1_vgpr2
                                        ; implicit-def: $vgpr3
	s_and_saveexec_b64 s[0:1], s[28:29]
	s_cbranch_execz .LBB46_1275
; %bb.1268:
	s_waitcnt vmcnt(0)
	v_mul_lo_u32 v1, v14, s14
	v_mov_b32_e32 v2, s3
	s_and_b32 s34, s15, 0xff
	s_cmp_lt_i32 s34, 11
	v_ashrrev_i32_e32 v3, 31, v1
	v_add_co_u32_e32 v1, vcc, s2, v1
	v_addc_co_u32_e32 v2, vcc, v2, v3, vcc
	s_cbranch_scc1 .LBB46_1278
; %bb.1269:
	s_and_b32 s30, 0xffff, s34
	s_cmp_gt_i32 s30, 25
	s_cbranch_scc0 .LBB46_1279
; %bb.1270:
	s_cmp_gt_i32 s30, 28
	s_cbranch_scc0 .LBB46_1280
; %bb.1271:
	;; [unrolled: 3-line block ×4, first 2 shown]
	s_cmp_eq_u32 s30, 46
	s_mov_b64 s[28:29], 0
	s_cbranch_scc0 .LBB46_1283
; %bb.1274:
	global_load_dword v3, v[1:2], off
	s_mov_b64 s[20:21], 0
	s_mov_b64 s[24:25], -1
	s_waitcnt vmcnt(0)
	v_lshlrev_b32_e32 v3, 16, v3
	v_cvt_i32_f32_e32 v3, v3
	s_branch .LBB46_1285
.LBB46_1275:
	s_or_b64 exec, exec, s[0:1]
	s_and_saveexec_b64 s[0:1], s[18:19]
	s_cbranch_execnz .LBB46_1344
.LBB46_1276:
	s_or_b64 exec, exec, s[0:1]
	s_and_saveexec_b64 s[0:1], s[26:27]
	s_xor_b64 s[0:1], exec, s[0:1]
	s_cbranch_execz .LBB46_1345
.LBB46_1277:
	s_waitcnt vmcnt(0)
	global_load_ubyte v3, v[1:2], off
	s_or_b64 s[24:25], s[24:25], exec
	s_waitcnt vmcnt(0)
	v_cmp_ne_u16_e32 vcc, 0, v3
	v_cndmask_b32_e64 v3, 0, 1, vcc
	s_or_b64 exec, exec, s[0:1]
	s_and_saveexec_b64 s[0:1], s[30:31]
	s_cbranch_execz .LBB46_1391
	s_branch .LBB46_1346
.LBB46_1278:
	s_mov_b64 s[28:29], -1
                                        ; implicit-def: $vgpr3
	s_mov_b64 s[20:21], s[18:19]
	s_branch .LBB46_1343
.LBB46_1279:
	s_mov_b64 s[20:21], s[18:19]
                                        ; implicit-def: $vgpr3
	s_cbranch_execnz .LBB46_1312
	s_branch .LBB46_1342
.LBB46_1280:
	s_mov_b64 s[28:29], -1
	s_mov_b64 s[20:21], s[18:19]
                                        ; implicit-def: $vgpr3
	s_branch .LBB46_1295
.LBB46_1281:
	s_mov_b64 s[28:29], -1
	s_mov_b64 s[20:21], s[18:19]
                                        ; implicit-def: $vgpr3
	s_branch .LBB46_1290
.LBB46_1282:
	s_mov_b64 s[28:29], -1
	s_mov_b64 s[20:21], s[18:19]
	s_branch .LBB46_1284
.LBB46_1283:
	s_mov_b64 s[20:21], -1
.LBB46_1284:
                                        ; implicit-def: $vgpr3
.LBB46_1285:
	s_and_b64 vcc, exec, s[28:29]
	s_cbranch_vccz .LBB46_1289
; %bb.1286:
	s_cmp_eq_u32 s30, 44
	s_cbranch_scc0 .LBB46_1288
; %bb.1287:
	global_load_ubyte v3, v[1:2], off
	s_mov_b64 s[20:21], 0
	s_mov_b64 s[24:25], -1
	s_waitcnt vmcnt(0)
	v_lshlrev_b32_e32 v4, 23, v3
	v_cvt_i32_f32_e32 v4, v4
	v_cmp_ne_u32_e32 vcc, 0, v3
	v_cndmask_b32_e32 v3, 0, v4, vcc
	s_branch .LBB46_1289
.LBB46_1288:
	s_mov_b64 s[20:21], -1
                                        ; implicit-def: $vgpr3
.LBB46_1289:
	s_mov_b64 s[28:29], 0
.LBB46_1290:
	s_and_b64 vcc, exec, s[28:29]
	s_cbranch_vccz .LBB46_1294
; %bb.1291:
	s_cmp_eq_u32 s30, 29
	s_cbranch_scc0 .LBB46_1293
; %bb.1292:
	global_load_dwordx2 v[3:4], v[1:2], off
	s_mov_b64 s[20:21], 0
	s_mov_b64 s[24:25], -1
	s_branch .LBB46_1294
.LBB46_1293:
	s_mov_b64 s[20:21], -1
                                        ; implicit-def: $vgpr3
.LBB46_1294:
	s_mov_b64 s[28:29], 0
.LBB46_1295:
	s_and_b64 vcc, exec, s[28:29]
	s_cbranch_vccz .LBB46_1311
; %bb.1296:
	s_cmp_lt_i32 s30, 27
	s_cbranch_scc1 .LBB46_1299
; %bb.1297:
	s_cmp_gt_i32 s30, 27
	s_cbranch_scc0 .LBB46_1300
; %bb.1298:
	global_load_dword v3, v[1:2], off
	s_mov_b64 s[24:25], 0
	s_branch .LBB46_1301
.LBB46_1299:
	s_mov_b64 s[24:25], -1
                                        ; implicit-def: $vgpr3
	s_branch .LBB46_1304
.LBB46_1300:
	s_mov_b64 s[24:25], -1
                                        ; implicit-def: $vgpr3
.LBB46_1301:
	s_andn2_b64 vcc, exec, s[24:25]
	s_cbranch_vccnz .LBB46_1303
; %bb.1302:
	global_load_ushort v3, v[1:2], off
.LBB46_1303:
	s_mov_b64 s[24:25], 0
.LBB46_1304:
	s_andn2_b64 vcc, exec, s[24:25]
	s_cbranch_vccnz .LBB46_1310
; %bb.1305:
	global_load_ubyte v4, v[1:2], off
	s_movk_i32 s24, 0x7f
	s_mov_b64 s[28:29], 0
	s_waitcnt vmcnt(0)
	v_cmp_lt_i16_e32 vcc, s24, v4
	s_and_saveexec_b64 s[24:25], vcc
	s_xor_b64 s[24:25], exec, s[24:25]
	s_cbranch_execz .LBB46_1321
; %bb.1306:
	s_movk_i32 s28, 0x80
	v_cmp_ne_u16_e32 vcc, s28, v4
	s_and_b64 s[28:29], vcc, exec
	s_andn2_saveexec_b64 s[24:25], s[24:25]
	s_cbranch_execnz .LBB46_1322
.LBB46_1307:
	s_or_b64 exec, exec, s[24:25]
	v_mov_b32_e32 v3, 0
	s_and_saveexec_b64 s[24:25], s[28:29]
	s_cbranch_execz .LBB46_1309
.LBB46_1308:
	v_lshlrev_b32_e32 v3, 24, v4
	v_and_b32_e32 v4, 0xffff, v4
	v_and_b32_e32 v5, 7, v4
	v_ffbh_u32_e32 v7, v5
	v_min_u32_e32 v7, 32, v7
	v_subrev_u32_e32 v8, 28, v7
	v_bfe_u32 v6, v4, 3, 4
	v_lshlrev_b32_e32 v4, v8, v4
	v_sub_u32_e32 v7, 29, v7
	v_and_b32_e32 v4, 7, v4
	v_cmp_eq_u32_e32 vcc, 0, v6
	v_cndmask_b32_e32 v6, v6, v7, vcc
	v_cndmask_b32_e32 v4, v5, v4, vcc
	v_mov_b32_e32 v5, 0x3b800000
	v_lshlrev_b32_e32 v4, 20, v4
	v_and_b32_e32 v3, 0x80000000, v3
	v_lshl_add_u32 v5, v6, 23, v5
	v_or3_b32 v3, v3, v5, v4
	v_cvt_i32_f32_e32 v3, v3
.LBB46_1309:
	s_or_b64 exec, exec, s[24:25]
.LBB46_1310:
	s_mov_b64 s[24:25], -1
.LBB46_1311:
	s_branch .LBB46_1342
.LBB46_1312:
	s_cmp_gt_i32 s30, 22
	s_cbranch_scc0 .LBB46_1320
; %bb.1313:
	s_cmp_lt_i32 s30, 24
	s_cbranch_scc1 .LBB46_1323
; %bb.1314:
	s_cmp_gt_i32 s30, 24
	s_cbranch_scc0 .LBB46_1324
; %bb.1315:
	global_load_ubyte v4, v[1:2], off
	s_movk_i32 s24, 0x7f
	s_waitcnt vmcnt(0)
	v_cmp_lt_i16_e32 vcc, s24, v4
	s_and_saveexec_b64 s[24:25], vcc
	s_xor_b64 s[24:25], exec, s[24:25]
	s_cbranch_execz .LBB46_1336
; %bb.1316:
	s_movk_i32 s26, 0x80
	v_cmp_ne_u16_e32 vcc, s26, v4
	s_and_b64 s[26:27], vcc, exec
	s_andn2_saveexec_b64 s[24:25], s[24:25]
	s_cbranch_execnz .LBB46_1337
.LBB46_1317:
	s_or_b64 exec, exec, s[24:25]
	v_mov_b32_e32 v3, 0
	s_and_saveexec_b64 s[24:25], s[26:27]
	s_cbranch_execz .LBB46_1319
.LBB46_1318:
	v_lshlrev_b32_e32 v3, 24, v4
	v_and_b32_e32 v4, 0xffff, v4
	v_and_b32_e32 v5, 3, v4
	v_ffbh_u32_e32 v7, v5
	v_min_u32_e32 v7, 32, v7
	v_subrev_u32_e32 v8, 29, v7
	v_bfe_u32 v6, v4, 2, 5
	v_lshlrev_b32_e32 v4, v8, v4
	v_sub_u32_e32 v7, 30, v7
	v_and_b32_e32 v4, 3, v4
	v_cmp_eq_u32_e32 vcc, 0, v6
	v_cndmask_b32_e32 v6, v6, v7, vcc
	v_cndmask_b32_e32 v4, v5, v4, vcc
	v_mov_b32_e32 v5, 0x37800000
	v_lshlrev_b32_e32 v4, 21, v4
	v_and_b32_e32 v3, 0x80000000, v3
	v_lshl_add_u32 v5, v6, 23, v5
	v_or3_b32 v3, v3, v5, v4
	v_cvt_i32_f32_e32 v3, v3
.LBB46_1319:
	s_or_b64 exec, exec, s[24:25]
	s_mov_b64 s[24:25], 0
	s_branch .LBB46_1325
.LBB46_1320:
	s_mov_b64 s[26:27], -1
                                        ; implicit-def: $vgpr3
	s_branch .LBB46_1331
.LBB46_1321:
	s_andn2_saveexec_b64 s[24:25], s[24:25]
	s_cbranch_execz .LBB46_1307
.LBB46_1322:
	v_cmp_ne_u16_e32 vcc, 0, v4
	s_andn2_b64 s[28:29], s[28:29], exec
	s_and_b64 s[36:37], vcc, exec
	s_or_b64 s[28:29], s[28:29], s[36:37]
	s_or_b64 exec, exec, s[24:25]
	v_mov_b32_e32 v3, 0
	s_and_saveexec_b64 s[24:25], s[28:29]
	s_cbranch_execnz .LBB46_1308
	s_branch .LBB46_1309
.LBB46_1323:
	s_mov_b64 s[24:25], -1
                                        ; implicit-def: $vgpr3
	s_branch .LBB46_1328
.LBB46_1324:
	s_mov_b64 s[24:25], -1
                                        ; implicit-def: $vgpr3
.LBB46_1325:
	s_and_b64 vcc, exec, s[24:25]
	s_cbranch_vccz .LBB46_1327
; %bb.1326:
	global_load_ubyte v3, v[1:2], off
	s_mov_b32 s24, 0x7f800000
	s_waitcnt vmcnt(0)
	v_lshlrev_b32_e32 v3, 24, v3
	v_and_b32_e32 v4, 0x7f000000, v3
	v_ffbh_u32_e32 v5, v4
	v_min_u32_e32 v5, 32, v5
	v_sub_u32_e64 v5, v5, 4 clamp
	v_lshlrev_b32_e32 v7, v5, v4
	v_lshlrev_b32_e32 v5, 23, v5
	v_lshrrev_b32_e32 v7, 4, v7
	v_add_u32_e32 v6, 0x1000000, v4
	v_sub_u32_e32 v5, v7, v5
	v_ashrrev_i32_e32 v6, 8, v6
	v_add_u32_e32 v5, 0x3c000000, v5
	v_and_or_b32 v5, v6, s24, v5
	v_cmp_ne_u32_e32 vcc, 0, v4
	v_cndmask_b32_e32 v4, 0, v5, vcc
	s_brev_b32 s24, 1
	v_and_or_b32 v3, v3, s24, v4
	v_cvt_i32_f32_e32 v3, v3
.LBB46_1327:
	s_mov_b64 s[24:25], 0
.LBB46_1328:
	s_andn2_b64 vcc, exec, s[24:25]
	s_cbranch_vccnz .LBB46_1330
; %bb.1329:
	global_load_ubyte v3, v[1:2], off
	s_movk_i32 s24, 0x7f00
	s_brev_b32 s25, 16
	s_waitcnt vmcnt(0)
	v_lshlrev_b16_e32 v4, 8, v3
	v_lshlrev_b32_e32 v3, 25, v3
	v_lshrrev_b32_e32 v5, 4, v3
	v_and_or_b32 v6, v4, s24, 0.5
	v_or_b32_e32 v5, 0x70000000, v5
	v_add_f32_e32 v6, -0.5, v6
	v_mul_f32_e32 v5, 0x7800000, v5
	v_cmp_gt_u32_e32 vcc, s25, v3
	v_bfe_i32 v4, v4, 0, 16
	v_cndmask_b32_e32 v3, v5, v6, vcc
	s_brev_b32 s24, 1
	v_and_or_b32 v3, v4, s24, v3
	v_cvt_i32_f32_e32 v3, v3
.LBB46_1330:
	s_mov_b64 s[26:27], 0
	s_mov_b64 s[24:25], -1
.LBB46_1331:
	s_andn2_b64 vcc, exec, s[26:27]
	s_mov_b64 s[26:27], 0
	s_cbranch_vccnz .LBB46_1342
; %bb.1332:
	s_cmp_gt_i32 s30, 14
	s_cbranch_scc0 .LBB46_1335
; %bb.1333:
	s_cmp_eq_u32 s30, 15
	s_cbranch_scc0 .LBB46_1338
; %bb.1334:
	global_load_ushort v3, v[1:2], off
	s_mov_b64 s[20:21], 0
	s_mov_b64 s[24:25], -1
	s_waitcnt vmcnt(0)
	v_lshlrev_b32_e32 v3, 16, v3
	v_cvt_i32_f32_e32 v3, v3
	s_branch .LBB46_1339
.LBB46_1335:
	s_mov_b64 s[28:29], -1
                                        ; implicit-def: $vgpr3
	s_branch .LBB46_1340
.LBB46_1336:
	s_andn2_saveexec_b64 s[24:25], s[24:25]
	s_cbranch_execz .LBB46_1317
.LBB46_1337:
	v_cmp_ne_u16_e32 vcc, 0, v4
	s_andn2_b64 s[26:27], s[26:27], exec
	s_and_b64 s[28:29], vcc, exec
	s_or_b64 s[26:27], s[26:27], s[28:29]
	s_or_b64 exec, exec, s[24:25]
	v_mov_b32_e32 v3, 0
	s_and_saveexec_b64 s[24:25], s[26:27]
	s_cbranch_execnz .LBB46_1318
	s_branch .LBB46_1319
.LBB46_1338:
	s_mov_b64 s[20:21], -1
                                        ; implicit-def: $vgpr3
.LBB46_1339:
	s_mov_b64 s[28:29], 0
.LBB46_1340:
	s_and_b64 vcc, exec, s[28:29]
	s_cbranch_vccz .LBB46_1342
; %bb.1341:
	s_cmp_lg_u32 s30, 11
	s_cselect_b64 s[28:29], -1, 0
	s_andn2_b64 s[20:21], s[20:21], exec
	s_and_b64 s[28:29], s[28:29], exec
	s_mov_b64 s[26:27], -1
	s_or_b64 s[20:21], s[20:21], s[28:29]
.LBB46_1342:
	s_mov_b64 s[28:29], 0
.LBB46_1343:
	s_andn2_b64 s[18:19], s[18:19], exec
	s_and_b64 s[20:21], s[20:21], exec
	s_and_b64 s[24:25], s[24:25], exec
	;; [unrolled: 1-line block ×4, first 2 shown]
	s_or_b64 s[18:19], s[18:19], s[20:21]
	s_or_b64 exec, exec, s[0:1]
	s_and_saveexec_b64 s[0:1], s[18:19]
	s_cbranch_execz .LBB46_1276
.LBB46_1344:
	s_or_b64 s[22:23], s[22:23], exec
	s_andn2_b64 s[26:27], s[26:27], exec
	s_trap 2
	s_or_b64 exec, exec, s[0:1]
	s_and_saveexec_b64 s[0:1], s[26:27]
	s_xor_b64 s[0:1], exec, s[0:1]
	s_cbranch_execnz .LBB46_1277
.LBB46_1345:
	s_or_b64 exec, exec, s[0:1]
	s_and_saveexec_b64 s[0:1], s[30:31]
	s_cbranch_execz .LBB46_1391
.LBB46_1346:
	s_sext_i32_i16 s18, s34
	s_cmp_lt_i32 s18, 5
	s_cbranch_scc1 .LBB46_1351
; %bb.1347:
	s_cmp_lt_i32 s18, 8
	s_cbranch_scc1 .LBB46_1352
; %bb.1348:
	;; [unrolled: 3-line block ×3, first 2 shown]
	s_cmp_gt_i32 s18, 9
	s_cbranch_scc0 .LBB46_1354
; %bb.1350:
	s_waitcnt vmcnt(0)
	global_load_dwordx2 v[3:4], v[1:2], off
	s_mov_b64 s[18:19], 0
	s_waitcnt vmcnt(0)
	v_cvt_i32_f64_e32 v3, v[3:4]
	s_branch .LBB46_1355
.LBB46_1351:
                                        ; implicit-def: $vgpr3
	s_branch .LBB46_1372
.LBB46_1352:
                                        ; implicit-def: $vgpr3
	s_branch .LBB46_1361
.LBB46_1353:
	s_mov_b64 s[18:19], -1
                                        ; implicit-def: $vgpr3
	s_branch .LBB46_1358
.LBB46_1354:
	s_mov_b64 s[18:19], -1
                                        ; implicit-def: $vgpr3
.LBB46_1355:
	s_andn2_b64 vcc, exec, s[18:19]
	s_cbranch_vccnz .LBB46_1357
; %bb.1356:
	s_waitcnt vmcnt(0)
	global_load_dword v3, v[1:2], off
	s_waitcnt vmcnt(0)
	v_cvt_i32_f32_e32 v3, v3
.LBB46_1357:
	s_mov_b64 s[18:19], 0
.LBB46_1358:
	s_andn2_b64 vcc, exec, s[18:19]
	s_cbranch_vccnz .LBB46_1360
; %bb.1359:
	s_waitcnt vmcnt(0)
	global_load_dword v3, v[1:2], off
	s_waitcnt vmcnt(0)
	v_cvt_i16_f16_e32 v3, v3
.LBB46_1360:
	s_cbranch_execnz .LBB46_1371
.LBB46_1361:
	s_sext_i32_i16 s18, s34
	s_cmp_lt_i32 s18, 6
	s_cbranch_scc1 .LBB46_1364
; %bb.1362:
	s_cmp_gt_i32 s18, 6
	s_cbranch_scc0 .LBB46_1365
; %bb.1363:
	s_waitcnt vmcnt(0)
	global_load_dwordx2 v[3:4], v[1:2], off
	s_mov_b64 s[18:19], 0
	s_waitcnt vmcnt(0)
	v_cvt_i32_f64_e32 v3, v[3:4]
	s_branch .LBB46_1366
.LBB46_1364:
	s_mov_b64 s[18:19], -1
                                        ; implicit-def: $vgpr3
	s_branch .LBB46_1369
.LBB46_1365:
	s_mov_b64 s[18:19], -1
                                        ; implicit-def: $vgpr3
.LBB46_1366:
	s_andn2_b64 vcc, exec, s[18:19]
	s_cbranch_vccnz .LBB46_1368
; %bb.1367:
	s_waitcnt vmcnt(0)
	global_load_dword v3, v[1:2], off
	s_waitcnt vmcnt(0)
	v_cvt_i32_f32_e32 v3, v3
.LBB46_1368:
	s_mov_b64 s[18:19], 0
.LBB46_1369:
	s_andn2_b64 vcc, exec, s[18:19]
	s_cbranch_vccnz .LBB46_1371
; %bb.1370:
	s_waitcnt vmcnt(0)
	global_load_ushort v3, v[1:2], off
	s_waitcnt vmcnt(0)
	v_cvt_i16_f16_e32 v3, v3
.LBB46_1371:
	s_cbranch_execnz .LBB46_1390
.LBB46_1372:
	s_sext_i32_i16 s18, s34
	s_cmp_lt_i32 s18, 2
	s_cbranch_scc1 .LBB46_1376
; %bb.1373:
	s_cmp_lt_i32 s18, 3
	s_cbranch_scc1 .LBB46_1377
; %bb.1374:
	s_cmp_gt_i32 s18, 3
	s_cbranch_scc0 .LBB46_1378
; %bb.1375:
	s_waitcnt vmcnt(0)
	global_load_dwordx2 v[3:4], v[1:2], off
	s_mov_b64 s[18:19], 0
	s_branch .LBB46_1379
.LBB46_1376:
                                        ; implicit-def: $vgpr3
	s_branch .LBB46_1385
.LBB46_1377:
	s_mov_b64 s[18:19], -1
                                        ; implicit-def: $vgpr3
	s_branch .LBB46_1382
.LBB46_1378:
	s_mov_b64 s[18:19], -1
                                        ; implicit-def: $vgpr3
.LBB46_1379:
	s_andn2_b64 vcc, exec, s[18:19]
	s_cbranch_vccnz .LBB46_1381
; %bb.1380:
	s_waitcnt vmcnt(0)
	global_load_dword v3, v[1:2], off
.LBB46_1381:
	s_mov_b64 s[18:19], 0
.LBB46_1382:
	s_andn2_b64 vcc, exec, s[18:19]
	s_cbranch_vccnz .LBB46_1384
; %bb.1383:
	s_waitcnt vmcnt(0)
	global_load_ushort v3, v[1:2], off
.LBB46_1384:
	s_cbranch_execnz .LBB46_1390
.LBB46_1385:
	s_sext_i32_i16 s18, s34
	s_cmp_gt_i32 s18, 0
	s_cbranch_scc0 .LBB46_1387
; %bb.1386:
	s_waitcnt vmcnt(0)
	global_load_ubyte v3, v[1:2], off
	s_mov_b64 s[18:19], 0
	s_branch .LBB46_1388
.LBB46_1387:
	s_mov_b64 s[18:19], -1
                                        ; implicit-def: $vgpr3
.LBB46_1388:
	s_andn2_b64 vcc, exec, s[18:19]
	s_cbranch_vccnz .LBB46_1390
; %bb.1389:
	s_waitcnt vmcnt(0)
	global_load_ubyte v3, v[1:2], off
.LBB46_1390:
	s_or_b64 s[24:25], s[24:25], exec
.LBB46_1391:
	s_or_b64 exec, exec, s[0:1]
	s_mov_b64 s[26:27], 0
	s_mov_b64 s[20:21], 0
                                        ; implicit-def: $sgpr30
                                        ; implicit-def: $vgpr1_vgpr2
                                        ; implicit-def: $vgpr4
	s_and_saveexec_b64 s[18:19], s[24:25]
	s_cbranch_execz .LBB46_1399
; %bb.1392:
	s_waitcnt vmcnt(0)
	v_mul_lo_u32 v1, v14, s12
	v_mov_b32_e32 v2, 8
	v_lshlrev_b32_e32 v0, v3, v0
	v_cmp_lt_u16_sdwa vcc, v3, v2 src0_sel:BYTE_0 src1_sel:DWORD
	v_cndmask_b32_e32 v4, 0, v0, vcc
	v_ashrrev_i32_e32 v0, 31, v1
	v_mov_b32_e32 v2, s9
	s_and_b32 s30, s33, 0xff
	v_add_co_u32_e32 v1, vcc, s8, v1
	s_cmp_lt_i32 s30, 11
	v_addc_co_u32_e32 v2, vcc, v2, v0, vcc
	s_cbranch_scc1 .LBB46_1402
; %bb.1393:
	s_and_b32 s31, 0xffff, s30
	s_mov_b64 s[24:25], -1
	s_cmp_gt_i32 s31, 25
	s_mov_b64 s[0:1], s[6:7]
	s_cbranch_scc0 .LBB46_1430
; %bb.1394:
	s_mov_b64 s[20:21], -1
	s_cmp_gt_i32 s31, 28
	s_mov_b64 s[0:1], s[6:7]
	s_cbranch_scc0 .LBB46_1414
; %bb.1395:
	s_cmp_gt_i32 s31, 43
	s_mov_b64 s[0:1], s[6:7]
	s_cbranch_scc0 .LBB46_1410
; %bb.1396:
	s_cmp_gt_i32 s31, 45
	s_mov_b64 s[0:1], s[6:7]
	s_cbranch_scc0 .LBB46_1404
; %bb.1397:
	s_cmp_eq_u32 s31, 46
	s_mov_b64 s[0:1], -1
	s_cbranch_scc0 .LBB46_1403
; %bb.1398:
	v_bfe_i32 v0, v4, 0, 8
	v_cvt_f32_i32_sdwa v0, sext(v0) dst_sel:DWORD dst_unused:UNUSED_PAD src0_sel:WORD_0
	s_movk_i32 s0, 0x7fff
	s_mov_b64 s[20:21], 0
	v_bfe_u32 v3, v0, 16, 1
	v_add3_u32 v0, v0, v3, s0
	v_lshrrev_b32_e32 v0, 16, v0
	global_store_dword v[1:2], v0, off
	s_mov_b64 s[0:1], 0
	s_branch .LBB46_1404
.LBB46_1399:
	s_or_b64 exec, exec, s[18:19]
	s_and_saveexec_b64 s[0:1], s[6:7]
	s_cbranch_execnz .LBB46_1472
.LBB46_1400:
	s_or_b64 exec, exec, s[0:1]
	s_and_saveexec_b64 s[0:1], s[26:27]
	s_xor_b64 s[0:1], exec, s[0:1]
	s_cbranch_execz .LBB46_1473
.LBB46_1401:
	s_waitcnt vmcnt(0)
	v_mov_b32_e32 v0, 0
	v_cmp_ne_u16_sdwa s[6:7], v4, v0 src0_sel:BYTE_0 src1_sel:DWORD
	v_cndmask_b32_e64 v0, 0, 1, s[6:7]
	global_store_byte v[1:2], v0, off
	s_or_b64 exec, exec, s[0:1]
	s_and_saveexec_b64 s[0:1], s[20:21]
	s_xor_b64 s[0:1], exec, s[0:1]
	s_cbranch_execz .LBB46_1511
	s_branch .LBB46_1474
.LBB46_1402:
	s_mov_b64 s[24:25], 0
	s_mov_b64 s[20:21], -1
	s_mov_b64 s[0:1], s[6:7]
	s_branch .LBB46_1471
.LBB46_1403:
	s_mov_b64 s[20:21], 0
.LBB46_1404:
	s_and_b64 vcc, exec, s[20:21]
	s_cbranch_vccz .LBB46_1409
; %bb.1405:
	s_cmp_eq_u32 s31, 44
	s_mov_b64 s[0:1], -1
	s_cbranch_scc0 .LBB46_1409
; %bb.1406:
	v_bfe_i32 v0, v4, 0, 8
	v_cvt_f32_i32_sdwa v0, sext(v0) dst_sel:DWORD dst_unused:UNUSED_PAD src0_sel:WORD_0
	s_movk_i32 s0, 0xff
	v_mov_b32_e32 v5, 0xff
	v_bfe_u32 v3, v0, 23, 8
	v_cmp_ne_u32_e32 vcc, s0, v3
	s_and_saveexec_b64 s[20:21], vcc
; %bb.1407:
	s_mov_b32 s0, 0x3fffff
	v_lshrrev_b32_e32 v5, 23, v0
	v_and_b32_e32 v6, 0x400000, v0
	v_and_or_b32 v0, v0, s0, v3
	v_cmp_ne_u32_e32 vcc, 0, v6
	v_cmp_ne_u32_e64 s[0:1], 0, v0
	s_and_b64 s[0:1], vcc, s[0:1]
	v_cndmask_b32_e64 v0, 0, 1, s[0:1]
	v_add_u32_e32 v5, v5, v0
; %bb.1408:
	s_or_b64 exec, exec, s[20:21]
	s_mov_b64 s[0:1], 0
	global_store_byte v[1:2], v5, off
.LBB46_1409:
	s_mov_b64 s[20:21], 0
.LBB46_1410:
	s_and_b64 vcc, exec, s[20:21]
	s_cbranch_vccz .LBB46_1413
; %bb.1411:
	s_cmp_eq_u32 s31, 29
	s_mov_b64 s[0:1], -1
	s_cbranch_scc0 .LBB46_1413
; %bb.1412:
	v_bfe_i32 v5, v4, 0, 8
	v_ashrrev_i32_e32 v6, 31, v5
	global_store_dwordx2 v[1:2], v[5:6], off
	s_mov_b64 s[0:1], 0
.LBB46_1413:
	s_mov_b64 s[20:21], 0
.LBB46_1414:
	s_and_b64 vcc, exec, s[20:21]
	s_cbranch_vccz .LBB46_1429
; %bb.1415:
	s_cmp_lt_i32 s31, 27
	s_mov_b64 s[20:21], -1
	s_cbranch_scc1 .LBB46_1421
; %bb.1416:
	s_cmp_gt_i32 s31, 27
	s_cbranch_scc0 .LBB46_1418
; %bb.1417:
	v_bfe_i32 v0, v4, 0, 8
	s_mov_b64 s[20:21], 0
	global_store_dword v[1:2], v0, off
.LBB46_1418:
	s_andn2_b64 vcc, exec, s[20:21]
	s_cbranch_vccnz .LBB46_1420
; %bb.1419:
	v_bfe_i32 v0, v4, 0, 8
	global_store_short v[1:2], v0, off
.LBB46_1420:
	s_mov_b64 s[20:21], 0
.LBB46_1421:
	s_andn2_b64 vcc, exec, s[20:21]
	s_cbranch_vccnz .LBB46_1429
; %bb.1422:
	v_bfe_i32 v0, v4, 0, 8
	v_cvt_f32_i32_sdwa v0, sext(v0) dst_sel:DWORD dst_unused:UNUSED_PAD src0_sel:WORD_0
	s_mov_b32 s20, 0x43800000
	v_mov_b32_e32 v5, 0x80
	v_and_b32_e32 v3, 0x7fffffff, v0
	v_cmp_gt_u32_e32 vcc, s20, v3
	s_and_saveexec_b64 s[20:21], vcc
	s_cbranch_execz .LBB46_1428
; %bb.1423:
	s_mov_b32 s24, 0x3bffffff
	v_cmp_lt_u32_e32 vcc, s24, v3
	s_mov_b64 s[24:25], 0
                                        ; implicit-def: $vgpr3
	s_and_saveexec_b64 s[26:27], vcc
	s_xor_b64 s[26:27], exec, s[26:27]
	s_cbranch_execz .LBB46_1526
; %bb.1424:
	v_bfe_u32 v3, v0, 20, 1
	s_mov_b32 s28, 0x487ffff
	v_add3_u32 v3, v0, v3, s28
	s_mov_b64 s[24:25], exec
	v_lshrrev_b32_e32 v3, 20, v3
	s_andn2_saveexec_b64 s[26:27], s[26:27]
	s_cbranch_execnz .LBB46_1527
.LBB46_1425:
	s_or_b64 exec, exec, s[26:27]
	v_mov_b32_e32 v5, 0
	s_and_saveexec_b64 s[26:27], s[24:25]
.LBB46_1426:
	v_lshrrev_b32_e32 v0, 24, v0
	s_movk_i32 s24, 0x80
	v_and_or_b32 v5, v0, s24, v3
.LBB46_1427:
	s_or_b64 exec, exec, s[26:27]
.LBB46_1428:
	s_or_b64 exec, exec, s[20:21]
	global_store_byte v[1:2], v5, off
.LBB46_1429:
	s_mov_b64 s[24:25], 0
.LBB46_1430:
	s_mov_b64 s[20:21], 0
	s_and_b64 vcc, exec, s[24:25]
	s_cbranch_vccz .LBB46_1470
; %bb.1431:
	s_cmp_gt_i32 s31, 22
	s_mov_b64 s[24:25], -1
	s_cbranch_scc0 .LBB46_1463
; %bb.1432:
	s_cmp_lt_i32 s31, 24
	s_cbranch_scc1 .LBB46_1452
; %bb.1433:
	s_cmp_gt_i32 s31, 24
	s_cbranch_scc0 .LBB46_1441
; %bb.1434:
	v_bfe_i32 v0, v4, 0, 8
	v_cvt_f32_i32_sdwa v0, sext(v0) dst_sel:DWORD dst_unused:UNUSED_PAD src0_sel:WORD_0
	s_mov_b32 s24, 0x47800000
	v_mov_b32_e32 v5, 0x80
	v_and_b32_e32 v3, 0x7fffffff, v0
	v_cmp_gt_u32_e32 vcc, s24, v3
	s_and_saveexec_b64 s[24:25], vcc
	s_cbranch_execz .LBB46_1440
; %bb.1435:
	s_mov_b32 s26, 0x37ffffff
	v_cmp_lt_u32_e32 vcc, s26, v3
	s_mov_b64 s[26:27], 0
                                        ; implicit-def: $vgpr3
	s_and_saveexec_b64 s[28:29], vcc
	s_xor_b64 s[28:29], exec, s[28:29]
	s_cbranch_execz .LBB46_1646
; %bb.1436:
	v_bfe_u32 v3, v0, 21, 1
	s_mov_b32 s34, 0x88fffff
	v_add3_u32 v3, v0, v3, s34
	s_mov_b64 s[26:27], exec
	v_lshrrev_b32_e32 v3, 21, v3
	s_andn2_saveexec_b64 s[28:29], s[28:29]
	s_cbranch_execnz .LBB46_1647
.LBB46_1437:
	s_or_b64 exec, exec, s[28:29]
	v_mov_b32_e32 v5, 0
	s_and_saveexec_b64 s[28:29], s[26:27]
.LBB46_1438:
	v_lshrrev_b32_e32 v0, 24, v0
	s_movk_i32 s26, 0x80
	v_and_or_b32 v5, v0, s26, v3
.LBB46_1439:
	s_or_b64 exec, exec, s[28:29]
.LBB46_1440:
	s_or_b64 exec, exec, s[24:25]
	s_mov_b64 s[24:25], 0
	global_store_byte v[1:2], v5, off
.LBB46_1441:
	s_and_b64 vcc, exec, s[24:25]
	s_cbranch_vccz .LBB46_1451
; %bb.1442:
	v_bfe_i32 v0, v4, 0, 8
	v_cvt_f32_i32_sdwa v0, sext(v0) dst_sel:DWORD dst_unused:UNUSED_PAD src0_sel:WORD_0
	s_mov_b32 s24, 0x43f00000
                                        ; implicit-def: $vgpr3
	v_and_b32_e32 v5, 0x7fffffff, v0
	v_cmp_gt_u32_e32 vcc, s24, v5
	s_and_saveexec_b64 s[24:25], vcc
	s_xor_b64 s[24:25], exec, s[24:25]
	s_cbranch_execz .LBB46_1448
; %bb.1443:
	s_mov_b32 s26, 0x3c7fffff
	v_cmp_lt_u32_e32 vcc, s26, v5
                                        ; implicit-def: $vgpr3
	s_and_saveexec_b64 s[26:27], vcc
	s_xor_b64 s[26:27], exec, s[26:27]
; %bb.1444:
	v_bfe_u32 v3, v0, 20, 1
	s_mov_b32 s28, 0x407ffff
	v_add3_u32 v3, v0, v3, s28
	v_lshrrev_b32_e32 v5, 20, v3
	v_and_b32_e32 v3, 0xff00000, v3
	s_mov_b32 s28, 0x7f00000
	v_mov_b32_e32 v6, 0x7e
	v_cmp_ne_u32_e32 vcc, s28, v3
	v_cndmask_b32_e32 v3, v6, v5, vcc
; %bb.1445:
	s_andn2_saveexec_b64 s[26:27], s[26:27]
; %bb.1446:
	s_mov_b32 s28, 0x46800000
	v_add_f32_e64 v3, |v0|, s28
; %bb.1447:
	s_or_b64 exec, exec, s[26:27]
                                        ; implicit-def: $vgpr5
.LBB46_1448:
	s_andn2_saveexec_b64 s[24:25], s[24:25]
; %bb.1449:
	s_mov_b32 s26, 0x7f800000
	v_mov_b32_e32 v3, 0x7e
	v_mov_b32_e32 v6, 0x7f
	v_cmp_lt_u32_e32 vcc, s26, v5
	v_cndmask_b32_e32 v3, v3, v6, vcc
; %bb.1450:
	s_or_b64 exec, exec, s[24:25]
	v_lshrrev_b32_e32 v0, 24, v0
	s_movk_i32 s24, 0x80
	v_and_or_b32 v0, v0, s24, v3
	global_store_byte v[1:2], v0, off
.LBB46_1451:
	s_mov_b64 s[24:25], 0
.LBB46_1452:
	s_andn2_b64 vcc, exec, s[24:25]
	s_cbranch_vccnz .LBB46_1462
; %bb.1453:
	v_bfe_i32 v0, v4, 0, 8
	v_cvt_f32_i32_sdwa v0, sext(v0) dst_sel:DWORD dst_unused:UNUSED_PAD src0_sel:WORD_0
	s_mov_b32 s24, 0x47800000
                                        ; implicit-def: $vgpr3
	v_and_b32_e32 v5, 0x7fffffff, v0
	v_cmp_gt_u32_e32 vcc, s24, v5
	s_and_saveexec_b64 s[24:25], vcc
	s_xor_b64 s[24:25], exec, s[24:25]
	s_cbranch_execz .LBB46_1459
; %bb.1454:
	s_mov_b32 s26, 0x387fffff
	v_cmp_lt_u32_e32 vcc, s26, v5
                                        ; implicit-def: $vgpr3
	s_and_saveexec_b64 s[26:27], vcc
	s_xor_b64 s[26:27], exec, s[26:27]
; %bb.1455:
	v_bfe_u32 v3, v0, 21, 1
	s_mov_b32 s28, 0x80fffff
	v_add3_u32 v3, v0, v3, s28
	v_lshrrev_b32_e32 v3, 21, v3
; %bb.1456:
	s_andn2_saveexec_b64 s[26:27], s[26:27]
; %bb.1457:
	s_mov_b32 s28, 0x43000000
	v_add_f32_e64 v3, |v0|, s28
; %bb.1458:
	s_or_b64 exec, exec, s[26:27]
                                        ; implicit-def: $vgpr5
.LBB46_1459:
	s_andn2_saveexec_b64 s[24:25], s[24:25]
; %bb.1460:
	s_mov_b32 s26, 0x7f800000
	v_mov_b32_e32 v3, 0x7c
	v_mov_b32_e32 v6, 0x7f
	v_cmp_lt_u32_e32 vcc, s26, v5
	v_cndmask_b32_e32 v3, v3, v6, vcc
; %bb.1461:
	s_or_b64 exec, exec, s[24:25]
	v_lshrrev_b32_e32 v0, 24, v0
	s_movk_i32 s24, 0x80
	v_and_or_b32 v0, v0, s24, v3
	global_store_byte v[1:2], v0, off
.LBB46_1462:
	s_mov_b64 s[24:25], 0
.LBB46_1463:
	s_andn2_b64 vcc, exec, s[24:25]
	s_mov_b64 s[24:25], 0
	s_cbranch_vccnz .LBB46_1471
; %bb.1464:
	s_cmp_gt_i32 s31, 14
	s_mov_b64 s[26:27], -1
	s_cbranch_scc0 .LBB46_1468
; %bb.1465:
	s_cmp_eq_u32 s31, 15
	s_mov_b64 s[0:1], -1
	s_cbranch_scc0 .LBB46_1467
; %bb.1466:
	v_bfe_i32 v0, v4, 0, 8
	v_cvt_f32_i32_sdwa v0, sext(v0) dst_sel:DWORD dst_unused:UNUSED_PAD src0_sel:WORD_0
	s_movk_i32 s0, 0x7fff
	v_bfe_u32 v3, v0, 16, 1
	v_add3_u32 v0, v0, v3, s0
	global_store_short_d16_hi v[1:2], v0, off
	s_mov_b64 s[0:1], 0
.LBB46_1467:
	s_mov_b64 s[26:27], 0
.LBB46_1468:
	s_and_b64 vcc, exec, s[26:27]
	s_cbranch_vccz .LBB46_1471
; %bb.1469:
	s_cmp_lg_u32 s31, 11
	s_cselect_b64 s[26:27], -1, 0
	s_andn2_b64 s[0:1], s[0:1], exec
	s_and_b64 s[26:27], s[26:27], exec
	s_mov_b64 s[24:25], -1
	s_or_b64 s[0:1], s[0:1], s[26:27]
	s_branch .LBB46_1471
.LBB46_1470:
	s_mov_b64 s[24:25], 0
.LBB46_1471:
	s_andn2_b64 s[6:7], s[6:7], exec
	s_and_b64 s[0:1], s[0:1], exec
	s_and_b64 s[20:21], s[20:21], exec
	;; [unrolled: 1-line block ×3, first 2 shown]
	s_or_b64 s[6:7], s[6:7], s[0:1]
	s_or_b64 exec, exec, s[18:19]
	s_and_saveexec_b64 s[0:1], s[6:7]
	s_cbranch_execz .LBB46_1400
.LBB46_1472:
	s_or_b64 s[22:23], s[22:23], exec
	s_andn2_b64 s[26:27], s[26:27], exec
	s_trap 2
	s_or_b64 exec, exec, s[0:1]
	s_and_saveexec_b64 s[0:1], s[26:27]
	s_xor_b64 s[0:1], exec, s[0:1]
	s_cbranch_execnz .LBB46_1401
.LBB46_1473:
	s_or_b64 exec, exec, s[0:1]
	s_and_saveexec_b64 s[0:1], s[20:21]
	s_xor_b64 s[0:1], exec, s[0:1]
	s_cbranch_execz .LBB46_1511
.LBB46_1474:
	s_sext_i32_i16 s18, s30
	s_cmp_lt_i32 s18, 5
	s_mov_b64 s[6:7], -1
	s_cbranch_scc1 .LBB46_1495
; %bb.1475:
	s_cmp_lt_i32 s18, 8
	s_cbranch_scc1 .LBB46_1485
; %bb.1476:
	s_cmp_lt_i32 s18, 9
	s_cbranch_scc1 .LBB46_1482
; %bb.1477:
	s_cmp_gt_i32 s18, 9
	s_cbranch_scc0 .LBB46_1479
; %bb.1478:
	s_waitcnt vmcnt(0)
	v_bfe_i32 v0, v4, 0, 8
	v_bfe_i32 v0, v0, 0, 16
	v_cvt_f64_i32_e32 v[5:6], v0
	v_mov_b32_e32 v7, 0
	v_mov_b32_e32 v8, v7
	s_mov_b64 s[6:7], 0
	global_store_dwordx4 v[1:2], v[5:8], off
.LBB46_1479:
	s_andn2_b64 vcc, exec, s[6:7]
	s_cbranch_vccnz .LBB46_1481
; %bb.1480:
	s_waitcnt vmcnt(0)
	v_bfe_i32 v0, v4, 0, 8
	v_cvt_f32_i32_sdwa v5, sext(v0) dst_sel:DWORD dst_unused:UNUSED_PAD src0_sel:WORD_0
	v_mov_b32_e32 v6, 0
	global_store_dwordx2 v[1:2], v[5:6], off
.LBB46_1481:
	s_mov_b64 s[6:7], 0
.LBB46_1482:
	s_andn2_b64 vcc, exec, s[6:7]
	s_cbranch_vccnz .LBB46_1484
; %bb.1483:
	s_waitcnt vmcnt(0)
	v_cvt_f16_i16_sdwa v0, sext(v4) dst_sel:DWORD dst_unused:UNUSED_PAD src0_sel:BYTE_0
	global_store_dword v[1:2], v0, off
.LBB46_1484:
	s_mov_b64 s[6:7], 0
.LBB46_1485:
	s_andn2_b64 vcc, exec, s[6:7]
	s_cbranch_vccnz .LBB46_1494
; %bb.1486:
	s_sext_i32_i16 s18, s30
	s_cmp_lt_i32 s18, 6
	s_mov_b64 s[6:7], -1
	s_cbranch_scc1 .LBB46_1492
; %bb.1487:
	s_cmp_gt_i32 s18, 6
	s_cbranch_scc0 .LBB46_1489
; %bb.1488:
	s_waitcnt vmcnt(0)
	v_bfe_i32 v0, v4, 0, 8
	v_bfe_i32 v0, v0, 0, 16
	v_cvt_f64_i32_e32 v[5:6], v0
	s_mov_b64 s[6:7], 0
	global_store_dwordx2 v[1:2], v[5:6], off
.LBB46_1489:
	s_andn2_b64 vcc, exec, s[6:7]
	s_cbranch_vccnz .LBB46_1491
; %bb.1490:
	s_waitcnt vmcnt(0)
	v_bfe_i32 v0, v4, 0, 8
	v_cvt_f32_i32_sdwa v0, sext(v0) dst_sel:DWORD dst_unused:UNUSED_PAD src0_sel:WORD_0
	global_store_dword v[1:2], v0, off
.LBB46_1491:
	s_mov_b64 s[6:7], 0
.LBB46_1492:
	s_andn2_b64 vcc, exec, s[6:7]
	s_cbranch_vccnz .LBB46_1494
; %bb.1493:
	s_waitcnt vmcnt(0)
	v_cvt_f16_i16_sdwa v0, sext(v4) dst_sel:DWORD dst_unused:UNUSED_PAD src0_sel:BYTE_0
	global_store_short v[1:2], v0, off
.LBB46_1494:
	s_mov_b64 s[6:7], 0
.LBB46_1495:
	s_andn2_b64 vcc, exec, s[6:7]
	s_cbranch_vccnz .LBB46_1511
; %bb.1496:
	s_sext_i32_i16 s18, s30
	s_cmp_lt_i32 s18, 2
	s_mov_b64 s[6:7], -1
	s_cbranch_scc1 .LBB46_1506
; %bb.1497:
	s_cmp_lt_i32 s18, 3
	s_cbranch_scc1 .LBB46_1503
; %bb.1498:
	s_cmp_gt_i32 s18, 3
	s_cbranch_scc0 .LBB46_1500
; %bb.1499:
	s_waitcnt vmcnt(0)
	v_bfe_i32 v5, v4, 0, 8
	v_ashrrev_i32_e32 v6, 31, v5
	s_mov_b64 s[6:7], 0
	global_store_dwordx2 v[1:2], v[5:6], off
.LBB46_1500:
	s_andn2_b64 vcc, exec, s[6:7]
	s_cbranch_vccnz .LBB46_1502
; %bb.1501:
	s_waitcnt vmcnt(0)
	v_bfe_i32 v0, v4, 0, 8
	global_store_dword v[1:2], v0, off
.LBB46_1502:
	s_mov_b64 s[6:7], 0
.LBB46_1503:
	s_andn2_b64 vcc, exec, s[6:7]
	s_cbranch_vccnz .LBB46_1505
; %bb.1504:
	s_waitcnt vmcnt(0)
	v_bfe_i32 v0, v4, 0, 8
	global_store_short v[1:2], v0, off
.LBB46_1505:
	s_mov_b64 s[6:7], 0
.LBB46_1506:
	s_andn2_b64 vcc, exec, s[6:7]
	s_cbranch_vccnz .LBB46_1511
; %bb.1507:
	s_sext_i32_i16 s6, s30
	s_cmp_gt_i32 s6, 0
	s_mov_b64 s[6:7], -1
	s_cbranch_scc0 .LBB46_1509
; %bb.1508:
	s_mov_b64 s[6:7], 0
	s_waitcnt vmcnt(0)
	global_store_byte v[1:2], v4, off
.LBB46_1509:
	s_andn2_b64 vcc, exec, s[6:7]
	s_cbranch_vccnz .LBB46_1511
; %bb.1510:
	s_waitcnt vmcnt(0)
	global_store_byte v[1:2], v4, off
.LBB46_1511:
	s_or_b64 exec, exec, s[0:1]
	s_and_b64 s[6:7], s[22:23], exec
                                        ; implicit-def: $vgpr14
.LBB46_1512:
	s_or_saveexec_b64 s[4:5], s[4:5]
	s_mov_b64 s[0:1], 0
                                        ; implicit-def: $sgpr20
                                        ; implicit-def: $vgpr0_vgpr1
                                        ; implicit-def: $vgpr2
	s_xor_b64 exec, exec, s[4:5]
	s_cbranch_execz .LBB46_2949
; %bb.1513:
	v_mul_lo_u32 v5, s13, v14
	s_waitcnt vmcnt(0)
	v_mov_b32_e32 v0, s11
	s_and_b32 s24, s54, 0xff
	s_cmp_lt_i32 s24, 11
	v_ashrrev_i32_e32 v1, 31, v5
	v_add_co_u32_e32 v2, vcc, s10, v5
	v_addc_co_u32_e32 v3, vcc, v0, v1, vcc
	s_cbranch_scc1 .LBB46_1520
; %bb.1514:
	s_and_b32 s22, 0xffff, s24
	s_cmp_gt_i32 s22, 25
	s_cbranch_scc0 .LBB46_1522
; %bb.1515:
	s_cmp_gt_i32 s22, 28
	s_cbranch_scc0 .LBB46_1523
; %bb.1516:
	;; [unrolled: 3-line block ×4, first 2 shown]
	s_cmp_eq_u32 s22, 46
	s_mov_b64 s[18:19], 0
	s_cbranch_scc0 .LBB46_1528
; %bb.1519:
	global_load_dword v0, v[2:3], off
	s_mov_b64 s[20:21], -1
	s_waitcnt vmcnt(0)
	v_lshlrev_b32_e32 v0, 16, v0
	v_cvt_i32_f32_e32 v0, v0
	s_branch .LBB46_1529
.LBB46_1520:
	s_mov_b64 s[20:21], 0
                                        ; implicit-def: $vgpr0
	s_mov_b64 s[18:19], s[6:7]
	s_cbranch_execnz .LBB46_1587
.LBB46_1521:
	s_andn2_b64 vcc, exec, s[20:21]
	s_cbranch_vccz .LBB46_1632
	s_branch .LBB46_2947
.LBB46_1522:
	s_mov_b64 s[20:21], 0
                                        ; implicit-def: $vgpr0
	s_cbranch_execnz .LBB46_1554
	s_branch .LBB46_1583
.LBB46_1523:
	s_mov_b64 s[20:21], 0
                                        ; implicit-def: $vgpr0
	s_cbranch_execz .LBB46_1553
	s_branch .LBB46_1538
.LBB46_1524:
	s_mov_b64 s[20:21], 0
                                        ; implicit-def: $vgpr0
	s_cbranch_execnz .LBB46_1534
	s_branch .LBB46_1537
.LBB46_1525:
	s_mov_b64 s[18:19], -1
	s_mov_b64 s[20:21], 0
                                        ; implicit-def: $vgpr0
	s_branch .LBB46_1529
.LBB46_1526:
	s_andn2_saveexec_b64 s[26:27], s[26:27]
	s_cbranch_execz .LBB46_1425
.LBB46_1527:
	s_mov_b32 s28, 0x46000000
	v_add_f32_e64 v3, |v0|, s28
	v_and_b32_e32 v3, 0xff, v3
	v_cmp_ne_u32_e32 vcc, 0, v3
	s_andn2_b64 s[24:25], s[24:25], exec
	s_and_b64 s[28:29], vcc, exec
	s_or_b64 s[24:25], s[24:25], s[28:29]
	s_or_b64 exec, exec, s[26:27]
	v_mov_b32_e32 v5, 0
	s_and_saveexec_b64 s[26:27], s[24:25]
	s_cbranch_execnz .LBB46_1426
	s_branch .LBB46_1427
.LBB46_1528:
	s_mov_b64 s[0:1], -1
                                        ; implicit-def: $vgpr0
	s_mov_b64 s[20:21], 0
.LBB46_1529:
	s_and_b64 vcc, exec, s[18:19]
	s_cbranch_vccz .LBB46_1532
; %bb.1530:
	s_cmp_eq_u32 s22, 44
	s_cbranch_scc0 .LBB46_1533
; %bb.1531:
	global_load_ubyte v0, v[2:3], off
	s_mov_b64 s[0:1], 0
	s_mov_b64 s[20:21], -1
	s_waitcnt vmcnt(0)
	v_lshlrev_b32_e32 v1, 23, v0
	v_cvt_i32_f32_e32 v1, v1
	v_cmp_ne_u32_e32 vcc, 0, v0
	v_cndmask_b32_e32 v0, 0, v1, vcc
.LBB46_1532:
	s_branch .LBB46_1537
.LBB46_1533:
	s_mov_b64 s[0:1], -1
                                        ; implicit-def: $vgpr0
	s_branch .LBB46_1537
.LBB46_1534:
	s_cmp_eq_u32 s22, 29
	s_cbranch_scc0 .LBB46_1536
; %bb.1535:
	global_load_dwordx2 v[0:1], v[2:3], off
	s_mov_b64 s[0:1], 0
	s_mov_b64 s[20:21], -1
	s_branch .LBB46_1537
.LBB46_1536:
	s_mov_b64 s[0:1], -1
                                        ; implicit-def: $vgpr0
.LBB46_1537:
	s_branch .LBB46_1553
.LBB46_1538:
	s_cmp_lt_i32 s22, 27
	s_cbranch_scc1 .LBB46_1541
; %bb.1539:
	s_cmp_gt_i32 s22, 27
	s_cbranch_scc0 .LBB46_1542
; %bb.1540:
	global_load_dword v0, v[2:3], off
	s_mov_b64 s[18:19], 0
	s_branch .LBB46_1543
.LBB46_1541:
	s_mov_b64 s[18:19], -1
                                        ; implicit-def: $vgpr0
	s_branch .LBB46_1546
.LBB46_1542:
	s_mov_b64 s[18:19], -1
                                        ; implicit-def: $vgpr0
.LBB46_1543:
	s_andn2_b64 vcc, exec, s[18:19]
	s_cbranch_vccnz .LBB46_1545
; %bb.1544:
	global_load_ushort v0, v[2:3], off
.LBB46_1545:
	s_mov_b64 s[18:19], 0
.LBB46_1546:
	s_andn2_b64 vcc, exec, s[18:19]
	s_cbranch_vccnz .LBB46_1552
; %bb.1547:
	global_load_ubyte v1, v[2:3], off
	s_movk_i32 s18, 0x7f
	s_mov_b64 s[20:21], 0
	s_waitcnt vmcnt(0)
	v_cmp_lt_i16_e32 vcc, s18, v1
	s_and_saveexec_b64 s[18:19], vcc
	s_xor_b64 s[18:19], exec, s[18:19]
	s_cbranch_execz .LBB46_1563
; %bb.1548:
	s_movk_i32 s20, 0x80
	v_cmp_ne_u16_e32 vcc, s20, v1
	s_and_b64 s[20:21], vcc, exec
	s_andn2_saveexec_b64 s[18:19], s[18:19]
	s_cbranch_execnz .LBB46_1564
.LBB46_1549:
	s_or_b64 exec, exec, s[18:19]
	v_mov_b32_e32 v0, 0
	s_and_saveexec_b64 s[18:19], s[20:21]
	s_cbranch_execz .LBB46_1551
.LBB46_1550:
	v_lshlrev_b32_e32 v0, 24, v1
	v_and_b32_e32 v1, 0xffff, v1
	v_and_b32_e32 v4, 7, v1
	v_ffbh_u32_e32 v7, v4
	v_min_u32_e32 v7, 32, v7
	v_subrev_u32_e32 v8, 28, v7
	v_bfe_u32 v6, v1, 3, 4
	v_lshlrev_b32_e32 v1, v8, v1
	v_sub_u32_e32 v7, 29, v7
	v_and_b32_e32 v1, 7, v1
	v_cmp_eq_u32_e32 vcc, 0, v6
	v_cndmask_b32_e32 v6, v6, v7, vcc
	v_cndmask_b32_e32 v1, v4, v1, vcc
	v_mov_b32_e32 v4, 0x3b800000
	v_lshlrev_b32_e32 v1, 20, v1
	v_and_b32_e32 v0, 0x80000000, v0
	v_lshl_add_u32 v4, v6, 23, v4
	v_or3_b32 v0, v0, v4, v1
	v_cvt_i32_f32_e32 v0, v0
.LBB46_1551:
	s_or_b64 exec, exec, s[18:19]
.LBB46_1552:
	s_mov_b64 s[20:21], -1
.LBB46_1553:
	s_branch .LBB46_1583
.LBB46_1554:
	s_cmp_gt_i32 s22, 22
	s_cbranch_scc0 .LBB46_1562
; %bb.1555:
	s_cmp_lt_i32 s22, 24
	s_cbranch_scc1 .LBB46_1565
; %bb.1556:
	s_cmp_gt_i32 s22, 24
	s_cbranch_scc0 .LBB46_1566
; %bb.1557:
	global_load_ubyte v1, v[2:3], off
	s_movk_i32 s16, 0x7f
	s_mov_b64 s[18:19], 0
	s_waitcnt vmcnt(0)
	v_cmp_lt_i16_e32 vcc, s16, v1
	s_and_saveexec_b64 s[16:17], vcc
	s_xor_b64 s[16:17], exec, s[16:17]
	s_cbranch_execz .LBB46_1577
; %bb.1558:
	s_movk_i32 s18, 0x80
	v_cmp_ne_u16_e32 vcc, s18, v1
	s_and_b64 s[18:19], vcc, exec
	s_andn2_saveexec_b64 s[16:17], s[16:17]
	s_cbranch_execnz .LBB46_1578
.LBB46_1559:
	s_or_b64 exec, exec, s[16:17]
	v_mov_b32_e32 v0, 0
	s_and_saveexec_b64 s[16:17], s[18:19]
	s_cbranch_execz .LBB46_1561
.LBB46_1560:
	v_lshlrev_b32_e32 v0, 24, v1
	v_and_b32_e32 v1, 0xffff, v1
	v_and_b32_e32 v4, 3, v1
	v_ffbh_u32_e32 v7, v4
	v_min_u32_e32 v7, 32, v7
	v_subrev_u32_e32 v8, 29, v7
	v_bfe_u32 v6, v1, 2, 5
	v_lshlrev_b32_e32 v1, v8, v1
	v_sub_u32_e32 v7, 30, v7
	v_and_b32_e32 v1, 3, v1
	v_cmp_eq_u32_e32 vcc, 0, v6
	v_cndmask_b32_e32 v6, v6, v7, vcc
	v_cndmask_b32_e32 v1, v4, v1, vcc
	v_mov_b32_e32 v4, 0x37800000
	v_lshlrev_b32_e32 v1, 21, v1
	v_and_b32_e32 v0, 0x80000000, v0
	v_lshl_add_u32 v4, v6, 23, v4
	v_or3_b32 v0, v0, v4, v1
	v_cvt_i32_f32_e32 v0, v0
.LBB46_1561:
	s_or_b64 exec, exec, s[16:17]
	s_mov_b64 s[16:17], 0
	s_branch .LBB46_1567
.LBB46_1562:
                                        ; implicit-def: $vgpr0
	s_mov_b64 s[16:17], 0
	s_branch .LBB46_1573
.LBB46_1563:
	s_andn2_saveexec_b64 s[18:19], s[18:19]
	s_cbranch_execz .LBB46_1549
.LBB46_1564:
	v_cmp_ne_u16_e32 vcc, 0, v1
	s_andn2_b64 s[20:21], s[20:21], exec
	s_and_b64 s[26:27], vcc, exec
	s_or_b64 s[20:21], s[20:21], s[26:27]
	s_or_b64 exec, exec, s[18:19]
	v_mov_b32_e32 v0, 0
	s_and_saveexec_b64 s[18:19], s[20:21]
	s_cbranch_execnz .LBB46_1550
	s_branch .LBB46_1551
.LBB46_1565:
	s_mov_b64 s[16:17], -1
                                        ; implicit-def: $vgpr0
	s_branch .LBB46_1570
.LBB46_1566:
	s_mov_b64 s[16:17], -1
                                        ; implicit-def: $vgpr0
.LBB46_1567:
	s_and_b64 vcc, exec, s[16:17]
	s_cbranch_vccz .LBB46_1569
; %bb.1568:
	global_load_ubyte v0, v[2:3], off
	s_mov_b32 s16, 0x7f800000
	s_waitcnt vmcnt(0)
	v_lshlrev_b32_e32 v0, 24, v0
	v_and_b32_e32 v1, 0x7f000000, v0
	v_ffbh_u32_e32 v4, v1
	v_min_u32_e32 v4, 32, v4
	v_sub_u32_e64 v4, v4, 4 clamp
	v_lshlrev_b32_e32 v7, v4, v1
	v_lshlrev_b32_e32 v4, 23, v4
	v_lshrrev_b32_e32 v7, 4, v7
	v_add_u32_e32 v6, 0x1000000, v1
	v_sub_u32_e32 v4, v7, v4
	v_ashrrev_i32_e32 v6, 8, v6
	v_add_u32_e32 v4, 0x3c000000, v4
	v_and_or_b32 v4, v6, s16, v4
	v_cmp_ne_u32_e32 vcc, 0, v1
	v_cndmask_b32_e32 v1, 0, v4, vcc
	s_brev_b32 s16, 1
	v_and_or_b32 v0, v0, s16, v1
	v_cvt_i32_f32_e32 v0, v0
.LBB46_1569:
	s_mov_b64 s[16:17], 0
.LBB46_1570:
	s_andn2_b64 vcc, exec, s[16:17]
	s_cbranch_vccnz .LBB46_1572
; %bb.1571:
	global_load_ubyte v0, v[2:3], off
	s_movk_i32 s16, 0x7f00
	s_brev_b32 s17, 16
	s_waitcnt vmcnt(0)
	v_lshlrev_b16_e32 v1, 8, v0
	v_lshlrev_b32_e32 v0, 25, v0
	v_lshrrev_b32_e32 v4, 4, v0
	v_and_or_b32 v6, v1, s16, 0.5
	v_or_b32_e32 v4, 0x70000000, v4
	v_add_f32_e32 v6, -0.5, v6
	v_mul_f32_e32 v4, 0x7800000, v4
	v_cmp_gt_u32_e32 vcc, s17, v0
	v_bfe_i32 v1, v1, 0, 16
	v_cndmask_b32_e32 v0, v4, v6, vcc
	s_brev_b32 s16, 1
	v_and_or_b32 v0, v1, s16, v0
	v_cvt_i32_f32_e32 v0, v0
.LBB46_1572:
	s_mov_b64 s[20:21], -1
	s_mov_b64 s[16:17], 0
	s_cbranch_execnz .LBB46_1583
.LBB46_1573:
	s_cmp_gt_i32 s22, 14
	s_cbranch_scc0 .LBB46_1576
; %bb.1574:
	s_cmp_eq_u32 s22, 15
	s_cbranch_scc0 .LBB46_1579
; %bb.1575:
	global_load_ushort v0, v[2:3], off
	s_mov_b64 s[0:1], 0
	s_mov_b64 s[20:21], -1
	s_waitcnt vmcnt(0)
	v_lshlrev_b32_e32 v0, 16, v0
	v_cvt_i32_f32_e32 v0, v0
	s_branch .LBB46_1580
.LBB46_1576:
	s_mov_b64 s[18:19], -1
                                        ; implicit-def: $vgpr0
	s_branch .LBB46_1581
.LBB46_1577:
	s_andn2_saveexec_b64 s[16:17], s[16:17]
	s_cbranch_execz .LBB46_1559
.LBB46_1578:
	v_cmp_ne_u16_e32 vcc, 0, v1
	s_andn2_b64 s[18:19], s[18:19], exec
	s_and_b64 s[20:21], vcc, exec
	s_or_b64 s[18:19], s[18:19], s[20:21]
	s_or_b64 exec, exec, s[16:17]
	v_mov_b32_e32 v0, 0
	s_and_saveexec_b64 s[16:17], s[18:19]
	s_cbranch_execnz .LBB46_1560
	s_branch .LBB46_1561
.LBB46_1579:
	s_mov_b64 s[0:1], -1
                                        ; implicit-def: $vgpr0
.LBB46_1580:
	s_mov_b64 s[18:19], 0
.LBB46_1581:
	s_and_b64 vcc, exec, s[18:19]
	s_cbranch_vccz .LBB46_1583
; %bb.1582:
	s_cmp_lg_u32 s22, 11
	s_mov_b64 s[16:17], -1
	s_cselect_b64 s[0:1], -1, 0
.LBB46_1583:
	s_and_b64 vcc, exec, s[0:1]
	s_mov_b64 s[18:19], s[6:7]
	s_cbranch_vccnz .LBB46_1644
; %bb.1584:
	s_andn2_b64 vcc, exec, s[16:17]
	s_cbranch_vccnz .LBB46_1586
.LBB46_1585:
	global_load_ubyte v0, v[2:3], off
	s_mov_b64 s[20:21], -1
	s_waitcnt vmcnt(0)
	v_cmp_ne_u16_e32 vcc, 0, v0
	v_cndmask_b32_e64 v0, 0, 1, vcc
.LBB46_1586:
	s_branch .LBB46_1521
.LBB46_1587:
	s_and_b32 s16, 0xffff, s24
	s_cmp_lt_i32 s16, 5
	s_cbranch_scc1 .LBB46_1592
; %bb.1588:
	s_cmp_lt_i32 s16, 8
	s_cbranch_scc1 .LBB46_1593
; %bb.1589:
	;; [unrolled: 3-line block ×3, first 2 shown]
	s_cmp_gt_i32 s16, 9
	s_cbranch_scc0 .LBB46_1595
; %bb.1591:
	global_load_dwordx2 v[0:1], v[2:3], off
	s_mov_b64 s[0:1], 0
	s_waitcnt vmcnt(0)
	v_cvt_i32_f64_e32 v0, v[0:1]
	s_branch .LBB46_1596
.LBB46_1592:
                                        ; implicit-def: $vgpr0
	s_branch .LBB46_1613
.LBB46_1593:
                                        ; implicit-def: $vgpr0
	s_branch .LBB46_1602
.LBB46_1594:
	s_mov_b64 s[0:1], -1
                                        ; implicit-def: $vgpr0
	s_branch .LBB46_1599
.LBB46_1595:
	s_mov_b64 s[0:1], -1
                                        ; implicit-def: $vgpr0
.LBB46_1596:
	s_andn2_b64 vcc, exec, s[0:1]
	s_cbranch_vccnz .LBB46_1598
; %bb.1597:
	global_load_dword v0, v[2:3], off
	s_waitcnt vmcnt(0)
	v_cvt_i32_f32_e32 v0, v0
.LBB46_1598:
	s_mov_b64 s[0:1], 0
.LBB46_1599:
	s_andn2_b64 vcc, exec, s[0:1]
	s_cbranch_vccnz .LBB46_1601
; %bb.1600:
	global_load_dword v0, v[2:3], off
	s_waitcnt vmcnt(0)
	v_cvt_i16_f16_e32 v0, v0
.LBB46_1601:
	s_cbranch_execnz .LBB46_1612
.LBB46_1602:
	s_cmp_lt_i32 s16, 6
	s_cbranch_scc1 .LBB46_1605
; %bb.1603:
	s_cmp_gt_i32 s16, 6
	s_cbranch_scc0 .LBB46_1606
; %bb.1604:
	global_load_dwordx2 v[0:1], v[2:3], off
	s_mov_b64 s[0:1], 0
	s_waitcnt vmcnt(0)
	v_cvt_i32_f64_e32 v0, v[0:1]
	s_branch .LBB46_1607
.LBB46_1605:
	s_mov_b64 s[0:1], -1
                                        ; implicit-def: $vgpr0
	s_branch .LBB46_1610
.LBB46_1606:
	s_mov_b64 s[0:1], -1
                                        ; implicit-def: $vgpr0
.LBB46_1607:
	s_andn2_b64 vcc, exec, s[0:1]
	s_cbranch_vccnz .LBB46_1609
; %bb.1608:
	global_load_dword v0, v[2:3], off
	s_waitcnt vmcnt(0)
	v_cvt_i32_f32_e32 v0, v0
.LBB46_1609:
	s_mov_b64 s[0:1], 0
.LBB46_1610:
	s_andn2_b64 vcc, exec, s[0:1]
	s_cbranch_vccnz .LBB46_1612
; %bb.1611:
	global_load_ushort v0, v[2:3], off
	s_waitcnt vmcnt(0)
	v_cvt_i16_f16_e32 v0, v0
.LBB46_1612:
	s_cbranch_execnz .LBB46_1631
.LBB46_1613:
	s_cmp_lt_i32 s16, 2
	s_cbranch_scc1 .LBB46_1617
; %bb.1614:
	s_cmp_lt_i32 s16, 3
	s_cbranch_scc1 .LBB46_1618
; %bb.1615:
	s_cmp_gt_i32 s16, 3
	s_cbranch_scc0 .LBB46_1619
; %bb.1616:
	global_load_dwordx2 v[0:1], v[2:3], off
	s_mov_b64 s[0:1], 0
	s_branch .LBB46_1620
.LBB46_1617:
                                        ; implicit-def: $vgpr0
	s_branch .LBB46_1626
.LBB46_1618:
	s_mov_b64 s[0:1], -1
                                        ; implicit-def: $vgpr0
	s_branch .LBB46_1623
.LBB46_1619:
	s_mov_b64 s[0:1], -1
                                        ; implicit-def: $vgpr0
.LBB46_1620:
	s_andn2_b64 vcc, exec, s[0:1]
	s_cbranch_vccnz .LBB46_1622
; %bb.1621:
	global_load_dword v0, v[2:3], off
.LBB46_1622:
	s_mov_b64 s[0:1], 0
.LBB46_1623:
	s_andn2_b64 vcc, exec, s[0:1]
	s_cbranch_vccnz .LBB46_1625
; %bb.1624:
	global_load_ushort v0, v[2:3], off
.LBB46_1625:
	s_cbranch_execnz .LBB46_1631
.LBB46_1626:
	s_cmp_gt_i32 s16, 0
	s_cbranch_scc0 .LBB46_1628
; %bb.1627:
	global_load_ubyte v0, v[2:3], off
	s_mov_b64 s[0:1], 0
	s_branch .LBB46_1629
.LBB46_1628:
	s_mov_b64 s[0:1], -1
                                        ; implicit-def: $vgpr0
.LBB46_1629:
	s_andn2_b64 vcc, exec, s[0:1]
	s_cbranch_vccnz .LBB46_1631
; %bb.1630:
	global_load_ubyte v0, v[2:3], off
.LBB46_1631:
.LBB46_1632:
	v_mul_lo_u32 v6, s14, v14
	v_mov_b32_e32 v2, s3
	s_and_b32 s25, s15, 0xff
	s_cmp_lt_i32 s25, 11
	v_ashrrev_i32_e32 v3, 31, v6
	s_waitcnt vmcnt(0)
	v_add_co_u32_e32 v1, vcc, s2, v6
	v_addc_co_u32_e32 v2, vcc, v2, v3, vcc
	s_cbranch_scc1 .LBB46_1639
; %bb.1633:
	s_and_b32 s15, 0xffff, s25
	s_cmp_gt_i32 s15, 25
	s_mov_b64 s[16:17], 0
	s_cbranch_scc0 .LBB46_1641
; %bb.1634:
	s_cmp_gt_i32 s15, 28
	s_cbranch_scc0 .LBB46_1642
; %bb.1635:
	s_cmp_gt_i32 s15, 43
	;; [unrolled: 3-line block ×3, first 2 shown]
	s_cbranch_scc0 .LBB46_1645
; %bb.1637:
	s_cmp_eq_u32 s15, 46
	s_mov_b64 s[22:23], 0
	s_cbranch_scc0 .LBB46_1648
; %bb.1638:
	global_load_dword v3, v[1:2], off
	s_mov_b64 s[0:1], 0
	s_mov_b64 s[20:21], -1
	s_waitcnt vmcnt(0)
	v_lshlrev_b32_e32 v3, 16, v3
	v_cvt_i32_f32_e32 v3, v3
	s_branch .LBB46_1649
.LBB46_1639:
	s_mov_b64 s[20:21], 0
                                        ; implicit-def: $vgpr3
	s_cbranch_execnz .LBB46_1710
.LBB46_1640:
	s_andn2_b64 vcc, exec, s[20:21]
	s_cbranch_vccnz .LBB46_2947
	s_branch .LBB46_1757
.LBB46_1641:
	s_mov_b64 s[20:21], 0
	s_mov_b64 s[0:1], 0
                                        ; implicit-def: $vgpr3
	s_cbranch_execnz .LBB46_1676
	s_branch .LBB46_1706
.LBB46_1642:
	s_mov_b64 s[22:23], -1
	s_mov_b64 s[20:21], 0
	s_mov_b64 s[0:1], 0
                                        ; implicit-def: $vgpr3
	s_branch .LBB46_1659
.LBB46_1643:
	s_mov_b64 s[22:23], -1
	s_mov_b64 s[20:21], 0
	s_mov_b64 s[0:1], 0
                                        ; implicit-def: $vgpr3
	s_branch .LBB46_1654
.LBB46_1644:
	s_or_b64 s[18:19], s[6:7], exec
	s_trap 2
	s_cbranch_execz .LBB46_1585
	s_branch .LBB46_1586
.LBB46_1645:
	s_mov_b64 s[22:23], -1
	s_mov_b64 s[20:21], 0
	s_mov_b64 s[0:1], 0
                                        ; implicit-def: $vgpr3
	s_branch .LBB46_1649
.LBB46_1646:
	s_andn2_saveexec_b64 s[28:29], s[28:29]
	s_cbranch_execz .LBB46_1437
.LBB46_1647:
	s_mov_b32 s34, 0x42800000
	v_add_f32_e64 v3, |v0|, s34
	v_and_b32_e32 v3, 0xff, v3
	v_cmp_ne_u32_e32 vcc, 0, v3
	s_andn2_b64 s[26:27], s[26:27], exec
	s_and_b64 s[34:35], vcc, exec
	s_or_b64 s[26:27], s[26:27], s[34:35]
	s_or_b64 exec, exec, s[28:29]
	v_mov_b32_e32 v5, 0
	s_and_saveexec_b64 s[28:29], s[26:27]
	s_cbranch_execnz .LBB46_1438
	s_branch .LBB46_1439
.LBB46_1648:
	s_mov_b64 s[0:1], -1
                                        ; implicit-def: $vgpr3
	s_mov_b64 s[20:21], 0
.LBB46_1649:
	s_and_b64 vcc, exec, s[22:23]
	s_cbranch_vccz .LBB46_1653
; %bb.1650:
	s_cmp_eq_u32 s15, 44
	s_cbranch_scc0 .LBB46_1652
; %bb.1651:
	global_load_ubyte v3, v[1:2], off
	s_mov_b64 s[0:1], 0
	s_mov_b64 s[20:21], -1
	s_waitcnt vmcnt(0)
	v_lshlrev_b32_e32 v4, 23, v3
	v_cvt_i32_f32_e32 v4, v4
	v_cmp_ne_u32_e32 vcc, 0, v3
	v_cndmask_b32_e32 v3, 0, v4, vcc
	s_branch .LBB46_1653
.LBB46_1652:
	s_mov_b64 s[0:1], -1
                                        ; implicit-def: $vgpr3
.LBB46_1653:
	s_mov_b64 s[22:23], 0
.LBB46_1654:
	s_and_b64 vcc, exec, s[22:23]
	s_cbranch_vccz .LBB46_1658
; %bb.1655:
	s_cmp_eq_u32 s15, 29
	s_cbranch_scc0 .LBB46_1657
; %bb.1656:
	global_load_dwordx2 v[3:4], v[1:2], off
	s_mov_b64 s[0:1], 0
	s_mov_b64 s[20:21], -1
	s_branch .LBB46_1658
.LBB46_1657:
	s_mov_b64 s[0:1], -1
                                        ; implicit-def: $vgpr3
.LBB46_1658:
	s_mov_b64 s[22:23], 0
.LBB46_1659:
	s_and_b64 vcc, exec, s[22:23]
	s_cbranch_vccz .LBB46_1675
; %bb.1660:
	s_cmp_lt_i32 s15, 27
	s_cbranch_scc1 .LBB46_1663
; %bb.1661:
	s_cmp_gt_i32 s15, 27
	s_cbranch_scc0 .LBB46_1664
; %bb.1662:
	global_load_dword v3, v[1:2], off
	s_mov_b64 s[20:21], 0
	s_branch .LBB46_1665
.LBB46_1663:
	s_mov_b64 s[20:21], -1
                                        ; implicit-def: $vgpr3
	s_branch .LBB46_1668
.LBB46_1664:
	s_mov_b64 s[20:21], -1
                                        ; implicit-def: $vgpr3
.LBB46_1665:
	s_andn2_b64 vcc, exec, s[20:21]
	s_cbranch_vccnz .LBB46_1667
; %bb.1666:
	global_load_ushort v3, v[1:2], off
.LBB46_1667:
	s_mov_b64 s[20:21], 0
.LBB46_1668:
	s_andn2_b64 vcc, exec, s[20:21]
	s_cbranch_vccnz .LBB46_1674
; %bb.1669:
	global_load_ubyte v4, v[1:2], off
	s_movk_i32 s20, 0x7f
	s_mov_b64 s[22:23], 0
	s_waitcnt vmcnt(0)
	v_cmp_lt_i16_e32 vcc, s20, v4
	s_and_saveexec_b64 s[20:21], vcc
	s_xor_b64 s[20:21], exec, s[20:21]
	s_cbranch_execz .LBB46_1685
; %bb.1670:
	s_movk_i32 s22, 0x80
	v_cmp_ne_u16_e32 vcc, s22, v4
	s_and_b64 s[22:23], vcc, exec
	s_andn2_saveexec_b64 s[20:21], s[20:21]
	s_cbranch_execnz .LBB46_1686
.LBB46_1671:
	s_or_b64 exec, exec, s[20:21]
	v_mov_b32_e32 v3, 0
	s_and_saveexec_b64 s[20:21], s[22:23]
	s_cbranch_execz .LBB46_1673
.LBB46_1672:
	v_lshlrev_b32_e32 v3, 24, v4
	v_and_b32_e32 v4, 0xffff, v4
	v_and_b32_e32 v7, 7, v4
	v_ffbh_u32_e32 v9, v7
	v_min_u32_e32 v9, 32, v9
	v_subrev_u32_e32 v10, 28, v9
	v_bfe_u32 v8, v4, 3, 4
	v_lshlrev_b32_e32 v4, v10, v4
	v_sub_u32_e32 v9, 29, v9
	v_and_b32_e32 v4, 7, v4
	v_cmp_eq_u32_e32 vcc, 0, v8
	v_cndmask_b32_e32 v8, v8, v9, vcc
	v_cndmask_b32_e32 v4, v7, v4, vcc
	v_mov_b32_e32 v7, 0x3b800000
	v_lshlrev_b32_e32 v4, 20, v4
	v_and_b32_e32 v3, 0x80000000, v3
	v_lshl_add_u32 v7, v8, 23, v7
	v_or3_b32 v3, v3, v7, v4
	v_cvt_i32_f32_e32 v3, v3
.LBB46_1673:
	s_or_b64 exec, exec, s[20:21]
.LBB46_1674:
	s_mov_b64 s[20:21], -1
.LBB46_1675:
	s_branch .LBB46_1706
.LBB46_1676:
	s_cmp_gt_i32 s15, 22
	s_cbranch_scc0 .LBB46_1684
; %bb.1677:
	s_cmp_lt_i32 s15, 24
	s_cbranch_scc1 .LBB46_1687
; %bb.1678:
	s_cmp_gt_i32 s15, 24
	s_cbranch_scc0 .LBB46_1688
; %bb.1679:
	global_load_ubyte v4, v[1:2], off
	s_movk_i32 s16, 0x7f
	s_mov_b64 s[20:21], 0
	s_waitcnt vmcnt(0)
	v_cmp_lt_i16_e32 vcc, s16, v4
	s_and_saveexec_b64 s[16:17], vcc
	s_xor_b64 s[16:17], exec, s[16:17]
	s_cbranch_execz .LBB46_1700
; %bb.1680:
	s_movk_i32 s20, 0x80
	v_cmp_ne_u16_e32 vcc, s20, v4
	s_and_b64 s[20:21], vcc, exec
	s_andn2_saveexec_b64 s[16:17], s[16:17]
	s_cbranch_execnz .LBB46_1701
.LBB46_1681:
	s_or_b64 exec, exec, s[16:17]
	v_mov_b32_e32 v3, 0
	s_and_saveexec_b64 s[16:17], s[20:21]
	s_cbranch_execz .LBB46_1683
.LBB46_1682:
	v_lshlrev_b32_e32 v3, 24, v4
	v_and_b32_e32 v4, 0xffff, v4
	v_and_b32_e32 v7, 3, v4
	v_ffbh_u32_e32 v9, v7
	v_min_u32_e32 v9, 32, v9
	v_subrev_u32_e32 v10, 29, v9
	v_bfe_u32 v8, v4, 2, 5
	v_lshlrev_b32_e32 v4, v10, v4
	v_sub_u32_e32 v9, 30, v9
	v_and_b32_e32 v4, 3, v4
	v_cmp_eq_u32_e32 vcc, 0, v8
	v_cndmask_b32_e32 v8, v8, v9, vcc
	v_cndmask_b32_e32 v4, v7, v4, vcc
	v_mov_b32_e32 v7, 0x37800000
	v_lshlrev_b32_e32 v4, 21, v4
	v_and_b32_e32 v3, 0x80000000, v3
	v_lshl_add_u32 v7, v8, 23, v7
	v_or3_b32 v3, v3, v7, v4
	v_cvt_i32_f32_e32 v3, v3
.LBB46_1683:
	s_or_b64 exec, exec, s[16:17]
	s_mov_b64 s[16:17], 0
	s_branch .LBB46_1689
.LBB46_1684:
	s_mov_b64 s[16:17], -1
                                        ; implicit-def: $vgpr3
	s_branch .LBB46_1695
.LBB46_1685:
	s_andn2_saveexec_b64 s[20:21], s[20:21]
	s_cbranch_execz .LBB46_1671
.LBB46_1686:
	v_cmp_ne_u16_e32 vcc, 0, v4
	s_andn2_b64 s[22:23], s[22:23], exec
	s_and_b64 s[26:27], vcc, exec
	s_or_b64 s[22:23], s[22:23], s[26:27]
	s_or_b64 exec, exec, s[20:21]
	v_mov_b32_e32 v3, 0
	s_and_saveexec_b64 s[20:21], s[22:23]
	s_cbranch_execnz .LBB46_1672
	s_branch .LBB46_1673
.LBB46_1687:
	s_mov_b64 s[16:17], -1
                                        ; implicit-def: $vgpr3
	s_branch .LBB46_1692
.LBB46_1688:
	s_mov_b64 s[16:17], -1
                                        ; implicit-def: $vgpr3
.LBB46_1689:
	s_and_b64 vcc, exec, s[16:17]
	s_cbranch_vccz .LBB46_1691
; %bb.1690:
	global_load_ubyte v3, v[1:2], off
	s_mov_b32 s16, 0x7f800000
	s_waitcnt vmcnt(0)
	v_lshlrev_b32_e32 v3, 24, v3
	v_and_b32_e32 v4, 0x7f000000, v3
	v_ffbh_u32_e32 v7, v4
	v_min_u32_e32 v7, 32, v7
	v_sub_u32_e64 v7, v7, 4 clamp
	v_lshlrev_b32_e32 v9, v7, v4
	v_lshlrev_b32_e32 v7, 23, v7
	v_lshrrev_b32_e32 v9, 4, v9
	v_add_u32_e32 v8, 0x1000000, v4
	v_sub_u32_e32 v7, v9, v7
	v_ashrrev_i32_e32 v8, 8, v8
	v_add_u32_e32 v7, 0x3c000000, v7
	v_and_or_b32 v7, v8, s16, v7
	v_cmp_ne_u32_e32 vcc, 0, v4
	v_cndmask_b32_e32 v4, 0, v7, vcc
	s_brev_b32 s16, 1
	v_and_or_b32 v3, v3, s16, v4
	v_cvt_i32_f32_e32 v3, v3
.LBB46_1691:
	s_mov_b64 s[16:17], 0
.LBB46_1692:
	s_andn2_b64 vcc, exec, s[16:17]
	s_cbranch_vccnz .LBB46_1694
; %bb.1693:
	global_load_ubyte v3, v[1:2], off
	s_movk_i32 s16, 0x7f00
	s_brev_b32 s17, 16
	s_waitcnt vmcnt(0)
	v_lshlrev_b16_e32 v4, 8, v3
	v_lshlrev_b32_e32 v3, 25, v3
	v_lshrrev_b32_e32 v7, 4, v3
	v_and_or_b32 v8, v4, s16, 0.5
	v_or_b32_e32 v7, 0x70000000, v7
	v_add_f32_e32 v8, -0.5, v8
	v_mul_f32_e32 v7, 0x7800000, v7
	v_cmp_gt_u32_e32 vcc, s17, v3
	v_bfe_i32 v4, v4, 0, 16
	v_cndmask_b32_e32 v3, v7, v8, vcc
	s_brev_b32 s16, 1
	v_and_or_b32 v3, v4, s16, v3
	v_cvt_i32_f32_e32 v3, v3
.LBB46_1694:
	s_mov_b64 s[16:17], 0
	s_mov_b64 s[20:21], -1
.LBB46_1695:
	s_andn2_b64 vcc, exec, s[16:17]
	s_mov_b64 s[16:17], 0
	s_cbranch_vccnz .LBB46_1706
; %bb.1696:
	s_cmp_gt_i32 s15, 14
	s_cbranch_scc0 .LBB46_1699
; %bb.1697:
	s_cmp_eq_u32 s15, 15
	s_cbranch_scc0 .LBB46_1702
; %bb.1698:
	global_load_ushort v3, v[1:2], off
	s_mov_b64 s[0:1], 0
	s_mov_b64 s[20:21], -1
	s_waitcnt vmcnt(0)
	v_lshlrev_b32_e32 v3, 16, v3
	v_cvt_i32_f32_e32 v3, v3
	s_branch .LBB46_1703
.LBB46_1699:
	s_mov_b64 s[22:23], -1
                                        ; implicit-def: $vgpr3
	s_branch .LBB46_1704
.LBB46_1700:
	s_andn2_saveexec_b64 s[16:17], s[16:17]
	s_cbranch_execz .LBB46_1681
.LBB46_1701:
	v_cmp_ne_u16_e32 vcc, 0, v4
	s_andn2_b64 s[20:21], s[20:21], exec
	s_and_b64 s[22:23], vcc, exec
	s_or_b64 s[20:21], s[20:21], s[22:23]
	s_or_b64 exec, exec, s[16:17]
	v_mov_b32_e32 v3, 0
	s_and_saveexec_b64 s[16:17], s[20:21]
	s_cbranch_execnz .LBB46_1682
	s_branch .LBB46_1683
.LBB46_1702:
	s_mov_b64 s[0:1], -1
                                        ; implicit-def: $vgpr3
.LBB46_1703:
	s_mov_b64 s[22:23], 0
.LBB46_1704:
	s_and_b64 vcc, exec, s[22:23]
	s_cbranch_vccz .LBB46_1706
; %bb.1705:
	s_cmp_lg_u32 s15, 11
	s_mov_b64 s[16:17], -1
	s_cselect_b64 s[0:1], -1, 0
.LBB46_1706:
	s_and_b64 vcc, exec, s[0:1]
	s_cbranch_vccnz .LBB46_1769
; %bb.1707:
	s_andn2_b64 vcc, exec, s[16:17]
	s_cbranch_vccnz .LBB46_1709
.LBB46_1708:
	global_load_ubyte v3, v[1:2], off
	s_mov_b64 s[20:21], -1
	s_waitcnt vmcnt(0)
	v_cmp_ne_u16_e32 vcc, 0, v3
	v_cndmask_b32_e64 v3, 0, 1, vcc
.LBB46_1709:
	s_branch .LBB46_1640
.LBB46_1710:
	s_and_b32 s15, 0xffff, s25
	s_cmp_lt_i32 s15, 5
	s_cbranch_scc1 .LBB46_1715
; %bb.1711:
	s_cmp_lt_i32 s15, 8
	s_cbranch_scc1 .LBB46_1716
; %bb.1712:
	;; [unrolled: 3-line block ×3, first 2 shown]
	s_cmp_gt_i32 s15, 9
	s_cbranch_scc0 .LBB46_1718
; %bb.1714:
	global_load_dwordx2 v[3:4], v[1:2], off
	s_mov_b64 s[0:1], 0
	s_waitcnt vmcnt(0)
	v_cvt_i32_f64_e32 v3, v[3:4]
	s_branch .LBB46_1719
.LBB46_1715:
                                        ; implicit-def: $vgpr3
	s_branch .LBB46_1737
.LBB46_1716:
	s_mov_b64 s[0:1], -1
                                        ; implicit-def: $vgpr3
	s_branch .LBB46_1725
.LBB46_1717:
	s_mov_b64 s[0:1], -1
                                        ; implicit-def: $vgpr3
	s_branch .LBB46_1722
.LBB46_1718:
	s_mov_b64 s[0:1], -1
                                        ; implicit-def: $vgpr3
.LBB46_1719:
	s_andn2_b64 vcc, exec, s[0:1]
	s_cbranch_vccnz .LBB46_1721
; %bb.1720:
	global_load_dword v3, v[1:2], off
	s_waitcnt vmcnt(0)
	v_cvt_i32_f32_e32 v3, v3
.LBB46_1721:
	s_mov_b64 s[0:1], 0
.LBB46_1722:
	s_andn2_b64 vcc, exec, s[0:1]
	s_cbranch_vccnz .LBB46_1724
; %bb.1723:
	global_load_dword v3, v[1:2], off
	s_waitcnt vmcnt(0)
	v_cvt_i16_f16_e32 v3, v3
.LBB46_1724:
	s_mov_b64 s[0:1], 0
.LBB46_1725:
	s_andn2_b64 vcc, exec, s[0:1]
	s_cbranch_vccnz .LBB46_1736
; %bb.1726:
	s_cmp_lt_i32 s15, 6
	s_cbranch_scc1 .LBB46_1729
; %bb.1727:
	s_cmp_gt_i32 s15, 6
	s_cbranch_scc0 .LBB46_1730
; %bb.1728:
	global_load_dwordx2 v[3:4], v[1:2], off
	s_mov_b64 s[0:1], 0
	s_waitcnt vmcnt(0)
	v_cvt_i32_f64_e32 v3, v[3:4]
	s_branch .LBB46_1731
.LBB46_1729:
	s_mov_b64 s[0:1], -1
                                        ; implicit-def: $vgpr3
	s_branch .LBB46_1734
.LBB46_1730:
	s_mov_b64 s[0:1], -1
                                        ; implicit-def: $vgpr3
.LBB46_1731:
	s_andn2_b64 vcc, exec, s[0:1]
	s_cbranch_vccnz .LBB46_1733
; %bb.1732:
	global_load_dword v3, v[1:2], off
	s_waitcnt vmcnt(0)
	v_cvt_i32_f32_e32 v3, v3
.LBB46_1733:
	s_mov_b64 s[0:1], 0
.LBB46_1734:
	s_andn2_b64 vcc, exec, s[0:1]
	s_cbranch_vccnz .LBB46_1736
; %bb.1735:
	global_load_ushort v3, v[1:2], off
	s_waitcnt vmcnt(0)
	v_cvt_i16_f16_e32 v3, v3
.LBB46_1736:
	s_cbranch_execnz .LBB46_1756
.LBB46_1737:
	s_cmp_lt_i32 s15, 2
	s_cbranch_scc1 .LBB46_1741
; %bb.1738:
	s_cmp_lt_i32 s15, 3
	s_cbranch_scc1 .LBB46_1742
; %bb.1739:
	s_cmp_gt_i32 s15, 3
	s_cbranch_scc0 .LBB46_1743
; %bb.1740:
	global_load_dwordx2 v[3:4], v[1:2], off
	s_mov_b64 s[0:1], 0
	s_branch .LBB46_1744
.LBB46_1741:
	s_mov_b64 s[0:1], -1
                                        ; implicit-def: $vgpr3
	s_branch .LBB46_1750
.LBB46_1742:
	s_mov_b64 s[0:1], -1
                                        ; implicit-def: $vgpr3
	s_branch .LBB46_1747
.LBB46_1743:
	s_mov_b64 s[0:1], -1
                                        ; implicit-def: $vgpr3
.LBB46_1744:
	s_andn2_b64 vcc, exec, s[0:1]
	s_cbranch_vccnz .LBB46_1746
; %bb.1745:
	global_load_dword v3, v[1:2], off
.LBB46_1746:
	s_mov_b64 s[0:1], 0
.LBB46_1747:
	s_andn2_b64 vcc, exec, s[0:1]
	s_cbranch_vccnz .LBB46_1749
; %bb.1748:
	global_load_ushort v3, v[1:2], off
.LBB46_1749:
	s_mov_b64 s[0:1], 0
.LBB46_1750:
	s_andn2_b64 vcc, exec, s[0:1]
	s_cbranch_vccnz .LBB46_1756
; %bb.1751:
	s_cmp_gt_i32 s15, 0
	s_cbranch_scc0 .LBB46_1753
; %bb.1752:
	global_load_ubyte v3, v[1:2], off
	s_mov_b64 s[0:1], 0
	s_branch .LBB46_1754
.LBB46_1753:
	s_mov_b64 s[0:1], -1
                                        ; implicit-def: $vgpr3
.LBB46_1754:
	s_andn2_b64 vcc, exec, s[0:1]
	s_cbranch_vccnz .LBB46_1756
; %bb.1755:
	global_load_ubyte v3, v[1:2], off
.LBB46_1756:
.LBB46_1757:
	s_lshl_b32 s13, s13, 7
	v_add_u32_e32 v8, s13, v5
	v_ashrrev_i32_e32 v1, 31, v8
	v_mov_b32_e32 v2, s11
	s_waitcnt vmcnt(0)
	v_add_co_u32_e32 v4, vcc, s10, v8
	s_cmp_lt_i32 s24, 11
	v_addc_co_u32_e32 v5, vcc, v2, v1, vcc
	s_cbranch_scc1 .LBB46_1764
; %bb.1758:
	s_and_b32 s15, 0xffff, s24
	s_cmp_gt_i32 s15, 25
	s_mov_b64 s[16:17], 0
	s_cbranch_scc0 .LBB46_1766
; %bb.1759:
	s_cmp_gt_i32 s15, 28
	s_cbranch_scc0 .LBB46_1767
; %bb.1760:
	s_cmp_gt_i32 s15, 43
	;; [unrolled: 3-line block ×3, first 2 shown]
	s_cbranch_scc0 .LBB46_1770
; %bb.1762:
	s_cmp_eq_u32 s15, 46
	s_mov_b64 s[22:23], 0
	s_cbranch_scc0 .LBB46_1771
; %bb.1763:
	global_load_dword v1, v[4:5], off
	s_mov_b64 s[0:1], 0
	s_mov_b64 s[20:21], -1
	s_waitcnt vmcnt(0)
	v_lshlrev_b32_e32 v1, 16, v1
	v_cvt_i32_f32_e32 v1, v1
	s_branch .LBB46_1772
.LBB46_1764:
	s_mov_b64 s[20:21], 0
                                        ; implicit-def: $vgpr1
	s_cbranch_execnz .LBB46_1834
.LBB46_1765:
	s_andn2_b64 vcc, exec, s[20:21]
	s_cbranch_vccnz .LBB46_2947
	s_branch .LBB46_1882
.LBB46_1766:
	s_mov_b64 s[22:23], -1
	s_mov_b64 s[20:21], 0
	s_mov_b64 s[0:1], 0
                                        ; implicit-def: $vgpr1
	s_branch .LBB46_1799
.LBB46_1767:
	s_mov_b64 s[22:23], -1
	s_mov_b64 s[20:21], 0
	s_mov_b64 s[0:1], 0
                                        ; implicit-def: $vgpr1
	s_branch .LBB46_1782
.LBB46_1768:
	s_mov_b64 s[22:23], -1
	s_mov_b64 s[20:21], 0
	s_mov_b64 s[0:1], 0
                                        ; implicit-def: $vgpr1
	s_branch .LBB46_1777
.LBB46_1769:
	s_trap 2
	s_or_b64 s[18:19], s[18:19], exec
	s_cbranch_execz .LBB46_1708
	s_branch .LBB46_1709
.LBB46_1770:
	s_mov_b64 s[22:23], -1
	s_mov_b64 s[20:21], 0
	s_mov_b64 s[0:1], 0
                                        ; implicit-def: $vgpr1
	s_branch .LBB46_1772
.LBB46_1771:
	s_mov_b64 s[0:1], -1
                                        ; implicit-def: $vgpr1
	s_mov_b64 s[20:21], 0
.LBB46_1772:
	s_and_b64 vcc, exec, s[22:23]
	s_cbranch_vccz .LBB46_1776
; %bb.1773:
	s_cmp_eq_u32 s15, 44
	s_cbranch_scc0 .LBB46_1775
; %bb.1774:
	global_load_ubyte v1, v[4:5], off
	s_mov_b64 s[0:1], 0
	s_mov_b64 s[20:21], -1
	s_waitcnt vmcnt(0)
	v_lshlrev_b32_e32 v2, 23, v1
	v_cvt_i32_f32_e32 v2, v2
	v_cmp_ne_u32_e32 vcc, 0, v1
	v_cndmask_b32_e32 v1, 0, v2, vcc
	s_branch .LBB46_1776
.LBB46_1775:
	s_mov_b64 s[0:1], -1
                                        ; implicit-def: $vgpr1
.LBB46_1776:
	s_mov_b64 s[22:23], 0
.LBB46_1777:
	s_and_b64 vcc, exec, s[22:23]
	s_cbranch_vccz .LBB46_1781
; %bb.1778:
	s_cmp_eq_u32 s15, 29
	s_cbranch_scc0 .LBB46_1780
; %bb.1779:
	global_load_dwordx2 v[1:2], v[4:5], off
	s_mov_b64 s[0:1], 0
	s_mov_b64 s[20:21], -1
	s_branch .LBB46_1781
.LBB46_1780:
	s_mov_b64 s[0:1], -1
                                        ; implicit-def: $vgpr1
.LBB46_1781:
	s_mov_b64 s[22:23], 0
.LBB46_1782:
	s_and_b64 vcc, exec, s[22:23]
	s_cbranch_vccz .LBB46_1798
; %bb.1783:
	s_cmp_lt_i32 s15, 27
	s_cbranch_scc1 .LBB46_1786
; %bb.1784:
	s_cmp_gt_i32 s15, 27
	s_cbranch_scc0 .LBB46_1787
; %bb.1785:
	global_load_dword v1, v[4:5], off
	s_mov_b64 s[20:21], 0
	s_branch .LBB46_1788
.LBB46_1786:
	s_mov_b64 s[20:21], -1
                                        ; implicit-def: $vgpr1
	s_branch .LBB46_1791
.LBB46_1787:
	s_mov_b64 s[20:21], -1
                                        ; implicit-def: $vgpr1
.LBB46_1788:
	s_andn2_b64 vcc, exec, s[20:21]
	s_cbranch_vccnz .LBB46_1790
; %bb.1789:
	global_load_ushort v1, v[4:5], off
.LBB46_1790:
	s_mov_b64 s[20:21], 0
.LBB46_1791:
	s_andn2_b64 vcc, exec, s[20:21]
	s_cbranch_vccnz .LBB46_1797
; %bb.1792:
	global_load_ubyte v2, v[4:5], off
	s_movk_i32 s20, 0x7f
	s_mov_b64 s[22:23], 0
	s_waitcnt vmcnt(0)
	v_cmp_lt_i16_e32 vcc, s20, v2
	s_and_saveexec_b64 s[20:21], vcc
	s_xor_b64 s[20:21], exec, s[20:21]
	s_cbranch_execz .LBB46_1809
; %bb.1793:
	s_movk_i32 s22, 0x80
	v_cmp_ne_u16_e32 vcc, s22, v2
	s_and_b64 s[22:23], vcc, exec
	s_andn2_saveexec_b64 s[20:21], s[20:21]
	s_cbranch_execnz .LBB46_1810
.LBB46_1794:
	s_or_b64 exec, exec, s[20:21]
	v_mov_b32_e32 v1, 0
	s_and_saveexec_b64 s[20:21], s[22:23]
	s_cbranch_execz .LBB46_1796
.LBB46_1795:
	v_lshlrev_b32_e32 v1, 24, v2
	v_and_b32_e32 v2, 0xffff, v2
	v_and_b32_e32 v7, 7, v2
	v_ffbh_u32_e32 v10, v7
	v_min_u32_e32 v10, 32, v10
	v_subrev_u32_e32 v11, 28, v10
	v_bfe_u32 v9, v2, 3, 4
	v_lshlrev_b32_e32 v2, v11, v2
	v_sub_u32_e32 v10, 29, v10
	v_and_b32_e32 v2, 7, v2
	v_cmp_eq_u32_e32 vcc, 0, v9
	v_cndmask_b32_e32 v9, v9, v10, vcc
	v_cndmask_b32_e32 v2, v7, v2, vcc
	v_mov_b32_e32 v7, 0x3b800000
	v_lshlrev_b32_e32 v2, 20, v2
	v_and_b32_e32 v1, 0x80000000, v1
	v_lshl_add_u32 v7, v9, 23, v7
	v_or3_b32 v1, v1, v7, v2
	v_cvt_i32_f32_e32 v1, v1
.LBB46_1796:
	s_or_b64 exec, exec, s[20:21]
.LBB46_1797:
	s_mov_b64 s[20:21], -1
.LBB46_1798:
	s_mov_b64 s[22:23], 0
.LBB46_1799:
	s_and_b64 vcc, exec, s[22:23]
	s_cbranch_vccz .LBB46_1830
; %bb.1800:
	s_cmp_gt_i32 s15, 22
	s_cbranch_scc0 .LBB46_1808
; %bb.1801:
	s_cmp_lt_i32 s15, 24
	s_cbranch_scc1 .LBB46_1811
; %bb.1802:
	s_cmp_gt_i32 s15, 24
	s_cbranch_scc0 .LBB46_1812
; %bb.1803:
	global_load_ubyte v2, v[4:5], off
	s_movk_i32 s16, 0x7f
	s_mov_b64 s[20:21], 0
	s_waitcnt vmcnt(0)
	v_cmp_lt_i16_e32 vcc, s16, v2
	s_and_saveexec_b64 s[16:17], vcc
	s_xor_b64 s[16:17], exec, s[16:17]
	s_cbranch_execz .LBB46_1824
; %bb.1804:
	s_movk_i32 s20, 0x80
	v_cmp_ne_u16_e32 vcc, s20, v2
	s_and_b64 s[20:21], vcc, exec
	s_andn2_saveexec_b64 s[16:17], s[16:17]
	s_cbranch_execnz .LBB46_1825
.LBB46_1805:
	s_or_b64 exec, exec, s[16:17]
	v_mov_b32_e32 v1, 0
	s_and_saveexec_b64 s[16:17], s[20:21]
	s_cbranch_execz .LBB46_1807
.LBB46_1806:
	v_lshlrev_b32_e32 v1, 24, v2
	v_and_b32_e32 v2, 0xffff, v2
	v_and_b32_e32 v7, 3, v2
	v_ffbh_u32_e32 v10, v7
	v_min_u32_e32 v10, 32, v10
	v_subrev_u32_e32 v11, 29, v10
	v_bfe_u32 v9, v2, 2, 5
	v_lshlrev_b32_e32 v2, v11, v2
	v_sub_u32_e32 v10, 30, v10
	v_and_b32_e32 v2, 3, v2
	v_cmp_eq_u32_e32 vcc, 0, v9
	v_cndmask_b32_e32 v9, v9, v10, vcc
	v_cndmask_b32_e32 v2, v7, v2, vcc
	v_mov_b32_e32 v7, 0x37800000
	v_lshlrev_b32_e32 v2, 21, v2
	v_and_b32_e32 v1, 0x80000000, v1
	v_lshl_add_u32 v7, v9, 23, v7
	v_or3_b32 v1, v1, v7, v2
	v_cvt_i32_f32_e32 v1, v1
.LBB46_1807:
	s_or_b64 exec, exec, s[16:17]
	s_mov_b64 s[16:17], 0
	s_branch .LBB46_1813
.LBB46_1808:
	s_mov_b64 s[16:17], -1
                                        ; implicit-def: $vgpr1
	s_branch .LBB46_1819
.LBB46_1809:
	s_andn2_saveexec_b64 s[20:21], s[20:21]
	s_cbranch_execz .LBB46_1794
.LBB46_1810:
	v_cmp_ne_u16_e32 vcc, 0, v2
	s_andn2_b64 s[22:23], s[22:23], exec
	s_and_b64 s[26:27], vcc, exec
	s_or_b64 s[22:23], s[22:23], s[26:27]
	s_or_b64 exec, exec, s[20:21]
	v_mov_b32_e32 v1, 0
	s_and_saveexec_b64 s[20:21], s[22:23]
	s_cbranch_execnz .LBB46_1795
	s_branch .LBB46_1796
.LBB46_1811:
	s_mov_b64 s[16:17], -1
                                        ; implicit-def: $vgpr1
	s_branch .LBB46_1816
.LBB46_1812:
	s_mov_b64 s[16:17], -1
                                        ; implicit-def: $vgpr1
.LBB46_1813:
	s_and_b64 vcc, exec, s[16:17]
	s_cbranch_vccz .LBB46_1815
; %bb.1814:
	global_load_ubyte v1, v[4:5], off
	s_mov_b32 s16, 0x7f800000
	s_waitcnt vmcnt(0)
	v_lshlrev_b32_e32 v1, 24, v1
	v_and_b32_e32 v2, 0x7f000000, v1
	v_ffbh_u32_e32 v7, v2
	v_min_u32_e32 v7, 32, v7
	v_sub_u32_e64 v7, v7, 4 clamp
	v_lshlrev_b32_e32 v10, v7, v2
	v_lshlrev_b32_e32 v7, 23, v7
	v_lshrrev_b32_e32 v10, 4, v10
	v_add_u32_e32 v9, 0x1000000, v2
	v_sub_u32_e32 v7, v10, v7
	v_ashrrev_i32_e32 v9, 8, v9
	v_add_u32_e32 v7, 0x3c000000, v7
	v_and_or_b32 v7, v9, s16, v7
	v_cmp_ne_u32_e32 vcc, 0, v2
	v_cndmask_b32_e32 v2, 0, v7, vcc
	s_brev_b32 s16, 1
	v_and_or_b32 v1, v1, s16, v2
	v_cvt_i32_f32_e32 v1, v1
.LBB46_1815:
	s_mov_b64 s[16:17], 0
.LBB46_1816:
	s_andn2_b64 vcc, exec, s[16:17]
	s_cbranch_vccnz .LBB46_1818
; %bb.1817:
	global_load_ubyte v1, v[4:5], off
	s_movk_i32 s16, 0x7f00
	s_brev_b32 s17, 16
	s_waitcnt vmcnt(0)
	v_lshlrev_b16_e32 v2, 8, v1
	v_lshlrev_b32_e32 v1, 25, v1
	v_lshrrev_b32_e32 v7, 4, v1
	v_and_or_b32 v9, v2, s16, 0.5
	v_or_b32_e32 v7, 0x70000000, v7
	v_add_f32_e32 v9, -0.5, v9
	v_mul_f32_e32 v7, 0x7800000, v7
	v_cmp_gt_u32_e32 vcc, s17, v1
	v_bfe_i32 v2, v2, 0, 16
	v_cndmask_b32_e32 v1, v7, v9, vcc
	s_brev_b32 s16, 1
	v_and_or_b32 v1, v2, s16, v1
	v_cvt_i32_f32_e32 v1, v1
.LBB46_1818:
	s_mov_b64 s[16:17], 0
	s_mov_b64 s[20:21], -1
.LBB46_1819:
	s_andn2_b64 vcc, exec, s[16:17]
	s_mov_b64 s[16:17], 0
	s_cbranch_vccnz .LBB46_1830
; %bb.1820:
	s_cmp_gt_i32 s15, 14
	s_cbranch_scc0 .LBB46_1823
; %bb.1821:
	s_cmp_eq_u32 s15, 15
	s_cbranch_scc0 .LBB46_1826
; %bb.1822:
	global_load_ushort v1, v[4:5], off
	s_mov_b64 s[0:1], 0
	s_mov_b64 s[20:21], -1
	s_waitcnt vmcnt(0)
	v_lshlrev_b32_e32 v1, 16, v1
	v_cvt_i32_f32_e32 v1, v1
	s_branch .LBB46_1827
.LBB46_1823:
	s_mov_b64 s[22:23], -1
                                        ; implicit-def: $vgpr1
	s_branch .LBB46_1828
.LBB46_1824:
	s_andn2_saveexec_b64 s[16:17], s[16:17]
	s_cbranch_execz .LBB46_1805
.LBB46_1825:
	v_cmp_ne_u16_e32 vcc, 0, v2
	s_andn2_b64 s[20:21], s[20:21], exec
	s_and_b64 s[22:23], vcc, exec
	s_or_b64 s[20:21], s[20:21], s[22:23]
	s_or_b64 exec, exec, s[16:17]
	v_mov_b32_e32 v1, 0
	s_and_saveexec_b64 s[16:17], s[20:21]
	s_cbranch_execnz .LBB46_1806
	s_branch .LBB46_1807
.LBB46_1826:
	s_mov_b64 s[0:1], -1
                                        ; implicit-def: $vgpr1
.LBB46_1827:
	s_mov_b64 s[22:23], 0
.LBB46_1828:
	s_and_b64 vcc, exec, s[22:23]
	s_cbranch_vccz .LBB46_1830
; %bb.1829:
	s_cmp_lg_u32 s15, 11
	s_mov_b64 s[16:17], -1
	s_cselect_b64 s[0:1], -1, 0
.LBB46_1830:
	s_and_b64 vcc, exec, s[0:1]
	s_cbranch_vccnz .LBB46_1893
; %bb.1831:
	s_andn2_b64 vcc, exec, s[16:17]
	s_cbranch_vccnz .LBB46_1833
.LBB46_1832:
	global_load_ubyte v1, v[4:5], off
	s_mov_b64 s[20:21], -1
	s_waitcnt vmcnt(0)
	v_cmp_ne_u16_e32 vcc, 0, v1
	v_cndmask_b32_e64 v1, 0, 1, vcc
.LBB46_1833:
	s_branch .LBB46_1765
.LBB46_1834:
	s_and_b32 s15, 0xffff, s24
	s_cmp_lt_i32 s15, 5
	s_cbranch_scc1 .LBB46_1839
; %bb.1835:
	s_cmp_lt_i32 s15, 8
	s_cbranch_scc1 .LBB46_1840
; %bb.1836:
	s_cmp_lt_i32 s15, 9
	s_cbranch_scc1 .LBB46_1841
; %bb.1837:
	s_cmp_gt_i32 s15, 9
	s_cbranch_scc0 .LBB46_1842
; %bb.1838:
	global_load_dwordx2 v[1:2], v[4:5], off
	s_mov_b64 s[0:1], 0
	s_waitcnt vmcnt(0)
	v_cvt_i32_f64_e32 v1, v[1:2]
	s_branch .LBB46_1843
.LBB46_1839:
	s_mov_b64 s[0:1], -1
                                        ; implicit-def: $vgpr1
	s_branch .LBB46_1861
.LBB46_1840:
	s_mov_b64 s[0:1], -1
                                        ; implicit-def: $vgpr1
	s_branch .LBB46_1849
.LBB46_1841:
	s_mov_b64 s[0:1], -1
                                        ; implicit-def: $vgpr1
	s_branch .LBB46_1846
.LBB46_1842:
	s_mov_b64 s[0:1], -1
                                        ; implicit-def: $vgpr1
.LBB46_1843:
	s_andn2_b64 vcc, exec, s[0:1]
	s_cbranch_vccnz .LBB46_1845
; %bb.1844:
	global_load_dword v1, v[4:5], off
	s_waitcnt vmcnt(0)
	v_cvt_i32_f32_e32 v1, v1
.LBB46_1845:
	s_mov_b64 s[0:1], 0
.LBB46_1846:
	s_andn2_b64 vcc, exec, s[0:1]
	s_cbranch_vccnz .LBB46_1848
; %bb.1847:
	global_load_dword v1, v[4:5], off
	s_waitcnt vmcnt(0)
	v_cvt_i16_f16_e32 v1, v1
.LBB46_1848:
	s_mov_b64 s[0:1], 0
.LBB46_1849:
	s_andn2_b64 vcc, exec, s[0:1]
	s_cbranch_vccnz .LBB46_1860
; %bb.1850:
	s_cmp_lt_i32 s15, 6
	s_cbranch_scc1 .LBB46_1853
; %bb.1851:
	s_cmp_gt_i32 s15, 6
	s_cbranch_scc0 .LBB46_1854
; %bb.1852:
	global_load_dwordx2 v[1:2], v[4:5], off
	s_mov_b64 s[0:1], 0
	s_waitcnt vmcnt(0)
	v_cvt_i32_f64_e32 v1, v[1:2]
	s_branch .LBB46_1855
.LBB46_1853:
	s_mov_b64 s[0:1], -1
                                        ; implicit-def: $vgpr1
	s_branch .LBB46_1858
.LBB46_1854:
	s_mov_b64 s[0:1], -1
                                        ; implicit-def: $vgpr1
.LBB46_1855:
	s_andn2_b64 vcc, exec, s[0:1]
	s_cbranch_vccnz .LBB46_1857
; %bb.1856:
	global_load_dword v1, v[4:5], off
	s_waitcnt vmcnt(0)
	v_cvt_i32_f32_e32 v1, v1
.LBB46_1857:
	s_mov_b64 s[0:1], 0
.LBB46_1858:
	s_andn2_b64 vcc, exec, s[0:1]
	s_cbranch_vccnz .LBB46_1860
; %bb.1859:
	global_load_ushort v1, v[4:5], off
	s_waitcnt vmcnt(0)
	v_cvt_i16_f16_e32 v1, v1
.LBB46_1860:
	s_mov_b64 s[0:1], 0
.LBB46_1861:
	s_andn2_b64 vcc, exec, s[0:1]
	s_cbranch_vccnz .LBB46_1881
; %bb.1862:
	s_cmp_lt_i32 s15, 2
	s_cbranch_scc1 .LBB46_1866
; %bb.1863:
	s_cmp_lt_i32 s15, 3
	s_cbranch_scc1 .LBB46_1867
; %bb.1864:
	s_cmp_gt_i32 s15, 3
	s_cbranch_scc0 .LBB46_1868
; %bb.1865:
	global_load_dwordx2 v[1:2], v[4:5], off
	s_mov_b64 s[0:1], 0
	s_branch .LBB46_1869
.LBB46_1866:
	s_mov_b64 s[0:1], -1
                                        ; implicit-def: $vgpr1
	s_branch .LBB46_1875
.LBB46_1867:
	s_mov_b64 s[0:1], -1
                                        ; implicit-def: $vgpr1
	s_branch .LBB46_1872
.LBB46_1868:
	s_mov_b64 s[0:1], -1
                                        ; implicit-def: $vgpr1
.LBB46_1869:
	s_andn2_b64 vcc, exec, s[0:1]
	s_cbranch_vccnz .LBB46_1871
; %bb.1870:
	global_load_dword v1, v[4:5], off
.LBB46_1871:
	s_mov_b64 s[0:1], 0
.LBB46_1872:
	s_andn2_b64 vcc, exec, s[0:1]
	s_cbranch_vccnz .LBB46_1874
; %bb.1873:
	global_load_ushort v1, v[4:5], off
.LBB46_1874:
	s_mov_b64 s[0:1], 0
.LBB46_1875:
	s_andn2_b64 vcc, exec, s[0:1]
	s_cbranch_vccnz .LBB46_1881
; %bb.1876:
	s_cmp_gt_i32 s15, 0
	s_cbranch_scc0 .LBB46_1878
; %bb.1877:
	global_load_ubyte v1, v[4:5], off
	s_mov_b64 s[0:1], 0
	s_branch .LBB46_1879
.LBB46_1878:
	s_mov_b64 s[0:1], -1
                                        ; implicit-def: $vgpr1
.LBB46_1879:
	s_andn2_b64 vcc, exec, s[0:1]
	s_cbranch_vccnz .LBB46_1881
; %bb.1880:
	global_load_ubyte v1, v[4:5], off
.LBB46_1881:
.LBB46_1882:
	s_lshl_b32 s22, s14, 7
	s_waitcnt vmcnt(0)
	v_add_u32_e32 v2, s22, v6
	v_ashrrev_i32_e32 v5, 31, v2
	v_mov_b32_e32 v6, s3
	v_add_co_u32_e32 v4, vcc, s2, v2
	s_cmp_lt_i32 s25, 11
	v_addc_co_u32_e32 v5, vcc, v6, v5, vcc
	s_cbranch_scc1 .LBB46_1889
; %bb.1883:
	s_and_b32 s23, 0xffff, s25
	s_cmp_gt_i32 s23, 25
	s_mov_b64 s[14:15], 0
	s_cbranch_scc0 .LBB46_1890
; %bb.1884:
	s_cmp_gt_i32 s23, 28
	s_cbranch_scc0 .LBB46_1891
; %bb.1885:
	s_cmp_gt_i32 s23, 43
	;; [unrolled: 3-line block ×3, first 2 shown]
	s_cbranch_scc0 .LBB46_1894
; %bb.1887:
	s_cmp_eq_u32 s23, 46
	s_mov_b64 s[20:21], 0
	s_cbranch_scc0 .LBB46_1895
; %bb.1888:
	global_load_dword v6, v[4:5], off
	s_mov_b64 s[0:1], 0
	s_mov_b64 s[16:17], -1
	s_waitcnt vmcnt(0)
	v_lshlrev_b32_e32 v6, 16, v6
	v_cvt_i32_f32_e32 v6, v6
	s_branch .LBB46_1896
.LBB46_1889:
	s_mov_b64 s[0:1], -1
	s_mov_b64 s[16:17], 0
                                        ; implicit-def: $vgpr6
	s_branch .LBB46_1958
.LBB46_1890:
	s_mov_b64 s[20:21], -1
	s_mov_b64 s[16:17], 0
	s_mov_b64 s[0:1], 0
                                        ; implicit-def: $vgpr6
	s_branch .LBB46_1923
.LBB46_1891:
	s_mov_b64 s[20:21], -1
	s_mov_b64 s[16:17], 0
	s_mov_b64 s[0:1], 0
                                        ; implicit-def: $vgpr6
	s_branch .LBB46_1906
.LBB46_1892:
	s_mov_b64 s[20:21], -1
	s_mov_b64 s[16:17], 0
	s_mov_b64 s[0:1], 0
                                        ; implicit-def: $vgpr6
	s_branch .LBB46_1901
.LBB46_1893:
	s_trap 2
	s_or_b64 s[18:19], s[18:19], exec
	s_cbranch_execz .LBB46_1832
	s_branch .LBB46_1833
.LBB46_1894:
	s_mov_b64 s[20:21], -1
	s_mov_b64 s[16:17], 0
	s_mov_b64 s[0:1], 0
                                        ; implicit-def: $vgpr6
	s_branch .LBB46_1896
.LBB46_1895:
	s_mov_b64 s[0:1], -1
                                        ; implicit-def: $vgpr6
	s_mov_b64 s[16:17], 0
.LBB46_1896:
	s_and_b64 vcc, exec, s[20:21]
	s_cbranch_vccz .LBB46_1900
; %bb.1897:
	s_cmp_eq_u32 s23, 44
	s_cbranch_scc0 .LBB46_1899
; %bb.1898:
	global_load_ubyte v6, v[4:5], off
	s_mov_b64 s[0:1], 0
	s_mov_b64 s[16:17], -1
	s_waitcnt vmcnt(0)
	v_lshlrev_b32_e32 v7, 23, v6
	v_cvt_i32_f32_e32 v7, v7
	v_cmp_ne_u32_e32 vcc, 0, v6
	v_cndmask_b32_e32 v6, 0, v7, vcc
	s_branch .LBB46_1900
.LBB46_1899:
	s_mov_b64 s[0:1], -1
                                        ; implicit-def: $vgpr6
.LBB46_1900:
	s_mov_b64 s[20:21], 0
.LBB46_1901:
	s_and_b64 vcc, exec, s[20:21]
	s_cbranch_vccz .LBB46_1905
; %bb.1902:
	s_cmp_eq_u32 s23, 29
	s_cbranch_scc0 .LBB46_1904
; %bb.1903:
	global_load_dwordx2 v[6:7], v[4:5], off
	s_mov_b64 s[0:1], 0
	s_mov_b64 s[16:17], -1
	s_branch .LBB46_1905
.LBB46_1904:
	s_mov_b64 s[0:1], -1
                                        ; implicit-def: $vgpr6
.LBB46_1905:
	s_mov_b64 s[20:21], 0
.LBB46_1906:
	s_and_b64 vcc, exec, s[20:21]
	s_cbranch_vccz .LBB46_1922
; %bb.1907:
	s_cmp_lt_i32 s23, 27
	s_cbranch_scc1 .LBB46_1910
; %bb.1908:
	s_cmp_gt_i32 s23, 27
	s_cbranch_scc0 .LBB46_1911
; %bb.1909:
	global_load_dword v6, v[4:5], off
	s_mov_b64 s[16:17], 0
	s_branch .LBB46_1912
.LBB46_1910:
	s_mov_b64 s[16:17], -1
                                        ; implicit-def: $vgpr6
	s_branch .LBB46_1915
.LBB46_1911:
	s_mov_b64 s[16:17], -1
                                        ; implicit-def: $vgpr6
.LBB46_1912:
	s_andn2_b64 vcc, exec, s[16:17]
	s_cbranch_vccnz .LBB46_1914
; %bb.1913:
	global_load_ushort v6, v[4:5], off
.LBB46_1914:
	s_mov_b64 s[16:17], 0
.LBB46_1915:
	s_andn2_b64 vcc, exec, s[16:17]
	s_cbranch_vccnz .LBB46_1921
; %bb.1916:
	global_load_ubyte v7, v[4:5], off
	s_movk_i32 s16, 0x7f
	s_mov_b64 s[20:21], 0
	s_waitcnt vmcnt(0)
	v_cmp_lt_i16_e32 vcc, s16, v7
	s_and_saveexec_b64 s[16:17], vcc
	s_xor_b64 s[16:17], exec, s[16:17]
	s_cbranch_execz .LBB46_1933
; %bb.1917:
	s_movk_i32 s20, 0x80
	v_cmp_ne_u16_e32 vcc, s20, v7
	s_and_b64 s[20:21], vcc, exec
	s_andn2_saveexec_b64 s[16:17], s[16:17]
	s_cbranch_execnz .LBB46_1934
.LBB46_1918:
	s_or_b64 exec, exec, s[16:17]
	v_mov_b32_e32 v6, 0
	s_and_saveexec_b64 s[16:17], s[20:21]
	s_cbranch_execz .LBB46_1920
.LBB46_1919:
	v_lshlrev_b32_e32 v6, 24, v7
	v_and_b32_e32 v7, 0xffff, v7
	v_and_b32_e32 v9, 7, v7
	v_ffbh_u32_e32 v11, v9
	v_min_u32_e32 v11, 32, v11
	v_subrev_u32_e32 v12, 28, v11
	v_bfe_u32 v10, v7, 3, 4
	v_lshlrev_b32_e32 v7, v12, v7
	v_sub_u32_e32 v11, 29, v11
	v_and_b32_e32 v7, 7, v7
	v_cmp_eq_u32_e32 vcc, 0, v10
	v_cndmask_b32_e32 v10, v10, v11, vcc
	v_cndmask_b32_e32 v7, v9, v7, vcc
	v_mov_b32_e32 v9, 0x3b800000
	v_lshlrev_b32_e32 v7, 20, v7
	v_and_b32_e32 v6, 0x80000000, v6
	v_lshl_add_u32 v9, v10, 23, v9
	v_or3_b32 v6, v6, v9, v7
	v_cvt_i32_f32_e32 v6, v6
.LBB46_1920:
	s_or_b64 exec, exec, s[16:17]
.LBB46_1921:
	s_mov_b64 s[16:17], -1
.LBB46_1922:
	s_mov_b64 s[20:21], 0
.LBB46_1923:
	s_and_b64 vcc, exec, s[20:21]
	s_cbranch_vccz .LBB46_1954
; %bb.1924:
	s_cmp_gt_i32 s23, 22
	s_cbranch_scc0 .LBB46_1932
; %bb.1925:
	s_cmp_lt_i32 s23, 24
	s_cbranch_scc1 .LBB46_1935
; %bb.1926:
	s_cmp_gt_i32 s23, 24
	s_cbranch_scc0 .LBB46_1936
; %bb.1927:
	global_load_ubyte v7, v[4:5], off
	s_movk_i32 s14, 0x7f
	s_mov_b64 s[16:17], 0
	s_waitcnt vmcnt(0)
	v_cmp_lt_i16_e32 vcc, s14, v7
	s_and_saveexec_b64 s[14:15], vcc
	s_xor_b64 s[14:15], exec, s[14:15]
	s_cbranch_execz .LBB46_1948
; %bb.1928:
	s_movk_i32 s16, 0x80
	v_cmp_ne_u16_e32 vcc, s16, v7
	s_and_b64 s[16:17], vcc, exec
	s_andn2_saveexec_b64 s[14:15], s[14:15]
	s_cbranch_execnz .LBB46_1949
.LBB46_1929:
	s_or_b64 exec, exec, s[14:15]
	v_mov_b32_e32 v6, 0
	s_and_saveexec_b64 s[14:15], s[16:17]
	s_cbranch_execz .LBB46_1931
.LBB46_1930:
	v_lshlrev_b32_e32 v6, 24, v7
	v_and_b32_e32 v7, 0xffff, v7
	v_and_b32_e32 v9, 3, v7
	v_ffbh_u32_e32 v11, v9
	v_min_u32_e32 v11, 32, v11
	v_subrev_u32_e32 v12, 29, v11
	v_bfe_u32 v10, v7, 2, 5
	v_lshlrev_b32_e32 v7, v12, v7
	v_sub_u32_e32 v11, 30, v11
	v_and_b32_e32 v7, 3, v7
	v_cmp_eq_u32_e32 vcc, 0, v10
	v_cndmask_b32_e32 v10, v10, v11, vcc
	v_cndmask_b32_e32 v7, v9, v7, vcc
	v_mov_b32_e32 v9, 0x37800000
	v_lshlrev_b32_e32 v7, 21, v7
	v_and_b32_e32 v6, 0x80000000, v6
	v_lshl_add_u32 v9, v10, 23, v9
	v_or3_b32 v6, v6, v9, v7
	v_cvt_i32_f32_e32 v6, v6
.LBB46_1931:
	s_or_b64 exec, exec, s[14:15]
	s_mov_b64 s[14:15], 0
	s_branch .LBB46_1937
.LBB46_1932:
	s_mov_b64 s[14:15], -1
                                        ; implicit-def: $vgpr6
	s_branch .LBB46_1943
.LBB46_1933:
	s_andn2_saveexec_b64 s[16:17], s[16:17]
	s_cbranch_execz .LBB46_1918
.LBB46_1934:
	v_cmp_ne_u16_e32 vcc, 0, v7
	s_andn2_b64 s[20:21], s[20:21], exec
	s_and_b64 s[26:27], vcc, exec
	s_or_b64 s[20:21], s[20:21], s[26:27]
	s_or_b64 exec, exec, s[16:17]
	v_mov_b32_e32 v6, 0
	s_and_saveexec_b64 s[16:17], s[20:21]
	s_cbranch_execnz .LBB46_1919
	s_branch .LBB46_1920
.LBB46_1935:
	s_mov_b64 s[14:15], -1
                                        ; implicit-def: $vgpr6
	s_branch .LBB46_1940
.LBB46_1936:
	s_mov_b64 s[14:15], -1
                                        ; implicit-def: $vgpr6
.LBB46_1937:
	s_and_b64 vcc, exec, s[14:15]
	s_cbranch_vccz .LBB46_1939
; %bb.1938:
	global_load_ubyte v6, v[4:5], off
	s_mov_b32 s14, 0x7f800000
	s_waitcnt vmcnt(0)
	v_lshlrev_b32_e32 v6, 24, v6
	v_and_b32_e32 v7, 0x7f000000, v6
	v_ffbh_u32_e32 v9, v7
	v_min_u32_e32 v9, 32, v9
	v_sub_u32_e64 v9, v9, 4 clamp
	v_lshlrev_b32_e32 v11, v9, v7
	v_lshlrev_b32_e32 v9, 23, v9
	v_lshrrev_b32_e32 v11, 4, v11
	v_add_u32_e32 v10, 0x1000000, v7
	v_sub_u32_e32 v9, v11, v9
	v_ashrrev_i32_e32 v10, 8, v10
	v_add_u32_e32 v9, 0x3c000000, v9
	v_and_or_b32 v9, v10, s14, v9
	v_cmp_ne_u32_e32 vcc, 0, v7
	v_cndmask_b32_e32 v7, 0, v9, vcc
	s_brev_b32 s14, 1
	v_and_or_b32 v6, v6, s14, v7
	v_cvt_i32_f32_e32 v6, v6
.LBB46_1939:
	s_mov_b64 s[14:15], 0
.LBB46_1940:
	s_andn2_b64 vcc, exec, s[14:15]
	s_cbranch_vccnz .LBB46_1942
; %bb.1941:
	global_load_ubyte v6, v[4:5], off
	s_movk_i32 s14, 0x7f00
	s_brev_b32 s15, 16
	s_waitcnt vmcnt(0)
	v_lshlrev_b16_e32 v7, 8, v6
	v_lshlrev_b32_e32 v6, 25, v6
	v_lshrrev_b32_e32 v9, 4, v6
	v_and_or_b32 v10, v7, s14, 0.5
	v_or_b32_e32 v9, 0x70000000, v9
	v_add_f32_e32 v10, -0.5, v10
	v_mul_f32_e32 v9, 0x7800000, v9
	v_cmp_gt_u32_e32 vcc, s15, v6
	v_bfe_i32 v7, v7, 0, 16
	v_cndmask_b32_e32 v6, v9, v10, vcc
	s_brev_b32 s14, 1
	v_and_or_b32 v6, v7, s14, v6
	v_cvt_i32_f32_e32 v6, v6
.LBB46_1942:
	s_mov_b64 s[14:15], 0
	s_mov_b64 s[16:17], -1
.LBB46_1943:
	s_andn2_b64 vcc, exec, s[14:15]
	s_mov_b64 s[14:15], 0
	s_cbranch_vccnz .LBB46_1954
; %bb.1944:
	s_cmp_gt_i32 s23, 14
	s_cbranch_scc0 .LBB46_1947
; %bb.1945:
	s_cmp_eq_u32 s23, 15
	s_cbranch_scc0 .LBB46_1950
; %bb.1946:
	global_load_ushort v6, v[4:5], off
	s_mov_b64 s[0:1], 0
	s_mov_b64 s[16:17], -1
	s_waitcnt vmcnt(0)
	v_lshlrev_b32_e32 v6, 16, v6
	v_cvt_i32_f32_e32 v6, v6
	s_branch .LBB46_1951
.LBB46_1947:
	s_mov_b64 s[20:21], -1
                                        ; implicit-def: $vgpr6
	s_branch .LBB46_1952
.LBB46_1948:
	s_andn2_saveexec_b64 s[14:15], s[14:15]
	s_cbranch_execz .LBB46_1929
.LBB46_1949:
	v_cmp_ne_u16_e32 vcc, 0, v7
	s_andn2_b64 s[16:17], s[16:17], exec
	s_and_b64 s[20:21], vcc, exec
	s_or_b64 s[16:17], s[16:17], s[20:21]
	s_or_b64 exec, exec, s[14:15]
	v_mov_b32_e32 v6, 0
	s_and_saveexec_b64 s[14:15], s[16:17]
	s_cbranch_execnz .LBB46_1930
	s_branch .LBB46_1931
.LBB46_1950:
	s_mov_b64 s[0:1], -1
                                        ; implicit-def: $vgpr6
.LBB46_1951:
	s_mov_b64 s[20:21], 0
.LBB46_1952:
	s_and_b64 vcc, exec, s[20:21]
	s_cbranch_vccz .LBB46_1954
; %bb.1953:
	s_cmp_lg_u32 s23, 11
	s_mov_b64 s[14:15], -1
	s_cselect_b64 s[0:1], -1, 0
.LBB46_1954:
	s_and_b64 vcc, exec, s[0:1]
	s_cbranch_vccnz .LBB46_2019
; %bb.1955:
	s_andn2_b64 vcc, exec, s[14:15]
	s_cbranch_vccnz .LBB46_1957
.LBB46_1956:
	global_load_ubyte v6, v[4:5], off
	s_mov_b64 s[16:17], -1
	s_waitcnt vmcnt(0)
	v_cmp_ne_u16_e32 vcc, 0, v6
	v_cndmask_b32_e64 v6, 0, 1, vcc
.LBB46_1957:
	s_mov_b64 s[0:1], 0
.LBB46_1958:
	s_and_b64 vcc, exec, s[0:1]
	s_cbranch_vccz .LBB46_2007
; %bb.1959:
	s_and_b32 s14, 0xffff, s25
	s_cmp_lt_i32 s14, 5
	s_cbranch_scc1 .LBB46_1964
; %bb.1960:
	s_cmp_lt_i32 s14, 8
	s_cbranch_scc1 .LBB46_1965
; %bb.1961:
	s_cmp_lt_i32 s14, 9
	s_cbranch_scc1 .LBB46_1966
; %bb.1962:
	s_cmp_gt_i32 s14, 9
	s_cbranch_scc0 .LBB46_1967
; %bb.1963:
	global_load_dwordx2 v[6:7], v[4:5], off
	s_mov_b64 s[0:1], 0
	s_waitcnt vmcnt(0)
	v_cvt_i32_f64_e32 v6, v[6:7]
	s_branch .LBB46_1968
.LBB46_1964:
	s_mov_b64 s[0:1], -1
                                        ; implicit-def: $vgpr6
	s_branch .LBB46_1986
.LBB46_1965:
	s_mov_b64 s[0:1], -1
                                        ; implicit-def: $vgpr6
	s_branch .LBB46_1974
.LBB46_1966:
	s_mov_b64 s[0:1], -1
                                        ; implicit-def: $vgpr6
	s_branch .LBB46_1971
.LBB46_1967:
	s_mov_b64 s[0:1], -1
                                        ; implicit-def: $vgpr6
.LBB46_1968:
	s_andn2_b64 vcc, exec, s[0:1]
	s_cbranch_vccnz .LBB46_1970
; %bb.1969:
	global_load_dword v6, v[4:5], off
	s_waitcnt vmcnt(0)
	v_cvt_i32_f32_e32 v6, v6
.LBB46_1970:
	s_mov_b64 s[0:1], 0
.LBB46_1971:
	s_andn2_b64 vcc, exec, s[0:1]
	s_cbranch_vccnz .LBB46_1973
; %bb.1972:
	global_load_dword v6, v[4:5], off
	s_waitcnt vmcnt(0)
	v_cvt_i16_f16_e32 v6, v6
.LBB46_1973:
	s_mov_b64 s[0:1], 0
.LBB46_1974:
	s_andn2_b64 vcc, exec, s[0:1]
	s_cbranch_vccnz .LBB46_1985
; %bb.1975:
	s_cmp_lt_i32 s14, 6
	s_cbranch_scc1 .LBB46_1978
; %bb.1976:
	s_cmp_gt_i32 s14, 6
	s_cbranch_scc0 .LBB46_1979
; %bb.1977:
	global_load_dwordx2 v[6:7], v[4:5], off
	s_mov_b64 s[0:1], 0
	s_waitcnt vmcnt(0)
	v_cvt_i32_f64_e32 v6, v[6:7]
	s_branch .LBB46_1980
.LBB46_1978:
	s_mov_b64 s[0:1], -1
                                        ; implicit-def: $vgpr6
	s_branch .LBB46_1983
.LBB46_1979:
	s_mov_b64 s[0:1], -1
                                        ; implicit-def: $vgpr6
.LBB46_1980:
	s_andn2_b64 vcc, exec, s[0:1]
	s_cbranch_vccnz .LBB46_1982
; %bb.1981:
	global_load_dword v6, v[4:5], off
	s_waitcnt vmcnt(0)
	v_cvt_i32_f32_e32 v6, v6
.LBB46_1982:
	s_mov_b64 s[0:1], 0
.LBB46_1983:
	s_andn2_b64 vcc, exec, s[0:1]
	s_cbranch_vccnz .LBB46_1985
; %bb.1984:
	global_load_ushort v6, v[4:5], off
	s_waitcnt vmcnt(0)
	v_cvt_i16_f16_e32 v6, v6
.LBB46_1985:
	s_mov_b64 s[0:1], 0
.LBB46_1986:
	s_andn2_b64 vcc, exec, s[0:1]
	s_cbranch_vccnz .LBB46_2006
; %bb.1987:
	s_cmp_lt_i32 s14, 2
	s_cbranch_scc1 .LBB46_1991
; %bb.1988:
	s_cmp_lt_i32 s14, 3
	s_cbranch_scc1 .LBB46_1992
; %bb.1989:
	s_cmp_gt_i32 s14, 3
	s_cbranch_scc0 .LBB46_1993
; %bb.1990:
	global_load_dwordx2 v[6:7], v[4:5], off
	s_mov_b64 s[0:1], 0
	s_branch .LBB46_1994
.LBB46_1991:
	s_mov_b64 s[0:1], -1
                                        ; implicit-def: $vgpr6
	s_branch .LBB46_2000
.LBB46_1992:
	s_mov_b64 s[0:1], -1
                                        ; implicit-def: $vgpr6
	s_branch .LBB46_1997
.LBB46_1993:
	s_mov_b64 s[0:1], -1
                                        ; implicit-def: $vgpr6
.LBB46_1994:
	s_andn2_b64 vcc, exec, s[0:1]
	s_cbranch_vccnz .LBB46_1996
; %bb.1995:
	global_load_dword v6, v[4:5], off
.LBB46_1996:
	s_mov_b64 s[0:1], 0
.LBB46_1997:
	s_andn2_b64 vcc, exec, s[0:1]
	s_cbranch_vccnz .LBB46_1999
; %bb.1998:
	global_load_ushort v6, v[4:5], off
.LBB46_1999:
	s_mov_b64 s[0:1], 0
.LBB46_2000:
	s_andn2_b64 vcc, exec, s[0:1]
	s_cbranch_vccnz .LBB46_2006
; %bb.2001:
	s_cmp_gt_i32 s14, 0
	s_cbranch_scc0 .LBB46_2003
; %bb.2002:
	global_load_ubyte v6, v[4:5], off
	s_mov_b64 s[0:1], 0
	s_branch .LBB46_2004
.LBB46_2003:
	s_mov_b64 s[0:1], -1
                                        ; implicit-def: $vgpr6
.LBB46_2004:
	s_andn2_b64 vcc, exec, s[0:1]
	s_cbranch_vccnz .LBB46_2006
; %bb.2005:
	global_load_ubyte v6, v[4:5], off
.LBB46_2006:
	s_mov_b64 s[16:17], -1
.LBB46_2007:
	s_andn2_b64 vcc, exec, s[16:17]
	s_cbranch_vccnz .LBB46_2947
; %bb.2008:
	v_add_u32_e32 v11, s13, v8
	v_ashrrev_i32_e32 v4, 31, v11
	v_mov_b32_e32 v5, s11
	s_waitcnt vmcnt(0)
	v_add_co_u32_e32 v7, vcc, s10, v11
	s_cmp_lt_i32 s24, 11
	v_addc_co_u32_e32 v8, vcc, v5, v4, vcc
	s_cbranch_scc1 .LBB46_2015
; %bb.2009:
	s_and_b32 s23, 0xffff, s24
	s_cmp_gt_i32 s23, 25
	s_mov_b64 s[14:15], 0
	s_cbranch_scc0 .LBB46_2016
; %bb.2010:
	s_cmp_gt_i32 s23, 28
	s_cbranch_scc0 .LBB46_2017
; %bb.2011:
	s_cmp_gt_i32 s23, 43
	;; [unrolled: 3-line block ×3, first 2 shown]
	s_cbranch_scc0 .LBB46_2020
; %bb.2013:
	s_cmp_eq_u32 s23, 46
	s_mov_b64 s[20:21], 0
	s_cbranch_scc0 .LBB46_2021
; %bb.2014:
	global_load_dword v4, v[7:8], off
	s_mov_b64 s[0:1], 0
	s_mov_b64 s[16:17], -1
	s_waitcnt vmcnt(0)
	v_lshlrev_b32_e32 v4, 16, v4
	v_cvt_i32_f32_e32 v4, v4
	s_branch .LBB46_2022
.LBB46_2015:
	s_mov_b64 s[0:1], -1
	s_mov_b64 s[16:17], 0
                                        ; implicit-def: $vgpr4
	s_branch .LBB46_2084
.LBB46_2016:
	s_mov_b64 s[20:21], -1
	s_mov_b64 s[16:17], 0
	s_mov_b64 s[0:1], 0
                                        ; implicit-def: $vgpr4
	s_branch .LBB46_2049
.LBB46_2017:
	s_mov_b64 s[20:21], -1
	s_mov_b64 s[16:17], 0
	s_mov_b64 s[0:1], 0
                                        ; implicit-def: $vgpr4
	s_branch .LBB46_2032
.LBB46_2018:
	s_mov_b64 s[20:21], -1
	s_mov_b64 s[16:17], 0
	s_mov_b64 s[0:1], 0
                                        ; implicit-def: $vgpr4
	s_branch .LBB46_2027
.LBB46_2019:
	s_trap 2
	s_or_b64 s[18:19], s[18:19], exec
	s_cbranch_execz .LBB46_1956
	s_branch .LBB46_1957
.LBB46_2020:
	s_mov_b64 s[20:21], -1
	s_mov_b64 s[16:17], 0
	s_mov_b64 s[0:1], 0
                                        ; implicit-def: $vgpr4
	s_branch .LBB46_2022
.LBB46_2021:
	s_mov_b64 s[0:1], -1
                                        ; implicit-def: $vgpr4
	s_mov_b64 s[16:17], 0
.LBB46_2022:
	s_and_b64 vcc, exec, s[20:21]
	s_cbranch_vccz .LBB46_2026
; %bb.2023:
	s_cmp_eq_u32 s23, 44
	s_cbranch_scc0 .LBB46_2025
; %bb.2024:
	global_load_ubyte v4, v[7:8], off
	s_mov_b64 s[0:1], 0
	s_mov_b64 s[16:17], -1
	s_waitcnt vmcnt(0)
	v_lshlrev_b32_e32 v5, 23, v4
	v_cvt_i32_f32_e32 v5, v5
	v_cmp_ne_u32_e32 vcc, 0, v4
	v_cndmask_b32_e32 v4, 0, v5, vcc
	s_branch .LBB46_2026
.LBB46_2025:
	s_mov_b64 s[0:1], -1
                                        ; implicit-def: $vgpr4
.LBB46_2026:
	s_mov_b64 s[20:21], 0
.LBB46_2027:
	s_and_b64 vcc, exec, s[20:21]
	s_cbranch_vccz .LBB46_2031
; %bb.2028:
	s_cmp_eq_u32 s23, 29
	s_cbranch_scc0 .LBB46_2030
; %bb.2029:
	global_load_dwordx2 v[4:5], v[7:8], off
	s_mov_b64 s[0:1], 0
	s_mov_b64 s[16:17], -1
	s_branch .LBB46_2031
.LBB46_2030:
	s_mov_b64 s[0:1], -1
                                        ; implicit-def: $vgpr4
.LBB46_2031:
	s_mov_b64 s[20:21], 0
.LBB46_2032:
	s_and_b64 vcc, exec, s[20:21]
	s_cbranch_vccz .LBB46_2048
; %bb.2033:
	s_cmp_lt_i32 s23, 27
	s_cbranch_scc1 .LBB46_2036
; %bb.2034:
	s_cmp_gt_i32 s23, 27
	s_cbranch_scc0 .LBB46_2037
; %bb.2035:
	global_load_dword v4, v[7:8], off
	s_mov_b64 s[16:17], 0
	s_branch .LBB46_2038
.LBB46_2036:
	s_mov_b64 s[16:17], -1
                                        ; implicit-def: $vgpr4
	s_branch .LBB46_2041
.LBB46_2037:
	s_mov_b64 s[16:17], -1
                                        ; implicit-def: $vgpr4
.LBB46_2038:
	s_andn2_b64 vcc, exec, s[16:17]
	s_cbranch_vccnz .LBB46_2040
; %bb.2039:
	global_load_ushort v4, v[7:8], off
.LBB46_2040:
	s_mov_b64 s[16:17], 0
.LBB46_2041:
	s_andn2_b64 vcc, exec, s[16:17]
	s_cbranch_vccnz .LBB46_2047
; %bb.2042:
	global_load_ubyte v5, v[7:8], off
	s_movk_i32 s16, 0x7f
	s_mov_b64 s[20:21], 0
	s_waitcnt vmcnt(0)
	v_cmp_lt_i16_e32 vcc, s16, v5
	s_and_saveexec_b64 s[16:17], vcc
	s_xor_b64 s[16:17], exec, s[16:17]
	s_cbranch_execz .LBB46_2059
; %bb.2043:
	s_movk_i32 s20, 0x80
	v_cmp_ne_u16_e32 vcc, s20, v5
	s_and_b64 s[20:21], vcc, exec
	s_andn2_saveexec_b64 s[16:17], s[16:17]
	s_cbranch_execnz .LBB46_2060
.LBB46_2044:
	s_or_b64 exec, exec, s[16:17]
	v_mov_b32_e32 v4, 0
	s_and_saveexec_b64 s[16:17], s[20:21]
	s_cbranch_execz .LBB46_2046
.LBB46_2045:
	v_lshlrev_b32_e32 v4, 24, v5
	v_and_b32_e32 v5, 0xffff, v5
	v_and_b32_e32 v9, 7, v5
	v_ffbh_u32_e32 v12, v9
	v_min_u32_e32 v12, 32, v12
	v_subrev_u32_e32 v13, 28, v12
	v_bfe_u32 v10, v5, 3, 4
	v_lshlrev_b32_e32 v5, v13, v5
	v_sub_u32_e32 v12, 29, v12
	v_and_b32_e32 v5, 7, v5
	v_cmp_eq_u32_e32 vcc, 0, v10
	v_cndmask_b32_e32 v10, v10, v12, vcc
	v_cndmask_b32_e32 v5, v9, v5, vcc
	v_mov_b32_e32 v9, 0x3b800000
	v_lshlrev_b32_e32 v5, 20, v5
	v_and_b32_e32 v4, 0x80000000, v4
	v_lshl_add_u32 v9, v10, 23, v9
	v_or3_b32 v4, v4, v9, v5
	v_cvt_i32_f32_e32 v4, v4
.LBB46_2046:
	s_or_b64 exec, exec, s[16:17]
.LBB46_2047:
	s_mov_b64 s[16:17], -1
.LBB46_2048:
	s_mov_b64 s[20:21], 0
.LBB46_2049:
	s_and_b64 vcc, exec, s[20:21]
	s_cbranch_vccz .LBB46_2080
; %bb.2050:
	s_cmp_gt_i32 s23, 22
	s_cbranch_scc0 .LBB46_2058
; %bb.2051:
	s_cmp_lt_i32 s23, 24
	s_cbranch_scc1 .LBB46_2061
; %bb.2052:
	s_cmp_gt_i32 s23, 24
	s_cbranch_scc0 .LBB46_2062
; %bb.2053:
	global_load_ubyte v5, v[7:8], off
	s_movk_i32 s14, 0x7f
	s_mov_b64 s[16:17], 0
	s_waitcnt vmcnt(0)
	v_cmp_lt_i16_e32 vcc, s14, v5
	s_and_saveexec_b64 s[14:15], vcc
	s_xor_b64 s[14:15], exec, s[14:15]
	s_cbranch_execz .LBB46_2074
; %bb.2054:
	s_movk_i32 s16, 0x80
	v_cmp_ne_u16_e32 vcc, s16, v5
	s_and_b64 s[16:17], vcc, exec
	s_andn2_saveexec_b64 s[14:15], s[14:15]
	s_cbranch_execnz .LBB46_2075
.LBB46_2055:
	s_or_b64 exec, exec, s[14:15]
	v_mov_b32_e32 v4, 0
	s_and_saveexec_b64 s[14:15], s[16:17]
	s_cbranch_execz .LBB46_2057
.LBB46_2056:
	v_lshlrev_b32_e32 v4, 24, v5
	v_and_b32_e32 v5, 0xffff, v5
	v_and_b32_e32 v9, 3, v5
	v_ffbh_u32_e32 v12, v9
	v_min_u32_e32 v12, 32, v12
	v_subrev_u32_e32 v13, 29, v12
	v_bfe_u32 v10, v5, 2, 5
	v_lshlrev_b32_e32 v5, v13, v5
	v_sub_u32_e32 v12, 30, v12
	v_and_b32_e32 v5, 3, v5
	v_cmp_eq_u32_e32 vcc, 0, v10
	v_cndmask_b32_e32 v10, v10, v12, vcc
	v_cndmask_b32_e32 v5, v9, v5, vcc
	v_mov_b32_e32 v9, 0x37800000
	v_lshlrev_b32_e32 v5, 21, v5
	v_and_b32_e32 v4, 0x80000000, v4
	v_lshl_add_u32 v9, v10, 23, v9
	v_or3_b32 v4, v4, v9, v5
	v_cvt_i32_f32_e32 v4, v4
.LBB46_2057:
	s_or_b64 exec, exec, s[14:15]
	s_mov_b64 s[14:15], 0
	s_branch .LBB46_2063
.LBB46_2058:
	s_mov_b64 s[14:15], -1
                                        ; implicit-def: $vgpr4
	s_branch .LBB46_2069
.LBB46_2059:
	s_andn2_saveexec_b64 s[16:17], s[16:17]
	s_cbranch_execz .LBB46_2044
.LBB46_2060:
	v_cmp_ne_u16_e32 vcc, 0, v5
	s_andn2_b64 s[20:21], s[20:21], exec
	s_and_b64 s[26:27], vcc, exec
	s_or_b64 s[20:21], s[20:21], s[26:27]
	s_or_b64 exec, exec, s[16:17]
	v_mov_b32_e32 v4, 0
	s_and_saveexec_b64 s[16:17], s[20:21]
	s_cbranch_execnz .LBB46_2045
	s_branch .LBB46_2046
.LBB46_2061:
	s_mov_b64 s[14:15], -1
                                        ; implicit-def: $vgpr4
	s_branch .LBB46_2066
.LBB46_2062:
	s_mov_b64 s[14:15], -1
                                        ; implicit-def: $vgpr4
.LBB46_2063:
	s_and_b64 vcc, exec, s[14:15]
	s_cbranch_vccz .LBB46_2065
; %bb.2064:
	global_load_ubyte v4, v[7:8], off
	s_mov_b32 s14, 0x7f800000
	s_waitcnt vmcnt(0)
	v_lshlrev_b32_e32 v4, 24, v4
	v_and_b32_e32 v5, 0x7f000000, v4
	v_ffbh_u32_e32 v9, v5
	v_min_u32_e32 v9, 32, v9
	v_sub_u32_e64 v9, v9, 4 clamp
	v_lshlrev_b32_e32 v12, v9, v5
	v_lshlrev_b32_e32 v9, 23, v9
	v_lshrrev_b32_e32 v12, 4, v12
	v_add_u32_e32 v10, 0x1000000, v5
	v_sub_u32_e32 v9, v12, v9
	v_ashrrev_i32_e32 v10, 8, v10
	v_add_u32_e32 v9, 0x3c000000, v9
	v_and_or_b32 v9, v10, s14, v9
	v_cmp_ne_u32_e32 vcc, 0, v5
	v_cndmask_b32_e32 v5, 0, v9, vcc
	s_brev_b32 s14, 1
	v_and_or_b32 v4, v4, s14, v5
	v_cvt_i32_f32_e32 v4, v4
.LBB46_2065:
	s_mov_b64 s[14:15], 0
.LBB46_2066:
	s_andn2_b64 vcc, exec, s[14:15]
	s_cbranch_vccnz .LBB46_2068
; %bb.2067:
	global_load_ubyte v4, v[7:8], off
	s_movk_i32 s14, 0x7f00
	s_brev_b32 s15, 16
	s_waitcnt vmcnt(0)
	v_lshlrev_b16_e32 v5, 8, v4
	v_lshlrev_b32_e32 v4, 25, v4
	v_lshrrev_b32_e32 v9, 4, v4
	v_and_or_b32 v10, v5, s14, 0.5
	v_or_b32_e32 v9, 0x70000000, v9
	v_add_f32_e32 v10, -0.5, v10
	v_mul_f32_e32 v9, 0x7800000, v9
	v_cmp_gt_u32_e32 vcc, s15, v4
	v_bfe_i32 v5, v5, 0, 16
	v_cndmask_b32_e32 v4, v9, v10, vcc
	s_brev_b32 s14, 1
	v_and_or_b32 v4, v5, s14, v4
	v_cvt_i32_f32_e32 v4, v4
.LBB46_2068:
	s_mov_b64 s[14:15], 0
	s_mov_b64 s[16:17], -1
.LBB46_2069:
	s_andn2_b64 vcc, exec, s[14:15]
	s_mov_b64 s[14:15], 0
	s_cbranch_vccnz .LBB46_2080
; %bb.2070:
	s_cmp_gt_i32 s23, 14
	s_cbranch_scc0 .LBB46_2073
; %bb.2071:
	s_cmp_eq_u32 s23, 15
	s_cbranch_scc0 .LBB46_2076
; %bb.2072:
	global_load_ushort v4, v[7:8], off
	s_mov_b64 s[0:1], 0
	s_mov_b64 s[16:17], -1
	s_waitcnt vmcnt(0)
	v_lshlrev_b32_e32 v4, 16, v4
	v_cvt_i32_f32_e32 v4, v4
	s_branch .LBB46_2077
.LBB46_2073:
	s_mov_b64 s[20:21], -1
                                        ; implicit-def: $vgpr4
	s_branch .LBB46_2078
.LBB46_2074:
	s_andn2_saveexec_b64 s[14:15], s[14:15]
	s_cbranch_execz .LBB46_2055
.LBB46_2075:
	v_cmp_ne_u16_e32 vcc, 0, v5
	s_andn2_b64 s[16:17], s[16:17], exec
	s_and_b64 s[20:21], vcc, exec
	s_or_b64 s[16:17], s[16:17], s[20:21]
	s_or_b64 exec, exec, s[14:15]
	v_mov_b32_e32 v4, 0
	s_and_saveexec_b64 s[14:15], s[16:17]
	s_cbranch_execnz .LBB46_2056
	s_branch .LBB46_2057
.LBB46_2076:
	s_mov_b64 s[0:1], -1
                                        ; implicit-def: $vgpr4
.LBB46_2077:
	s_mov_b64 s[20:21], 0
.LBB46_2078:
	s_and_b64 vcc, exec, s[20:21]
	s_cbranch_vccz .LBB46_2080
; %bb.2079:
	s_cmp_lg_u32 s23, 11
	s_mov_b64 s[14:15], -1
	s_cselect_b64 s[0:1], -1, 0
.LBB46_2080:
	s_and_b64 vcc, exec, s[0:1]
	s_cbranch_vccnz .LBB46_2145
; %bb.2081:
	s_andn2_b64 vcc, exec, s[14:15]
	s_cbranch_vccnz .LBB46_2083
.LBB46_2082:
	global_load_ubyte v4, v[7:8], off
	s_mov_b64 s[16:17], -1
	s_waitcnt vmcnt(0)
	v_cmp_ne_u16_e32 vcc, 0, v4
	v_cndmask_b32_e64 v4, 0, 1, vcc
.LBB46_2083:
	s_mov_b64 s[0:1], 0
.LBB46_2084:
	s_and_b64 vcc, exec, s[0:1]
	s_cbranch_vccz .LBB46_2133
; %bb.2085:
	s_and_b32 s14, 0xffff, s24
	s_cmp_lt_i32 s14, 5
	s_cbranch_scc1 .LBB46_2090
; %bb.2086:
	s_cmp_lt_i32 s14, 8
	s_cbranch_scc1 .LBB46_2091
; %bb.2087:
	s_cmp_lt_i32 s14, 9
	s_cbranch_scc1 .LBB46_2092
; %bb.2088:
	s_cmp_gt_i32 s14, 9
	s_cbranch_scc0 .LBB46_2093
; %bb.2089:
	global_load_dwordx2 v[4:5], v[7:8], off
	s_mov_b64 s[0:1], 0
	s_waitcnt vmcnt(0)
	v_cvt_i32_f64_e32 v4, v[4:5]
	s_branch .LBB46_2094
.LBB46_2090:
	s_mov_b64 s[0:1], -1
                                        ; implicit-def: $vgpr4
	s_branch .LBB46_2112
.LBB46_2091:
	s_mov_b64 s[0:1], -1
                                        ; implicit-def: $vgpr4
	s_branch .LBB46_2100
.LBB46_2092:
	s_mov_b64 s[0:1], -1
                                        ; implicit-def: $vgpr4
	s_branch .LBB46_2097
.LBB46_2093:
	s_mov_b64 s[0:1], -1
                                        ; implicit-def: $vgpr4
.LBB46_2094:
	s_andn2_b64 vcc, exec, s[0:1]
	s_cbranch_vccnz .LBB46_2096
; %bb.2095:
	global_load_dword v4, v[7:8], off
	s_waitcnt vmcnt(0)
	v_cvt_i32_f32_e32 v4, v4
.LBB46_2096:
	s_mov_b64 s[0:1], 0
.LBB46_2097:
	s_andn2_b64 vcc, exec, s[0:1]
	s_cbranch_vccnz .LBB46_2099
; %bb.2098:
	global_load_dword v4, v[7:8], off
	s_waitcnt vmcnt(0)
	v_cvt_i16_f16_e32 v4, v4
.LBB46_2099:
	s_mov_b64 s[0:1], 0
.LBB46_2100:
	s_andn2_b64 vcc, exec, s[0:1]
	s_cbranch_vccnz .LBB46_2111
; %bb.2101:
	s_cmp_lt_i32 s14, 6
	s_cbranch_scc1 .LBB46_2104
; %bb.2102:
	s_cmp_gt_i32 s14, 6
	s_cbranch_scc0 .LBB46_2105
; %bb.2103:
	global_load_dwordx2 v[4:5], v[7:8], off
	s_mov_b64 s[0:1], 0
	s_waitcnt vmcnt(0)
	v_cvt_i32_f64_e32 v4, v[4:5]
	s_branch .LBB46_2106
.LBB46_2104:
	s_mov_b64 s[0:1], -1
                                        ; implicit-def: $vgpr4
	s_branch .LBB46_2109
.LBB46_2105:
	s_mov_b64 s[0:1], -1
                                        ; implicit-def: $vgpr4
.LBB46_2106:
	s_andn2_b64 vcc, exec, s[0:1]
	s_cbranch_vccnz .LBB46_2108
; %bb.2107:
	global_load_dword v4, v[7:8], off
	s_waitcnt vmcnt(0)
	v_cvt_i32_f32_e32 v4, v4
.LBB46_2108:
	s_mov_b64 s[0:1], 0
.LBB46_2109:
	s_andn2_b64 vcc, exec, s[0:1]
	s_cbranch_vccnz .LBB46_2111
; %bb.2110:
	global_load_ushort v4, v[7:8], off
	s_waitcnt vmcnt(0)
	v_cvt_i16_f16_e32 v4, v4
.LBB46_2111:
	s_mov_b64 s[0:1], 0
.LBB46_2112:
	s_andn2_b64 vcc, exec, s[0:1]
	s_cbranch_vccnz .LBB46_2132
; %bb.2113:
	s_cmp_lt_i32 s14, 2
	s_cbranch_scc1 .LBB46_2117
; %bb.2114:
	s_cmp_lt_i32 s14, 3
	s_cbranch_scc1 .LBB46_2118
; %bb.2115:
	s_cmp_gt_i32 s14, 3
	s_cbranch_scc0 .LBB46_2119
; %bb.2116:
	global_load_dwordx2 v[4:5], v[7:8], off
	s_mov_b64 s[0:1], 0
	s_branch .LBB46_2120
.LBB46_2117:
	s_mov_b64 s[0:1], -1
                                        ; implicit-def: $vgpr4
	s_branch .LBB46_2126
.LBB46_2118:
	s_mov_b64 s[0:1], -1
                                        ; implicit-def: $vgpr4
	s_branch .LBB46_2123
.LBB46_2119:
	s_mov_b64 s[0:1], -1
                                        ; implicit-def: $vgpr4
.LBB46_2120:
	s_andn2_b64 vcc, exec, s[0:1]
	s_cbranch_vccnz .LBB46_2122
; %bb.2121:
	global_load_dword v4, v[7:8], off
.LBB46_2122:
	s_mov_b64 s[0:1], 0
.LBB46_2123:
	s_andn2_b64 vcc, exec, s[0:1]
	s_cbranch_vccnz .LBB46_2125
; %bb.2124:
	global_load_ushort v4, v[7:8], off
.LBB46_2125:
	s_mov_b64 s[0:1], 0
.LBB46_2126:
	s_andn2_b64 vcc, exec, s[0:1]
	s_cbranch_vccnz .LBB46_2132
; %bb.2127:
	s_cmp_gt_i32 s14, 0
	s_cbranch_scc0 .LBB46_2129
; %bb.2128:
	global_load_ubyte v4, v[7:8], off
	s_mov_b64 s[0:1], 0
	s_branch .LBB46_2130
.LBB46_2129:
	s_mov_b64 s[0:1], -1
                                        ; implicit-def: $vgpr4
.LBB46_2130:
	s_andn2_b64 vcc, exec, s[0:1]
	s_cbranch_vccnz .LBB46_2132
; %bb.2131:
	global_load_ubyte v4, v[7:8], off
.LBB46_2132:
	s_mov_b64 s[16:17], -1
.LBB46_2133:
	s_andn2_b64 vcc, exec, s[16:17]
	s_cbranch_vccnz .LBB46_2947
; %bb.2134:
	v_add_u32_e32 v2, s22, v2
	s_waitcnt vmcnt(0)
	v_ashrrev_i32_e32 v5, 31, v2
	v_mov_b32_e32 v8, s3
	v_add_co_u32_e32 v7, vcc, s2, v2
	s_cmp_lt_i32 s25, 11
	v_addc_co_u32_e32 v8, vcc, v8, v5, vcc
	s_cbranch_scc1 .LBB46_2141
; %bb.2135:
	s_and_b32 s23, 0xffff, s25
	s_cmp_gt_i32 s23, 25
	s_mov_b64 s[14:15], 0
	s_cbranch_scc0 .LBB46_2142
; %bb.2136:
	s_cmp_gt_i32 s23, 28
	s_cbranch_scc0 .LBB46_2143
; %bb.2137:
	s_cmp_gt_i32 s23, 43
	s_cbranch_scc0 .LBB46_2144
; %bb.2138:
	s_cmp_gt_i32 s23, 45
	s_cbranch_scc0 .LBB46_2146
; %bb.2139:
	s_cmp_eq_u32 s23, 46
	s_mov_b64 s[20:21], 0
	s_cbranch_scc0 .LBB46_2149
; %bb.2140:
	global_load_dword v5, v[7:8], off
	s_mov_b64 s[0:1], 0
	s_mov_b64 s[16:17], -1
	s_waitcnt vmcnt(0)
	v_lshlrev_b32_e32 v5, 16, v5
	v_cvt_i32_f32_e32 v9, v5
	s_branch .LBB46_2150
.LBB46_2141:
	s_mov_b64 s[0:1], -1
	s_mov_b64 s[16:17], 0
                                        ; implicit-def: $vgpr9
	s_branch .LBB46_2212
.LBB46_2142:
	s_mov_b64 s[20:21], -1
	s_mov_b64 s[16:17], 0
	s_mov_b64 s[0:1], 0
                                        ; implicit-def: $vgpr9
	s_branch .LBB46_2177
.LBB46_2143:
	s_mov_b64 s[20:21], -1
	s_mov_b64 s[16:17], 0
	s_mov_b64 s[0:1], 0
                                        ; implicit-def: $vgpr9
	s_branch .LBB46_2160
.LBB46_2144:
	s_mov_b64 s[20:21], -1
	s_mov_b64 s[16:17], 0
	s_mov_b64 s[0:1], 0
                                        ; implicit-def: $vgpr9
	s_branch .LBB46_2155
.LBB46_2145:
	s_trap 2
	s_or_b64 s[18:19], s[18:19], exec
	s_cbranch_execz .LBB46_2082
	s_branch .LBB46_2083
.LBB46_2146:
	s_mov_b64 s[20:21], -1
	s_mov_b64 s[16:17], 0
	s_mov_b64 s[0:1], 0
                                        ; implicit-def: $vgpr9
	s_branch .LBB46_2150
.LBB46_2147:
	s_andn2_saveexec_b64 s[44:45], s[44:45]
	s_cbranch_execz .LBB46_1061
.LBB46_2148:
	s_mov_b32 s49, 0x42800000
	v_add_f32_e64 v4, |v3|, s49
	v_and_b32_e32 v4, 0xff, v4
	v_cmp_ne_u32_e32 vcc, 0, v4
	s_andn2_b64 s[42:43], s[42:43], exec
	s_and_b64 s[50:51], vcc, exec
	s_or_b64 s[42:43], s[42:43], s[50:51]
	s_or_b64 exec, exec, s[44:45]
	v_mov_b32_e32 v5, 0
	s_and_saveexec_b64 s[44:45], s[42:43]
	s_cbranch_execnz .LBB46_1062
	s_branch .LBB46_1063
.LBB46_2149:
	s_mov_b64 s[0:1], -1
                                        ; implicit-def: $vgpr9
	s_mov_b64 s[16:17], 0
.LBB46_2150:
	s_and_b64 vcc, exec, s[20:21]
	s_cbranch_vccz .LBB46_2154
; %bb.2151:
	s_cmp_eq_u32 s23, 44
	s_cbranch_scc0 .LBB46_2153
; %bb.2152:
	global_load_ubyte v5, v[7:8], off
	s_mov_b64 s[0:1], 0
	s_mov_b64 s[16:17], -1
	s_waitcnt vmcnt(0)
	v_lshlrev_b32_e32 v9, 23, v5
	v_cvt_i32_f32_e32 v9, v9
	v_cmp_ne_u32_e32 vcc, 0, v5
	v_cndmask_b32_e32 v9, 0, v9, vcc
	s_branch .LBB46_2154
.LBB46_2153:
	s_mov_b64 s[0:1], -1
                                        ; implicit-def: $vgpr9
.LBB46_2154:
	s_mov_b64 s[20:21], 0
.LBB46_2155:
	s_and_b64 vcc, exec, s[20:21]
	s_cbranch_vccz .LBB46_2159
; %bb.2156:
	s_cmp_eq_u32 s23, 29
	s_cbranch_scc0 .LBB46_2158
; %bb.2157:
	global_load_dwordx2 v[9:10], v[7:8], off
	s_mov_b64 s[0:1], 0
	s_mov_b64 s[16:17], -1
	s_branch .LBB46_2159
.LBB46_2158:
	s_mov_b64 s[0:1], -1
                                        ; implicit-def: $vgpr9
.LBB46_2159:
	s_mov_b64 s[20:21], 0
.LBB46_2160:
	s_and_b64 vcc, exec, s[20:21]
	s_cbranch_vccz .LBB46_2176
; %bb.2161:
	s_cmp_lt_i32 s23, 27
	s_cbranch_scc1 .LBB46_2164
; %bb.2162:
	s_cmp_gt_i32 s23, 27
	s_cbranch_scc0 .LBB46_2165
; %bb.2163:
	global_load_dword v9, v[7:8], off
	s_mov_b64 s[16:17], 0
	s_branch .LBB46_2166
.LBB46_2164:
	s_mov_b64 s[16:17], -1
                                        ; implicit-def: $vgpr9
	s_branch .LBB46_2169
.LBB46_2165:
	s_mov_b64 s[16:17], -1
                                        ; implicit-def: $vgpr9
.LBB46_2166:
	s_andn2_b64 vcc, exec, s[16:17]
	s_cbranch_vccnz .LBB46_2168
; %bb.2167:
	global_load_ushort v9, v[7:8], off
.LBB46_2168:
	s_mov_b64 s[16:17], 0
.LBB46_2169:
	s_andn2_b64 vcc, exec, s[16:17]
	s_cbranch_vccnz .LBB46_2175
; %bb.2170:
	global_load_ubyte v5, v[7:8], off
	s_movk_i32 s16, 0x7f
	s_mov_b64 s[20:21], 0
	s_waitcnt vmcnt(0)
	v_cmp_lt_i16_e32 vcc, s16, v5
	s_and_saveexec_b64 s[16:17], vcc
	s_xor_b64 s[16:17], exec, s[16:17]
	s_cbranch_execz .LBB46_2187
; %bb.2171:
	s_movk_i32 s20, 0x80
	v_cmp_ne_u16_e32 vcc, s20, v5
	s_and_b64 s[20:21], vcc, exec
	s_andn2_saveexec_b64 s[16:17], s[16:17]
	s_cbranch_execnz .LBB46_2188
.LBB46_2172:
	s_or_b64 exec, exec, s[16:17]
	v_mov_b32_e32 v9, 0
	s_and_saveexec_b64 s[16:17], s[20:21]
	s_cbranch_execz .LBB46_2174
.LBB46_2173:
	v_lshlrev_b32_e32 v9, 24, v5
	v_and_b32_e32 v5, 0xffff, v5
	v_and_b32_e32 v10, 7, v5
	v_ffbh_u32_e32 v13, v10
	v_min_u32_e32 v13, 32, v13
	v_subrev_u32_e32 v15, 28, v13
	v_bfe_u32 v12, v5, 3, 4
	v_lshlrev_b32_e32 v5, v15, v5
	v_sub_u32_e32 v13, 29, v13
	v_and_b32_e32 v5, 7, v5
	v_cmp_eq_u32_e32 vcc, 0, v12
	v_cndmask_b32_e32 v12, v12, v13, vcc
	v_cndmask_b32_e32 v5, v10, v5, vcc
	v_mov_b32_e32 v10, 0x3b800000
	v_lshlrev_b32_e32 v5, 20, v5
	v_and_b32_e32 v9, 0x80000000, v9
	v_lshl_add_u32 v10, v12, 23, v10
	v_or3_b32 v5, v9, v10, v5
	v_cvt_i32_f32_e32 v9, v5
.LBB46_2174:
	s_or_b64 exec, exec, s[16:17]
.LBB46_2175:
	s_mov_b64 s[16:17], -1
.LBB46_2176:
	s_mov_b64 s[20:21], 0
.LBB46_2177:
	s_and_b64 vcc, exec, s[20:21]
	s_cbranch_vccz .LBB46_2208
; %bb.2178:
	s_cmp_gt_i32 s23, 22
	s_cbranch_scc0 .LBB46_2186
; %bb.2179:
	s_cmp_lt_i32 s23, 24
	s_cbranch_scc1 .LBB46_2189
; %bb.2180:
	s_cmp_gt_i32 s23, 24
	s_cbranch_scc0 .LBB46_2190
; %bb.2181:
	global_load_ubyte v5, v[7:8], off
	s_movk_i32 s14, 0x7f
	s_mov_b64 s[16:17], 0
	s_waitcnt vmcnt(0)
	v_cmp_lt_i16_e32 vcc, s14, v5
	s_and_saveexec_b64 s[14:15], vcc
	s_xor_b64 s[14:15], exec, s[14:15]
	s_cbranch_execz .LBB46_2202
; %bb.2182:
	s_movk_i32 s16, 0x80
	v_cmp_ne_u16_e32 vcc, s16, v5
	s_and_b64 s[16:17], vcc, exec
	s_andn2_saveexec_b64 s[14:15], s[14:15]
	s_cbranch_execnz .LBB46_2203
.LBB46_2183:
	s_or_b64 exec, exec, s[14:15]
	v_mov_b32_e32 v9, 0
	s_and_saveexec_b64 s[14:15], s[16:17]
	s_cbranch_execz .LBB46_2185
.LBB46_2184:
	v_lshlrev_b32_e32 v9, 24, v5
	v_and_b32_e32 v5, 0xffff, v5
	v_and_b32_e32 v10, 3, v5
	v_ffbh_u32_e32 v13, v10
	v_min_u32_e32 v13, 32, v13
	v_subrev_u32_e32 v15, 29, v13
	v_bfe_u32 v12, v5, 2, 5
	v_lshlrev_b32_e32 v5, v15, v5
	v_sub_u32_e32 v13, 30, v13
	v_and_b32_e32 v5, 3, v5
	v_cmp_eq_u32_e32 vcc, 0, v12
	v_cndmask_b32_e32 v12, v12, v13, vcc
	v_cndmask_b32_e32 v5, v10, v5, vcc
	v_mov_b32_e32 v10, 0x37800000
	v_lshlrev_b32_e32 v5, 21, v5
	v_and_b32_e32 v9, 0x80000000, v9
	v_lshl_add_u32 v10, v12, 23, v10
	v_or3_b32 v5, v9, v10, v5
	v_cvt_i32_f32_e32 v9, v5
.LBB46_2185:
	s_or_b64 exec, exec, s[14:15]
	s_mov_b64 s[14:15], 0
	s_branch .LBB46_2191
.LBB46_2186:
	s_mov_b64 s[14:15], -1
                                        ; implicit-def: $vgpr9
	s_branch .LBB46_2197
.LBB46_2187:
	s_andn2_saveexec_b64 s[16:17], s[16:17]
	s_cbranch_execz .LBB46_2172
.LBB46_2188:
	v_cmp_ne_u16_e32 vcc, 0, v5
	s_andn2_b64 s[20:21], s[20:21], exec
	s_and_b64 s[26:27], vcc, exec
	s_or_b64 s[20:21], s[20:21], s[26:27]
	s_or_b64 exec, exec, s[16:17]
	v_mov_b32_e32 v9, 0
	s_and_saveexec_b64 s[16:17], s[20:21]
	s_cbranch_execnz .LBB46_2173
	s_branch .LBB46_2174
.LBB46_2189:
	s_mov_b64 s[14:15], -1
                                        ; implicit-def: $vgpr9
	s_branch .LBB46_2194
.LBB46_2190:
	s_mov_b64 s[14:15], -1
                                        ; implicit-def: $vgpr9
.LBB46_2191:
	s_and_b64 vcc, exec, s[14:15]
	s_cbranch_vccz .LBB46_2193
; %bb.2192:
	global_load_ubyte v5, v[7:8], off
	s_mov_b32 s14, 0x7f800000
	s_waitcnt vmcnt(0)
	v_lshlrev_b32_e32 v5, 24, v5
	v_and_b32_e32 v9, 0x7f000000, v5
	v_ffbh_u32_e32 v10, v9
	v_min_u32_e32 v10, 32, v10
	v_sub_u32_e64 v10, v10, 4 clamp
	v_lshlrev_b32_e32 v13, v10, v9
	v_lshlrev_b32_e32 v10, 23, v10
	v_lshrrev_b32_e32 v13, 4, v13
	v_add_u32_e32 v12, 0x1000000, v9
	v_sub_u32_e32 v10, v13, v10
	v_ashrrev_i32_e32 v12, 8, v12
	v_add_u32_e32 v10, 0x3c000000, v10
	v_and_or_b32 v10, v12, s14, v10
	v_cmp_ne_u32_e32 vcc, 0, v9
	v_cndmask_b32_e32 v9, 0, v10, vcc
	s_brev_b32 s14, 1
	v_and_or_b32 v5, v5, s14, v9
	v_cvt_i32_f32_e32 v9, v5
.LBB46_2193:
	s_mov_b64 s[14:15], 0
.LBB46_2194:
	s_andn2_b64 vcc, exec, s[14:15]
	s_cbranch_vccnz .LBB46_2196
; %bb.2195:
	global_load_ubyte v5, v[7:8], off
	s_movk_i32 s14, 0x7f00
	s_brev_b32 s15, 16
	s_waitcnt vmcnt(0)
	v_lshlrev_b16_e32 v9, 8, v5
	v_lshlrev_b32_e32 v5, 25, v5
	v_lshrrev_b32_e32 v10, 4, v5
	v_and_or_b32 v12, v9, s14, 0.5
	v_or_b32_e32 v10, 0x70000000, v10
	v_add_f32_e32 v12, -0.5, v12
	v_mul_f32_e32 v10, 0x7800000, v10
	v_cmp_gt_u32_e32 vcc, s15, v5
	v_bfe_i32 v9, v9, 0, 16
	v_cndmask_b32_e32 v5, v10, v12, vcc
	s_brev_b32 s14, 1
	v_and_or_b32 v5, v9, s14, v5
	v_cvt_i32_f32_e32 v9, v5
.LBB46_2196:
	s_mov_b64 s[14:15], 0
	s_mov_b64 s[16:17], -1
.LBB46_2197:
	s_andn2_b64 vcc, exec, s[14:15]
	s_mov_b64 s[14:15], 0
	s_cbranch_vccnz .LBB46_2208
; %bb.2198:
	s_cmp_gt_i32 s23, 14
	s_cbranch_scc0 .LBB46_2201
; %bb.2199:
	s_cmp_eq_u32 s23, 15
	s_cbranch_scc0 .LBB46_2204
; %bb.2200:
	global_load_ushort v5, v[7:8], off
	s_mov_b64 s[0:1], 0
	s_mov_b64 s[16:17], -1
	s_waitcnt vmcnt(0)
	v_lshlrev_b32_e32 v5, 16, v5
	v_cvt_i32_f32_e32 v9, v5
	s_branch .LBB46_2205
.LBB46_2201:
	s_mov_b64 s[20:21], -1
                                        ; implicit-def: $vgpr9
	s_branch .LBB46_2206
.LBB46_2202:
	s_andn2_saveexec_b64 s[14:15], s[14:15]
	s_cbranch_execz .LBB46_2183
.LBB46_2203:
	v_cmp_ne_u16_e32 vcc, 0, v5
	s_andn2_b64 s[16:17], s[16:17], exec
	s_and_b64 s[20:21], vcc, exec
	s_or_b64 s[16:17], s[16:17], s[20:21]
	s_or_b64 exec, exec, s[14:15]
	v_mov_b32_e32 v9, 0
	s_and_saveexec_b64 s[14:15], s[16:17]
	s_cbranch_execnz .LBB46_2184
	s_branch .LBB46_2185
.LBB46_2204:
	s_mov_b64 s[0:1], -1
                                        ; implicit-def: $vgpr9
.LBB46_2205:
	s_mov_b64 s[20:21], 0
.LBB46_2206:
	s_and_b64 vcc, exec, s[20:21]
	s_cbranch_vccz .LBB46_2208
; %bb.2207:
	s_cmp_lg_u32 s23, 11
	s_mov_b64 s[14:15], -1
	s_cselect_b64 s[0:1], -1, 0
.LBB46_2208:
	s_and_b64 vcc, exec, s[0:1]
	s_cbranch_vccnz .LBB46_2273
; %bb.2209:
	s_andn2_b64 vcc, exec, s[14:15]
	s_cbranch_vccnz .LBB46_2211
.LBB46_2210:
	global_load_ubyte v5, v[7:8], off
	s_mov_b64 s[16:17], -1
	s_waitcnt vmcnt(0)
	v_cmp_ne_u16_e32 vcc, 0, v5
	v_cndmask_b32_e64 v9, 0, 1, vcc
.LBB46_2211:
	s_mov_b64 s[0:1], 0
.LBB46_2212:
	s_and_b64 vcc, exec, s[0:1]
	s_cbranch_vccz .LBB46_2261
; %bb.2213:
	s_and_b32 s14, 0xffff, s25
	s_cmp_lt_i32 s14, 5
	s_cbranch_scc1 .LBB46_2218
; %bb.2214:
	s_cmp_lt_i32 s14, 8
	s_cbranch_scc1 .LBB46_2219
; %bb.2215:
	;; [unrolled: 3-line block ×3, first 2 shown]
	s_cmp_gt_i32 s14, 9
	s_cbranch_scc0 .LBB46_2221
; %bb.2217:
	global_load_dwordx2 v[9:10], v[7:8], off
	s_mov_b64 s[0:1], 0
	s_waitcnt vmcnt(0)
	v_cvt_i32_f64_e32 v9, v[9:10]
	s_branch .LBB46_2222
.LBB46_2218:
	s_mov_b64 s[0:1], -1
                                        ; implicit-def: $vgpr9
	s_branch .LBB46_2240
.LBB46_2219:
	s_mov_b64 s[0:1], -1
                                        ; implicit-def: $vgpr9
	s_branch .LBB46_2228
.LBB46_2220:
	s_mov_b64 s[0:1], -1
                                        ; implicit-def: $vgpr9
	s_branch .LBB46_2225
.LBB46_2221:
	s_mov_b64 s[0:1], -1
                                        ; implicit-def: $vgpr9
.LBB46_2222:
	s_andn2_b64 vcc, exec, s[0:1]
	s_cbranch_vccnz .LBB46_2224
; %bb.2223:
	global_load_dword v5, v[7:8], off
	s_waitcnt vmcnt(0)
	v_cvt_i32_f32_e32 v9, v5
.LBB46_2224:
	s_mov_b64 s[0:1], 0
.LBB46_2225:
	s_andn2_b64 vcc, exec, s[0:1]
	s_cbranch_vccnz .LBB46_2227
; %bb.2226:
	global_load_dword v5, v[7:8], off
	s_waitcnt vmcnt(0)
	v_cvt_i16_f16_e32 v9, v5
.LBB46_2227:
	s_mov_b64 s[0:1], 0
.LBB46_2228:
	s_andn2_b64 vcc, exec, s[0:1]
	s_cbranch_vccnz .LBB46_2239
; %bb.2229:
	s_cmp_lt_i32 s14, 6
	s_cbranch_scc1 .LBB46_2232
; %bb.2230:
	s_cmp_gt_i32 s14, 6
	s_cbranch_scc0 .LBB46_2233
; %bb.2231:
	global_load_dwordx2 v[9:10], v[7:8], off
	s_mov_b64 s[0:1], 0
	s_waitcnt vmcnt(0)
	v_cvt_i32_f64_e32 v9, v[9:10]
	s_branch .LBB46_2234
.LBB46_2232:
	s_mov_b64 s[0:1], -1
                                        ; implicit-def: $vgpr9
	s_branch .LBB46_2237
.LBB46_2233:
	s_mov_b64 s[0:1], -1
                                        ; implicit-def: $vgpr9
.LBB46_2234:
	s_andn2_b64 vcc, exec, s[0:1]
	s_cbranch_vccnz .LBB46_2236
; %bb.2235:
	global_load_dword v5, v[7:8], off
	s_waitcnt vmcnt(0)
	v_cvt_i32_f32_e32 v9, v5
.LBB46_2236:
	s_mov_b64 s[0:1], 0
.LBB46_2237:
	s_andn2_b64 vcc, exec, s[0:1]
	s_cbranch_vccnz .LBB46_2239
; %bb.2238:
	global_load_ushort v5, v[7:8], off
	s_waitcnt vmcnt(0)
	v_cvt_i16_f16_e32 v9, v5
.LBB46_2239:
	s_mov_b64 s[0:1], 0
.LBB46_2240:
	s_andn2_b64 vcc, exec, s[0:1]
	s_cbranch_vccnz .LBB46_2260
; %bb.2241:
	s_cmp_lt_i32 s14, 2
	s_cbranch_scc1 .LBB46_2245
; %bb.2242:
	s_cmp_lt_i32 s14, 3
	s_cbranch_scc1 .LBB46_2246
; %bb.2243:
	s_cmp_gt_i32 s14, 3
	s_cbranch_scc0 .LBB46_2247
; %bb.2244:
	global_load_dwordx2 v[9:10], v[7:8], off
	s_mov_b64 s[0:1], 0
	s_branch .LBB46_2248
.LBB46_2245:
	s_mov_b64 s[0:1], -1
                                        ; implicit-def: $vgpr9
	s_branch .LBB46_2254
.LBB46_2246:
	s_mov_b64 s[0:1], -1
                                        ; implicit-def: $vgpr9
	s_branch .LBB46_2251
.LBB46_2247:
	s_mov_b64 s[0:1], -1
                                        ; implicit-def: $vgpr9
.LBB46_2248:
	s_andn2_b64 vcc, exec, s[0:1]
	s_cbranch_vccnz .LBB46_2250
; %bb.2249:
	global_load_dword v9, v[7:8], off
.LBB46_2250:
	s_mov_b64 s[0:1], 0
.LBB46_2251:
	s_andn2_b64 vcc, exec, s[0:1]
	s_cbranch_vccnz .LBB46_2253
; %bb.2252:
	global_load_ushort v9, v[7:8], off
.LBB46_2253:
	s_mov_b64 s[0:1], 0
.LBB46_2254:
	s_andn2_b64 vcc, exec, s[0:1]
	s_cbranch_vccnz .LBB46_2260
; %bb.2255:
	s_cmp_gt_i32 s14, 0
	s_cbranch_scc0 .LBB46_2257
; %bb.2256:
	global_load_ubyte v9, v[7:8], off
	s_mov_b64 s[0:1], 0
	s_branch .LBB46_2258
.LBB46_2257:
	s_mov_b64 s[0:1], -1
                                        ; implicit-def: $vgpr9
.LBB46_2258:
	s_andn2_b64 vcc, exec, s[0:1]
	s_cbranch_vccnz .LBB46_2260
; %bb.2259:
	global_load_ubyte v9, v[7:8], off
.LBB46_2260:
	s_mov_b64 s[16:17], -1
.LBB46_2261:
	s_andn2_b64 vcc, exec, s[16:17]
	s_cbranch_vccnz .LBB46_2947
; %bb.2262:
	v_add_u32_e32 v5, s13, v11
	v_ashrrev_i32_e32 v7, 31, v5
	v_mov_b32_e32 v8, s11
	s_waitcnt vmcnt(0)
	v_add_co_u32_e32 v10, vcc, s10, v5
	s_cmp_lt_i32 s24, 11
	v_addc_co_u32_e32 v11, vcc, v8, v7, vcc
	s_cbranch_scc1 .LBB46_2269
; %bb.2263:
	s_and_b32 s13, 0xffff, s24
	s_cmp_gt_i32 s13, 25
	s_mov_b64 s[10:11], 0
	s_cbranch_scc0 .LBB46_2270
; %bb.2264:
	s_cmp_gt_i32 s13, 28
	s_cbranch_scc0 .LBB46_2271
; %bb.2265:
	s_cmp_gt_i32 s13, 43
	s_cbranch_scc0 .LBB46_2272
; %bb.2266:
	s_cmp_gt_i32 s13, 45
	s_cbranch_scc0 .LBB46_2274
; %bb.2267:
	s_cmp_eq_u32 s13, 46
	s_mov_b64 s[16:17], 0
	s_cbranch_scc0 .LBB46_2275
; %bb.2268:
	global_load_dword v5, v[10:11], off
	s_mov_b64 s[0:1], 0
	s_mov_b64 s[14:15], -1
	s_waitcnt vmcnt(0)
	v_lshlrev_b32_e32 v5, 16, v5
	v_cvt_i32_f32_e32 v7, v5
	s_branch .LBB46_2276
.LBB46_2269:
	s_mov_b64 s[0:1], -1
	s_mov_b64 s[14:15], 0
                                        ; implicit-def: $vgpr7
	s_branch .LBB46_2338
.LBB46_2270:
	s_mov_b64 s[16:17], -1
	s_mov_b64 s[14:15], 0
	s_mov_b64 s[0:1], 0
                                        ; implicit-def: $vgpr7
	s_branch .LBB46_2303
.LBB46_2271:
	s_mov_b64 s[16:17], -1
	s_mov_b64 s[14:15], 0
	s_mov_b64 s[0:1], 0
                                        ; implicit-def: $vgpr7
	s_branch .LBB46_2286
.LBB46_2272:
	s_mov_b64 s[16:17], -1
	s_mov_b64 s[14:15], 0
	s_mov_b64 s[0:1], 0
                                        ; implicit-def: $vgpr7
	s_branch .LBB46_2281
.LBB46_2273:
	s_trap 2
	s_or_b64 s[18:19], s[18:19], exec
	s_cbranch_execz .LBB46_2210
	s_branch .LBB46_2211
.LBB46_2274:
	s_mov_b64 s[16:17], -1
	s_mov_b64 s[14:15], 0
	s_mov_b64 s[0:1], 0
                                        ; implicit-def: $vgpr7
	s_branch .LBB46_2276
.LBB46_2275:
	s_mov_b64 s[0:1], -1
                                        ; implicit-def: $vgpr7
	s_mov_b64 s[14:15], 0
.LBB46_2276:
	s_and_b64 vcc, exec, s[16:17]
	s_cbranch_vccz .LBB46_2280
; %bb.2277:
	s_cmp_eq_u32 s13, 44
	s_cbranch_scc0 .LBB46_2279
; %bb.2278:
	global_load_ubyte v5, v[10:11], off
	s_mov_b64 s[0:1], 0
	s_mov_b64 s[14:15], -1
	s_waitcnt vmcnt(0)
	v_lshlrev_b32_e32 v7, 23, v5
	v_cvt_i32_f32_e32 v7, v7
	v_cmp_ne_u32_e32 vcc, 0, v5
	v_cndmask_b32_e32 v7, 0, v7, vcc
	s_branch .LBB46_2280
.LBB46_2279:
	s_mov_b64 s[0:1], -1
                                        ; implicit-def: $vgpr7
.LBB46_2280:
	s_mov_b64 s[16:17], 0
.LBB46_2281:
	s_and_b64 vcc, exec, s[16:17]
	s_cbranch_vccz .LBB46_2285
; %bb.2282:
	s_cmp_eq_u32 s13, 29
	s_cbranch_scc0 .LBB46_2284
; %bb.2283:
	global_load_dwordx2 v[7:8], v[10:11], off
	s_mov_b64 s[0:1], 0
	s_mov_b64 s[14:15], -1
	s_branch .LBB46_2285
.LBB46_2284:
	s_mov_b64 s[0:1], -1
                                        ; implicit-def: $vgpr7
.LBB46_2285:
	s_mov_b64 s[16:17], 0
.LBB46_2286:
	s_and_b64 vcc, exec, s[16:17]
	s_cbranch_vccz .LBB46_2302
; %bb.2287:
	s_cmp_lt_i32 s13, 27
	s_cbranch_scc1 .LBB46_2290
; %bb.2288:
	s_cmp_gt_i32 s13, 27
	s_cbranch_scc0 .LBB46_2291
; %bb.2289:
	global_load_dword v7, v[10:11], off
	s_mov_b64 s[14:15], 0
	s_branch .LBB46_2292
.LBB46_2290:
	s_mov_b64 s[14:15], -1
                                        ; implicit-def: $vgpr7
	s_branch .LBB46_2295
.LBB46_2291:
	s_mov_b64 s[14:15], -1
                                        ; implicit-def: $vgpr7
.LBB46_2292:
	s_andn2_b64 vcc, exec, s[14:15]
	s_cbranch_vccnz .LBB46_2294
; %bb.2293:
	global_load_ushort v7, v[10:11], off
.LBB46_2294:
	s_mov_b64 s[14:15], 0
.LBB46_2295:
	s_andn2_b64 vcc, exec, s[14:15]
	s_cbranch_vccnz .LBB46_2301
; %bb.2296:
	global_load_ubyte v5, v[10:11], off
	s_movk_i32 s14, 0x7f
	s_mov_b64 s[16:17], 0
	s_waitcnt vmcnt(0)
	v_cmp_lt_i16_e32 vcc, s14, v5
	s_and_saveexec_b64 s[14:15], vcc
	s_xor_b64 s[14:15], exec, s[14:15]
	s_cbranch_execz .LBB46_2313
; %bb.2297:
	s_movk_i32 s16, 0x80
	v_cmp_ne_u16_e32 vcc, s16, v5
	s_and_b64 s[16:17], vcc, exec
	s_andn2_saveexec_b64 s[14:15], s[14:15]
	s_cbranch_execnz .LBB46_2314
.LBB46_2298:
	s_or_b64 exec, exec, s[14:15]
	v_mov_b32_e32 v7, 0
	s_and_saveexec_b64 s[14:15], s[16:17]
	s_cbranch_execz .LBB46_2300
.LBB46_2299:
	v_lshlrev_b32_e32 v7, 24, v5
	v_and_b32_e32 v5, 0xffff, v5
	v_and_b32_e32 v8, 7, v5
	v_ffbh_u32_e32 v13, v8
	v_min_u32_e32 v13, 32, v13
	v_subrev_u32_e32 v15, 28, v13
	v_bfe_u32 v12, v5, 3, 4
	v_lshlrev_b32_e32 v5, v15, v5
	v_sub_u32_e32 v13, 29, v13
	v_and_b32_e32 v5, 7, v5
	v_cmp_eq_u32_e32 vcc, 0, v12
	v_cndmask_b32_e32 v12, v12, v13, vcc
	v_cndmask_b32_e32 v5, v8, v5, vcc
	v_mov_b32_e32 v8, 0x3b800000
	v_lshlrev_b32_e32 v5, 20, v5
	v_and_b32_e32 v7, 0x80000000, v7
	v_lshl_add_u32 v8, v12, 23, v8
	v_or3_b32 v5, v7, v8, v5
	v_cvt_i32_f32_e32 v7, v5
.LBB46_2300:
	s_or_b64 exec, exec, s[14:15]
.LBB46_2301:
	s_mov_b64 s[14:15], -1
.LBB46_2302:
	s_mov_b64 s[16:17], 0
.LBB46_2303:
	s_and_b64 vcc, exec, s[16:17]
	s_cbranch_vccz .LBB46_2334
; %bb.2304:
	s_cmp_gt_i32 s13, 22
	s_cbranch_scc0 .LBB46_2312
; %bb.2305:
	s_cmp_lt_i32 s13, 24
	s_cbranch_scc1 .LBB46_2315
; %bb.2306:
	s_cmp_gt_i32 s13, 24
	s_cbranch_scc0 .LBB46_2316
; %bb.2307:
	global_load_ubyte v5, v[10:11], off
	s_movk_i32 s10, 0x7f
	s_mov_b64 s[14:15], 0
	s_waitcnt vmcnt(0)
	v_cmp_lt_i16_e32 vcc, s10, v5
	s_and_saveexec_b64 s[10:11], vcc
	s_xor_b64 s[10:11], exec, s[10:11]
	s_cbranch_execz .LBB46_2328
; %bb.2308:
	s_movk_i32 s14, 0x80
	v_cmp_ne_u16_e32 vcc, s14, v5
	s_and_b64 s[14:15], vcc, exec
	s_andn2_saveexec_b64 s[10:11], s[10:11]
	s_cbranch_execnz .LBB46_2329
.LBB46_2309:
	s_or_b64 exec, exec, s[10:11]
	v_mov_b32_e32 v7, 0
	s_and_saveexec_b64 s[10:11], s[14:15]
	s_cbranch_execz .LBB46_2311
.LBB46_2310:
	v_lshlrev_b32_e32 v7, 24, v5
	v_and_b32_e32 v5, 0xffff, v5
	v_and_b32_e32 v8, 3, v5
	v_ffbh_u32_e32 v13, v8
	v_min_u32_e32 v13, 32, v13
	v_subrev_u32_e32 v15, 29, v13
	v_bfe_u32 v12, v5, 2, 5
	v_lshlrev_b32_e32 v5, v15, v5
	v_sub_u32_e32 v13, 30, v13
	v_and_b32_e32 v5, 3, v5
	v_cmp_eq_u32_e32 vcc, 0, v12
	v_cndmask_b32_e32 v12, v12, v13, vcc
	v_cndmask_b32_e32 v5, v8, v5, vcc
	v_mov_b32_e32 v8, 0x37800000
	v_lshlrev_b32_e32 v5, 21, v5
	v_and_b32_e32 v7, 0x80000000, v7
	v_lshl_add_u32 v8, v12, 23, v8
	v_or3_b32 v5, v7, v8, v5
	v_cvt_i32_f32_e32 v7, v5
.LBB46_2311:
	s_or_b64 exec, exec, s[10:11]
	s_mov_b64 s[10:11], 0
	s_branch .LBB46_2317
.LBB46_2312:
	s_mov_b64 s[10:11], -1
                                        ; implicit-def: $vgpr7
	s_branch .LBB46_2323
.LBB46_2313:
	s_andn2_saveexec_b64 s[14:15], s[14:15]
	s_cbranch_execz .LBB46_2298
.LBB46_2314:
	v_cmp_ne_u16_e32 vcc, 0, v5
	s_andn2_b64 s[16:17], s[16:17], exec
	s_and_b64 s[20:21], vcc, exec
	s_or_b64 s[16:17], s[16:17], s[20:21]
	s_or_b64 exec, exec, s[14:15]
	v_mov_b32_e32 v7, 0
	s_and_saveexec_b64 s[14:15], s[16:17]
	s_cbranch_execnz .LBB46_2299
	s_branch .LBB46_2300
.LBB46_2315:
	s_mov_b64 s[10:11], -1
                                        ; implicit-def: $vgpr7
	s_branch .LBB46_2320
.LBB46_2316:
	s_mov_b64 s[10:11], -1
                                        ; implicit-def: $vgpr7
.LBB46_2317:
	s_and_b64 vcc, exec, s[10:11]
	s_cbranch_vccz .LBB46_2319
; %bb.2318:
	global_load_ubyte v5, v[10:11], off
	s_mov_b32 s10, 0x7f800000
	s_waitcnt vmcnt(0)
	v_lshlrev_b32_e32 v5, 24, v5
	v_and_b32_e32 v7, 0x7f000000, v5
	v_ffbh_u32_e32 v8, v7
	v_min_u32_e32 v8, 32, v8
	v_sub_u32_e64 v8, v8, 4 clamp
	v_lshlrev_b32_e32 v13, v8, v7
	v_lshlrev_b32_e32 v8, 23, v8
	v_lshrrev_b32_e32 v13, 4, v13
	v_add_u32_e32 v12, 0x1000000, v7
	v_sub_u32_e32 v8, v13, v8
	v_ashrrev_i32_e32 v12, 8, v12
	v_add_u32_e32 v8, 0x3c000000, v8
	v_and_or_b32 v8, v12, s10, v8
	v_cmp_ne_u32_e32 vcc, 0, v7
	v_cndmask_b32_e32 v7, 0, v8, vcc
	s_brev_b32 s10, 1
	v_and_or_b32 v5, v5, s10, v7
	v_cvt_i32_f32_e32 v7, v5
.LBB46_2319:
	s_mov_b64 s[10:11], 0
.LBB46_2320:
	s_andn2_b64 vcc, exec, s[10:11]
	s_cbranch_vccnz .LBB46_2322
; %bb.2321:
	global_load_ubyte v5, v[10:11], off
	s_movk_i32 s10, 0x7f00
	s_brev_b32 s11, 16
	s_waitcnt vmcnt(0)
	v_lshlrev_b16_e32 v7, 8, v5
	v_lshlrev_b32_e32 v5, 25, v5
	v_lshrrev_b32_e32 v8, 4, v5
	v_and_or_b32 v12, v7, s10, 0.5
	v_or_b32_e32 v8, 0x70000000, v8
	v_add_f32_e32 v12, -0.5, v12
	v_mul_f32_e32 v8, 0x7800000, v8
	v_cmp_gt_u32_e32 vcc, s11, v5
	v_bfe_i32 v7, v7, 0, 16
	v_cndmask_b32_e32 v5, v8, v12, vcc
	s_brev_b32 s10, 1
	v_and_or_b32 v5, v7, s10, v5
	v_cvt_i32_f32_e32 v7, v5
.LBB46_2322:
	s_mov_b64 s[10:11], 0
	s_mov_b64 s[14:15], -1
.LBB46_2323:
	s_andn2_b64 vcc, exec, s[10:11]
	s_mov_b64 s[10:11], 0
	s_cbranch_vccnz .LBB46_2334
; %bb.2324:
	s_cmp_gt_i32 s13, 14
	s_cbranch_scc0 .LBB46_2327
; %bb.2325:
	s_cmp_eq_u32 s13, 15
	s_cbranch_scc0 .LBB46_2330
; %bb.2326:
	global_load_ushort v5, v[10:11], off
	s_mov_b64 s[0:1], 0
	s_mov_b64 s[14:15], -1
	s_waitcnt vmcnt(0)
	v_lshlrev_b32_e32 v5, 16, v5
	v_cvt_i32_f32_e32 v7, v5
	s_branch .LBB46_2331
.LBB46_2327:
	s_mov_b64 s[16:17], -1
                                        ; implicit-def: $vgpr7
	s_branch .LBB46_2332
.LBB46_2328:
	s_andn2_saveexec_b64 s[10:11], s[10:11]
	s_cbranch_execz .LBB46_2309
.LBB46_2329:
	v_cmp_ne_u16_e32 vcc, 0, v5
	s_andn2_b64 s[14:15], s[14:15], exec
	s_and_b64 s[16:17], vcc, exec
	s_or_b64 s[14:15], s[14:15], s[16:17]
	s_or_b64 exec, exec, s[10:11]
	v_mov_b32_e32 v7, 0
	s_and_saveexec_b64 s[10:11], s[14:15]
	s_cbranch_execnz .LBB46_2310
	s_branch .LBB46_2311
.LBB46_2330:
	s_mov_b64 s[0:1], -1
                                        ; implicit-def: $vgpr7
.LBB46_2331:
	s_mov_b64 s[16:17], 0
.LBB46_2332:
	s_and_b64 vcc, exec, s[16:17]
	s_cbranch_vccz .LBB46_2334
; %bb.2333:
	s_cmp_lg_u32 s13, 11
	s_mov_b64 s[10:11], -1
	s_cselect_b64 s[0:1], -1, 0
.LBB46_2334:
	s_and_b64 vcc, exec, s[0:1]
	s_cbranch_vccnz .LBB46_2399
; %bb.2335:
	s_andn2_b64 vcc, exec, s[10:11]
	s_cbranch_vccnz .LBB46_2337
.LBB46_2336:
	global_load_ubyte v5, v[10:11], off
	s_mov_b64 s[14:15], -1
	s_waitcnt vmcnt(0)
	v_cmp_ne_u16_e32 vcc, 0, v5
	v_cndmask_b32_e64 v7, 0, 1, vcc
.LBB46_2337:
	s_mov_b64 s[0:1], 0
.LBB46_2338:
	s_and_b64 vcc, exec, s[0:1]
	s_cbranch_vccz .LBB46_2387
; %bb.2339:
	s_and_b32 s10, 0xffff, s24
	s_cmp_lt_i32 s10, 5
	s_cbranch_scc1 .LBB46_2344
; %bb.2340:
	s_cmp_lt_i32 s10, 8
	s_cbranch_scc1 .LBB46_2345
; %bb.2341:
	;; [unrolled: 3-line block ×3, first 2 shown]
	s_cmp_gt_i32 s10, 9
	s_cbranch_scc0 .LBB46_2347
; %bb.2343:
	global_load_dwordx2 v[7:8], v[10:11], off
	s_mov_b64 s[0:1], 0
	s_waitcnt vmcnt(0)
	v_cvt_i32_f64_e32 v7, v[7:8]
	s_branch .LBB46_2348
.LBB46_2344:
	s_mov_b64 s[0:1], -1
                                        ; implicit-def: $vgpr7
	s_branch .LBB46_2366
.LBB46_2345:
	s_mov_b64 s[0:1], -1
                                        ; implicit-def: $vgpr7
	s_branch .LBB46_2354
.LBB46_2346:
	s_mov_b64 s[0:1], -1
                                        ; implicit-def: $vgpr7
	s_branch .LBB46_2351
.LBB46_2347:
	s_mov_b64 s[0:1], -1
                                        ; implicit-def: $vgpr7
.LBB46_2348:
	s_andn2_b64 vcc, exec, s[0:1]
	s_cbranch_vccnz .LBB46_2350
; %bb.2349:
	global_load_dword v5, v[10:11], off
	s_waitcnt vmcnt(0)
	v_cvt_i32_f32_e32 v7, v5
.LBB46_2350:
	s_mov_b64 s[0:1], 0
.LBB46_2351:
	s_andn2_b64 vcc, exec, s[0:1]
	s_cbranch_vccnz .LBB46_2353
; %bb.2352:
	global_load_dword v5, v[10:11], off
	s_waitcnt vmcnt(0)
	v_cvt_i16_f16_e32 v7, v5
.LBB46_2353:
	s_mov_b64 s[0:1], 0
.LBB46_2354:
	s_andn2_b64 vcc, exec, s[0:1]
	s_cbranch_vccnz .LBB46_2365
; %bb.2355:
	s_cmp_lt_i32 s10, 6
	s_cbranch_scc1 .LBB46_2358
; %bb.2356:
	s_cmp_gt_i32 s10, 6
	s_cbranch_scc0 .LBB46_2359
; %bb.2357:
	global_load_dwordx2 v[7:8], v[10:11], off
	s_mov_b64 s[0:1], 0
	s_waitcnt vmcnt(0)
	v_cvt_i32_f64_e32 v7, v[7:8]
	s_branch .LBB46_2360
.LBB46_2358:
	s_mov_b64 s[0:1], -1
                                        ; implicit-def: $vgpr7
	s_branch .LBB46_2363
.LBB46_2359:
	s_mov_b64 s[0:1], -1
                                        ; implicit-def: $vgpr7
.LBB46_2360:
	s_andn2_b64 vcc, exec, s[0:1]
	s_cbranch_vccnz .LBB46_2362
; %bb.2361:
	global_load_dword v5, v[10:11], off
	s_waitcnt vmcnt(0)
	v_cvt_i32_f32_e32 v7, v5
.LBB46_2362:
	s_mov_b64 s[0:1], 0
.LBB46_2363:
	s_andn2_b64 vcc, exec, s[0:1]
	s_cbranch_vccnz .LBB46_2365
; %bb.2364:
	global_load_ushort v5, v[10:11], off
	s_waitcnt vmcnt(0)
	v_cvt_i16_f16_e32 v7, v5
.LBB46_2365:
	s_mov_b64 s[0:1], 0
.LBB46_2366:
	s_andn2_b64 vcc, exec, s[0:1]
	s_cbranch_vccnz .LBB46_2386
; %bb.2367:
	s_cmp_lt_i32 s10, 2
	s_cbranch_scc1 .LBB46_2371
; %bb.2368:
	s_cmp_lt_i32 s10, 3
	s_cbranch_scc1 .LBB46_2372
; %bb.2369:
	s_cmp_gt_i32 s10, 3
	s_cbranch_scc0 .LBB46_2373
; %bb.2370:
	global_load_dwordx2 v[7:8], v[10:11], off
	s_mov_b64 s[0:1], 0
	s_branch .LBB46_2374
.LBB46_2371:
	s_mov_b64 s[0:1], -1
                                        ; implicit-def: $vgpr7
	s_branch .LBB46_2380
.LBB46_2372:
	s_mov_b64 s[0:1], -1
                                        ; implicit-def: $vgpr7
	s_branch .LBB46_2377
.LBB46_2373:
	s_mov_b64 s[0:1], -1
                                        ; implicit-def: $vgpr7
.LBB46_2374:
	s_andn2_b64 vcc, exec, s[0:1]
	s_cbranch_vccnz .LBB46_2376
; %bb.2375:
	global_load_dword v7, v[10:11], off
.LBB46_2376:
	s_mov_b64 s[0:1], 0
.LBB46_2377:
	s_andn2_b64 vcc, exec, s[0:1]
	s_cbranch_vccnz .LBB46_2379
; %bb.2378:
	global_load_ushort v7, v[10:11], off
.LBB46_2379:
	s_mov_b64 s[0:1], 0
.LBB46_2380:
	s_andn2_b64 vcc, exec, s[0:1]
	s_cbranch_vccnz .LBB46_2386
; %bb.2381:
	s_cmp_gt_i32 s10, 0
	s_cbranch_scc0 .LBB46_2383
; %bb.2382:
	global_load_ubyte v7, v[10:11], off
	s_mov_b64 s[0:1], 0
	s_branch .LBB46_2384
.LBB46_2383:
	s_mov_b64 s[0:1], -1
                                        ; implicit-def: $vgpr7
.LBB46_2384:
	s_andn2_b64 vcc, exec, s[0:1]
	s_cbranch_vccnz .LBB46_2386
; %bb.2385:
	global_load_ubyte v7, v[10:11], off
.LBB46_2386:
	s_mov_b64 s[14:15], -1
.LBB46_2387:
	s_andn2_b64 vcc, exec, s[14:15]
	s_cbranch_vccnz .LBB46_2947
; %bb.2388:
	v_add_u32_e32 v2, s22, v2
	v_ashrrev_i32_e32 v5, 31, v2
	s_waitcnt vmcnt(0)
	v_mov_b32_e32 v8, s3
	v_add_co_u32_e32 v12, vcc, s2, v2
	s_cmp_lt_i32 s25, 11
	v_addc_co_u32_e32 v13, vcc, v8, v5, vcc
	s_cbranch_scc1 .LBB46_2395
; %bb.2389:
	s_and_b32 s13, 0xffff, s25
	s_cmp_gt_i32 s13, 25
	s_mov_b64 s[2:3], 0
	s_cbranch_scc0 .LBB46_2396
; %bb.2390:
	s_cmp_gt_i32 s13, 28
	s_cbranch_scc0 .LBB46_2397
; %bb.2391:
	s_cmp_gt_i32 s13, 43
	;; [unrolled: 3-line block ×3, first 2 shown]
	s_cbranch_scc0 .LBB46_2400
; %bb.2393:
	s_cmp_eq_u32 s13, 46
	s_mov_b64 s[14:15], 0
	s_cbranch_scc0 .LBB46_2401
; %bb.2394:
	global_load_dword v2, v[12:13], off
	s_mov_b64 s[0:1], 0
	s_mov_b64 s[10:11], -1
	s_waitcnt vmcnt(0)
	v_lshlrev_b32_e32 v2, 16, v2
	v_cvt_i32_f32_e32 v10, v2
	s_branch .LBB46_2402
.LBB46_2395:
	s_mov_b64 s[0:1], -1
	s_mov_b64 s[10:11], 0
                                        ; implicit-def: $vgpr10
	s_branch .LBB46_2464
.LBB46_2396:
	s_mov_b64 s[14:15], -1
	s_mov_b64 s[10:11], 0
	s_mov_b64 s[0:1], 0
                                        ; implicit-def: $vgpr10
	s_branch .LBB46_2429
.LBB46_2397:
	s_mov_b64 s[14:15], -1
	s_mov_b64 s[10:11], 0
	s_mov_b64 s[0:1], 0
                                        ; implicit-def: $vgpr10
	s_branch .LBB46_2412
.LBB46_2398:
	s_mov_b64 s[14:15], -1
	s_mov_b64 s[10:11], 0
	s_mov_b64 s[0:1], 0
                                        ; implicit-def: $vgpr10
	s_branch .LBB46_2407
.LBB46_2399:
	s_trap 2
	s_or_b64 s[18:19], s[18:19], exec
	s_cbranch_execz .LBB46_2336
	s_branch .LBB46_2337
.LBB46_2400:
	s_mov_b64 s[14:15], -1
	s_mov_b64 s[10:11], 0
	s_mov_b64 s[0:1], 0
                                        ; implicit-def: $vgpr10
	s_branch .LBB46_2402
.LBB46_2401:
	s_mov_b64 s[0:1], -1
                                        ; implicit-def: $vgpr10
	s_mov_b64 s[10:11], 0
.LBB46_2402:
	s_and_b64 vcc, exec, s[14:15]
	s_cbranch_vccz .LBB46_2406
; %bb.2403:
	s_cmp_eq_u32 s13, 44
	s_cbranch_scc0 .LBB46_2405
; %bb.2404:
	global_load_ubyte v2, v[12:13], off
	s_mov_b64 s[0:1], 0
	s_mov_b64 s[10:11], -1
	s_waitcnt vmcnt(0)
	v_lshlrev_b32_e32 v5, 23, v2
	v_cvt_i32_f32_e32 v5, v5
	v_cmp_ne_u32_e32 vcc, 0, v2
	v_cndmask_b32_e32 v10, 0, v5, vcc
	s_branch .LBB46_2406
.LBB46_2405:
	s_mov_b64 s[0:1], -1
                                        ; implicit-def: $vgpr10
.LBB46_2406:
	s_mov_b64 s[14:15], 0
.LBB46_2407:
	s_and_b64 vcc, exec, s[14:15]
	s_cbranch_vccz .LBB46_2411
; %bb.2408:
	s_cmp_eq_u32 s13, 29
	s_cbranch_scc0 .LBB46_2410
; %bb.2409:
	global_load_dwordx2 v[10:11], v[12:13], off
	s_mov_b64 s[0:1], 0
	s_mov_b64 s[10:11], -1
	s_branch .LBB46_2411
.LBB46_2410:
	s_mov_b64 s[0:1], -1
                                        ; implicit-def: $vgpr10
.LBB46_2411:
	s_mov_b64 s[14:15], 0
.LBB46_2412:
	s_and_b64 vcc, exec, s[14:15]
	s_cbranch_vccz .LBB46_2428
; %bb.2413:
	s_cmp_lt_i32 s13, 27
	s_cbranch_scc1 .LBB46_2416
; %bb.2414:
	s_cmp_gt_i32 s13, 27
	s_cbranch_scc0 .LBB46_2417
; %bb.2415:
	global_load_dword v10, v[12:13], off
	s_mov_b64 s[10:11], 0
	s_branch .LBB46_2418
.LBB46_2416:
	s_mov_b64 s[10:11], -1
                                        ; implicit-def: $vgpr10
	s_branch .LBB46_2421
.LBB46_2417:
	s_mov_b64 s[10:11], -1
                                        ; implicit-def: $vgpr10
.LBB46_2418:
	s_andn2_b64 vcc, exec, s[10:11]
	s_cbranch_vccnz .LBB46_2420
; %bb.2419:
	global_load_ushort v10, v[12:13], off
.LBB46_2420:
	s_mov_b64 s[10:11], 0
.LBB46_2421:
	s_andn2_b64 vcc, exec, s[10:11]
	s_cbranch_vccnz .LBB46_2427
; %bb.2422:
	global_load_ubyte v2, v[12:13], off
	s_movk_i32 s10, 0x7f
	s_mov_b64 s[14:15], 0
	s_waitcnt vmcnt(0)
	v_cmp_lt_i16_e32 vcc, s10, v2
	s_and_saveexec_b64 s[10:11], vcc
	s_xor_b64 s[10:11], exec, s[10:11]
	s_cbranch_execz .LBB46_2439
; %bb.2423:
	s_movk_i32 s14, 0x80
	v_cmp_ne_u16_e32 vcc, s14, v2
	s_and_b64 s[14:15], vcc, exec
	s_andn2_saveexec_b64 s[10:11], s[10:11]
	s_cbranch_execnz .LBB46_2440
.LBB46_2424:
	s_or_b64 exec, exec, s[10:11]
	v_mov_b32_e32 v10, 0
	s_and_saveexec_b64 s[10:11], s[14:15]
	s_cbranch_execz .LBB46_2426
.LBB46_2425:
	v_lshlrev_b32_e32 v5, 24, v2
	v_and_b32_e32 v2, 0xffff, v2
	v_and_b32_e32 v8, 7, v2
	v_ffbh_u32_e32 v11, v8
	v_min_u32_e32 v11, 32, v11
	v_subrev_u32_e32 v15, 28, v11
	v_bfe_u32 v10, v2, 3, 4
	v_lshlrev_b32_e32 v2, v15, v2
	v_sub_u32_e32 v11, 29, v11
	v_and_b32_e32 v2, 7, v2
	v_cmp_eq_u32_e32 vcc, 0, v10
	v_cndmask_b32_e32 v10, v10, v11, vcc
	v_cndmask_b32_e32 v2, v8, v2, vcc
	v_mov_b32_e32 v8, 0x3b800000
	v_lshlrev_b32_e32 v2, 20, v2
	v_and_b32_e32 v5, 0x80000000, v5
	v_lshl_add_u32 v8, v10, 23, v8
	v_or3_b32 v2, v5, v8, v2
	v_cvt_i32_f32_e32 v10, v2
.LBB46_2426:
	s_or_b64 exec, exec, s[10:11]
.LBB46_2427:
	s_mov_b64 s[10:11], -1
.LBB46_2428:
	s_mov_b64 s[14:15], 0
.LBB46_2429:
	s_and_b64 vcc, exec, s[14:15]
	s_cbranch_vccz .LBB46_2460
; %bb.2430:
	s_cmp_gt_i32 s13, 22
	s_cbranch_scc0 .LBB46_2438
; %bb.2431:
	s_cmp_lt_i32 s13, 24
	s_cbranch_scc1 .LBB46_2441
; %bb.2432:
	s_cmp_gt_i32 s13, 24
	s_cbranch_scc0 .LBB46_2442
; %bb.2433:
	global_load_ubyte v2, v[12:13], off
	s_movk_i32 s2, 0x7f
	s_mov_b64 s[10:11], 0
	s_waitcnt vmcnt(0)
	v_cmp_lt_i16_e32 vcc, s2, v2
	s_and_saveexec_b64 s[2:3], vcc
	s_xor_b64 s[2:3], exec, s[2:3]
	s_cbranch_execz .LBB46_2454
; %bb.2434:
	s_movk_i32 s10, 0x80
	v_cmp_ne_u16_e32 vcc, s10, v2
	s_and_b64 s[10:11], vcc, exec
	s_andn2_saveexec_b64 s[2:3], s[2:3]
	s_cbranch_execnz .LBB46_2455
.LBB46_2435:
	s_or_b64 exec, exec, s[2:3]
	v_mov_b32_e32 v10, 0
	s_and_saveexec_b64 s[2:3], s[10:11]
	s_cbranch_execz .LBB46_2437
.LBB46_2436:
	v_lshlrev_b32_e32 v5, 24, v2
	v_and_b32_e32 v2, 0xffff, v2
	v_and_b32_e32 v8, 3, v2
	v_ffbh_u32_e32 v11, v8
	v_min_u32_e32 v11, 32, v11
	v_subrev_u32_e32 v15, 29, v11
	v_bfe_u32 v10, v2, 2, 5
	v_lshlrev_b32_e32 v2, v15, v2
	v_sub_u32_e32 v11, 30, v11
	v_and_b32_e32 v2, 3, v2
	v_cmp_eq_u32_e32 vcc, 0, v10
	v_cndmask_b32_e32 v10, v10, v11, vcc
	v_cndmask_b32_e32 v2, v8, v2, vcc
	v_mov_b32_e32 v8, 0x37800000
	v_lshlrev_b32_e32 v2, 21, v2
	v_and_b32_e32 v5, 0x80000000, v5
	v_lshl_add_u32 v8, v10, 23, v8
	v_or3_b32 v2, v5, v8, v2
	v_cvt_i32_f32_e32 v10, v2
.LBB46_2437:
	s_or_b64 exec, exec, s[2:3]
	s_mov_b64 s[2:3], 0
	s_branch .LBB46_2443
.LBB46_2438:
	s_mov_b64 s[2:3], -1
                                        ; implicit-def: $vgpr10
	s_branch .LBB46_2449
.LBB46_2439:
	s_andn2_saveexec_b64 s[10:11], s[10:11]
	s_cbranch_execz .LBB46_2424
.LBB46_2440:
	v_cmp_ne_u16_e32 vcc, 0, v2
	s_andn2_b64 s[14:15], s[14:15], exec
	s_and_b64 s[16:17], vcc, exec
	s_or_b64 s[14:15], s[14:15], s[16:17]
	s_or_b64 exec, exec, s[10:11]
	v_mov_b32_e32 v10, 0
	s_and_saveexec_b64 s[10:11], s[14:15]
	s_cbranch_execnz .LBB46_2425
	s_branch .LBB46_2426
.LBB46_2441:
	s_mov_b64 s[2:3], -1
                                        ; implicit-def: $vgpr10
	s_branch .LBB46_2446
.LBB46_2442:
	s_mov_b64 s[2:3], -1
                                        ; implicit-def: $vgpr10
.LBB46_2443:
	s_and_b64 vcc, exec, s[2:3]
	s_cbranch_vccz .LBB46_2445
; %bb.2444:
	global_load_ubyte v2, v[12:13], off
	s_mov_b32 s2, 0x7f800000
	s_waitcnt vmcnt(0)
	v_lshlrev_b32_e32 v2, 24, v2
	v_and_b32_e32 v5, 0x7f000000, v2
	v_ffbh_u32_e32 v8, v5
	v_min_u32_e32 v8, 32, v8
	v_sub_u32_e64 v8, v8, 4 clamp
	v_lshlrev_b32_e32 v11, v8, v5
	v_lshlrev_b32_e32 v8, 23, v8
	v_lshrrev_b32_e32 v11, 4, v11
	v_add_u32_e32 v10, 0x1000000, v5
	v_sub_u32_e32 v8, v11, v8
	v_ashrrev_i32_e32 v10, 8, v10
	v_add_u32_e32 v8, 0x3c000000, v8
	v_and_or_b32 v8, v10, s2, v8
	v_cmp_ne_u32_e32 vcc, 0, v5
	v_cndmask_b32_e32 v5, 0, v8, vcc
	s_brev_b32 s2, 1
	v_and_or_b32 v2, v2, s2, v5
	v_cvt_i32_f32_e32 v10, v2
.LBB46_2445:
	s_mov_b64 s[2:3], 0
.LBB46_2446:
	s_andn2_b64 vcc, exec, s[2:3]
	s_cbranch_vccnz .LBB46_2448
; %bb.2447:
	global_load_ubyte v2, v[12:13], off
	s_movk_i32 s2, 0x7f00
	s_brev_b32 s3, 16
	s_waitcnt vmcnt(0)
	v_lshlrev_b16_e32 v5, 8, v2
	v_lshlrev_b32_e32 v2, 25, v2
	v_lshrrev_b32_e32 v8, 4, v2
	v_and_or_b32 v10, v5, s2, 0.5
	v_or_b32_e32 v8, 0x70000000, v8
	v_add_f32_e32 v10, -0.5, v10
	v_mul_f32_e32 v8, 0x7800000, v8
	v_cmp_gt_u32_e32 vcc, s3, v2
	v_bfe_i32 v5, v5, 0, 16
	v_cndmask_b32_e32 v2, v8, v10, vcc
	s_brev_b32 s2, 1
	v_and_or_b32 v2, v5, s2, v2
	v_cvt_i32_f32_e32 v10, v2
.LBB46_2448:
	s_mov_b64 s[2:3], 0
	s_mov_b64 s[10:11], -1
.LBB46_2449:
	s_andn2_b64 vcc, exec, s[2:3]
	s_mov_b64 s[2:3], 0
	s_cbranch_vccnz .LBB46_2460
; %bb.2450:
	s_cmp_gt_i32 s13, 14
	s_cbranch_scc0 .LBB46_2453
; %bb.2451:
	s_cmp_eq_u32 s13, 15
	s_cbranch_scc0 .LBB46_2456
; %bb.2452:
	global_load_ushort v2, v[12:13], off
	s_mov_b64 s[0:1], 0
	s_mov_b64 s[10:11], -1
	s_waitcnt vmcnt(0)
	v_lshlrev_b32_e32 v2, 16, v2
	v_cvt_i32_f32_e32 v10, v2
	s_branch .LBB46_2457
.LBB46_2453:
	s_mov_b64 s[14:15], -1
                                        ; implicit-def: $vgpr10
	s_branch .LBB46_2458
.LBB46_2454:
	s_andn2_saveexec_b64 s[2:3], s[2:3]
	s_cbranch_execz .LBB46_2435
.LBB46_2455:
	v_cmp_ne_u16_e32 vcc, 0, v2
	s_andn2_b64 s[10:11], s[10:11], exec
	s_and_b64 s[14:15], vcc, exec
	s_or_b64 s[10:11], s[10:11], s[14:15]
	s_or_b64 exec, exec, s[2:3]
	v_mov_b32_e32 v10, 0
	s_and_saveexec_b64 s[2:3], s[10:11]
	s_cbranch_execnz .LBB46_2436
	s_branch .LBB46_2437
.LBB46_2456:
	s_mov_b64 s[0:1], -1
                                        ; implicit-def: $vgpr10
.LBB46_2457:
	s_mov_b64 s[14:15], 0
.LBB46_2458:
	s_and_b64 vcc, exec, s[14:15]
	s_cbranch_vccz .LBB46_2460
; %bb.2459:
	s_cmp_lg_u32 s13, 11
	s_mov_b64 s[2:3], -1
	s_cselect_b64 s[0:1], -1, 0
.LBB46_2460:
	s_and_b64 vcc, exec, s[0:1]
	s_cbranch_vccnz .LBB46_2993
; %bb.2461:
	s_andn2_b64 vcc, exec, s[2:3]
	s_cbranch_vccnz .LBB46_2463
.LBB46_2462:
	global_load_ubyte v2, v[12:13], off
	s_mov_b64 s[10:11], -1
	s_waitcnt vmcnt(0)
	v_cmp_ne_u16_e32 vcc, 0, v2
	v_cndmask_b32_e64 v10, 0, 1, vcc
.LBB46_2463:
	s_mov_b64 s[0:1], 0
.LBB46_2464:
	s_and_b64 vcc, exec, s[0:1]
	s_cbranch_vccz .LBB46_2513
; %bb.2465:
	s_and_b32 s2, 0xffff, s25
	s_cmp_lt_i32 s2, 5
	s_cbranch_scc1 .LBB46_2470
; %bb.2466:
	s_cmp_lt_i32 s2, 8
	s_cbranch_scc1 .LBB46_2471
; %bb.2467:
	;; [unrolled: 3-line block ×3, first 2 shown]
	s_cmp_gt_i32 s2, 9
	s_cbranch_scc0 .LBB46_2473
; %bb.2469:
	global_load_dwordx2 v[10:11], v[12:13], off
	s_mov_b64 s[0:1], 0
	s_waitcnt vmcnt(0)
	v_cvt_i32_f64_e32 v10, v[10:11]
	s_branch .LBB46_2474
.LBB46_2470:
	s_mov_b64 s[0:1], -1
                                        ; implicit-def: $vgpr10
	s_branch .LBB46_2492
.LBB46_2471:
	s_mov_b64 s[0:1], -1
                                        ; implicit-def: $vgpr10
	s_branch .LBB46_2480
.LBB46_2472:
	s_mov_b64 s[0:1], -1
                                        ; implicit-def: $vgpr10
	s_branch .LBB46_2477
.LBB46_2473:
	s_mov_b64 s[0:1], -1
                                        ; implicit-def: $vgpr10
.LBB46_2474:
	s_andn2_b64 vcc, exec, s[0:1]
	s_cbranch_vccnz .LBB46_2476
; %bb.2475:
	global_load_dword v2, v[12:13], off
	s_waitcnt vmcnt(0)
	v_cvt_i32_f32_e32 v10, v2
.LBB46_2476:
	s_mov_b64 s[0:1], 0
.LBB46_2477:
	s_andn2_b64 vcc, exec, s[0:1]
	s_cbranch_vccnz .LBB46_2479
; %bb.2478:
	global_load_dword v2, v[12:13], off
	s_waitcnt vmcnt(0)
	v_cvt_i16_f16_e32 v10, v2
.LBB46_2479:
	s_mov_b64 s[0:1], 0
.LBB46_2480:
	s_andn2_b64 vcc, exec, s[0:1]
	s_cbranch_vccnz .LBB46_2491
; %bb.2481:
	s_cmp_lt_i32 s2, 6
	s_cbranch_scc1 .LBB46_2484
; %bb.2482:
	s_cmp_gt_i32 s2, 6
	s_cbranch_scc0 .LBB46_2485
; %bb.2483:
	global_load_dwordx2 v[10:11], v[12:13], off
	s_mov_b64 s[0:1], 0
	s_waitcnt vmcnt(0)
	v_cvt_i32_f64_e32 v10, v[10:11]
	s_branch .LBB46_2486
.LBB46_2484:
	s_mov_b64 s[0:1], -1
                                        ; implicit-def: $vgpr10
	s_branch .LBB46_2489
.LBB46_2485:
	s_mov_b64 s[0:1], -1
                                        ; implicit-def: $vgpr10
.LBB46_2486:
	s_andn2_b64 vcc, exec, s[0:1]
	s_cbranch_vccnz .LBB46_2488
; %bb.2487:
	global_load_dword v2, v[12:13], off
	s_waitcnt vmcnt(0)
	v_cvt_i32_f32_e32 v10, v2
.LBB46_2488:
	s_mov_b64 s[0:1], 0
.LBB46_2489:
	s_andn2_b64 vcc, exec, s[0:1]
	s_cbranch_vccnz .LBB46_2491
; %bb.2490:
	global_load_ushort v2, v[12:13], off
	s_waitcnt vmcnt(0)
	v_cvt_i16_f16_e32 v10, v2
.LBB46_2491:
	s_mov_b64 s[0:1], 0
.LBB46_2492:
	s_andn2_b64 vcc, exec, s[0:1]
	s_cbranch_vccnz .LBB46_2512
; %bb.2493:
	s_cmp_lt_i32 s2, 2
	s_cbranch_scc1 .LBB46_2497
; %bb.2494:
	s_cmp_lt_i32 s2, 3
	s_cbranch_scc1 .LBB46_2498
; %bb.2495:
	s_cmp_gt_i32 s2, 3
	s_cbranch_scc0 .LBB46_2499
; %bb.2496:
	global_load_dwordx2 v[10:11], v[12:13], off
	s_mov_b64 s[0:1], 0
	s_branch .LBB46_2500
.LBB46_2497:
	s_mov_b64 s[0:1], -1
                                        ; implicit-def: $vgpr10
	s_branch .LBB46_2506
.LBB46_2498:
	s_mov_b64 s[0:1], -1
                                        ; implicit-def: $vgpr10
	s_branch .LBB46_2503
.LBB46_2499:
	s_mov_b64 s[0:1], -1
                                        ; implicit-def: $vgpr10
.LBB46_2500:
	s_andn2_b64 vcc, exec, s[0:1]
	s_cbranch_vccnz .LBB46_2502
; %bb.2501:
	global_load_dword v10, v[12:13], off
.LBB46_2502:
	s_mov_b64 s[0:1], 0
.LBB46_2503:
	s_andn2_b64 vcc, exec, s[0:1]
	s_cbranch_vccnz .LBB46_2505
; %bb.2504:
	global_load_ushort v10, v[12:13], off
.LBB46_2505:
	s_mov_b64 s[0:1], 0
.LBB46_2506:
	s_andn2_b64 vcc, exec, s[0:1]
	s_cbranch_vccnz .LBB46_2512
; %bb.2507:
	s_cmp_gt_i32 s2, 0
	s_cbranch_scc0 .LBB46_2509
; %bb.2508:
	global_load_ubyte v10, v[12:13], off
	s_mov_b64 s[0:1], 0
	s_branch .LBB46_2510
.LBB46_2509:
	s_mov_b64 s[0:1], -1
                                        ; implicit-def: $vgpr10
.LBB46_2510:
	s_andn2_b64 vcc, exec, s[0:1]
	s_cbranch_vccnz .LBB46_2512
; %bb.2511:
	global_load_ubyte v10, v[12:13], off
.LBB46_2512:
	s_mov_b64 s[10:11], -1
.LBB46_2513:
	s_andn2_b64 vcc, exec, s[10:11]
	s_cbranch_vccnz .LBB46_2947
; %bb.2514:
	v_lshlrev_b32_e32 v2, v3, v0
	v_mul_lo_u32 v0, s12, v14
	v_mov_b32_e32 v5, 8
	v_cmp_lt_u16_sdwa vcc, v3, v5 src0_sel:BYTE_0 src1_sel:DWORD
	v_cndmask_b32_e32 v5, 0, v2, vcc
	v_ashrrev_i32_e32 v3, 31, v0
	v_mov_b32_e32 v8, s9
	s_and_b32 s20, s33, 0xff
	v_add_co_u32_e32 v2, vcc, s8, v0
	s_cmp_lt_i32 s20, 11
	v_addc_co_u32_e32 v3, vcc, v8, v3, vcc
	s_cbranch_scc1 .LBB46_2592
; %bb.2515:
	s_and_b32 s13, 0xffff, s20
	s_mov_b64 s[14:15], -1
	s_mov_b64 s[2:3], 0
	s_cmp_gt_i32 s13, 25
	s_mov_b64 s[10:11], 0
	s_mov_b64 s[0:1], 0
	s_cbranch_scc0 .LBB46_2548
; %bb.2516:
	s_cmp_gt_i32 s13, 28
	s_cbranch_scc0 .LBB46_2531
; %bb.2517:
	s_cmp_gt_i32 s13, 43
	;; [unrolled: 3-line block ×3, first 2 shown]
	s_cbranch_scc0 .LBB46_2521
; %bb.2519:
	s_mov_b64 s[0:1], -1
	s_mov_b64 s[14:15], 0
	s_cmp_eq_u32 s13, 46
	s_cbranch_scc0 .LBB46_2521
; %bb.2520:
	v_bfe_i32 v8, v5, 0, 8
	v_cvt_f32_i32_sdwa v8, sext(v8) dst_sel:DWORD dst_unused:UNUSED_PAD src0_sel:WORD_0
	s_movk_i32 s10, 0x7fff
	s_mov_b64 s[0:1], 0
	s_waitcnt vmcnt(0)
	v_bfe_u32 v11, v8, 16, 1
	v_add3_u32 v8, v8, v11, s10
	v_lshrrev_b32_e32 v8, 16, v8
	global_store_dword v[2:3], v8, off
	s_mov_b64 s[10:11], -1
.LBB46_2521:
	s_and_b64 vcc, exec, s[14:15]
	s_cbranch_vccz .LBB46_2526
; %bb.2522:
	s_cmp_eq_u32 s13, 44
	s_mov_b64 s[0:1], -1
	s_cbranch_scc0 .LBB46_2526
; %bb.2523:
	v_bfe_i32 v8, v5, 0, 8
	v_cvt_f32_i32_sdwa v8, sext(v8) dst_sel:DWORD dst_unused:UNUSED_PAD src0_sel:WORD_0
	s_movk_i32 s0, 0xff
	v_mov_b32_e32 v12, 0xff
	s_waitcnt vmcnt(0)
	v_bfe_u32 v11, v8, 23, 8
	v_cmp_ne_u32_e32 vcc, s0, v11
	s_and_saveexec_b64 s[10:11], vcc
; %bb.2524:
	s_mov_b32 s0, 0x3fffff
	v_lshrrev_b32_e32 v12, 23, v8
	v_and_b32_e32 v13, 0x400000, v8
	v_and_or_b32 v8, v8, s0, v11
	v_cmp_ne_u32_e32 vcc, 0, v13
	v_cmp_ne_u32_e64 s[0:1], 0, v8
	s_and_b64 s[0:1], vcc, s[0:1]
	v_cndmask_b32_e64 v8, 0, 1, s[0:1]
	v_add_u32_e32 v12, v12, v8
; %bb.2525:
	s_or_b64 exec, exec, s[10:11]
	s_mov_b64 s[0:1], 0
	s_mov_b64 s[10:11], -1
	global_store_byte v[2:3], v12, off
.LBB46_2526:
	s_mov_b64 s[14:15], 0
.LBB46_2527:
	s_and_b64 vcc, exec, s[14:15]
	s_cbranch_vccz .LBB46_2530
; %bb.2528:
	s_cmp_eq_u32 s13, 29
	s_mov_b64 s[0:1], -1
	s_cbranch_scc0 .LBB46_2530
; %bb.2529:
	s_waitcnt vmcnt(0)
	v_bfe_i32 v11, v5, 0, 8
	v_ashrrev_i32_e32 v12, 31, v11
	global_store_dwordx2 v[2:3], v[11:12], off
	s_mov_b64 s[0:1], 0
	s_mov_b64 s[10:11], -1
.LBB46_2530:
	s_mov_b64 s[14:15], 0
.LBB46_2531:
	s_and_b64 vcc, exec, s[14:15]
	s_cbranch_vccz .LBB46_2547
; %bb.2532:
	s_cmp_lt_i32 s13, 27
	s_mov_b64 s[10:11], -1
	s_cbranch_scc1 .LBB46_2538
; %bb.2533:
	s_cmp_gt_i32 s13, 27
	s_cbranch_scc0 .LBB46_2535
; %bb.2534:
	v_bfe_i32 v8, v5, 0, 8
	s_mov_b64 s[10:11], 0
	global_store_dword v[2:3], v8, off
.LBB46_2535:
	s_andn2_b64 vcc, exec, s[10:11]
	s_cbranch_vccnz .LBB46_2537
; %bb.2536:
	v_bfe_i32 v8, v5, 0, 8
	global_store_short v[2:3], v8, off
.LBB46_2537:
	s_mov_b64 s[10:11], 0
.LBB46_2538:
	s_andn2_b64 vcc, exec, s[10:11]
	s_cbranch_vccnz .LBB46_2546
; %bb.2539:
	v_bfe_i32 v8, v5, 0, 8
	v_cvt_f32_i32_sdwa v8, sext(v8) dst_sel:DWORD dst_unused:UNUSED_PAD src0_sel:WORD_0
	s_mov_b32 s10, 0x43800000
	v_mov_b32_e32 v12, 0x80
	s_waitcnt vmcnt(0)
	v_and_b32_e32 v11, 0x7fffffff, v8
	v_cmp_gt_u32_e32 vcc, s10, v11
	s_and_saveexec_b64 s[10:11], vcc
	s_cbranch_execz .LBB46_2545
; %bb.2540:
	s_mov_b32 s14, 0x3bffffff
	v_cmp_lt_u32_e32 vcc, s14, v11
	s_mov_b64 s[14:15], 0
                                        ; implicit-def: $vgpr11
	s_and_saveexec_b64 s[16:17], vcc
	s_xor_b64 s[16:17], exec, s[16:17]
	s_cbranch_execz .LBB46_2994
; %bb.2541:
	v_bfe_u32 v11, v8, 20, 1
	s_mov_b32 s21, 0x487ffff
	v_add3_u32 v11, v8, v11, s21
	s_mov_b64 s[14:15], exec
	v_lshrrev_b32_e32 v11, 20, v11
	s_andn2_saveexec_b64 s[16:17], s[16:17]
	s_cbranch_execnz .LBB46_2995
.LBB46_2542:
	s_or_b64 exec, exec, s[16:17]
	v_mov_b32_e32 v12, 0
	s_and_saveexec_b64 s[16:17], s[14:15]
.LBB46_2543:
	v_lshrrev_b32_e32 v8, 24, v8
	s_movk_i32 s14, 0x80
	v_and_or_b32 v12, v8, s14, v11
.LBB46_2544:
	s_or_b64 exec, exec, s[16:17]
.LBB46_2545:
	s_or_b64 exec, exec, s[10:11]
	global_store_byte v[2:3], v12, off
.LBB46_2546:
	s_mov_b64 s[10:11], -1
.LBB46_2547:
	s_mov_b64 s[14:15], 0
.LBB46_2548:
	s_and_b64 vcc, exec, s[14:15]
	s_cbranch_vccz .LBB46_2588
; %bb.2549:
	s_cmp_gt_i32 s13, 22
	s_mov_b64 s[2:3], -1
	s_cbranch_scc0 .LBB46_2581
; %bb.2550:
	s_cmp_lt_i32 s13, 24
	s_cbranch_scc1 .LBB46_2570
; %bb.2551:
	s_cmp_gt_i32 s13, 24
	s_cbranch_scc0 .LBB46_2559
; %bb.2552:
	v_bfe_i32 v8, v5, 0, 8
	v_cvt_f32_i32_sdwa v8, sext(v8) dst_sel:DWORD dst_unused:UNUSED_PAD src0_sel:WORD_0
	s_mov_b32 s2, 0x47800000
	v_mov_b32_e32 v12, 0x80
	s_waitcnt vmcnt(0)
	v_and_b32_e32 v11, 0x7fffffff, v8
	v_cmp_gt_u32_e32 vcc, s2, v11
	s_and_saveexec_b64 s[2:3], vcc
	s_cbranch_execz .LBB46_2558
; %bb.2553:
	s_mov_b32 s10, 0x37ffffff
	v_cmp_lt_u32_e32 vcc, s10, v11
	s_mov_b64 s[10:11], 0
                                        ; implicit-def: $vgpr11
	s_and_saveexec_b64 s[14:15], vcc
	s_xor_b64 s[14:15], exec, s[14:15]
	s_cbranch_execz .LBB46_2997
; %bb.2554:
	v_bfe_u32 v11, v8, 21, 1
	s_mov_b32 s16, 0x88fffff
	v_add3_u32 v11, v8, v11, s16
	s_mov_b64 s[10:11], exec
	v_lshrrev_b32_e32 v11, 21, v11
	s_andn2_saveexec_b64 s[14:15], s[14:15]
	s_cbranch_execnz .LBB46_2998
.LBB46_2555:
	s_or_b64 exec, exec, s[14:15]
	v_mov_b32_e32 v12, 0
	s_and_saveexec_b64 s[14:15], s[10:11]
.LBB46_2556:
	v_lshrrev_b32_e32 v8, 24, v8
	s_movk_i32 s10, 0x80
	v_and_or_b32 v12, v8, s10, v11
.LBB46_2557:
	s_or_b64 exec, exec, s[14:15]
.LBB46_2558:
	s_or_b64 exec, exec, s[2:3]
	s_mov_b64 s[2:3], 0
	global_store_byte v[2:3], v12, off
.LBB46_2559:
	s_and_b64 vcc, exec, s[2:3]
	s_cbranch_vccz .LBB46_2569
; %bb.2560:
	v_bfe_i32 v8, v5, 0, 8
	v_cvt_f32_i32_sdwa v8, sext(v8) dst_sel:DWORD dst_unused:UNUSED_PAD src0_sel:WORD_0
	s_mov_b32 s2, 0x43f00000
                                        ; implicit-def: $vgpr11
	v_and_b32_e32 v12, 0x7fffffff, v8
	v_cmp_gt_u32_e32 vcc, s2, v12
	s_and_saveexec_b64 s[2:3], vcc
	s_xor_b64 s[2:3], exec, s[2:3]
	s_cbranch_execz .LBB46_2566
; %bb.2561:
	s_mov_b32 s10, 0x3c7fffff
	v_cmp_lt_u32_e32 vcc, s10, v12
                                        ; implicit-def: $vgpr11
	s_and_saveexec_b64 s[10:11], vcc
	s_xor_b64 s[10:11], exec, s[10:11]
	s_cbranch_execz .LBB46_2563
; %bb.2562:
	s_waitcnt vmcnt(0)
	v_bfe_u32 v11, v8, 20, 1
	s_mov_b32 s14, 0x407ffff
	v_add3_u32 v11, v8, v11, s14
	v_lshrrev_b32_e32 v12, 20, v11
	v_and_b32_e32 v11, 0xff00000, v11
	s_mov_b32 s14, 0x7f00000
	v_mov_b32_e32 v13, 0x7e
	v_cmp_ne_u32_e32 vcc, s14, v11
	v_cndmask_b32_e32 v11, v13, v12, vcc
.LBB46_2563:
	s_andn2_saveexec_b64 s[10:11], s[10:11]
	s_cbranch_execz .LBB46_2565
; %bb.2564:
	s_mov_b32 s14, 0x46800000
	s_waitcnt vmcnt(0)
	v_add_f32_e64 v11, |v8|, s14
.LBB46_2565:
	s_or_b64 exec, exec, s[10:11]
                                        ; implicit-def: $vgpr12
.LBB46_2566:
	s_andn2_saveexec_b64 s[2:3], s[2:3]
	s_cbranch_execz .LBB46_2568
; %bb.2567:
	s_mov_b32 s10, 0x7f800000
	s_waitcnt vmcnt(0)
	v_mov_b32_e32 v11, 0x7e
	v_mov_b32_e32 v13, 0x7f
	v_cmp_lt_u32_e32 vcc, s10, v12
	v_cndmask_b32_e32 v11, v11, v13, vcc
.LBB46_2568:
	s_or_b64 exec, exec, s[2:3]
	v_lshrrev_b32_e32 v8, 24, v8
	s_movk_i32 s2, 0x80
	s_waitcnt vmcnt(0)
	v_and_or_b32 v8, v8, s2, v11
	global_store_byte v[2:3], v8, off
.LBB46_2569:
	s_mov_b64 s[2:3], 0
.LBB46_2570:
	s_andn2_b64 vcc, exec, s[2:3]
	s_cbranch_vccnz .LBB46_2580
; %bb.2571:
	v_bfe_i32 v8, v5, 0, 8
	v_cvt_f32_i32_sdwa v8, sext(v8) dst_sel:DWORD dst_unused:UNUSED_PAD src0_sel:WORD_0
	s_mov_b32 s2, 0x47800000
                                        ; implicit-def: $vgpr11
	v_and_b32_e32 v12, 0x7fffffff, v8
	v_cmp_gt_u32_e32 vcc, s2, v12
	s_and_saveexec_b64 s[2:3], vcc
	s_xor_b64 s[2:3], exec, s[2:3]
	s_cbranch_execz .LBB46_2577
; %bb.2572:
	s_mov_b32 s10, 0x387fffff
	v_cmp_lt_u32_e32 vcc, s10, v12
                                        ; implicit-def: $vgpr11
	s_and_saveexec_b64 s[10:11], vcc
	s_xor_b64 s[10:11], exec, s[10:11]
	s_cbranch_execz .LBB46_2574
; %bb.2573:
	s_waitcnt vmcnt(0)
	v_bfe_u32 v11, v8, 21, 1
	s_mov_b32 s14, 0x80fffff
	v_add3_u32 v11, v8, v11, s14
	v_lshrrev_b32_e32 v11, 21, v11
.LBB46_2574:
	s_andn2_saveexec_b64 s[10:11], s[10:11]
	s_cbranch_execz .LBB46_2576
; %bb.2575:
	s_mov_b32 s14, 0x43000000
	s_waitcnt vmcnt(0)
	v_add_f32_e64 v11, |v8|, s14
.LBB46_2576:
	s_or_b64 exec, exec, s[10:11]
                                        ; implicit-def: $vgpr12
.LBB46_2577:
	s_andn2_saveexec_b64 s[2:3], s[2:3]
	s_cbranch_execz .LBB46_2579
; %bb.2578:
	s_mov_b32 s10, 0x7f800000
	s_waitcnt vmcnt(0)
	v_mov_b32_e32 v11, 0x7c
	v_mov_b32_e32 v13, 0x7f
	v_cmp_lt_u32_e32 vcc, s10, v12
	v_cndmask_b32_e32 v11, v11, v13, vcc
.LBB46_2579:
	s_or_b64 exec, exec, s[2:3]
	v_lshrrev_b32_e32 v8, 24, v8
	s_movk_i32 s2, 0x80
	s_waitcnt vmcnt(0)
	v_and_or_b32 v8, v8, s2, v11
	global_store_byte v[2:3], v8, off
.LBB46_2580:
	s_mov_b64 s[2:3], 0
	s_mov_b64 s[10:11], -1
.LBB46_2581:
	s_andn2_b64 vcc, exec, s[2:3]
	s_mov_b64 s[2:3], 0
	s_cbranch_vccnz .LBB46_2588
; %bb.2582:
	s_cmp_gt_i32 s13, 14
	s_mov_b64 s[14:15], -1
	s_cbranch_scc0 .LBB46_2586
; %bb.2583:
	s_cmp_eq_u32 s13, 15
	s_mov_b64 s[0:1], -1
	s_cbranch_scc0 .LBB46_2585
; %bb.2584:
	v_bfe_i32 v8, v5, 0, 8
	v_cvt_f32_i32_sdwa v8, sext(v8) dst_sel:DWORD dst_unused:UNUSED_PAD src0_sel:WORD_0
	s_movk_i32 s2, 0x7fff
	s_mov_b64 s[0:1], 0
	s_mov_b64 s[10:11], -1
	s_waitcnt vmcnt(0)
	v_bfe_u32 v11, v8, 16, 1
	v_add3_u32 v8, v8, v11, s2
	global_store_short_d16_hi v[2:3], v8, off
.LBB46_2585:
	s_mov_b64 s[14:15], 0
.LBB46_2586:
	s_mov_b64 s[2:3], 0
	s_and_b64 vcc, exec, s[14:15]
	s_cbranch_vccz .LBB46_2588
; %bb.2587:
	s_cmp_lg_u32 s13, 11
	s_mov_b64 s[2:3], -1
	s_cselect_b64 s[0:1], -1, 0
.LBB46_2588:
	s_and_b64 vcc, exec, s[0:1]
	s_cbranch_vccnz .LBB46_2996
; %bb.2589:
	s_andn2_b64 vcc, exec, s[2:3]
	s_cbranch_vccnz .LBB46_2591
.LBB46_2590:
	v_mov_b32_e32 v8, 0
	v_cmp_ne_u16_sdwa s[0:1], v5, v8 src0_sel:BYTE_0 src1_sel:DWORD
	v_cndmask_b32_e64 v8, 0, 1, s[0:1]
	s_mov_b64 s[10:11], -1
	global_store_byte v[2:3], v8, off
.LBB46_2591:
	s_mov_b64 s[0:1], 0
	s_branch .LBB46_2593
.LBB46_2592:
	s_mov_b64 s[0:1], -1
	s_mov_b64 s[10:11], 0
.LBB46_2593:
	s_and_b64 vcc, exec, s[0:1]
	s_cbranch_vccz .LBB46_2632
; %bb.2594:
	s_and_b32 s2, 0xffff, s20
	s_cmp_lt_i32 s2, 5
	s_mov_b64 s[0:1], -1
	s_cbranch_scc1 .LBB46_2615
; %bb.2595:
	s_cmp_lt_i32 s2, 8
	s_cbranch_scc1 .LBB46_2605
; %bb.2596:
	s_cmp_lt_i32 s2, 9
	s_cbranch_scc1 .LBB46_2602
; %bb.2597:
	s_cmp_gt_i32 s2, 9
	s_cbranch_scc0 .LBB46_2599
; %bb.2598:
	v_bfe_i32 v8, v5, 0, 8
	v_bfe_i32 v8, v8, 0, 16
	s_waitcnt vmcnt(0)
	v_cvt_f64_i32_e32 v[11:12], v8
	v_mov_b32_e32 v13, 0
	v_mov_b32_e32 v14, v13
	s_mov_b64 s[0:1], 0
	global_store_dwordx4 v[2:3], v[11:14], off
.LBB46_2599:
	s_andn2_b64 vcc, exec, s[0:1]
	s_cbranch_vccnz .LBB46_2601
; %bb.2600:
	v_bfe_i32 v8, v5, 0, 8
	s_waitcnt vmcnt(0)
	v_cvt_f32_i32_sdwa v11, sext(v8) dst_sel:DWORD dst_unused:UNUSED_PAD src0_sel:WORD_0
	v_mov_b32_e32 v12, 0
	global_store_dwordx2 v[2:3], v[11:12], off
.LBB46_2601:
	s_mov_b64 s[0:1], 0
.LBB46_2602:
	s_andn2_b64 vcc, exec, s[0:1]
	s_cbranch_vccnz .LBB46_2604
; %bb.2603:
	v_cvt_f16_i16_sdwa v8, sext(v5) dst_sel:DWORD dst_unused:UNUSED_PAD src0_sel:BYTE_0
	global_store_dword v[2:3], v8, off
.LBB46_2604:
	s_mov_b64 s[0:1], 0
.LBB46_2605:
	s_andn2_b64 vcc, exec, s[0:1]
	s_cbranch_vccnz .LBB46_2614
; %bb.2606:
	s_cmp_lt_i32 s2, 6
	s_mov_b64 s[0:1], -1
	s_cbranch_scc1 .LBB46_2612
; %bb.2607:
	s_cmp_gt_i32 s2, 6
	s_cbranch_scc0 .LBB46_2609
; %bb.2608:
	v_bfe_i32 v8, v5, 0, 8
	v_bfe_i32 v8, v8, 0, 16
	s_waitcnt vmcnt(0)
	v_cvt_f64_i32_e32 v[11:12], v8
	s_mov_b64 s[0:1], 0
	global_store_dwordx2 v[2:3], v[11:12], off
.LBB46_2609:
	s_andn2_b64 vcc, exec, s[0:1]
	s_cbranch_vccnz .LBB46_2611
; %bb.2610:
	v_bfe_i32 v8, v5, 0, 8
	v_cvt_f32_i32_sdwa v8, sext(v8) dst_sel:DWORD dst_unused:UNUSED_PAD src0_sel:WORD_0
	global_store_dword v[2:3], v8, off
.LBB46_2611:
	s_mov_b64 s[0:1], 0
.LBB46_2612:
	s_andn2_b64 vcc, exec, s[0:1]
	s_cbranch_vccnz .LBB46_2614
; %bb.2613:
	v_cvt_f16_i16_sdwa v8, sext(v5) dst_sel:DWORD dst_unused:UNUSED_PAD src0_sel:BYTE_0
	global_store_short v[2:3], v8, off
.LBB46_2614:
	s_mov_b64 s[0:1], 0
.LBB46_2615:
	s_andn2_b64 vcc, exec, s[0:1]
	s_cbranch_vccnz .LBB46_2631
; %bb.2616:
	s_cmp_lt_i32 s2, 2
	s_mov_b64 s[0:1], -1
	s_cbranch_scc1 .LBB46_2626
; %bb.2617:
	s_cmp_lt_i32 s2, 3
	s_cbranch_scc1 .LBB46_2623
; %bb.2618:
	s_cmp_gt_i32 s2, 3
	s_cbranch_scc0 .LBB46_2620
; %bb.2619:
	s_waitcnt vmcnt(0)
	v_bfe_i32 v11, v5, 0, 8
	v_ashrrev_i32_e32 v12, 31, v11
	global_store_dwordx2 v[2:3], v[11:12], off
	s_mov_b64 s[0:1], 0
.LBB46_2620:
	s_andn2_b64 vcc, exec, s[0:1]
	s_cbranch_vccnz .LBB46_2622
; %bb.2621:
	v_bfe_i32 v8, v5, 0, 8
	global_store_dword v[2:3], v8, off
.LBB46_2622:
	s_mov_b64 s[0:1], 0
.LBB46_2623:
	s_andn2_b64 vcc, exec, s[0:1]
	s_cbranch_vccnz .LBB46_2625
; %bb.2624:
	v_bfe_i32 v8, v5, 0, 8
	global_store_short v[2:3], v8, off
.LBB46_2625:
	s_mov_b64 s[0:1], 0
.LBB46_2626:
	s_andn2_b64 vcc, exec, s[0:1]
	s_cbranch_vccnz .LBB46_2631
; %bb.2627:
	s_cmp_gt_i32 s2, 0
	s_mov_b64 s[0:1], -1
	s_cbranch_scc0 .LBB46_2629
; %bb.2628:
	global_store_byte v[2:3], v5, off
	s_mov_b64 s[0:1], 0
.LBB46_2629:
	s_andn2_b64 vcc, exec, s[0:1]
	s_cbranch_vccnz .LBB46_2631
; %bb.2630:
	global_store_byte v[2:3], v5, off
.LBB46_2631:
	s_mov_b64 s[10:11], -1
.LBB46_2632:
	s_andn2_b64 vcc, exec, s[10:11]
	s_cbranch_vccnz .LBB46_2947
; %bb.2633:
	v_mov_b32_e32 v2, 8
	s_lshl_b32 s16, s12, 7
	v_lshlrev_b32_e32 v1, v6, v1
	v_cmp_lt_u16_sdwa vcc, v6, v2 src0_sel:BYTE_0 src1_sel:DWORD
	v_add_u32_e32 v2, s16, v0
	v_cndmask_b32_e32 v3, 0, v1, vcc
	v_ashrrev_i32_e32 v1, 31, v2
	v_mov_b32_e32 v5, s9
	v_add_co_u32_e32 v0, vcc, s8, v2
	s_cmp_lt_i32 s20, 11
	v_addc_co_u32_e32 v1, vcc, v5, v1, vcc
	s_cbranch_scc1 .LBB46_2711
; %bb.2634:
	s_and_b32 s17, 0xffff, s20
	s_mov_b64 s[12:13], -1
	s_mov_b64 s[2:3], 0
	s_cmp_gt_i32 s17, 25
	s_mov_b64 s[10:11], 0
	s_mov_b64 s[0:1], 0
	s_cbranch_scc0 .LBB46_2667
; %bb.2635:
	s_cmp_gt_i32 s17, 28
	s_cbranch_scc0 .LBB46_2650
; %bb.2636:
	s_cmp_gt_i32 s17, 43
	;; [unrolled: 3-line block ×3, first 2 shown]
	s_cbranch_scc0 .LBB46_2640
; %bb.2638:
	s_mov_b64 s[0:1], -1
	s_mov_b64 s[12:13], 0
	s_cmp_eq_u32 s17, 46
	s_cbranch_scc0 .LBB46_2640
; %bb.2639:
	v_bfe_i32 v5, v3, 0, 8
	v_cvt_f32_i32_sdwa v5, sext(v5) dst_sel:DWORD dst_unused:UNUSED_PAD src0_sel:WORD_0
	s_movk_i32 s10, 0x7fff
	s_mov_b64 s[0:1], 0
	v_bfe_u32 v6, v5, 16, 1
	v_add3_u32 v5, v5, v6, s10
	v_lshrrev_b32_e32 v5, 16, v5
	global_store_dword v[0:1], v5, off
	s_mov_b64 s[10:11], -1
.LBB46_2640:
	s_and_b64 vcc, exec, s[12:13]
	s_cbranch_vccz .LBB46_2645
; %bb.2641:
	s_cmp_eq_u32 s17, 44
	s_mov_b64 s[0:1], -1
	s_cbranch_scc0 .LBB46_2645
; %bb.2642:
	v_bfe_i32 v5, v3, 0, 8
	v_cvt_f32_i32_sdwa v5, sext(v5) dst_sel:DWORD dst_unused:UNUSED_PAD src0_sel:WORD_0
	s_movk_i32 s0, 0xff
	v_mov_b32_e32 v8, 0xff
	v_bfe_u32 v6, v5, 23, 8
	v_cmp_ne_u32_e32 vcc, s0, v6
	s_and_saveexec_b64 s[10:11], vcc
	s_cbranch_execz .LBB46_2644
; %bb.2643:
	s_mov_b32 s0, 0x3fffff
	v_lshrrev_b32_e32 v8, 23, v5
	s_waitcnt vmcnt(0)
	v_and_b32_e32 v11, 0x400000, v5
	v_and_or_b32 v5, v5, s0, v6
	v_cmp_ne_u32_e32 vcc, 0, v11
	v_cmp_ne_u32_e64 s[0:1], 0, v5
	s_and_b64 s[0:1], vcc, s[0:1]
	v_cndmask_b32_e64 v5, 0, 1, s[0:1]
	v_add_u32_e32 v8, v8, v5
.LBB46_2644:
	s_or_b64 exec, exec, s[10:11]
	s_mov_b64 s[0:1], 0
	s_mov_b64 s[10:11], -1
	global_store_byte v[0:1], v8, off
.LBB46_2645:
	s_mov_b64 s[12:13], 0
.LBB46_2646:
	s_and_b64 vcc, exec, s[12:13]
	s_cbranch_vccz .LBB46_2649
; %bb.2647:
	s_cmp_eq_u32 s17, 29
	s_mov_b64 s[0:1], -1
	s_cbranch_scc0 .LBB46_2649
; %bb.2648:
	v_bfe_i32 v5, v3, 0, 8
	v_ashrrev_i32_e32 v6, 31, v5
	global_store_dwordx2 v[0:1], v[5:6], off
	s_mov_b64 s[0:1], 0
	s_mov_b64 s[10:11], -1
.LBB46_2649:
	s_mov_b64 s[12:13], 0
.LBB46_2650:
	s_and_b64 vcc, exec, s[12:13]
	s_cbranch_vccz .LBB46_2666
; %bb.2651:
	s_cmp_lt_i32 s17, 27
	s_mov_b64 s[10:11], -1
	s_cbranch_scc1 .LBB46_2657
; %bb.2652:
	s_cmp_gt_i32 s17, 27
	s_cbranch_scc0 .LBB46_2654
; %bb.2653:
	v_bfe_i32 v5, v3, 0, 8
	s_mov_b64 s[10:11], 0
	global_store_dword v[0:1], v5, off
.LBB46_2654:
	s_andn2_b64 vcc, exec, s[10:11]
	s_cbranch_vccnz .LBB46_2656
; %bb.2655:
	v_bfe_i32 v5, v3, 0, 8
	global_store_short v[0:1], v5, off
.LBB46_2656:
	s_mov_b64 s[10:11], 0
.LBB46_2657:
	s_andn2_b64 vcc, exec, s[10:11]
	s_cbranch_vccnz .LBB46_2665
; %bb.2658:
	v_bfe_i32 v5, v3, 0, 8
	v_cvt_f32_i32_sdwa v5, sext(v5) dst_sel:DWORD dst_unused:UNUSED_PAD src0_sel:WORD_0
	s_mov_b32 s10, 0x43800000
	v_mov_b32_e32 v8, 0x80
	v_and_b32_e32 v6, 0x7fffffff, v5
	v_cmp_gt_u32_e32 vcc, s10, v6
	s_and_saveexec_b64 s[10:11], vcc
	s_cbranch_execz .LBB46_2664
; %bb.2659:
	s_mov_b32 s12, 0x3bffffff
	v_cmp_lt_u32_e32 vcc, s12, v6
	s_mov_b64 s[12:13], 0
                                        ; implicit-def: $vgpr6
	s_and_saveexec_b64 s[14:15], vcc
	s_xor_b64 s[14:15], exec, s[14:15]
	s_cbranch_execz .LBB46_2999
; %bb.2660:
	v_bfe_u32 v6, v5, 20, 1
	s_mov_b32 s21, 0x487ffff
	v_add3_u32 v6, v5, v6, s21
	s_mov_b64 s[12:13], exec
	v_lshrrev_b32_e32 v6, 20, v6
	s_andn2_saveexec_b64 s[14:15], s[14:15]
	s_cbranch_execnz .LBB46_3000
.LBB46_2661:
	s_or_b64 exec, exec, s[14:15]
	v_mov_b32_e32 v8, 0
	s_and_saveexec_b64 s[14:15], s[12:13]
.LBB46_2662:
	v_lshrrev_b32_e32 v5, 24, v5
	s_movk_i32 s12, 0x80
	v_and_or_b32 v8, v5, s12, v6
.LBB46_2663:
	s_or_b64 exec, exec, s[14:15]
.LBB46_2664:
	s_or_b64 exec, exec, s[10:11]
	global_store_byte v[0:1], v8, off
.LBB46_2665:
	s_mov_b64 s[10:11], -1
.LBB46_2666:
	s_mov_b64 s[12:13], 0
.LBB46_2667:
	s_and_b64 vcc, exec, s[12:13]
	s_cbranch_vccz .LBB46_2707
; %bb.2668:
	s_cmp_gt_i32 s17, 22
	s_mov_b64 s[2:3], -1
	s_cbranch_scc0 .LBB46_2700
; %bb.2669:
	s_cmp_lt_i32 s17, 24
	s_cbranch_scc1 .LBB46_2689
; %bb.2670:
	s_cmp_gt_i32 s17, 24
	s_cbranch_scc0 .LBB46_2678
; %bb.2671:
	v_bfe_i32 v5, v3, 0, 8
	v_cvt_f32_i32_sdwa v5, sext(v5) dst_sel:DWORD dst_unused:UNUSED_PAD src0_sel:WORD_0
	s_mov_b32 s2, 0x47800000
	v_mov_b32_e32 v8, 0x80
	v_and_b32_e32 v6, 0x7fffffff, v5
	v_cmp_gt_u32_e32 vcc, s2, v6
	s_and_saveexec_b64 s[2:3], vcc
	s_cbranch_execz .LBB46_2677
; %bb.2672:
	s_mov_b32 s10, 0x37ffffff
	v_cmp_lt_u32_e32 vcc, s10, v6
	s_mov_b64 s[10:11], 0
                                        ; implicit-def: $vgpr6
	s_and_saveexec_b64 s[12:13], vcc
	s_xor_b64 s[12:13], exec, s[12:13]
	s_cbranch_execz .LBB46_3002
; %bb.2673:
	v_bfe_u32 v6, v5, 21, 1
	s_mov_b32 s14, 0x88fffff
	v_add3_u32 v6, v5, v6, s14
	s_mov_b64 s[10:11], exec
	v_lshrrev_b32_e32 v6, 21, v6
	s_andn2_saveexec_b64 s[12:13], s[12:13]
	s_cbranch_execnz .LBB46_3003
.LBB46_2674:
	s_or_b64 exec, exec, s[12:13]
	v_mov_b32_e32 v8, 0
	s_and_saveexec_b64 s[12:13], s[10:11]
.LBB46_2675:
	v_lshrrev_b32_e32 v5, 24, v5
	s_movk_i32 s10, 0x80
	v_and_or_b32 v8, v5, s10, v6
.LBB46_2676:
	s_or_b64 exec, exec, s[12:13]
.LBB46_2677:
	s_or_b64 exec, exec, s[2:3]
	s_mov_b64 s[2:3], 0
	global_store_byte v[0:1], v8, off
.LBB46_2678:
	s_and_b64 vcc, exec, s[2:3]
	s_cbranch_vccz .LBB46_2688
; %bb.2679:
	v_bfe_i32 v5, v3, 0, 8
	v_cvt_f32_i32_sdwa v5, sext(v5) dst_sel:DWORD dst_unused:UNUSED_PAD src0_sel:WORD_0
	s_mov_b32 s2, 0x43f00000
                                        ; implicit-def: $vgpr6
	v_and_b32_e32 v8, 0x7fffffff, v5
	v_cmp_gt_u32_e32 vcc, s2, v8
	s_and_saveexec_b64 s[2:3], vcc
	s_xor_b64 s[2:3], exec, s[2:3]
	s_cbranch_execz .LBB46_2685
; %bb.2680:
	s_mov_b32 s10, 0x3c7fffff
	v_cmp_lt_u32_e32 vcc, s10, v8
                                        ; implicit-def: $vgpr6
	s_and_saveexec_b64 s[10:11], vcc
	s_xor_b64 s[10:11], exec, s[10:11]
	s_cbranch_execz .LBB46_2682
; %bb.2681:
	v_bfe_u32 v6, v5, 20, 1
	s_mov_b32 s12, 0x407ffff
	v_add3_u32 v6, v5, v6, s12
	v_lshrrev_b32_e32 v8, 20, v6
	v_and_b32_e32 v6, 0xff00000, v6
	s_mov_b32 s12, 0x7f00000
	s_waitcnt vmcnt(0)
	v_mov_b32_e32 v11, 0x7e
	v_cmp_ne_u32_e32 vcc, s12, v6
	v_cndmask_b32_e32 v6, v11, v8, vcc
.LBB46_2682:
	s_andn2_saveexec_b64 s[10:11], s[10:11]
; %bb.2683:
	s_mov_b32 s12, 0x46800000
	v_add_f32_e64 v6, |v5|, s12
; %bb.2684:
	s_or_b64 exec, exec, s[10:11]
                                        ; implicit-def: $vgpr8
.LBB46_2685:
	s_andn2_saveexec_b64 s[2:3], s[2:3]
	s_cbranch_execz .LBB46_2687
; %bb.2686:
	s_mov_b32 s10, 0x7f800000
	v_mov_b32_e32 v6, 0x7e
	s_waitcnt vmcnt(0)
	v_mov_b32_e32 v11, 0x7f
	v_cmp_lt_u32_e32 vcc, s10, v8
	v_cndmask_b32_e32 v6, v6, v11, vcc
.LBB46_2687:
	s_or_b64 exec, exec, s[2:3]
	v_lshrrev_b32_e32 v5, 24, v5
	s_movk_i32 s2, 0x80
	v_and_or_b32 v5, v5, s2, v6
	global_store_byte v[0:1], v5, off
.LBB46_2688:
	s_mov_b64 s[2:3], 0
.LBB46_2689:
	s_andn2_b64 vcc, exec, s[2:3]
	s_cbranch_vccnz .LBB46_2699
; %bb.2690:
	v_bfe_i32 v5, v3, 0, 8
	v_cvt_f32_i32_sdwa v5, sext(v5) dst_sel:DWORD dst_unused:UNUSED_PAD src0_sel:WORD_0
	s_mov_b32 s2, 0x47800000
                                        ; implicit-def: $vgpr6
	v_and_b32_e32 v8, 0x7fffffff, v5
	v_cmp_gt_u32_e32 vcc, s2, v8
	s_and_saveexec_b64 s[2:3], vcc
	s_xor_b64 s[2:3], exec, s[2:3]
	s_cbranch_execz .LBB46_2696
; %bb.2691:
	s_mov_b32 s10, 0x387fffff
	v_cmp_lt_u32_e32 vcc, s10, v8
                                        ; implicit-def: $vgpr6
	s_and_saveexec_b64 s[10:11], vcc
	s_xor_b64 s[10:11], exec, s[10:11]
; %bb.2692:
	v_bfe_u32 v6, v5, 21, 1
	s_mov_b32 s12, 0x80fffff
	v_add3_u32 v6, v5, v6, s12
	v_lshrrev_b32_e32 v6, 21, v6
; %bb.2693:
	s_andn2_saveexec_b64 s[10:11], s[10:11]
; %bb.2694:
	s_mov_b32 s12, 0x43000000
	v_add_f32_e64 v6, |v5|, s12
; %bb.2695:
	s_or_b64 exec, exec, s[10:11]
                                        ; implicit-def: $vgpr8
.LBB46_2696:
	s_andn2_saveexec_b64 s[2:3], s[2:3]
	s_cbranch_execz .LBB46_2698
; %bb.2697:
	s_mov_b32 s10, 0x7f800000
	v_mov_b32_e32 v6, 0x7c
	s_waitcnt vmcnt(0)
	v_mov_b32_e32 v11, 0x7f
	v_cmp_lt_u32_e32 vcc, s10, v8
	v_cndmask_b32_e32 v6, v6, v11, vcc
.LBB46_2698:
	s_or_b64 exec, exec, s[2:3]
	v_lshrrev_b32_e32 v5, 24, v5
	s_movk_i32 s2, 0x80
	v_and_or_b32 v5, v5, s2, v6
	global_store_byte v[0:1], v5, off
.LBB46_2699:
	s_mov_b64 s[2:3], 0
	s_mov_b64 s[10:11], -1
.LBB46_2700:
	s_andn2_b64 vcc, exec, s[2:3]
	s_mov_b64 s[2:3], 0
	s_cbranch_vccnz .LBB46_2707
; %bb.2701:
	s_cmp_gt_i32 s17, 14
	s_mov_b64 s[12:13], -1
	s_cbranch_scc0 .LBB46_2705
; %bb.2702:
	s_cmp_eq_u32 s17, 15
	s_mov_b64 s[0:1], -1
	s_cbranch_scc0 .LBB46_2704
; %bb.2703:
	v_bfe_i32 v5, v3, 0, 8
	v_cvt_f32_i32_sdwa v5, sext(v5) dst_sel:DWORD dst_unused:UNUSED_PAD src0_sel:WORD_0
	s_movk_i32 s2, 0x7fff
	s_mov_b64 s[0:1], 0
	s_mov_b64 s[10:11], -1
	v_bfe_u32 v6, v5, 16, 1
	v_add3_u32 v5, v5, v6, s2
	global_store_short_d16_hi v[0:1], v5, off
.LBB46_2704:
	s_mov_b64 s[12:13], 0
.LBB46_2705:
	s_mov_b64 s[2:3], 0
	s_and_b64 vcc, exec, s[12:13]
	s_cbranch_vccz .LBB46_2707
; %bb.2706:
	s_cmp_lg_u32 s17, 11
	s_mov_b64 s[2:3], -1
	s_cselect_b64 s[0:1], -1, 0
.LBB46_2707:
	s_and_b64 vcc, exec, s[0:1]
	s_cbranch_vccnz .LBB46_3001
; %bb.2708:
	s_andn2_b64 vcc, exec, s[2:3]
	s_cbranch_vccnz .LBB46_2710
.LBB46_2709:
	v_mov_b32_e32 v5, 0
	v_cmp_ne_u16_sdwa s[0:1], v3, v5 src0_sel:BYTE_0 src1_sel:DWORD
	v_cndmask_b32_e64 v5, 0, 1, s[0:1]
	s_mov_b64 s[10:11], -1
	global_store_byte v[0:1], v5, off
.LBB46_2710:
	s_mov_b64 s[0:1], 0
	s_branch .LBB46_2712
.LBB46_2711:
	s_mov_b64 s[0:1], -1
	s_mov_b64 s[10:11], 0
.LBB46_2712:
	s_and_b64 vcc, exec, s[0:1]
	s_cbranch_vccz .LBB46_2751
; %bb.2713:
	s_and_b32 s2, 0xffff, s20
	s_cmp_lt_i32 s2, 5
	s_mov_b64 s[0:1], -1
	s_cbranch_scc1 .LBB46_2734
; %bb.2714:
	s_cmp_lt_i32 s2, 8
	s_cbranch_scc1 .LBB46_2724
; %bb.2715:
	s_cmp_lt_i32 s2, 9
	s_cbranch_scc1 .LBB46_2721
; %bb.2716:
	s_cmp_gt_i32 s2, 9
	s_cbranch_scc0 .LBB46_2718
; %bb.2717:
	v_bfe_i32 v5, v3, 0, 8
	v_bfe_i32 v5, v5, 0, 16
	s_waitcnt vmcnt(0)
	v_cvt_f64_i32_e32 v[11:12], v5
	v_mov_b32_e32 v13, 0
	v_mov_b32_e32 v14, v13
	s_mov_b64 s[0:1], 0
	global_store_dwordx4 v[0:1], v[11:14], off
.LBB46_2718:
	s_andn2_b64 vcc, exec, s[0:1]
	s_cbranch_vccnz .LBB46_2720
; %bb.2719:
	v_bfe_i32 v5, v3, 0, 8
	v_cvt_f32_i32_sdwa v5, sext(v5) dst_sel:DWORD dst_unused:UNUSED_PAD src0_sel:WORD_0
	v_mov_b32_e32 v6, 0
	global_store_dwordx2 v[0:1], v[5:6], off
.LBB46_2720:
	s_mov_b64 s[0:1], 0
.LBB46_2721:
	s_andn2_b64 vcc, exec, s[0:1]
	s_cbranch_vccnz .LBB46_2723
; %bb.2722:
	v_cvt_f16_i16_sdwa v5, sext(v3) dst_sel:DWORD dst_unused:UNUSED_PAD src0_sel:BYTE_0
	global_store_dword v[0:1], v5, off
.LBB46_2723:
	s_mov_b64 s[0:1], 0
.LBB46_2724:
	s_andn2_b64 vcc, exec, s[0:1]
	s_cbranch_vccnz .LBB46_2733
; %bb.2725:
	s_cmp_lt_i32 s2, 6
	s_mov_b64 s[0:1], -1
	s_cbranch_scc1 .LBB46_2731
; %bb.2726:
	s_cmp_gt_i32 s2, 6
	s_cbranch_scc0 .LBB46_2728
; %bb.2727:
	v_bfe_i32 v5, v3, 0, 8
	v_bfe_i32 v5, v5, 0, 16
	v_cvt_f64_i32_e32 v[5:6], v5
	s_mov_b64 s[0:1], 0
	global_store_dwordx2 v[0:1], v[5:6], off
.LBB46_2728:
	s_andn2_b64 vcc, exec, s[0:1]
	s_cbranch_vccnz .LBB46_2730
; %bb.2729:
	v_bfe_i32 v5, v3, 0, 8
	v_cvt_f32_i32_sdwa v5, sext(v5) dst_sel:DWORD dst_unused:UNUSED_PAD src0_sel:WORD_0
	global_store_dword v[0:1], v5, off
.LBB46_2730:
	s_mov_b64 s[0:1], 0
.LBB46_2731:
	s_andn2_b64 vcc, exec, s[0:1]
	s_cbranch_vccnz .LBB46_2733
; %bb.2732:
	v_cvt_f16_i16_sdwa v5, sext(v3) dst_sel:DWORD dst_unused:UNUSED_PAD src0_sel:BYTE_0
	global_store_short v[0:1], v5, off
.LBB46_2733:
	s_mov_b64 s[0:1], 0
.LBB46_2734:
	s_andn2_b64 vcc, exec, s[0:1]
	s_cbranch_vccnz .LBB46_2750
; %bb.2735:
	s_cmp_lt_i32 s2, 2
	s_mov_b64 s[0:1], -1
	s_cbranch_scc1 .LBB46_2745
; %bb.2736:
	s_cmp_lt_i32 s2, 3
	s_cbranch_scc1 .LBB46_2742
; %bb.2737:
	s_cmp_gt_i32 s2, 3
	s_cbranch_scc0 .LBB46_2739
; %bb.2738:
	v_bfe_i32 v5, v3, 0, 8
	v_ashrrev_i32_e32 v6, 31, v5
	global_store_dwordx2 v[0:1], v[5:6], off
	s_mov_b64 s[0:1], 0
.LBB46_2739:
	s_andn2_b64 vcc, exec, s[0:1]
	s_cbranch_vccnz .LBB46_2741
; %bb.2740:
	v_bfe_i32 v5, v3, 0, 8
	global_store_dword v[0:1], v5, off
.LBB46_2741:
	s_mov_b64 s[0:1], 0
.LBB46_2742:
	s_andn2_b64 vcc, exec, s[0:1]
	s_cbranch_vccnz .LBB46_2744
; %bb.2743:
	v_bfe_i32 v5, v3, 0, 8
	global_store_short v[0:1], v5, off
.LBB46_2744:
	s_mov_b64 s[0:1], 0
.LBB46_2745:
	s_andn2_b64 vcc, exec, s[0:1]
	s_cbranch_vccnz .LBB46_2750
; %bb.2746:
	s_cmp_gt_i32 s2, 0
	s_mov_b64 s[0:1], -1
	s_cbranch_scc0 .LBB46_2748
; %bb.2747:
	global_store_byte v[0:1], v3, off
	s_mov_b64 s[0:1], 0
.LBB46_2748:
	s_andn2_b64 vcc, exec, s[0:1]
	s_cbranch_vccnz .LBB46_2750
; %bb.2749:
	global_store_byte v[0:1], v3, off
.LBB46_2750:
	s_mov_b64 s[10:11], -1
.LBB46_2751:
	s_andn2_b64 vcc, exec, s[10:11]
	s_cbranch_vccnz .LBB46_2947
; %bb.2752:
	v_mov_b32_e32 v1, 8
	v_lshlrev_b32_e32 v0, v9, v4
	v_cmp_lt_u16_sdwa vcc, v9, v1 src0_sel:BYTE_0 src1_sel:DWORD
	v_add_u32_e32 v3, s16, v2
	v_cndmask_b32_e32 v4, 0, v0, vcc
	v_ashrrev_i32_e32 v1, 31, v3
	v_mov_b32_e32 v2, s9
	v_add_co_u32_e32 v0, vcc, s8, v3
	s_cmp_lt_i32 s20, 11
	v_addc_co_u32_e32 v1, vcc, v2, v1, vcc
	s_cbranch_scc1 .LBB46_2830
; %bb.2753:
	s_and_b32 s17, 0xffff, s20
	s_mov_b64 s[12:13], -1
	s_mov_b64 s[2:3], 0
	s_cmp_gt_i32 s17, 25
	s_mov_b64 s[10:11], 0
	s_mov_b64 s[0:1], 0
	s_cbranch_scc0 .LBB46_2786
; %bb.2754:
	s_cmp_gt_i32 s17, 28
	s_cbranch_scc0 .LBB46_2769
; %bb.2755:
	s_cmp_gt_i32 s17, 43
	;; [unrolled: 3-line block ×3, first 2 shown]
	s_cbranch_scc0 .LBB46_2759
; %bb.2757:
	s_mov_b64 s[0:1], -1
	s_mov_b64 s[12:13], 0
	s_cmp_eq_u32 s17, 46
	s_cbranch_scc0 .LBB46_2759
; %bb.2758:
	v_bfe_i32 v2, v4, 0, 8
	v_cvt_f32_i32_sdwa v2, sext(v2) dst_sel:DWORD dst_unused:UNUSED_PAD src0_sel:WORD_0
	s_movk_i32 s10, 0x7fff
	s_mov_b64 s[0:1], 0
	v_bfe_u32 v5, v2, 16, 1
	v_add3_u32 v2, v2, v5, s10
	v_lshrrev_b32_e32 v2, 16, v2
	global_store_dword v[0:1], v2, off
	s_mov_b64 s[10:11], -1
.LBB46_2759:
	s_and_b64 vcc, exec, s[12:13]
	s_cbranch_vccz .LBB46_2764
; %bb.2760:
	s_cmp_eq_u32 s17, 44
	s_mov_b64 s[0:1], -1
	s_cbranch_scc0 .LBB46_2764
; %bb.2761:
	v_bfe_i32 v2, v4, 0, 8
	v_cvt_f32_i32_sdwa v2, sext(v2) dst_sel:DWORD dst_unused:UNUSED_PAD src0_sel:WORD_0
	s_movk_i32 s0, 0xff
	v_mov_b32_e32 v6, 0xff
	v_bfe_u32 v5, v2, 23, 8
	v_cmp_ne_u32_e32 vcc, s0, v5
	s_and_saveexec_b64 s[10:11], vcc
; %bb.2762:
	s_mov_b32 s0, 0x3fffff
	v_lshrrev_b32_e32 v6, 23, v2
	v_and_b32_e32 v8, 0x400000, v2
	v_and_or_b32 v2, v2, s0, v5
	v_cmp_ne_u32_e32 vcc, 0, v8
	v_cmp_ne_u32_e64 s[0:1], 0, v2
	s_and_b64 s[0:1], vcc, s[0:1]
	v_cndmask_b32_e64 v2, 0, 1, s[0:1]
	v_add_u32_e32 v6, v6, v2
; %bb.2763:
	s_or_b64 exec, exec, s[10:11]
	s_mov_b64 s[0:1], 0
	s_mov_b64 s[10:11], -1
	global_store_byte v[0:1], v6, off
.LBB46_2764:
	s_mov_b64 s[12:13], 0
.LBB46_2765:
	s_and_b64 vcc, exec, s[12:13]
	s_cbranch_vccz .LBB46_2768
; %bb.2766:
	s_cmp_eq_u32 s17, 29
	s_mov_b64 s[0:1], -1
	s_cbranch_scc0 .LBB46_2768
; %bb.2767:
	v_bfe_i32 v5, v4, 0, 8
	v_ashrrev_i32_e32 v6, 31, v5
	global_store_dwordx2 v[0:1], v[5:6], off
	s_mov_b64 s[0:1], 0
	s_mov_b64 s[10:11], -1
.LBB46_2768:
	s_mov_b64 s[12:13], 0
.LBB46_2769:
	s_and_b64 vcc, exec, s[12:13]
	s_cbranch_vccz .LBB46_2785
; %bb.2770:
	s_cmp_lt_i32 s17, 27
	s_mov_b64 s[10:11], -1
	s_cbranch_scc1 .LBB46_2776
; %bb.2771:
	s_cmp_gt_i32 s17, 27
	s_cbranch_scc0 .LBB46_2773
; %bb.2772:
	v_bfe_i32 v2, v4, 0, 8
	s_mov_b64 s[10:11], 0
	global_store_dword v[0:1], v2, off
.LBB46_2773:
	s_andn2_b64 vcc, exec, s[10:11]
	s_cbranch_vccnz .LBB46_2775
; %bb.2774:
	v_bfe_i32 v2, v4, 0, 8
	global_store_short v[0:1], v2, off
.LBB46_2775:
	s_mov_b64 s[10:11], 0
.LBB46_2776:
	s_andn2_b64 vcc, exec, s[10:11]
	s_cbranch_vccnz .LBB46_2784
; %bb.2777:
	v_bfe_i32 v2, v4, 0, 8
	v_cvt_f32_i32_sdwa v2, sext(v2) dst_sel:DWORD dst_unused:UNUSED_PAD src0_sel:WORD_0
	s_mov_b32 s10, 0x43800000
	v_mov_b32_e32 v6, 0x80
	v_and_b32_e32 v5, 0x7fffffff, v2
	v_cmp_gt_u32_e32 vcc, s10, v5
	s_and_saveexec_b64 s[10:11], vcc
	s_cbranch_execz .LBB46_2783
; %bb.2778:
	s_mov_b32 s12, 0x3bffffff
	v_cmp_lt_u32_e32 vcc, s12, v5
	s_mov_b64 s[12:13], 0
                                        ; implicit-def: $vgpr5
	s_and_saveexec_b64 s[14:15], vcc
	s_xor_b64 s[14:15], exec, s[14:15]
	s_cbranch_execz .LBB46_3004
; %bb.2779:
	v_bfe_u32 v5, v2, 20, 1
	s_mov_b32 s21, 0x487ffff
	v_add3_u32 v5, v2, v5, s21
	s_mov_b64 s[12:13], exec
	v_lshrrev_b32_e32 v5, 20, v5
	s_andn2_saveexec_b64 s[14:15], s[14:15]
	s_cbranch_execnz .LBB46_3005
.LBB46_2780:
	s_or_b64 exec, exec, s[14:15]
	v_mov_b32_e32 v6, 0
	s_and_saveexec_b64 s[14:15], s[12:13]
.LBB46_2781:
	v_lshrrev_b32_e32 v2, 24, v2
	s_movk_i32 s12, 0x80
	v_and_or_b32 v6, v2, s12, v5
.LBB46_2782:
	s_or_b64 exec, exec, s[14:15]
.LBB46_2783:
	s_or_b64 exec, exec, s[10:11]
	global_store_byte v[0:1], v6, off
.LBB46_2784:
	s_mov_b64 s[10:11], -1
.LBB46_2785:
	s_mov_b64 s[12:13], 0
.LBB46_2786:
	s_and_b64 vcc, exec, s[12:13]
	s_cbranch_vccz .LBB46_2826
; %bb.2787:
	s_cmp_gt_i32 s17, 22
	s_mov_b64 s[2:3], -1
	s_cbranch_scc0 .LBB46_2819
; %bb.2788:
	s_cmp_lt_i32 s17, 24
	s_cbranch_scc1 .LBB46_2808
; %bb.2789:
	s_cmp_gt_i32 s17, 24
	s_cbranch_scc0 .LBB46_2797
; %bb.2790:
	v_bfe_i32 v2, v4, 0, 8
	v_cvt_f32_i32_sdwa v2, sext(v2) dst_sel:DWORD dst_unused:UNUSED_PAD src0_sel:WORD_0
	s_mov_b32 s2, 0x47800000
	v_mov_b32_e32 v6, 0x80
	v_and_b32_e32 v5, 0x7fffffff, v2
	v_cmp_gt_u32_e32 vcc, s2, v5
	s_and_saveexec_b64 s[2:3], vcc
	s_cbranch_execz .LBB46_2796
; %bb.2791:
	s_mov_b32 s10, 0x37ffffff
	v_cmp_lt_u32_e32 vcc, s10, v5
	s_mov_b64 s[10:11], 0
                                        ; implicit-def: $vgpr5
	s_and_saveexec_b64 s[12:13], vcc
	s_xor_b64 s[12:13], exec, s[12:13]
	s_cbranch_execz .LBB46_3007
; %bb.2792:
	v_bfe_u32 v5, v2, 21, 1
	s_mov_b32 s14, 0x88fffff
	v_add3_u32 v5, v2, v5, s14
	s_mov_b64 s[10:11], exec
	v_lshrrev_b32_e32 v5, 21, v5
	s_andn2_saveexec_b64 s[12:13], s[12:13]
	s_cbranch_execnz .LBB46_3008
.LBB46_2793:
	s_or_b64 exec, exec, s[12:13]
	v_mov_b32_e32 v6, 0
	s_and_saveexec_b64 s[12:13], s[10:11]
.LBB46_2794:
	v_lshrrev_b32_e32 v2, 24, v2
	s_movk_i32 s10, 0x80
	v_and_or_b32 v6, v2, s10, v5
.LBB46_2795:
	s_or_b64 exec, exec, s[12:13]
.LBB46_2796:
	s_or_b64 exec, exec, s[2:3]
	s_mov_b64 s[2:3], 0
	global_store_byte v[0:1], v6, off
.LBB46_2797:
	s_and_b64 vcc, exec, s[2:3]
	s_cbranch_vccz .LBB46_2807
; %bb.2798:
	v_bfe_i32 v2, v4, 0, 8
	v_cvt_f32_i32_sdwa v2, sext(v2) dst_sel:DWORD dst_unused:UNUSED_PAD src0_sel:WORD_0
	s_mov_b32 s2, 0x43f00000
                                        ; implicit-def: $vgpr5
	v_and_b32_e32 v6, 0x7fffffff, v2
	v_cmp_gt_u32_e32 vcc, s2, v6
	s_and_saveexec_b64 s[2:3], vcc
	s_xor_b64 s[2:3], exec, s[2:3]
	s_cbranch_execz .LBB46_2804
; %bb.2799:
	s_mov_b32 s10, 0x3c7fffff
	v_cmp_lt_u32_e32 vcc, s10, v6
                                        ; implicit-def: $vgpr5
	s_and_saveexec_b64 s[10:11], vcc
	s_xor_b64 s[10:11], exec, s[10:11]
; %bb.2800:
	v_bfe_u32 v5, v2, 20, 1
	s_mov_b32 s12, 0x407ffff
	v_add3_u32 v5, v2, v5, s12
	v_lshrrev_b32_e32 v6, 20, v5
	v_and_b32_e32 v5, 0xff00000, v5
	s_mov_b32 s12, 0x7f00000
	v_mov_b32_e32 v8, 0x7e
	v_cmp_ne_u32_e32 vcc, s12, v5
	v_cndmask_b32_e32 v5, v8, v6, vcc
; %bb.2801:
	s_andn2_saveexec_b64 s[10:11], s[10:11]
; %bb.2802:
	s_mov_b32 s12, 0x46800000
	v_add_f32_e64 v5, |v2|, s12
; %bb.2803:
	s_or_b64 exec, exec, s[10:11]
                                        ; implicit-def: $vgpr6
.LBB46_2804:
	s_andn2_saveexec_b64 s[2:3], s[2:3]
; %bb.2805:
	s_mov_b32 s10, 0x7f800000
	v_mov_b32_e32 v5, 0x7e
	v_mov_b32_e32 v8, 0x7f
	v_cmp_lt_u32_e32 vcc, s10, v6
	v_cndmask_b32_e32 v5, v5, v8, vcc
; %bb.2806:
	s_or_b64 exec, exec, s[2:3]
	v_lshrrev_b32_e32 v2, 24, v2
	s_movk_i32 s2, 0x80
	v_and_or_b32 v2, v2, s2, v5
	global_store_byte v[0:1], v2, off
.LBB46_2807:
	s_mov_b64 s[2:3], 0
.LBB46_2808:
	s_andn2_b64 vcc, exec, s[2:3]
	s_cbranch_vccnz .LBB46_2818
; %bb.2809:
	v_bfe_i32 v2, v4, 0, 8
	v_cvt_f32_i32_sdwa v2, sext(v2) dst_sel:DWORD dst_unused:UNUSED_PAD src0_sel:WORD_0
	s_mov_b32 s2, 0x47800000
                                        ; implicit-def: $vgpr5
	v_and_b32_e32 v6, 0x7fffffff, v2
	v_cmp_gt_u32_e32 vcc, s2, v6
	s_and_saveexec_b64 s[2:3], vcc
	s_xor_b64 s[2:3], exec, s[2:3]
	s_cbranch_execz .LBB46_2815
; %bb.2810:
	s_mov_b32 s10, 0x387fffff
	v_cmp_lt_u32_e32 vcc, s10, v6
                                        ; implicit-def: $vgpr5
	s_and_saveexec_b64 s[10:11], vcc
	s_xor_b64 s[10:11], exec, s[10:11]
; %bb.2811:
	v_bfe_u32 v5, v2, 21, 1
	s_mov_b32 s12, 0x80fffff
	v_add3_u32 v5, v2, v5, s12
	v_lshrrev_b32_e32 v5, 21, v5
; %bb.2812:
	s_andn2_saveexec_b64 s[10:11], s[10:11]
; %bb.2813:
	s_mov_b32 s12, 0x43000000
	v_add_f32_e64 v5, |v2|, s12
; %bb.2814:
	s_or_b64 exec, exec, s[10:11]
                                        ; implicit-def: $vgpr6
.LBB46_2815:
	s_andn2_saveexec_b64 s[2:3], s[2:3]
; %bb.2816:
	s_mov_b32 s10, 0x7f800000
	v_mov_b32_e32 v5, 0x7c
	v_mov_b32_e32 v8, 0x7f
	v_cmp_lt_u32_e32 vcc, s10, v6
	v_cndmask_b32_e32 v5, v5, v8, vcc
; %bb.2817:
	s_or_b64 exec, exec, s[2:3]
	v_lshrrev_b32_e32 v2, 24, v2
	s_movk_i32 s2, 0x80
	v_and_or_b32 v2, v2, s2, v5
	global_store_byte v[0:1], v2, off
.LBB46_2818:
	s_mov_b64 s[2:3], 0
	s_mov_b64 s[10:11], -1
.LBB46_2819:
	s_andn2_b64 vcc, exec, s[2:3]
	s_mov_b64 s[2:3], 0
	s_cbranch_vccnz .LBB46_2826
; %bb.2820:
	s_cmp_gt_i32 s17, 14
	s_mov_b64 s[12:13], -1
	s_cbranch_scc0 .LBB46_2824
; %bb.2821:
	s_cmp_eq_u32 s17, 15
	s_mov_b64 s[0:1], -1
	s_cbranch_scc0 .LBB46_2823
; %bb.2822:
	v_bfe_i32 v2, v4, 0, 8
	v_cvt_f32_i32_sdwa v2, sext(v2) dst_sel:DWORD dst_unused:UNUSED_PAD src0_sel:WORD_0
	s_movk_i32 s2, 0x7fff
	s_mov_b64 s[0:1], 0
	s_mov_b64 s[10:11], -1
	v_bfe_u32 v5, v2, 16, 1
	v_add3_u32 v2, v2, v5, s2
	global_store_short_d16_hi v[0:1], v2, off
.LBB46_2823:
	s_mov_b64 s[12:13], 0
.LBB46_2824:
	s_mov_b64 s[2:3], 0
	s_and_b64 vcc, exec, s[12:13]
	s_cbranch_vccz .LBB46_2826
; %bb.2825:
	s_cmp_lg_u32 s17, 11
	s_mov_b64 s[2:3], -1
	s_cselect_b64 s[0:1], -1, 0
.LBB46_2826:
	s_and_b64 vcc, exec, s[0:1]
	s_cbranch_vccnz .LBB46_3006
; %bb.2827:
	s_andn2_b64 vcc, exec, s[2:3]
	s_cbranch_vccnz .LBB46_2829
.LBB46_2828:
	v_mov_b32_e32 v2, 0
	v_cmp_ne_u16_sdwa s[0:1], v4, v2 src0_sel:BYTE_0 src1_sel:DWORD
	v_cndmask_b32_e64 v2, 0, 1, s[0:1]
	s_mov_b64 s[10:11], -1
	global_store_byte v[0:1], v2, off
.LBB46_2829:
	s_mov_b64 s[0:1], 0
	s_branch .LBB46_2831
.LBB46_2830:
	s_mov_b64 s[0:1], -1
	s_mov_b64 s[10:11], 0
.LBB46_2831:
	s_and_b64 vcc, exec, s[0:1]
	s_cbranch_vccz .LBB46_2870
; %bb.2832:
	s_and_b32 s2, 0xffff, s20
	s_cmp_lt_i32 s2, 5
	s_mov_b64 s[0:1], -1
	s_cbranch_scc1 .LBB46_2853
; %bb.2833:
	s_cmp_lt_i32 s2, 8
	s_cbranch_scc1 .LBB46_2843
; %bb.2834:
	s_cmp_lt_i32 s2, 9
	s_cbranch_scc1 .LBB46_2840
; %bb.2835:
	s_cmp_gt_i32 s2, 9
	s_cbranch_scc0 .LBB46_2837
; %bb.2836:
	v_bfe_i32 v2, v4, 0, 8
	v_bfe_i32 v2, v2, 0, 16
	s_waitcnt vmcnt(0)
	v_cvt_f64_i32_e32 v[11:12], v2
	v_mov_b32_e32 v13, 0
	v_mov_b32_e32 v14, v13
	s_mov_b64 s[0:1], 0
	global_store_dwordx4 v[0:1], v[11:14], off
.LBB46_2837:
	s_andn2_b64 vcc, exec, s[0:1]
	s_cbranch_vccnz .LBB46_2839
; %bb.2838:
	v_bfe_i32 v2, v4, 0, 8
	v_cvt_f32_i32_sdwa v5, sext(v2) dst_sel:DWORD dst_unused:UNUSED_PAD src0_sel:WORD_0
	v_mov_b32_e32 v6, 0
	global_store_dwordx2 v[0:1], v[5:6], off
.LBB46_2839:
	s_mov_b64 s[0:1], 0
.LBB46_2840:
	s_andn2_b64 vcc, exec, s[0:1]
	s_cbranch_vccnz .LBB46_2842
; %bb.2841:
	v_cvt_f16_i16_sdwa v2, sext(v4) dst_sel:DWORD dst_unused:UNUSED_PAD src0_sel:BYTE_0
	global_store_dword v[0:1], v2, off
.LBB46_2842:
	s_mov_b64 s[0:1], 0
.LBB46_2843:
	s_andn2_b64 vcc, exec, s[0:1]
	s_cbranch_vccnz .LBB46_2852
; %bb.2844:
	s_cmp_lt_i32 s2, 6
	s_mov_b64 s[0:1], -1
	s_cbranch_scc1 .LBB46_2850
; %bb.2845:
	s_cmp_gt_i32 s2, 6
	s_cbranch_scc0 .LBB46_2847
; %bb.2846:
	v_bfe_i32 v2, v4, 0, 8
	v_bfe_i32 v2, v2, 0, 16
	v_cvt_f64_i32_e32 v[5:6], v2
	s_mov_b64 s[0:1], 0
	global_store_dwordx2 v[0:1], v[5:6], off
.LBB46_2847:
	s_andn2_b64 vcc, exec, s[0:1]
	s_cbranch_vccnz .LBB46_2849
; %bb.2848:
	v_bfe_i32 v2, v4, 0, 8
	v_cvt_f32_i32_sdwa v2, sext(v2) dst_sel:DWORD dst_unused:UNUSED_PAD src0_sel:WORD_0
	global_store_dword v[0:1], v2, off
.LBB46_2849:
	s_mov_b64 s[0:1], 0
.LBB46_2850:
	s_andn2_b64 vcc, exec, s[0:1]
	s_cbranch_vccnz .LBB46_2852
; %bb.2851:
	v_cvt_f16_i16_sdwa v2, sext(v4) dst_sel:DWORD dst_unused:UNUSED_PAD src0_sel:BYTE_0
	global_store_short v[0:1], v2, off
.LBB46_2852:
	s_mov_b64 s[0:1], 0
.LBB46_2853:
	s_andn2_b64 vcc, exec, s[0:1]
	s_cbranch_vccnz .LBB46_2869
; %bb.2854:
	s_cmp_lt_i32 s2, 2
	s_mov_b64 s[0:1], -1
	s_cbranch_scc1 .LBB46_2864
; %bb.2855:
	s_cmp_lt_i32 s2, 3
	s_cbranch_scc1 .LBB46_2861
; %bb.2856:
	s_cmp_gt_i32 s2, 3
	s_cbranch_scc0 .LBB46_2858
; %bb.2857:
	v_bfe_i32 v5, v4, 0, 8
	v_ashrrev_i32_e32 v6, 31, v5
	global_store_dwordx2 v[0:1], v[5:6], off
	s_mov_b64 s[0:1], 0
.LBB46_2858:
	s_andn2_b64 vcc, exec, s[0:1]
	s_cbranch_vccnz .LBB46_2860
; %bb.2859:
	v_bfe_i32 v2, v4, 0, 8
	global_store_dword v[0:1], v2, off
.LBB46_2860:
	s_mov_b64 s[0:1], 0
.LBB46_2861:
	s_andn2_b64 vcc, exec, s[0:1]
	s_cbranch_vccnz .LBB46_2863
; %bb.2862:
	v_bfe_i32 v2, v4, 0, 8
	global_store_short v[0:1], v2, off
.LBB46_2863:
	s_mov_b64 s[0:1], 0
.LBB46_2864:
	s_andn2_b64 vcc, exec, s[0:1]
	s_cbranch_vccnz .LBB46_2869
; %bb.2865:
	s_cmp_gt_i32 s2, 0
	s_mov_b64 s[0:1], -1
	s_cbranch_scc0 .LBB46_2867
; %bb.2866:
	global_store_byte v[0:1], v4, off
	s_mov_b64 s[0:1], 0
.LBB46_2867:
	s_andn2_b64 vcc, exec, s[0:1]
	s_cbranch_vccnz .LBB46_2869
; %bb.2868:
	global_store_byte v[0:1], v4, off
.LBB46_2869:
	s_mov_b64 s[10:11], -1
.LBB46_2870:
	s_andn2_b64 vcc, exec, s[10:11]
	s_cbranch_vccnz .LBB46_2947
; %bb.2871:
	v_mov_b32_e32 v1, 8
	s_waitcnt vmcnt(0)
	v_lshlrev_b32_e32 v0, v10, v7
	v_cmp_lt_u16_sdwa vcc, v10, v1 src0_sel:BYTE_0 src1_sel:DWORD
	v_cndmask_b32_e32 v2, 0, v0, vcc
	v_add_u32_e32 v0, s16, v3
	v_ashrrev_i32_e32 v1, 31, v0
	v_mov_b32_e32 v3, s9
	v_add_co_u32_e32 v0, vcc, s8, v0
	s_cmp_lt_i32 s20, 11
	v_addc_co_u32_e32 v1, vcc, v3, v1, vcc
	s_cbranch_scc1 .LBB46_2992
; %bb.2872:
	s_and_b32 s14, 0xffff, s20
	s_mov_b64 s[8:9], -1
	s_mov_b64 s[2:3], 0
	s_cmp_gt_i32 s14, 25
	s_mov_b64 s[0:1], 0
	s_cbranch_scc0 .LBB46_2905
; %bb.2873:
	s_cmp_gt_i32 s14, 28
	s_cbranch_scc0 .LBB46_2889
; %bb.2874:
	s_cmp_gt_i32 s14, 43
	;; [unrolled: 3-line block ×3, first 2 shown]
	s_cbranch_scc0 .LBB46_2879
; %bb.2876:
	s_cmp_eq_u32 s14, 46
	s_mov_b64 s[0:1], -1
	s_cbranch_scc0 .LBB46_2878
; %bb.2877:
	v_bfe_i32 v3, v2, 0, 8
	v_cvt_f32_i32_sdwa v3, sext(v3) dst_sel:DWORD dst_unused:UNUSED_PAD src0_sel:WORD_0
	s_movk_i32 s0, 0x7fff
	v_bfe_u32 v4, v3, 16, 1
	v_add3_u32 v3, v3, v4, s0
	v_lshrrev_b32_e32 v3, 16, v3
	global_store_dword v[0:1], v3, off
	s_mov_b64 s[0:1], 0
.LBB46_2878:
	s_mov_b64 s[8:9], 0
.LBB46_2879:
	s_and_b64 vcc, exec, s[8:9]
	s_cbranch_vccz .LBB46_2884
; %bb.2880:
	s_cmp_eq_u32 s14, 44
	s_mov_b64 s[0:1], -1
	s_cbranch_scc0 .LBB46_2884
; %bb.2881:
	v_bfe_i32 v3, v2, 0, 8
	v_cvt_f32_i32_sdwa v3, sext(v3) dst_sel:DWORD dst_unused:UNUSED_PAD src0_sel:WORD_0
	s_movk_i32 s0, 0xff
	v_mov_b32_e32 v5, 0xff
	v_bfe_u32 v4, v3, 23, 8
	v_cmp_ne_u32_e32 vcc, s0, v4
	s_and_saveexec_b64 s[8:9], vcc
; %bb.2882:
	s_mov_b32 s0, 0x3fffff
	v_lshrrev_b32_e32 v5, 23, v3
	v_and_b32_e32 v6, 0x400000, v3
	v_and_or_b32 v3, v3, s0, v4
	v_cmp_ne_u32_e32 vcc, 0, v6
	v_cmp_ne_u32_e64 s[0:1], 0, v3
	s_and_b64 s[0:1], vcc, s[0:1]
	v_cndmask_b32_e64 v3, 0, 1, s[0:1]
	v_add_u32_e32 v5, v5, v3
; %bb.2883:
	s_or_b64 exec, exec, s[8:9]
	s_mov_b64 s[0:1], 0
	global_store_byte v[0:1], v5, off
.LBB46_2884:
	s_mov_b64 s[8:9], 0
.LBB46_2885:
	s_and_b64 vcc, exec, s[8:9]
	s_cbranch_vccz .LBB46_2888
; %bb.2886:
	s_cmp_eq_u32 s14, 29
	s_mov_b64 s[0:1], -1
	s_cbranch_scc0 .LBB46_2888
; %bb.2887:
	v_bfe_i32 v3, v2, 0, 8
	v_ashrrev_i32_e32 v4, 31, v3
	global_store_dwordx2 v[0:1], v[3:4], off
	s_mov_b64 s[0:1], 0
.LBB46_2888:
	s_mov_b64 s[8:9], 0
.LBB46_2889:
	s_and_b64 vcc, exec, s[8:9]
	s_cbranch_vccz .LBB46_2904
; %bb.2890:
	s_cmp_lt_i32 s14, 27
	s_mov_b64 s[8:9], -1
	s_cbranch_scc1 .LBB46_2896
; %bb.2891:
	s_cmp_gt_i32 s14, 27
	s_cbranch_scc0 .LBB46_2893
; %bb.2892:
	v_bfe_i32 v3, v2, 0, 8
	global_store_dword v[0:1], v3, off
	s_mov_b64 s[8:9], 0
.LBB46_2893:
	s_andn2_b64 vcc, exec, s[8:9]
	s_cbranch_vccnz .LBB46_2895
; %bb.2894:
	v_bfe_i32 v3, v2, 0, 8
	global_store_short v[0:1], v3, off
.LBB46_2895:
	s_mov_b64 s[8:9], 0
.LBB46_2896:
	s_andn2_b64 vcc, exec, s[8:9]
	s_cbranch_vccnz .LBB46_2904
; %bb.2897:
	v_bfe_i32 v3, v2, 0, 8
	v_cvt_f32_i32_sdwa v3, sext(v3) dst_sel:DWORD dst_unused:UNUSED_PAD src0_sel:WORD_0
	s_mov_b32 s8, 0x43800000
	v_mov_b32_e32 v5, 0x80
	v_and_b32_e32 v4, 0x7fffffff, v3
	v_cmp_gt_u32_e32 vcc, s8, v4
	s_and_saveexec_b64 s[8:9], vcc
	s_cbranch_execz .LBB46_2903
; %bb.2898:
	s_mov_b32 s10, 0x3bffffff
	v_cmp_lt_u32_e32 vcc, s10, v4
	s_mov_b64 s[10:11], 0
                                        ; implicit-def: $vgpr4
	s_and_saveexec_b64 s[12:13], vcc
	s_xor_b64 s[12:13], exec, s[12:13]
	s_cbranch_execz .LBB46_3009
; %bb.2899:
	v_bfe_u32 v4, v3, 20, 1
	s_mov_b32 s15, 0x487ffff
	v_add3_u32 v4, v3, v4, s15
	s_mov_b64 s[10:11], exec
	v_lshrrev_b32_e32 v4, 20, v4
	s_andn2_saveexec_b64 s[12:13], s[12:13]
	s_cbranch_execnz .LBB46_3010
.LBB46_2900:
	s_or_b64 exec, exec, s[12:13]
	v_mov_b32_e32 v5, 0
	s_and_saveexec_b64 s[12:13], s[10:11]
.LBB46_2901:
	v_lshrrev_b32_e32 v3, 24, v3
	s_movk_i32 s10, 0x80
	v_and_or_b32 v5, v3, s10, v4
.LBB46_2902:
	s_or_b64 exec, exec, s[12:13]
.LBB46_2903:
	s_or_b64 exec, exec, s[8:9]
	global_store_byte v[0:1], v5, off
.LBB46_2904:
	s_mov_b64 s[8:9], 0
.LBB46_2905:
	s_and_b64 vcc, exec, s[8:9]
	s_cbranch_vccz .LBB46_2945
; %bb.2906:
	s_cmp_gt_i32 s14, 22
	s_mov_b64 s[2:3], -1
	s_cbranch_scc0 .LBB46_2938
; %bb.2907:
	s_cmp_lt_i32 s14, 24
	s_cbranch_scc1 .LBB46_2927
; %bb.2908:
	s_cmp_gt_i32 s14, 24
	s_cbranch_scc0 .LBB46_2916
; %bb.2909:
	v_bfe_i32 v3, v2, 0, 8
	v_cvt_f32_i32_sdwa v3, sext(v3) dst_sel:DWORD dst_unused:UNUSED_PAD src0_sel:WORD_0
	s_mov_b32 s2, 0x47800000
	v_mov_b32_e32 v5, 0x80
	v_and_b32_e32 v4, 0x7fffffff, v3
	v_cmp_gt_u32_e32 vcc, s2, v4
	s_and_saveexec_b64 s[2:3], vcc
	s_cbranch_execz .LBB46_2915
; %bb.2910:
	s_mov_b32 s8, 0x37ffffff
	v_cmp_lt_u32_e32 vcc, s8, v4
	s_mov_b64 s[8:9], 0
                                        ; implicit-def: $vgpr4
	s_and_saveexec_b64 s[10:11], vcc
	s_xor_b64 s[10:11], exec, s[10:11]
	s_cbranch_execz .LBB46_3012
; %bb.2911:
	v_bfe_u32 v4, v3, 21, 1
	s_mov_b32 s12, 0x88fffff
	v_add3_u32 v4, v3, v4, s12
	s_mov_b64 s[8:9], exec
	v_lshrrev_b32_e32 v4, 21, v4
	s_andn2_saveexec_b64 s[10:11], s[10:11]
	s_cbranch_execnz .LBB46_3013
.LBB46_2912:
	s_or_b64 exec, exec, s[10:11]
	v_mov_b32_e32 v5, 0
	s_and_saveexec_b64 s[10:11], s[8:9]
.LBB46_2913:
	v_lshrrev_b32_e32 v3, 24, v3
	s_movk_i32 s8, 0x80
	v_and_or_b32 v5, v3, s8, v4
.LBB46_2914:
	s_or_b64 exec, exec, s[10:11]
.LBB46_2915:
	s_or_b64 exec, exec, s[2:3]
	s_mov_b64 s[2:3], 0
	global_store_byte v[0:1], v5, off
.LBB46_2916:
	s_and_b64 vcc, exec, s[2:3]
	s_cbranch_vccz .LBB46_2926
; %bb.2917:
	v_bfe_i32 v3, v2, 0, 8
	v_cvt_f32_i32_sdwa v3, sext(v3) dst_sel:DWORD dst_unused:UNUSED_PAD src0_sel:WORD_0
	s_mov_b32 s2, 0x43f00000
                                        ; implicit-def: $vgpr4
	v_and_b32_e32 v5, 0x7fffffff, v3
	v_cmp_gt_u32_e32 vcc, s2, v5
	s_and_saveexec_b64 s[2:3], vcc
	s_xor_b64 s[2:3], exec, s[2:3]
	s_cbranch_execz .LBB46_2923
; %bb.2918:
	s_mov_b32 s8, 0x3c7fffff
	v_cmp_lt_u32_e32 vcc, s8, v5
                                        ; implicit-def: $vgpr4
	s_and_saveexec_b64 s[8:9], vcc
	s_xor_b64 s[8:9], exec, s[8:9]
; %bb.2919:
	v_bfe_u32 v4, v3, 20, 1
	s_mov_b32 s10, 0x407ffff
	v_add3_u32 v4, v3, v4, s10
	v_lshrrev_b32_e32 v5, 20, v4
	v_and_b32_e32 v4, 0xff00000, v4
	s_mov_b32 s10, 0x7f00000
	v_mov_b32_e32 v6, 0x7e
	v_cmp_ne_u32_e32 vcc, s10, v4
	v_cndmask_b32_e32 v4, v6, v5, vcc
; %bb.2920:
	s_andn2_saveexec_b64 s[8:9], s[8:9]
; %bb.2921:
	s_mov_b32 s10, 0x46800000
	v_add_f32_e64 v4, |v3|, s10
; %bb.2922:
	s_or_b64 exec, exec, s[8:9]
                                        ; implicit-def: $vgpr5
.LBB46_2923:
	s_andn2_saveexec_b64 s[2:3], s[2:3]
; %bb.2924:
	s_mov_b32 s8, 0x7f800000
	v_mov_b32_e32 v4, 0x7e
	v_mov_b32_e32 v6, 0x7f
	v_cmp_lt_u32_e32 vcc, s8, v5
	v_cndmask_b32_e32 v4, v4, v6, vcc
; %bb.2925:
	s_or_b64 exec, exec, s[2:3]
	v_lshrrev_b32_e32 v3, 24, v3
	s_movk_i32 s2, 0x80
	v_and_or_b32 v3, v3, s2, v4
	global_store_byte v[0:1], v3, off
.LBB46_2926:
	s_mov_b64 s[2:3], 0
.LBB46_2927:
	s_andn2_b64 vcc, exec, s[2:3]
	s_cbranch_vccnz .LBB46_2937
; %bb.2928:
	v_bfe_i32 v3, v2, 0, 8
	v_cvt_f32_i32_sdwa v3, sext(v3) dst_sel:DWORD dst_unused:UNUSED_PAD src0_sel:WORD_0
	s_mov_b32 s2, 0x47800000
                                        ; implicit-def: $vgpr4
	v_and_b32_e32 v5, 0x7fffffff, v3
	v_cmp_gt_u32_e32 vcc, s2, v5
	s_and_saveexec_b64 s[2:3], vcc
	s_xor_b64 s[2:3], exec, s[2:3]
	s_cbranch_execz .LBB46_2934
; %bb.2929:
	s_mov_b32 s8, 0x387fffff
	v_cmp_lt_u32_e32 vcc, s8, v5
                                        ; implicit-def: $vgpr4
	s_and_saveexec_b64 s[8:9], vcc
	s_xor_b64 s[8:9], exec, s[8:9]
; %bb.2930:
	v_bfe_u32 v4, v3, 21, 1
	s_mov_b32 s10, 0x80fffff
	v_add3_u32 v4, v3, v4, s10
	v_lshrrev_b32_e32 v4, 21, v4
; %bb.2931:
	s_andn2_saveexec_b64 s[8:9], s[8:9]
; %bb.2932:
	s_mov_b32 s10, 0x43000000
	v_add_f32_e64 v4, |v3|, s10
; %bb.2933:
	s_or_b64 exec, exec, s[8:9]
                                        ; implicit-def: $vgpr5
.LBB46_2934:
	s_andn2_saveexec_b64 s[2:3], s[2:3]
; %bb.2935:
	s_mov_b32 s8, 0x7f800000
	v_mov_b32_e32 v4, 0x7c
	v_mov_b32_e32 v6, 0x7f
	v_cmp_lt_u32_e32 vcc, s8, v5
	v_cndmask_b32_e32 v4, v4, v6, vcc
; %bb.2936:
	s_or_b64 exec, exec, s[2:3]
	v_lshrrev_b32_e32 v3, 24, v3
	s_movk_i32 s2, 0x80
	v_and_or_b32 v3, v3, s2, v4
	global_store_byte v[0:1], v3, off
.LBB46_2937:
	s_mov_b64 s[2:3], 0
.LBB46_2938:
	s_andn2_b64 vcc, exec, s[2:3]
	s_mov_b64 s[2:3], 0
	s_cbranch_vccnz .LBB46_2945
; %bb.2939:
	s_cmp_gt_i32 s14, 14
	s_mov_b64 s[8:9], -1
	s_cbranch_scc0 .LBB46_2943
; %bb.2940:
	s_cmp_eq_u32 s14, 15
	s_mov_b64 s[0:1], -1
	s_cbranch_scc0 .LBB46_2942
; %bb.2941:
	v_bfe_i32 v3, v2, 0, 8
	v_cvt_f32_i32_sdwa v3, sext(v3) dst_sel:DWORD dst_unused:UNUSED_PAD src0_sel:WORD_0
	s_movk_i32 s0, 0x7fff
	v_bfe_u32 v4, v3, 16, 1
	v_add3_u32 v3, v3, v4, s0
	global_store_short_d16_hi v[0:1], v3, off
	s_mov_b64 s[0:1], 0
.LBB46_2942:
	s_mov_b64 s[8:9], 0
.LBB46_2943:
	s_and_b64 vcc, exec, s[8:9]
	s_cbranch_vccz .LBB46_2945
; %bb.2944:
	s_cmp_lg_u32 s14, 11
	s_mov_b64 s[2:3], -1
	s_cselect_b64 s[0:1], -1, 0
.LBB46_2945:
	s_and_b64 vcc, exec, s[0:1]
	s_cbranch_vccnz .LBB46_3011
.LBB46_2946:
	s_mov_b64 s[0:1], 0
	s_branch .LBB46_2948
.LBB46_2947:
	s_mov_b64 s[0:1], 0
	s_mov_b64 s[2:3], 0
                                        ; implicit-def: $sgpr20
                                        ; implicit-def: $vgpr0_vgpr1
                                        ; implicit-def: $vgpr2
.LBB46_2948:
	s_and_b64 s[16:17], s[2:3], exec
	s_andn2_b64 s[2:3], s[6:7], exec
	s_and_b64 s[6:7], s[18:19], exec
	s_and_b64 s[0:1], s[0:1], exec
	s_or_b64 s[6:7], s[2:3], s[6:7]
.LBB46_2949:
	s_or_b64 exec, exec, s[4:5]
	s_and_saveexec_b64 s[2:3], s[6:7]
	s_cbranch_execz .LBB46_2952
; %bb.2950:
	; divergent unreachable
	s_or_b64 exec, exec, s[2:3]
	s_and_saveexec_b64 s[2:3], s[16:17]
	s_xor_b64 s[2:3], exec, s[2:3]
	s_cbranch_execnz .LBB46_2953
.LBB46_2951:
	s_or_b64 exec, exec, s[2:3]
	s_and_saveexec_b64 s[2:3], s[0:1]
	s_cbranch_execnz .LBB46_2954
	s_branch .LBB46_2991
.LBB46_2952:
	s_or_b64 exec, exec, s[2:3]
	s_and_saveexec_b64 s[2:3], s[16:17]
	s_xor_b64 s[2:3], exec, s[2:3]
	s_cbranch_execz .LBB46_2951
.LBB46_2953:
	s_waitcnt vmcnt(0)
	v_mov_b32_e32 v3, 0
	v_cmp_ne_u16_sdwa s[4:5], v2, v3 src0_sel:BYTE_0 src1_sel:DWORD
	v_cndmask_b32_e64 v3, 0, 1, s[4:5]
	global_store_byte v[0:1], v3, off
	s_or_b64 exec, exec, s[2:3]
	s_and_saveexec_b64 s[2:3], s[0:1]
	s_cbranch_execz .LBB46_2991
.LBB46_2954:
	s_sext_i32_i16 s2, s20
	s_cmp_lt_i32 s2, 5
	s_mov_b64 s[0:1], -1
	s_cbranch_scc1 .LBB46_2975
; %bb.2955:
	s_cmp_lt_i32 s2, 8
	s_cbranch_scc1 .LBB46_2965
; %bb.2956:
	s_cmp_lt_i32 s2, 9
	s_cbranch_scc1 .LBB46_2962
; %bb.2957:
	s_cmp_gt_i32 s2, 9
	s_cbranch_scc0 .LBB46_2959
; %bb.2958:
	s_waitcnt vmcnt(0)
	v_bfe_i32 v3, v2, 0, 8
	v_bfe_i32 v3, v3, 0, 16
	v_cvt_f64_i32_e32 v[3:4], v3
	v_mov_b32_e32 v5, 0
	v_mov_b32_e32 v6, v5
	s_mov_b64 s[0:1], 0
	global_store_dwordx4 v[0:1], v[3:6], off
.LBB46_2959:
	s_andn2_b64 vcc, exec, s[0:1]
	s_cbranch_vccnz .LBB46_2961
; %bb.2960:
	s_waitcnt vmcnt(0)
	v_bfe_i32 v3, v2, 0, 8
	v_cvt_f32_i32_sdwa v3, sext(v3) dst_sel:DWORD dst_unused:UNUSED_PAD src0_sel:WORD_0
	v_mov_b32_e32 v4, 0
	global_store_dwordx2 v[0:1], v[3:4], off
.LBB46_2961:
	s_mov_b64 s[0:1], 0
.LBB46_2962:
	s_andn2_b64 vcc, exec, s[0:1]
	s_cbranch_vccnz .LBB46_2964
; %bb.2963:
	s_waitcnt vmcnt(0)
	v_cvt_f16_i16_sdwa v3, sext(v2) dst_sel:DWORD dst_unused:UNUSED_PAD src0_sel:BYTE_0
	global_store_dword v[0:1], v3, off
.LBB46_2964:
	s_mov_b64 s[0:1], 0
.LBB46_2965:
	s_andn2_b64 vcc, exec, s[0:1]
	s_cbranch_vccnz .LBB46_2974
; %bb.2966:
	s_sext_i32_i16 s2, s20
	s_cmp_lt_i32 s2, 6
	s_mov_b64 s[0:1], -1
	s_cbranch_scc1 .LBB46_2972
; %bb.2967:
	s_cmp_gt_i32 s2, 6
	s_cbranch_scc0 .LBB46_2969
; %bb.2968:
	s_waitcnt vmcnt(0)
	v_bfe_i32 v3, v2, 0, 8
	v_bfe_i32 v3, v3, 0, 16
	v_cvt_f64_i32_e32 v[3:4], v3
	s_mov_b64 s[0:1], 0
	global_store_dwordx2 v[0:1], v[3:4], off
.LBB46_2969:
	s_andn2_b64 vcc, exec, s[0:1]
	s_cbranch_vccnz .LBB46_2971
; %bb.2970:
	s_waitcnt vmcnt(0)
	v_bfe_i32 v3, v2, 0, 8
	v_cvt_f32_i32_sdwa v3, sext(v3) dst_sel:DWORD dst_unused:UNUSED_PAD src0_sel:WORD_0
	global_store_dword v[0:1], v3, off
.LBB46_2971:
	s_mov_b64 s[0:1], 0
.LBB46_2972:
	s_andn2_b64 vcc, exec, s[0:1]
	s_cbranch_vccnz .LBB46_2974
; %bb.2973:
	s_waitcnt vmcnt(0)
	v_cvt_f16_i16_sdwa v3, sext(v2) dst_sel:DWORD dst_unused:UNUSED_PAD src0_sel:BYTE_0
	global_store_short v[0:1], v3, off
.LBB46_2974:
	s_mov_b64 s[0:1], 0
.LBB46_2975:
	s_andn2_b64 vcc, exec, s[0:1]
	s_cbranch_vccnz .LBB46_2991
; %bb.2976:
	s_sext_i32_i16 s2, s20
	s_cmp_lt_i32 s2, 2
	s_mov_b64 s[0:1], -1
	s_cbranch_scc1 .LBB46_2986
; %bb.2977:
	s_cmp_lt_i32 s2, 3
	s_cbranch_scc1 .LBB46_2983
; %bb.2978:
	s_cmp_gt_i32 s2, 3
	s_cbranch_scc0 .LBB46_2980
; %bb.2979:
	s_waitcnt vmcnt(0)
	v_bfe_i32 v3, v2, 0, 8
	v_ashrrev_i32_e32 v4, 31, v3
	global_store_dwordx2 v[0:1], v[3:4], off
	s_mov_b64 s[0:1], 0
.LBB46_2980:
	s_andn2_b64 vcc, exec, s[0:1]
	s_cbranch_vccnz .LBB46_2982
; %bb.2981:
	s_waitcnt vmcnt(0)
	v_bfe_i32 v3, v2, 0, 8
	global_store_dword v[0:1], v3, off
.LBB46_2982:
	s_mov_b64 s[0:1], 0
.LBB46_2983:
	s_andn2_b64 vcc, exec, s[0:1]
	s_cbranch_vccnz .LBB46_2985
; %bb.2984:
	s_waitcnt vmcnt(0)
	v_bfe_i32 v3, v2, 0, 8
	global_store_short v[0:1], v3, off
.LBB46_2985:
	s_mov_b64 s[0:1], 0
.LBB46_2986:
	s_andn2_b64 vcc, exec, s[0:1]
	s_cbranch_vccnz .LBB46_2991
; %bb.2987:
	s_sext_i32_i16 s0, s20
	s_cmp_gt_i32 s0, 0
	s_mov_b64 s[0:1], -1
	s_cbranch_scc0 .LBB46_2989
; %bb.2988:
	s_waitcnt vmcnt(0)
	global_store_byte v[0:1], v2, off
	s_mov_b64 s[0:1], 0
.LBB46_2989:
	s_andn2_b64 vcc, exec, s[0:1]
	s_cbranch_vccnz .LBB46_2991
; %bb.2990:
	s_waitcnt vmcnt(0)
	global_store_byte v[0:1], v2, off
	s_endpgm
.LBB46_2991:
	s_endpgm
.LBB46_2992:
	s_mov_b64 s[2:3], 0
	s_mov_b64 s[0:1], -1
	s_branch .LBB46_2948
.LBB46_2993:
	s_trap 2
	s_or_b64 s[18:19], s[18:19], exec
	s_cbranch_execz .LBB46_2462
	s_branch .LBB46_2463
.LBB46_2994:
	s_andn2_saveexec_b64 s[16:17], s[16:17]
	s_cbranch_execz .LBB46_2542
.LBB46_2995:
	s_mov_b32 s21, 0x46000000
	v_add_f32_e64 v11, |v8|, s21
	v_and_b32_e32 v11, 0xff, v11
	v_cmp_ne_u32_e32 vcc, 0, v11
	s_andn2_b64 s[14:15], s[14:15], exec
	s_and_b64 s[22:23], vcc, exec
	s_or_b64 s[14:15], s[14:15], s[22:23]
	s_or_b64 exec, exec, s[16:17]
	v_mov_b32_e32 v12, 0
	s_and_saveexec_b64 s[16:17], s[14:15]
	s_cbranch_execnz .LBB46_2543
	s_branch .LBB46_2544
.LBB46_2996:
	s_trap 2
	s_or_b64 s[18:19], s[18:19], exec
	s_cbranch_execz .LBB46_2590
	s_branch .LBB46_2591
.LBB46_2997:
	s_andn2_saveexec_b64 s[14:15], s[14:15]
	s_cbranch_execz .LBB46_2555
.LBB46_2998:
	s_mov_b32 s16, 0x42800000
	v_add_f32_e64 v11, |v8|, s16
	v_and_b32_e32 v11, 0xff, v11
	v_cmp_ne_u32_e32 vcc, 0, v11
	s_andn2_b64 s[10:11], s[10:11], exec
	s_and_b64 s[16:17], vcc, exec
	s_or_b64 s[10:11], s[10:11], s[16:17]
	s_or_b64 exec, exec, s[14:15]
	v_mov_b32_e32 v12, 0
	s_and_saveexec_b64 s[14:15], s[10:11]
	s_cbranch_execnz .LBB46_2556
	s_branch .LBB46_2557
.LBB46_2999:
	s_andn2_saveexec_b64 s[14:15], s[14:15]
	s_cbranch_execz .LBB46_2661
.LBB46_3000:
	s_mov_b32 s21, 0x46000000
	v_add_f32_e64 v6, |v5|, s21
	v_and_b32_e32 v6, 0xff, v6
	v_cmp_ne_u32_e32 vcc, 0, v6
	s_andn2_b64 s[12:13], s[12:13], exec
	s_and_b64 s[22:23], vcc, exec
	s_or_b64 s[12:13], s[12:13], s[22:23]
	s_or_b64 exec, exec, s[14:15]
	v_mov_b32_e32 v8, 0
	s_and_saveexec_b64 s[14:15], s[12:13]
	s_cbranch_execnz .LBB46_2662
	s_branch .LBB46_2663
.LBB46_3001:
	s_trap 2
	s_or_b64 s[18:19], s[18:19], exec
	s_cbranch_execz .LBB46_2709
	s_branch .LBB46_2710
.LBB46_3002:
	s_andn2_saveexec_b64 s[12:13], s[12:13]
	s_cbranch_execz .LBB46_2674
.LBB46_3003:
	s_mov_b32 s14, 0x42800000
	v_add_f32_e64 v6, |v5|, s14
	v_and_b32_e32 v6, 0xff, v6
	v_cmp_ne_u32_e32 vcc, 0, v6
	s_andn2_b64 s[10:11], s[10:11], exec
	s_and_b64 s[14:15], vcc, exec
	s_or_b64 s[10:11], s[10:11], s[14:15]
	s_or_b64 exec, exec, s[12:13]
	v_mov_b32_e32 v8, 0
	s_and_saveexec_b64 s[12:13], s[10:11]
	s_cbranch_execnz .LBB46_2675
	s_branch .LBB46_2676
.LBB46_3004:
	s_andn2_saveexec_b64 s[14:15], s[14:15]
	s_cbranch_execz .LBB46_2780
.LBB46_3005:
	s_mov_b32 s21, 0x46000000
	v_add_f32_e64 v5, |v2|, s21
	v_and_b32_e32 v5, 0xff, v5
	v_cmp_ne_u32_e32 vcc, 0, v5
	s_andn2_b64 s[12:13], s[12:13], exec
	s_and_b64 s[22:23], vcc, exec
	s_or_b64 s[12:13], s[12:13], s[22:23]
	s_or_b64 exec, exec, s[14:15]
	v_mov_b32_e32 v6, 0
	s_and_saveexec_b64 s[14:15], s[12:13]
	s_cbranch_execnz .LBB46_2781
	s_branch .LBB46_2782
.LBB46_3006:
	s_trap 2
	s_or_b64 s[18:19], s[18:19], exec
	s_cbranch_execz .LBB46_2828
	s_branch .LBB46_2829
.LBB46_3007:
	s_andn2_saveexec_b64 s[12:13], s[12:13]
	s_cbranch_execz .LBB46_2793
.LBB46_3008:
	s_mov_b32 s14, 0x42800000
	v_add_f32_e64 v5, |v2|, s14
	v_and_b32_e32 v5, 0xff, v5
	v_cmp_ne_u32_e32 vcc, 0, v5
	s_andn2_b64 s[10:11], s[10:11], exec
	s_and_b64 s[14:15], vcc, exec
	s_or_b64 s[10:11], s[10:11], s[14:15]
	s_or_b64 exec, exec, s[12:13]
	v_mov_b32_e32 v6, 0
	s_and_saveexec_b64 s[12:13], s[10:11]
	s_cbranch_execnz .LBB46_2794
	s_branch .LBB46_2795
.LBB46_3009:
	s_andn2_saveexec_b64 s[12:13], s[12:13]
	s_cbranch_execz .LBB46_2900
.LBB46_3010:
	s_mov_b32 s15, 0x46000000
	v_add_f32_e64 v4, |v3|, s15
	v_and_b32_e32 v4, 0xff, v4
	v_cmp_ne_u32_e32 vcc, 0, v4
	s_andn2_b64 s[10:11], s[10:11], exec
	s_and_b64 s[16:17], vcc, exec
	s_or_b64 s[10:11], s[10:11], s[16:17]
	s_or_b64 exec, exec, s[12:13]
	v_mov_b32_e32 v5, 0
	s_and_saveexec_b64 s[12:13], s[10:11]
	s_cbranch_execnz .LBB46_2901
	s_branch .LBB46_2902
.LBB46_3011:
	s_mov_b64 s[2:3], 0
	s_or_b64 s[18:19], s[18:19], exec
	s_trap 2
	s_branch .LBB46_2946
.LBB46_3012:
	s_andn2_saveexec_b64 s[10:11], s[10:11]
	s_cbranch_execz .LBB46_2912
.LBB46_3013:
	s_mov_b32 s12, 0x42800000
	v_add_f32_e64 v4, |v3|, s12
	v_and_b32_e32 v4, 0xff, v4
	v_cmp_ne_u32_e32 vcc, 0, v4
	s_andn2_b64 s[8:9], s[8:9], exec
	s_and_b64 s[12:13], vcc, exec
	s_or_b64 s[8:9], s[8:9], s[12:13]
	s_or_b64 exec, exec, s[10:11]
	v_mov_b32_e32 v5, 0
	s_and_saveexec_b64 s[10:11], s[8:9]
	s_cbranch_execnz .LBB46_2913
	s_branch .LBB46_2914
	.section	.rodata,"a",@progbits
	.p2align	6, 0x0
	.amdhsa_kernel _ZN2at6native32elementwise_kernel_manual_unrollILi128ELi4EZNS0_15gpu_kernel_implINS0_13BinaryFunctorIaaaZZZNS0_18lshift_kernel_cudaERNS_18TensorIteratorBaseEENKUlvE_clEvENKUlvE0_clEvEUlaaE_EEEEvS5_RKT_EUlibE_EEviT1_
		.amdhsa_group_segment_fixed_size 0
		.amdhsa_private_segment_fixed_size 0
		.amdhsa_kernarg_size 48
		.amdhsa_user_sgpr_count 6
		.amdhsa_user_sgpr_private_segment_buffer 1
		.amdhsa_user_sgpr_dispatch_ptr 0
		.amdhsa_user_sgpr_queue_ptr 0
		.amdhsa_user_sgpr_kernarg_segment_ptr 1
		.amdhsa_user_sgpr_dispatch_id 0
		.amdhsa_user_sgpr_flat_scratch_init 0
		.amdhsa_user_sgpr_private_segment_size 0
		.amdhsa_uses_dynamic_stack 0
		.amdhsa_system_sgpr_private_segment_wavefront_offset 0
		.amdhsa_system_sgpr_workgroup_id_x 1
		.amdhsa_system_sgpr_workgroup_id_y 0
		.amdhsa_system_sgpr_workgroup_id_z 0
		.amdhsa_system_sgpr_workgroup_info 0
		.amdhsa_system_vgpr_workitem_id 0
		.amdhsa_next_free_vgpr 16
		.amdhsa_next_free_sgpr 56
		.amdhsa_reserve_vcc 1
		.amdhsa_reserve_flat_scratch 0
		.amdhsa_float_round_mode_32 0
		.amdhsa_float_round_mode_16_64 0
		.amdhsa_float_denorm_mode_32 3
		.amdhsa_float_denorm_mode_16_64 3
		.amdhsa_dx10_clamp 1
		.amdhsa_ieee_mode 1
		.amdhsa_fp16_overflow 0
		.amdhsa_exception_fp_ieee_invalid_op 0
		.amdhsa_exception_fp_denorm_src 0
		.amdhsa_exception_fp_ieee_div_zero 0
		.amdhsa_exception_fp_ieee_overflow 0
		.amdhsa_exception_fp_ieee_underflow 0
		.amdhsa_exception_fp_ieee_inexact 0
		.amdhsa_exception_int_div_zero 0
	.end_amdhsa_kernel
	.section	.text._ZN2at6native32elementwise_kernel_manual_unrollILi128ELi4EZNS0_15gpu_kernel_implINS0_13BinaryFunctorIaaaZZZNS0_18lshift_kernel_cudaERNS_18TensorIteratorBaseEENKUlvE_clEvENKUlvE0_clEvEUlaaE_EEEEvS5_RKT_EUlibE_EEviT1_,"axG",@progbits,_ZN2at6native32elementwise_kernel_manual_unrollILi128ELi4EZNS0_15gpu_kernel_implINS0_13BinaryFunctorIaaaZZZNS0_18lshift_kernel_cudaERNS_18TensorIteratorBaseEENKUlvE_clEvENKUlvE0_clEvEUlaaE_EEEEvS5_RKT_EUlibE_EEviT1_,comdat
.Lfunc_end46:
	.size	_ZN2at6native32elementwise_kernel_manual_unrollILi128ELi4EZNS0_15gpu_kernel_implINS0_13BinaryFunctorIaaaZZZNS0_18lshift_kernel_cudaERNS_18TensorIteratorBaseEENKUlvE_clEvENKUlvE0_clEvEUlaaE_EEEEvS5_RKT_EUlibE_EEviT1_, .Lfunc_end46-_ZN2at6native32elementwise_kernel_manual_unrollILi128ELi4EZNS0_15gpu_kernel_implINS0_13BinaryFunctorIaaaZZZNS0_18lshift_kernel_cudaERNS_18TensorIteratorBaseEENKUlvE_clEvENKUlvE0_clEvEUlaaE_EEEEvS5_RKT_EUlibE_EEviT1_
                                        ; -- End function
	.set _ZN2at6native32elementwise_kernel_manual_unrollILi128ELi4EZNS0_15gpu_kernel_implINS0_13BinaryFunctorIaaaZZZNS0_18lshift_kernel_cudaERNS_18TensorIteratorBaseEENKUlvE_clEvENKUlvE0_clEvEUlaaE_EEEEvS5_RKT_EUlibE_EEviT1_.num_vgpr, 16
	.set _ZN2at6native32elementwise_kernel_manual_unrollILi128ELi4EZNS0_15gpu_kernel_implINS0_13BinaryFunctorIaaaZZZNS0_18lshift_kernel_cudaERNS_18TensorIteratorBaseEENKUlvE_clEvENKUlvE0_clEvEUlaaE_EEEEvS5_RKT_EUlibE_EEviT1_.num_agpr, 0
	.set _ZN2at6native32elementwise_kernel_manual_unrollILi128ELi4EZNS0_15gpu_kernel_implINS0_13BinaryFunctorIaaaZZZNS0_18lshift_kernel_cudaERNS_18TensorIteratorBaseEENKUlvE_clEvENKUlvE0_clEvEUlaaE_EEEEvS5_RKT_EUlibE_EEviT1_.numbered_sgpr, 56
	.set _ZN2at6native32elementwise_kernel_manual_unrollILi128ELi4EZNS0_15gpu_kernel_implINS0_13BinaryFunctorIaaaZZZNS0_18lshift_kernel_cudaERNS_18TensorIteratorBaseEENKUlvE_clEvENKUlvE0_clEvEUlaaE_EEEEvS5_RKT_EUlibE_EEviT1_.num_named_barrier, 0
	.set _ZN2at6native32elementwise_kernel_manual_unrollILi128ELi4EZNS0_15gpu_kernel_implINS0_13BinaryFunctorIaaaZZZNS0_18lshift_kernel_cudaERNS_18TensorIteratorBaseEENKUlvE_clEvENKUlvE0_clEvEUlaaE_EEEEvS5_RKT_EUlibE_EEviT1_.private_seg_size, 0
	.set _ZN2at6native32elementwise_kernel_manual_unrollILi128ELi4EZNS0_15gpu_kernel_implINS0_13BinaryFunctorIaaaZZZNS0_18lshift_kernel_cudaERNS_18TensorIteratorBaseEENKUlvE_clEvENKUlvE0_clEvEUlaaE_EEEEvS5_RKT_EUlibE_EEviT1_.uses_vcc, 1
	.set _ZN2at6native32elementwise_kernel_manual_unrollILi128ELi4EZNS0_15gpu_kernel_implINS0_13BinaryFunctorIaaaZZZNS0_18lshift_kernel_cudaERNS_18TensorIteratorBaseEENKUlvE_clEvENKUlvE0_clEvEUlaaE_EEEEvS5_RKT_EUlibE_EEviT1_.uses_flat_scratch, 0
	.set _ZN2at6native32elementwise_kernel_manual_unrollILi128ELi4EZNS0_15gpu_kernel_implINS0_13BinaryFunctorIaaaZZZNS0_18lshift_kernel_cudaERNS_18TensorIteratorBaseEENKUlvE_clEvENKUlvE0_clEvEUlaaE_EEEEvS5_RKT_EUlibE_EEviT1_.has_dyn_sized_stack, 0
	.set _ZN2at6native32elementwise_kernel_manual_unrollILi128ELi4EZNS0_15gpu_kernel_implINS0_13BinaryFunctorIaaaZZZNS0_18lshift_kernel_cudaERNS_18TensorIteratorBaseEENKUlvE_clEvENKUlvE0_clEvEUlaaE_EEEEvS5_RKT_EUlibE_EEviT1_.has_recursion, 0
	.set _ZN2at6native32elementwise_kernel_manual_unrollILi128ELi4EZNS0_15gpu_kernel_implINS0_13BinaryFunctorIaaaZZZNS0_18lshift_kernel_cudaERNS_18TensorIteratorBaseEENKUlvE_clEvENKUlvE0_clEvEUlaaE_EEEEvS5_RKT_EUlibE_EEviT1_.has_indirect_call, 0
	.section	.AMDGPU.csdata,"",@progbits
; Kernel info:
; codeLenInByte = 45384
; TotalNumSgprs: 60
; NumVgprs: 16
; ScratchSize: 0
; MemoryBound: 1
; FloatMode: 240
; IeeeMode: 1
; LDSByteSize: 0 bytes/workgroup (compile time only)
; SGPRBlocks: 7
; VGPRBlocks: 3
; NumSGPRsForWavesPerEU: 60
; NumVGPRsForWavesPerEU: 16
; Occupancy: 10
; WaveLimiterHint : 0
; COMPUTE_PGM_RSRC2:SCRATCH_EN: 0
; COMPUTE_PGM_RSRC2:USER_SGPR: 6
; COMPUTE_PGM_RSRC2:TRAP_HANDLER: 0
; COMPUTE_PGM_RSRC2:TGID_X_EN: 1
; COMPUTE_PGM_RSRC2:TGID_Y_EN: 0
; COMPUTE_PGM_RSRC2:TGID_Z_EN: 0
; COMPUTE_PGM_RSRC2:TIDIG_COMP_CNT: 0
	.section	.text._ZN2at6native32elementwise_kernel_manual_unrollILi128ELi4EZNS0_15gpu_kernel_implINS0_13BinaryFunctorIaaaZZZNS0_18lshift_kernel_cudaERNS_18TensorIteratorBaseEENKUlvE_clEvENKUlvE0_clEvEUlaaE_EEEEvS5_RKT_EUlibE0_EEviT1_,"axG",@progbits,_ZN2at6native32elementwise_kernel_manual_unrollILi128ELi4EZNS0_15gpu_kernel_implINS0_13BinaryFunctorIaaaZZZNS0_18lshift_kernel_cudaERNS_18TensorIteratorBaseEENKUlvE_clEvENKUlvE0_clEvEUlaaE_EEEEvS5_RKT_EUlibE0_EEviT1_,comdat
	.globl	_ZN2at6native32elementwise_kernel_manual_unrollILi128ELi4EZNS0_15gpu_kernel_implINS0_13BinaryFunctorIaaaZZZNS0_18lshift_kernel_cudaERNS_18TensorIteratorBaseEENKUlvE_clEvENKUlvE0_clEvEUlaaE_EEEEvS5_RKT_EUlibE0_EEviT1_ ; -- Begin function _ZN2at6native32elementwise_kernel_manual_unrollILi128ELi4EZNS0_15gpu_kernel_implINS0_13BinaryFunctorIaaaZZZNS0_18lshift_kernel_cudaERNS_18TensorIteratorBaseEENKUlvE_clEvENKUlvE0_clEvEUlaaE_EEEEvS5_RKT_EUlibE0_EEviT1_
	.p2align	8
	.type	_ZN2at6native32elementwise_kernel_manual_unrollILi128ELi4EZNS0_15gpu_kernel_implINS0_13BinaryFunctorIaaaZZZNS0_18lshift_kernel_cudaERNS_18TensorIteratorBaseEENKUlvE_clEvENKUlvE0_clEvEUlaaE_EEEEvS5_RKT_EUlibE0_EEviT1_,@function
_ZN2at6native32elementwise_kernel_manual_unrollILi128ELi4EZNS0_15gpu_kernel_implINS0_13BinaryFunctorIaaaZZZNS0_18lshift_kernel_cudaERNS_18TensorIteratorBaseEENKUlvE_clEvENKUlvE0_clEvEUlaaE_EEEEvS5_RKT_EUlibE0_EEviT1_: ; @_ZN2at6native32elementwise_kernel_manual_unrollILi128ELi4EZNS0_15gpu_kernel_implINS0_13BinaryFunctorIaaaZZZNS0_18lshift_kernel_cudaERNS_18TensorIteratorBaseEENKUlvE_clEvENKUlvE0_clEvEUlaaE_EEEEvS5_RKT_EUlibE0_EEviT1_
; %bb.0:
	s_load_dword s66, s[4:5], 0x0
	s_load_dword s33, s[4:5], 0x8
	s_add_u32 s2, s4, 8
	s_addc_u32 s3, s5, 0
	v_lshl_or_b32 v10, s6, 9, v0
	v_or_b32_e32 v21, 0x180, v10
	s_waitcnt lgkmcnt(0)
	s_add_i32 s68, s33, -1
	s_cmp_gt_u32 s68, 1
	v_cmp_le_i32_e32 vcc, s66, v21
	s_cselect_b64 s[20:21], -1, 0
	s_mov_b64 s[6:7], 0
	s_mov_b64 s[12:13], 0
	s_and_saveexec_b64 s[0:1], vcc
	s_xor_b64 s[22:23], exec, s[0:1]
	s_cbranch_execz .LBB47_1557
; %bb.1:
	v_mov_b32_e32 v0, 0
	global_load_ushort v1, v0, s[2:3] offset:417
	global_load_sbyte v2, v0, s[2:3] offset:419
	s_load_dwordx4 s[16:19], s[2:3], 0x4
	s_load_dwordx2 s[28:29], s[2:3], 0x14
	s_load_dwordx4 s[12:15], s[2:3], 0xc4
	s_load_dwordx2 s[26:27], s[2:3], 0xd4
	s_load_dwordx2 s[24:25], s[2:3], 0x198
	s_load_dwordx4 s[8:11], s[2:3], 0x188
	s_cmp_lg_u32 s33, 0
	s_cselect_b64 s[34:35], -1, 0
	s_min_u32 s72, s68, 15
	s_cmp_gt_u32 s33, 1
	v_cmp_gt_i32_e32 vcc, s66, v10
	s_mov_b64 s[0:1], -1
	s_mov_b64 s[46:47], 0
	s_mov_b64 s[40:41], 0
	;; [unrolled: 1-line block ×3, first 2 shown]
	s_cselect_b64 s[30:31], -1, 0
	s_mov_b64 s[36:37], 0
	s_waitcnt vmcnt(1)
	v_readfirstlane_b32 s69, v1
	s_waitcnt vmcnt(0)
	v_readfirstlane_b32 s70, v2
	s_lshr_b32 s71, s69, 8
	s_and_saveexec_b64 s[42:43], vcc
	s_cbranch_execz .LBB47_386
; %bb.2:
	s_andn2_b64 vcc, exec, s[20:21]
	s_cbranch_vccnz .LBB47_8
; %bb.3:
	s_andn2_b64 vcc, exec, s[34:35]
	s_cbranch_vccnz .LBB47_9
; %bb.4:
	s_add_i32 s0, s72, 1
	s_and_b32 s36, s0, 30
	s_add_u32 s0, s2, 0xffffffe8
	s_addc_u32 s1, s3, -1
	v_mov_b32_e32 v3, 0
	v_mov_b32_e32 v5, 0
	;; [unrolled: 1-line block ×4, first 2 shown]
.LBB47_5:                               ; =>This Inner Loop Header: Depth=1
	s_load_dwordx4 s[48:51], s[0:1], 0x1c
	s_load_dwordx2 s[38:39], s[0:1], 0x2c
	s_load_dwordx2 s[40:41], s[0:1], 0xec
	s_load_dwordx4 s[52:55], s[0:1], 0xdc
	s_add_u32 s0, s0, 24
	s_waitcnt lgkmcnt(0)
	v_mul_hi_u32 v2, s49, v1
	s_addc_u32 s1, s1, 0
	s_add_i32 s36, s36, -2
	s_cmp_lg_u32 s36, 0
	v_add_u32_e32 v2, v1, v2
	v_lshrrev_b32_e32 v2, s50, v2
	v_mul_lo_u32 v4, v2, s48
	v_mul_hi_u32 v6, s38, v2
	v_sub_u32_e32 v4, v1, v4
	v_add_u32_e32 v1, v2, v6
	v_lshrrev_b32_e32 v1, s39, v1
	v_mul_lo_u32 v8, v1, s51
	v_mul_lo_u32 v6, v4, s52
	;; [unrolled: 1-line block ×4, first 2 shown]
	v_sub_u32_e32 v2, v2, v8
	v_mul_lo_u32 v8, v2, s55
	v_mul_lo_u32 v9, v2, s40
	;; [unrolled: 1-line block ×3, first 2 shown]
	v_add3_u32 v0, v6, v0, v8
	v_add3_u32 v5, v7, v5, v9
	;; [unrolled: 1-line block ×3, first 2 shown]
	s_cbranch_scc1 .LBB47_5
; %bb.6:
	s_bitcmp1_b32 s72, 0
	s_cselect_b64 s[36:37], -1, 0
	s_and_b64 vcc, exec, s[36:37]
	s_cbranch_vccnz .LBB47_10
; %bb.7:
	s_load_dwordx2 s[36:37], s[0:1], 0x1c
	s_load_dword s40, s[0:1], 0x24
	s_load_dwordx2 s[38:39], s[0:1], 0xdc
	s_waitcnt lgkmcnt(0)
	v_mul_hi_u32 v2, s37, v1
	v_add_u32_e32 v2, v1, v2
	v_lshrrev_b32_e32 v2, s40, v2
	v_mul_lo_u32 v2, v2, s36
	s_load_dword s36, s[0:1], 0xe4
	v_sub_u32_e32 v2, v1, v2
	v_mad_u64_u32 v[0:1], s[0:1], v2, s38, v[0:1]
	v_mad_u64_u32 v[5:6], s[0:1], v2, s39, v[5:6]
	s_waitcnt lgkmcnt(0)
	v_mad_u64_u32 v[3:4], s[0:1], v2, s36, v[3:4]
	s_cbranch_execz .LBB47_11
	s_branch .LBB47_13
.LBB47_8:
                                        ; implicit-def: $vgpr0
                                        ; implicit-def: $vgpr5
                                        ; implicit-def: $vgpr3
	s_andn2_b64 vcc, exec, s[0:1]
	s_cbranch_vccz .LBB47_11
	s_branch .LBB47_13
.LBB47_9:
	v_mov_b32_e32 v0, 0
	v_mov_b32_e32 v5, 0
	;; [unrolled: 1-line block ×3, first 2 shown]
.LBB47_10:
	s_cbranch_execnz .LBB47_13
.LBB47_11:
	s_waitcnt lgkmcnt(0)
	v_mul_hi_u32 v0, s17, v10
	s_andn2_b64 vcc, exec, s[30:31]
	v_add_u32_e32 v0, v10, v0
	v_lshrrev_b32_e32 v1, s18, v0
	v_mul_lo_u32 v0, v1, s16
	v_sub_u32_e32 v2, v10, v0
	v_mul_lo_u32 v0, v2, s12
	v_mul_lo_u32 v5, v2, s13
	;; [unrolled: 1-line block ×3, first 2 shown]
	s_cbranch_vccnz .LBB47_13
; %bb.12:
	v_mul_hi_u32 v2, s28, v1
	v_add_u32_e32 v2, v1, v2
	v_lshrrev_b32_e32 v2, s29, v2
	v_mul_lo_u32 v2, v2, s19
	v_sub_u32_e32 v2, v1, v2
	v_mad_u64_u32 v[0:1], s[0:1], v2, s15, v[0:1]
	v_mad_u64_u32 v[5:6], s[0:1], v2, s26, v[5:6]
	;; [unrolled: 1-line block ×3, first 2 shown]
.LBB47_13:
	s_waitcnt lgkmcnt(0)
	v_mov_b32_e32 v1, s11
	s_and_b32 s38, s71, 0xff
	v_add_co_u32_e32 v4, vcc, s10, v5
	s_cmp_lt_i32 s38, 11
	v_addc_co_u32_e32 v5, vcc, 0, v1, vcc
	s_cbranch_scc1 .LBB47_20
; %bb.14:
	s_and_b32 s39, 0xffff, s38
	s_cmp_gt_i32 s39, 25
	s_cbranch_scc0 .LBB47_29
; %bb.15:
	s_cmp_gt_i32 s39, 28
	s_cbranch_scc0 .LBB47_39
; %bb.16:
	;; [unrolled: 3-line block ×4, first 2 shown]
	s_cmp_eq_u32 s39, 46
	s_mov_b64 s[36:37], 0
	s_cbranch_scc0 .LBB47_48
; %bb.19:
	global_load_dword v1, v[4:5], off
	s_mov_b64 s[0:1], -1
	s_mov_b64 s[40:41], 0
	s_waitcnt vmcnt(0)
	v_lshlrev_b32_e32 v1, 16, v1
	v_cvt_i32_f32_e32 v1, v1
	s_branch .LBB47_50
.LBB47_20:
	s_mov_b64 s[40:41], 0
                                        ; implicit-def: $vgpr1
	s_mov_b64 s[0:1], 0
	s_cbranch_execnz .LBB47_112
.LBB47_21:
	s_andn2_b64 vcc, exec, s[0:1]
	s_cbranch_vccnz .LBB47_159
.LBB47_22:
	v_mov_b32_e32 v4, s25
	s_and_b32 s44, s70, 0xff
	s_waitcnt vmcnt(0)
	v_add_co_u32_e32 v2, vcc, s24, v3
	s_cmp_lt_i32 s44, 11
	v_addc_co_u32_e32 v3, vcc, 0, v4, vcc
	s_cbranch_scc1 .LBB47_30
; %bb.23:
	s_and_b32 s45, 0xffff, s44
	s_cmp_gt_i32 s45, 25
	s_cbranch_scc0 .LBB47_40
; %bb.24:
	s_cmp_gt_i32 s45, 28
	s_cbranch_scc0 .LBB47_43
; %bb.25:
	;; [unrolled: 3-line block ×4, first 2 shown]
	s_cmp_eq_u32 s45, 46
	s_mov_b64 s[36:37], 0
	s_cbranch_scc0 .LBB47_160
; %bb.28:
	global_load_dword v4, v[2:3], off
	s_mov_b64 s[0:1], -1
	s_mov_b64 s[38:39], 0
	s_waitcnt vmcnt(0)
	v_lshlrev_b32_e32 v4, 16, v4
	v_cvt_i32_f32_e32 v4, v4
	s_branch .LBB47_162
.LBB47_29:
	s_mov_b64 s[40:41], 0
	s_mov_b64 s[0:1], 0
                                        ; implicit-def: $vgpr1
	s_cbranch_execnz .LBB47_79
	s_branch .LBB47_111
.LBB47_30:
	s_mov_b64 s[38:39], 0
                                        ; implicit-def: $vgpr4
	s_mov_b64 s[0:1], 0
	s_cbranch_execnz .LBB47_335
.LBB47_31:
	s_andn2_b64 vcc, exec, s[0:1]
	s_cbranch_vccnz .LBB47_383
.LBB47_32:
	v_mov_b32_e32 v2, 8
	s_waitcnt vmcnt(0)
	v_lshlrev_b32_e32 v1, v4, v1
	v_cmp_lt_u16_sdwa vcc, v4, v2 src0_sel:BYTE_0 src1_sel:DWORD
	v_cndmask_b32_e32 v2, 0, v1, vcc
	v_mov_b32_e32 v1, s9
	s_and_b32 s50, s69, 0xff
	v_add_co_u32_e32 v0, vcc, s8, v0
	s_cmp_lt_i32 s50, 11
	v_addc_co_u32_e32 v1, vcc, 0, v1, vcc
	s_cbranch_scc1 .LBB47_41
; %bb.33:
	s_and_b32 s51, 0xffff, s50
	s_cmp_gt_i32 s51, 25
	s_cbranch_scc0 .LBB47_44
; %bb.34:
	s_cmp_gt_i32 s51, 28
	s_cbranch_scc0 .LBB47_47
; %bb.35:
	;; [unrolled: 3-line block ×4, first 2 shown]
	s_mov_b64 s[44:45], 0
	s_mov_b64 s[0:1], -1
	s_cmp_eq_u32 s51, 46
	s_mov_b64 s[36:37], 0
	s_cbranch_scc0 .LBB47_166
; %bb.38:
	v_bfe_i32 v3, v2, 0, 8
	v_cvt_f32_i32_sdwa v3, sext(v3) dst_sel:DWORD dst_unused:UNUSED_PAD src0_sel:WORD_0
	s_movk_i32 s0, 0x7fff
	s_mov_b64 s[36:37], -1
	v_bfe_u32 v4, v3, 16, 1
	v_add3_u32 v3, v3, v4, s0
	v_lshrrev_b32_e32 v3, 16, v3
	global_store_dword v[0:1], v3, off
	s_mov_b64 s[0:1], 0
	s_branch .LBB47_166
.LBB47_39:
	s_mov_b64 s[36:37], -1
	s_mov_b64 s[40:41], 0
	s_mov_b64 s[0:1], 0
                                        ; implicit-def: $vgpr1
	s_branch .LBB47_62
.LBB47_40:
	s_mov_b64 s[36:37], -1
	s_mov_b64 s[38:39], 0
	s_mov_b64 s[0:1], 0
                                        ; implicit-def: $vgpr4
	s_branch .LBB47_301
.LBB47_41:
	s_mov_b64 s[44:45], -1
	s_mov_b64 s[0:1], 0
	s_mov_b64 s[36:37], 0
	s_branch .LBB47_235
.LBB47_42:
	s_mov_b64 s[36:37], -1
	s_mov_b64 s[40:41], 0
	s_mov_b64 s[0:1], 0
                                        ; implicit-def: $vgpr1
	s_branch .LBB47_57
.LBB47_43:
	s_mov_b64 s[36:37], -1
	s_mov_b64 s[38:39], 0
	s_mov_b64 s[0:1], 0
                                        ; implicit-def: $vgpr4
	s_branch .LBB47_284
.LBB47_44:
	s_mov_b64 s[44:45], -1
	s_mov_b64 s[0:1], 0
	s_mov_b64 s[36:37], 0
	s_branch .LBB47_193
.LBB47_45:
	s_mov_b64 s[36:37], -1
	s_mov_b64 s[40:41], 0
	s_branch .LBB47_49
.LBB47_46:
	s_mov_b64 s[36:37], -1
	s_mov_b64 s[38:39], 0
	s_mov_b64 s[0:1], 0
                                        ; implicit-def: $vgpr4
	s_branch .LBB47_279
.LBB47_47:
	s_mov_b64 s[44:45], -1
	s_mov_b64 s[0:1], 0
	s_mov_b64 s[36:37], 0
	s_branch .LBB47_176
.LBB47_48:
	s_mov_b64 s[40:41], -1
.LBB47_49:
	s_mov_b64 s[0:1], 0
                                        ; implicit-def: $vgpr1
.LBB47_50:
	s_and_b64 vcc, exec, s[36:37]
	s_cbranch_vccz .LBB47_56
; %bb.51:
	s_cmp_eq_u32 s39, 44
	s_cbranch_scc0 .LBB47_55
; %bb.52:
	global_load_ubyte v1, v[4:5], off
	s_mov_b64 s[0:1], -1
	s_mov_b64 s[40:41], 0
	s_waitcnt vmcnt(0)
	v_lshlrev_b32_e32 v2, 23, v1
	v_cvt_i32_f32_e32 v2, v2
	v_cmp_ne_u32_e32 vcc, 0, v1
	v_cndmask_b32_e32 v1, 0, v2, vcc
	s_branch .LBB47_56
.LBB47_53:
	s_mov_b64 s[36:37], -1
	s_mov_b64 s[38:39], 0
	s_branch .LBB47_161
.LBB47_54:
	s_mov_b64 s[44:45], -1
	s_mov_b64 s[0:1], 0
	s_mov_b64 s[36:37], 0
	s_branch .LBB47_172
.LBB47_55:
	s_mov_b64 s[40:41], -1
                                        ; implicit-def: $vgpr1
.LBB47_56:
	s_mov_b64 s[36:37], 0
.LBB47_57:
	s_and_b64 vcc, exec, s[36:37]
	s_cbranch_vccz .LBB47_61
; %bb.58:
	s_cmp_eq_u32 s39, 29
	s_cbranch_scc0 .LBB47_60
; %bb.59:
	global_load_dwordx2 v[1:2], v[4:5], off
	s_mov_b64 s[0:1], -1
	s_mov_b64 s[40:41], 0
	s_branch .LBB47_61
.LBB47_60:
	s_mov_b64 s[40:41], -1
                                        ; implicit-def: $vgpr1
.LBB47_61:
	s_mov_b64 s[36:37], 0
.LBB47_62:
	s_and_b64 vcc, exec, s[36:37]
	s_cbranch_vccz .LBB47_78
; %bb.63:
	s_cmp_lt_i32 s39, 27
	s_cbranch_scc1 .LBB47_66
; %bb.64:
	s_cmp_gt_i32 s39, 27
	s_cbranch_scc0 .LBB47_67
; %bb.65:
	global_load_dword v1, v[4:5], off
	s_mov_b64 s[0:1], 0
	s_branch .LBB47_68
.LBB47_66:
	s_mov_b64 s[0:1], -1
                                        ; implicit-def: $vgpr1
	s_branch .LBB47_71
.LBB47_67:
	s_mov_b64 s[0:1], -1
                                        ; implicit-def: $vgpr1
.LBB47_68:
	s_andn2_b64 vcc, exec, s[0:1]
	s_cbranch_vccnz .LBB47_70
; %bb.69:
	global_load_ushort v1, v[4:5], off
.LBB47_70:
	s_mov_b64 s[0:1], 0
.LBB47_71:
	s_andn2_b64 vcc, exec, s[0:1]
	s_cbranch_vccnz .LBB47_77
; %bb.72:
	global_load_ubyte v2, v[4:5], off
	s_movk_i32 s0, 0x7f
	s_mov_b64 s[36:37], 0
	s_waitcnt vmcnt(0)
	v_cmp_lt_i16_e32 vcc, s0, v2
	s_and_saveexec_b64 s[0:1], vcc
	s_xor_b64 s[0:1], exec, s[0:1]
	s_cbranch_execz .LBB47_88
; %bb.73:
	s_movk_i32 s36, 0x80
	v_cmp_ne_u16_e32 vcc, s36, v2
	s_and_b64 s[36:37], vcc, exec
	s_andn2_saveexec_b64 s[0:1], s[0:1]
	s_cbranch_execnz .LBB47_89
.LBB47_74:
	s_or_b64 exec, exec, s[0:1]
	v_mov_b32_e32 v1, 0
	s_and_saveexec_b64 s[0:1], s[36:37]
	s_cbranch_execz .LBB47_76
.LBB47_75:
	v_lshlrev_b32_e32 v1, 24, v2
	v_and_b32_e32 v2, 0xffff, v2
	v_and_b32_e32 v6, 7, v2
	v_ffbh_u32_e32 v8, v6
	v_min_u32_e32 v8, 32, v8
	v_subrev_u32_e32 v9, 28, v8
	v_bfe_u32 v7, v2, 3, 4
	v_lshlrev_b32_e32 v2, v9, v2
	v_sub_u32_e32 v8, 29, v8
	v_and_b32_e32 v2, 7, v2
	v_cmp_eq_u32_e32 vcc, 0, v7
	v_cndmask_b32_e32 v7, v7, v8, vcc
	v_cndmask_b32_e32 v2, v6, v2, vcc
	v_mov_b32_e32 v6, 0x3b800000
	v_lshlrev_b32_e32 v2, 20, v2
	v_and_b32_e32 v1, 0x80000000, v1
	v_lshl_add_u32 v6, v7, 23, v6
	v_or3_b32 v1, v1, v6, v2
	v_cvt_i32_f32_e32 v1, v1
.LBB47_76:
	s_or_b64 exec, exec, s[0:1]
.LBB47_77:
	s_mov_b64 s[0:1], -1
.LBB47_78:
	s_branch .LBB47_111
.LBB47_79:
	s_cmp_gt_i32 s39, 22
	s_cbranch_scc0 .LBB47_87
; %bb.80:
	s_cmp_lt_i32 s39, 24
	s_cbranch_scc1 .LBB47_90
; %bb.81:
	s_cmp_gt_i32 s39, 24
	s_cbranch_scc0 .LBB47_91
; %bb.82:
	global_load_ubyte v2, v[4:5], off
	s_movk_i32 s0, 0x7f
	s_mov_b64 s[36:37], 0
	s_waitcnt vmcnt(0)
	v_cmp_lt_i16_e32 vcc, s0, v2
	s_and_saveexec_b64 s[0:1], vcc
	s_xor_b64 s[0:1], exec, s[0:1]
	s_cbranch_execz .LBB47_103
; %bb.83:
	s_movk_i32 s36, 0x80
	v_cmp_ne_u16_e32 vcc, s36, v2
	s_and_b64 s[36:37], vcc, exec
	s_andn2_saveexec_b64 s[0:1], s[0:1]
	s_cbranch_execnz .LBB47_104
.LBB47_84:
	s_or_b64 exec, exec, s[0:1]
	v_mov_b32_e32 v1, 0
	s_and_saveexec_b64 s[0:1], s[36:37]
	s_cbranch_execz .LBB47_86
.LBB47_85:
	v_lshlrev_b32_e32 v1, 24, v2
	v_and_b32_e32 v2, 0xffff, v2
	v_and_b32_e32 v6, 3, v2
	v_ffbh_u32_e32 v8, v6
	v_min_u32_e32 v8, 32, v8
	v_subrev_u32_e32 v9, 29, v8
	v_bfe_u32 v7, v2, 2, 5
	v_lshlrev_b32_e32 v2, v9, v2
	v_sub_u32_e32 v8, 30, v8
	v_and_b32_e32 v2, 3, v2
	v_cmp_eq_u32_e32 vcc, 0, v7
	v_cndmask_b32_e32 v7, v7, v8, vcc
	v_cndmask_b32_e32 v2, v6, v2, vcc
	v_mov_b32_e32 v6, 0x37800000
	v_lshlrev_b32_e32 v2, 21, v2
	v_and_b32_e32 v1, 0x80000000, v1
	v_lshl_add_u32 v6, v7, 23, v6
	v_or3_b32 v1, v1, v6, v2
	v_cvt_i32_f32_e32 v1, v1
.LBB47_86:
	s_or_b64 exec, exec, s[0:1]
	s_mov_b64 s[0:1], 0
	s_branch .LBB47_92
.LBB47_87:
	s_mov_b64 s[36:37], -1
                                        ; implicit-def: $vgpr1
	s_branch .LBB47_98
.LBB47_88:
	s_andn2_saveexec_b64 s[0:1], s[0:1]
	s_cbranch_execz .LBB47_74
.LBB47_89:
	v_cmp_ne_u16_e32 vcc, 0, v2
	s_andn2_b64 s[36:37], s[36:37], exec
	s_and_b64 s[44:45], vcc, exec
	s_or_b64 s[36:37], s[36:37], s[44:45]
	s_or_b64 exec, exec, s[0:1]
	v_mov_b32_e32 v1, 0
	s_and_saveexec_b64 s[0:1], s[36:37]
	s_cbranch_execnz .LBB47_75
	s_branch .LBB47_76
.LBB47_90:
	s_mov_b64 s[0:1], -1
                                        ; implicit-def: $vgpr1
	s_branch .LBB47_95
.LBB47_91:
	s_mov_b64 s[0:1], -1
                                        ; implicit-def: $vgpr1
.LBB47_92:
	s_and_b64 vcc, exec, s[0:1]
	s_cbranch_vccz .LBB47_94
; %bb.93:
	global_load_ubyte v1, v[4:5], off
	s_mov_b32 s0, 0x7f800000
	s_waitcnt vmcnt(0)
	v_lshlrev_b32_e32 v1, 24, v1
	v_and_b32_e32 v2, 0x7f000000, v1
	v_ffbh_u32_e32 v6, v2
	v_min_u32_e32 v6, 32, v6
	v_sub_u32_e64 v6, v6, 4 clamp
	v_lshlrev_b32_e32 v8, v6, v2
	v_lshlrev_b32_e32 v6, 23, v6
	v_lshrrev_b32_e32 v8, 4, v8
	v_add_u32_e32 v7, 0x1000000, v2
	v_sub_u32_e32 v6, v8, v6
	v_ashrrev_i32_e32 v7, 8, v7
	v_add_u32_e32 v6, 0x3c000000, v6
	v_and_or_b32 v6, v7, s0, v6
	v_cmp_ne_u32_e32 vcc, 0, v2
	v_cndmask_b32_e32 v2, 0, v6, vcc
	s_brev_b32 s0, 1
	v_and_or_b32 v1, v1, s0, v2
	v_cvt_i32_f32_e32 v1, v1
.LBB47_94:
	s_mov_b64 s[0:1], 0
.LBB47_95:
	s_andn2_b64 vcc, exec, s[0:1]
	s_cbranch_vccnz .LBB47_97
; %bb.96:
	global_load_ubyte v1, v[4:5], off
	s_movk_i32 s0, 0x7f00
	s_brev_b32 s1, 16
	s_waitcnt vmcnt(0)
	v_lshlrev_b16_e32 v2, 8, v1
	v_lshlrev_b32_e32 v1, 25, v1
	v_lshrrev_b32_e32 v6, 4, v1
	v_and_or_b32 v7, v2, s0, 0.5
	v_or_b32_e32 v6, 0x70000000, v6
	v_add_f32_e32 v7, -0.5, v7
	v_mul_f32_e32 v6, 0x7800000, v6
	v_cmp_gt_u32_e32 vcc, s1, v1
	v_bfe_i32 v2, v2, 0, 16
	v_cndmask_b32_e32 v1, v6, v7, vcc
	s_brev_b32 s0, 1
	v_and_or_b32 v1, v2, s0, v1
	v_cvt_i32_f32_e32 v1, v1
.LBB47_97:
	s_mov_b64 s[36:37], 0
	s_mov_b64 s[0:1], -1
.LBB47_98:
	s_andn2_b64 vcc, exec, s[36:37]
	s_cbranch_vccnz .LBB47_111
; %bb.99:
	s_cmp_gt_i32 s39, 14
	s_cbranch_scc0 .LBB47_102
; %bb.100:
	s_cmp_eq_u32 s39, 15
	s_cbranch_scc0 .LBB47_105
; %bb.101:
	global_load_ushort v1, v[4:5], off
	s_mov_b64 s[0:1], -1
	s_mov_b64 s[40:41], 0
	s_waitcnt vmcnt(0)
	v_lshlrev_b32_e32 v1, 16, v1
	v_cvt_i32_f32_e32 v1, v1
	s_branch .LBB47_106
.LBB47_102:
	s_mov_b64 s[36:37], -1
                                        ; implicit-def: $vgpr1
	s_branch .LBB47_107
.LBB47_103:
	s_andn2_saveexec_b64 s[0:1], s[0:1]
	s_cbranch_execz .LBB47_84
.LBB47_104:
	v_cmp_ne_u16_e32 vcc, 0, v2
	s_andn2_b64 s[36:37], s[36:37], exec
	s_and_b64 s[44:45], vcc, exec
	s_or_b64 s[36:37], s[36:37], s[44:45]
	s_or_b64 exec, exec, s[0:1]
	v_mov_b32_e32 v1, 0
	s_and_saveexec_b64 s[0:1], s[36:37]
	s_cbranch_execnz .LBB47_85
	s_branch .LBB47_86
.LBB47_105:
	s_mov_b64 s[40:41], -1
                                        ; implicit-def: $vgpr1
.LBB47_106:
	s_mov_b64 s[36:37], 0
.LBB47_107:
	s_and_b64 vcc, exec, s[36:37]
	s_cbranch_vccz .LBB47_111
; %bb.108:
	s_cmp_eq_u32 s39, 11
	s_cbranch_scc0 .LBB47_110
; %bb.109:
	global_load_ubyte v1, v[4:5], off
	s_mov_b64 s[0:1], -1
	s_mov_b64 s[40:41], 0
	s_waitcnt vmcnt(0)
	v_cmp_ne_u16_e32 vcc, 0, v1
	v_cndmask_b32_e64 v1, 0, 1, vcc
	s_branch .LBB47_111
.LBB47_110:
	s_mov_b64 s[40:41], -1
                                        ; implicit-def: $vgpr1
.LBB47_111:
	s_branch .LBB47_21
.LBB47_112:
	s_and_b32 s36, 0xffff, s38
	s_cmp_lt_i32 s36, 5
	s_cbranch_scc1 .LBB47_117
; %bb.113:
	s_cmp_lt_i32 s36, 8
	s_cbranch_scc1 .LBB47_118
; %bb.114:
	;; [unrolled: 3-line block ×3, first 2 shown]
	s_cmp_gt_i32 s36, 9
	s_cbranch_scc0 .LBB47_120
; %bb.116:
	global_load_dwordx2 v[1:2], v[4:5], off
	s_mov_b64 s[0:1], 0
	s_waitcnt vmcnt(0)
	v_cvt_i32_f64_e32 v1, v[1:2]
	s_branch .LBB47_121
.LBB47_117:
                                        ; implicit-def: $vgpr1
	s_branch .LBB47_139
.LBB47_118:
	s_mov_b64 s[0:1], -1
                                        ; implicit-def: $vgpr1
	s_branch .LBB47_127
.LBB47_119:
	s_mov_b64 s[0:1], -1
                                        ; implicit-def: $vgpr1
	s_branch .LBB47_124
.LBB47_120:
	s_mov_b64 s[0:1], -1
                                        ; implicit-def: $vgpr1
.LBB47_121:
	s_andn2_b64 vcc, exec, s[0:1]
	s_cbranch_vccnz .LBB47_123
; %bb.122:
	global_load_dword v1, v[4:5], off
	s_waitcnt vmcnt(0)
	v_cvt_i32_f32_e32 v1, v1
.LBB47_123:
	s_mov_b64 s[0:1], 0
.LBB47_124:
	s_andn2_b64 vcc, exec, s[0:1]
	s_cbranch_vccnz .LBB47_126
; %bb.125:
	global_load_dword v1, v[4:5], off
	s_waitcnt vmcnt(0)
	v_cvt_i16_f16_e32 v1, v1
.LBB47_126:
	s_mov_b64 s[0:1], 0
.LBB47_127:
	s_andn2_b64 vcc, exec, s[0:1]
	s_cbranch_vccnz .LBB47_138
; %bb.128:
	s_cmp_lt_i32 s36, 6
	s_cbranch_scc1 .LBB47_131
; %bb.129:
	s_cmp_gt_i32 s36, 6
	s_cbranch_scc0 .LBB47_132
; %bb.130:
	global_load_dwordx2 v[1:2], v[4:5], off
	s_mov_b64 s[0:1], 0
	s_waitcnt vmcnt(0)
	v_cvt_i32_f64_e32 v1, v[1:2]
	s_branch .LBB47_133
.LBB47_131:
	s_mov_b64 s[0:1], -1
                                        ; implicit-def: $vgpr1
	s_branch .LBB47_136
.LBB47_132:
	s_mov_b64 s[0:1], -1
                                        ; implicit-def: $vgpr1
.LBB47_133:
	s_andn2_b64 vcc, exec, s[0:1]
	s_cbranch_vccnz .LBB47_135
; %bb.134:
	global_load_dword v1, v[4:5], off
	s_waitcnt vmcnt(0)
	v_cvt_i32_f32_e32 v1, v1
.LBB47_135:
	s_mov_b64 s[0:1], 0
.LBB47_136:
	s_andn2_b64 vcc, exec, s[0:1]
	s_cbranch_vccnz .LBB47_138
; %bb.137:
	global_load_ushort v1, v[4:5], off
	s_waitcnt vmcnt(0)
	v_cvt_i16_f16_e32 v1, v1
.LBB47_138:
	s_cbranch_execnz .LBB47_158
.LBB47_139:
	s_cmp_lt_i32 s36, 2
	s_cbranch_scc1 .LBB47_143
; %bb.140:
	s_cmp_lt_i32 s36, 3
	s_cbranch_scc1 .LBB47_144
; %bb.141:
	s_cmp_gt_i32 s36, 3
	s_cbranch_scc0 .LBB47_145
; %bb.142:
	global_load_dwordx2 v[1:2], v[4:5], off
	s_mov_b64 s[0:1], 0
	s_branch .LBB47_146
.LBB47_143:
	s_mov_b64 s[0:1], -1
                                        ; implicit-def: $vgpr1
	s_branch .LBB47_152
.LBB47_144:
	s_mov_b64 s[0:1], -1
                                        ; implicit-def: $vgpr1
	s_branch .LBB47_149
.LBB47_145:
	s_mov_b64 s[0:1], -1
                                        ; implicit-def: $vgpr1
.LBB47_146:
	s_andn2_b64 vcc, exec, s[0:1]
	s_cbranch_vccnz .LBB47_148
; %bb.147:
	global_load_dword v1, v[4:5], off
.LBB47_148:
	s_mov_b64 s[0:1], 0
.LBB47_149:
	s_andn2_b64 vcc, exec, s[0:1]
	s_cbranch_vccnz .LBB47_151
; %bb.150:
	global_load_ushort v1, v[4:5], off
.LBB47_151:
	s_mov_b64 s[0:1], 0
.LBB47_152:
	s_andn2_b64 vcc, exec, s[0:1]
	s_cbranch_vccnz .LBB47_158
; %bb.153:
	s_cmp_gt_i32 s36, 0
	s_cbranch_scc0 .LBB47_155
; %bb.154:
	global_load_ubyte v1, v[4:5], off
	s_mov_b64 s[0:1], 0
	s_branch .LBB47_156
.LBB47_155:
	s_mov_b64 s[0:1], -1
                                        ; implicit-def: $vgpr1
.LBB47_156:
	s_andn2_b64 vcc, exec, s[0:1]
	s_cbranch_vccnz .LBB47_158
; %bb.157:
	global_load_ubyte v1, v[4:5], off
.LBB47_158:
	s_branch .LBB47_22
.LBB47_159:
	s_mov_b64 s[0:1], 0
	s_mov_b64 s[38:39], 0
	s_branch .LBB47_384
.LBB47_160:
	s_mov_b64 s[38:39], -1
.LBB47_161:
	s_mov_b64 s[0:1], 0
                                        ; implicit-def: $vgpr4
.LBB47_162:
	s_and_b64 vcc, exec, s[36:37]
	s_cbranch_vccz .LBB47_278
; %bb.163:
	s_cmp_eq_u32 s45, 44
	s_cbranch_scc0 .LBB47_277
; %bb.164:
	global_load_ubyte v4, v[2:3], off
	s_mov_b64 s[0:1], -1
	s_mov_b64 s[38:39], 0
	s_waitcnt vmcnt(0)
	v_lshlrev_b32_e32 v5, 23, v4
	v_cvt_i32_f32_e32 v5, v5
	v_cmp_ne_u32_e32 vcc, 0, v4
	v_cndmask_b32_e32 v4, 0, v5, vcc
	s_branch .LBB47_278
.LBB47_165:
	s_mov_b64 s[44:45], -1
	s_mov_b64 s[0:1], 0
	s_mov_b64 s[36:37], 0
.LBB47_166:
	s_and_b64 vcc, exec, s[44:45]
	s_cbranch_vccz .LBB47_171
; %bb.167:
	s_cmp_eq_u32 s51, 44
	s_mov_b64 s[0:1], -1
	s_cbranch_scc0 .LBB47_171
; %bb.168:
	v_bfe_i32 v3, v2, 0, 8
	v_cvt_f32_i32_sdwa v3, sext(v3) dst_sel:DWORD dst_unused:UNUSED_PAD src0_sel:WORD_0
	s_movk_i32 s0, 0xff
	v_mov_b32_e32 v5, 0xff
	v_bfe_u32 v4, v3, 23, 8
	v_cmp_ne_u32_e32 vcc, s0, v4
	s_and_saveexec_b64 s[36:37], vcc
; %bb.169:
	s_mov_b32 s0, 0x3fffff
	v_lshrrev_b32_e32 v5, 23, v3
	v_and_b32_e32 v6, 0x400000, v3
	v_and_or_b32 v3, v3, s0, v4
	v_cmp_ne_u32_e32 vcc, 0, v6
	v_cmp_ne_u32_e64 s[0:1], 0, v3
	s_and_b64 s[0:1], vcc, s[0:1]
	v_cndmask_b32_e64 v3, 0, 1, s[0:1]
	v_add_u32_e32 v5, v5, v3
; %bb.170:
	s_or_b64 exec, exec, s[36:37]
	s_mov_b64 s[36:37], -1
	s_mov_b64 s[0:1], 0
	global_store_byte v[0:1], v5, off
.LBB47_171:
	s_mov_b64 s[44:45], 0
.LBB47_172:
	s_and_b64 vcc, exec, s[44:45]
	s_cbranch_vccz .LBB47_175
; %bb.173:
	s_cmp_eq_u32 s51, 29
	s_mov_b64 s[0:1], -1
	s_cbranch_scc0 .LBB47_175
; %bb.174:
	v_bfe_i32 v3, v2, 0, 8
	v_ashrrev_i32_e32 v4, 31, v3
	global_store_dwordx2 v[0:1], v[3:4], off
	s_mov_b64 s[36:37], -1
	s_mov_b64 s[0:1], 0
.LBB47_175:
	s_mov_b64 s[44:45], 0
.LBB47_176:
	s_and_b64 vcc, exec, s[44:45]
	s_cbranch_vccz .LBB47_192
; %bb.177:
	s_cmp_lt_i32 s51, 27
	s_mov_b64 s[36:37], -1
	s_cbranch_scc1 .LBB47_183
; %bb.178:
	s_cmp_gt_i32 s51, 27
	s_cbranch_scc0 .LBB47_180
; %bb.179:
	v_bfe_i32 v3, v2, 0, 8
	s_mov_b64 s[36:37], 0
	global_store_dword v[0:1], v3, off
.LBB47_180:
	s_andn2_b64 vcc, exec, s[36:37]
	s_cbranch_vccnz .LBB47_182
; %bb.181:
	v_bfe_i32 v3, v2, 0, 8
	global_store_short v[0:1], v3, off
.LBB47_182:
	s_mov_b64 s[36:37], 0
.LBB47_183:
	s_andn2_b64 vcc, exec, s[36:37]
	s_cbranch_vccnz .LBB47_191
; %bb.184:
	v_bfe_i32 v3, v2, 0, 8
	v_cvt_f32_i32_sdwa v3, sext(v3) dst_sel:DWORD dst_unused:UNUSED_PAD src0_sel:WORD_0
	s_mov_b32 s36, 0x43800000
	v_mov_b32_e32 v5, 0x80
	v_and_b32_e32 v4, 0x7fffffff, v3
	v_cmp_gt_u32_e32 vcc, s36, v4
	s_and_saveexec_b64 s[36:37], vcc
	s_cbranch_execz .LBB47_190
; %bb.185:
	s_mov_b32 s44, 0x3bffffff
	v_cmp_lt_u32_e32 vcc, s44, v4
	s_mov_b64 s[44:45], 0
                                        ; implicit-def: $vgpr4
	s_and_saveexec_b64 s[48:49], vcc
	s_xor_b64 s[48:49], exec, s[48:49]
	s_cbranch_execz .LBB47_426
; %bb.186:
	v_bfe_u32 v4, v3, 20, 1
	s_mov_b32 s52, 0x487ffff
	v_add3_u32 v4, v3, v4, s52
	s_mov_b64 s[44:45], exec
	v_lshrrev_b32_e32 v4, 20, v4
	s_andn2_saveexec_b64 s[48:49], s[48:49]
	s_cbranch_execnz .LBB47_427
.LBB47_187:
	s_or_b64 exec, exec, s[48:49]
	v_mov_b32_e32 v5, 0
	s_and_saveexec_b64 s[48:49], s[44:45]
.LBB47_188:
	v_lshrrev_b32_e32 v3, 24, v3
	s_movk_i32 s44, 0x80
	v_and_or_b32 v5, v3, s44, v4
.LBB47_189:
	s_or_b64 exec, exec, s[48:49]
.LBB47_190:
	s_or_b64 exec, exec, s[36:37]
	global_store_byte v[0:1], v5, off
.LBB47_191:
	s_mov_b64 s[36:37], -1
.LBB47_192:
	s_mov_b64 s[44:45], 0
.LBB47_193:
	s_and_b64 vcc, exec, s[44:45]
	s_cbranch_vccz .LBB47_234
; %bb.194:
	s_cmp_gt_i32 s51, 22
	s_mov_b64 s[44:45], -1
	s_cbranch_scc0 .LBB47_226
; %bb.195:
	s_cmp_lt_i32 s51, 24
	s_mov_b64 s[36:37], -1
	s_cbranch_scc1 .LBB47_215
; %bb.196:
	s_cmp_gt_i32 s51, 24
	s_cbranch_scc0 .LBB47_204
; %bb.197:
	v_bfe_i32 v3, v2, 0, 8
	v_cvt_f32_i32_sdwa v3, sext(v3) dst_sel:DWORD dst_unused:UNUSED_PAD src0_sel:WORD_0
	s_mov_b32 s36, 0x47800000
	v_mov_b32_e32 v5, 0x80
	v_and_b32_e32 v4, 0x7fffffff, v3
	v_cmp_gt_u32_e32 vcc, s36, v4
	s_and_saveexec_b64 s[36:37], vcc
	s_cbranch_execz .LBB47_203
; %bb.198:
	s_mov_b32 s44, 0x37ffffff
	v_cmp_lt_u32_e32 vcc, s44, v4
	s_mov_b64 s[44:45], 0
                                        ; implicit-def: $vgpr4
	s_and_saveexec_b64 s[48:49], vcc
	s_xor_b64 s[48:49], exec, s[48:49]
	s_cbranch_execz .LBB47_541
; %bb.199:
	v_bfe_u32 v4, v3, 21, 1
	s_mov_b32 s52, 0x88fffff
	v_add3_u32 v4, v3, v4, s52
	s_mov_b64 s[44:45], exec
	v_lshrrev_b32_e32 v4, 21, v4
	s_andn2_saveexec_b64 s[48:49], s[48:49]
	s_cbranch_execnz .LBB47_542
.LBB47_200:
	s_or_b64 exec, exec, s[48:49]
	v_mov_b32_e32 v5, 0
	s_and_saveexec_b64 s[48:49], s[44:45]
.LBB47_201:
	v_lshrrev_b32_e32 v3, 24, v3
	s_movk_i32 s44, 0x80
	v_and_or_b32 v5, v3, s44, v4
.LBB47_202:
	s_or_b64 exec, exec, s[48:49]
.LBB47_203:
	s_or_b64 exec, exec, s[36:37]
	s_mov_b64 s[36:37], 0
	global_store_byte v[0:1], v5, off
.LBB47_204:
	s_and_b64 vcc, exec, s[36:37]
	s_cbranch_vccz .LBB47_214
; %bb.205:
	v_bfe_i32 v3, v2, 0, 8
	v_cvt_f32_i32_sdwa v3, sext(v3) dst_sel:DWORD dst_unused:UNUSED_PAD src0_sel:WORD_0
	s_mov_b32 s36, 0x43f00000
                                        ; implicit-def: $vgpr4
	v_and_b32_e32 v5, 0x7fffffff, v3
	v_cmp_gt_u32_e32 vcc, s36, v5
	s_and_saveexec_b64 s[36:37], vcc
	s_xor_b64 s[36:37], exec, s[36:37]
	s_cbranch_execz .LBB47_211
; %bb.206:
	s_mov_b32 s44, 0x3c7fffff
	v_cmp_lt_u32_e32 vcc, s44, v5
                                        ; implicit-def: $vgpr4
	s_and_saveexec_b64 s[44:45], vcc
	s_xor_b64 s[44:45], exec, s[44:45]
; %bb.207:
	v_bfe_u32 v4, v3, 20, 1
	s_mov_b32 s48, 0x407ffff
	v_add3_u32 v4, v3, v4, s48
	v_lshrrev_b32_e32 v5, 20, v4
	v_and_b32_e32 v4, 0xff00000, v4
	s_mov_b32 s48, 0x7f00000
	v_mov_b32_e32 v6, 0x7e
	v_cmp_ne_u32_e32 vcc, s48, v4
	v_cndmask_b32_e32 v4, v6, v5, vcc
; %bb.208:
	s_andn2_saveexec_b64 s[44:45], s[44:45]
; %bb.209:
	s_mov_b32 s48, 0x46800000
	v_add_f32_e64 v4, |v3|, s48
; %bb.210:
	s_or_b64 exec, exec, s[44:45]
                                        ; implicit-def: $vgpr5
.LBB47_211:
	s_andn2_saveexec_b64 s[36:37], s[36:37]
; %bb.212:
	s_mov_b32 s44, 0x7f800000
	v_mov_b32_e32 v4, 0x7e
	v_mov_b32_e32 v6, 0x7f
	v_cmp_lt_u32_e32 vcc, s44, v5
	v_cndmask_b32_e32 v4, v4, v6, vcc
; %bb.213:
	s_or_b64 exec, exec, s[36:37]
	v_lshrrev_b32_e32 v3, 24, v3
	s_movk_i32 s36, 0x80
	v_and_or_b32 v3, v3, s36, v4
	global_store_byte v[0:1], v3, off
.LBB47_214:
	s_mov_b64 s[36:37], 0
.LBB47_215:
	s_andn2_b64 vcc, exec, s[36:37]
	s_cbranch_vccnz .LBB47_225
; %bb.216:
	v_bfe_i32 v3, v2, 0, 8
	v_cvt_f32_i32_sdwa v3, sext(v3) dst_sel:DWORD dst_unused:UNUSED_PAD src0_sel:WORD_0
	s_mov_b32 s36, 0x47800000
                                        ; implicit-def: $vgpr4
	v_and_b32_e32 v5, 0x7fffffff, v3
	v_cmp_gt_u32_e32 vcc, s36, v5
	s_and_saveexec_b64 s[36:37], vcc
	s_xor_b64 s[36:37], exec, s[36:37]
	s_cbranch_execz .LBB47_222
; %bb.217:
	s_mov_b32 s44, 0x387fffff
	v_cmp_lt_u32_e32 vcc, s44, v5
                                        ; implicit-def: $vgpr4
	s_and_saveexec_b64 s[44:45], vcc
	s_xor_b64 s[44:45], exec, s[44:45]
; %bb.218:
	v_bfe_u32 v4, v3, 21, 1
	s_mov_b32 s48, 0x80fffff
	v_add3_u32 v4, v3, v4, s48
	v_lshrrev_b32_e32 v4, 21, v4
; %bb.219:
	s_andn2_saveexec_b64 s[44:45], s[44:45]
; %bb.220:
	s_mov_b32 s48, 0x43000000
	v_add_f32_e64 v4, |v3|, s48
; %bb.221:
	s_or_b64 exec, exec, s[44:45]
                                        ; implicit-def: $vgpr5
.LBB47_222:
	s_andn2_saveexec_b64 s[36:37], s[36:37]
; %bb.223:
	s_mov_b32 s44, 0x7f800000
	v_mov_b32_e32 v4, 0x7c
	v_mov_b32_e32 v6, 0x7f
	v_cmp_lt_u32_e32 vcc, s44, v5
	v_cndmask_b32_e32 v4, v4, v6, vcc
; %bb.224:
	s_or_b64 exec, exec, s[36:37]
	v_lshrrev_b32_e32 v3, 24, v3
	s_movk_i32 s36, 0x80
	v_and_or_b32 v3, v3, s36, v4
	global_store_byte v[0:1], v3, off
.LBB47_225:
	s_mov_b64 s[44:45], 0
	s_mov_b64 s[36:37], -1
.LBB47_226:
	s_andn2_b64 vcc, exec, s[44:45]
	s_cbranch_vccnz .LBB47_234
; %bb.227:
	s_cmp_gt_i32 s51, 14
	s_mov_b64 s[44:45], -1
	s_cbranch_scc0 .LBB47_231
; %bb.228:
	s_cmp_eq_u32 s51, 15
	s_mov_b64 s[0:1], -1
	s_cbranch_scc0 .LBB47_230
; %bb.229:
	v_bfe_i32 v3, v2, 0, 8
	v_cvt_f32_i32_sdwa v3, sext(v3) dst_sel:DWORD dst_unused:UNUSED_PAD src0_sel:WORD_0
	s_movk_i32 s0, 0x7fff
	s_mov_b64 s[36:37], -1
	v_bfe_u32 v4, v3, 16, 1
	v_add3_u32 v3, v3, v4, s0
	global_store_short_d16_hi v[0:1], v3, off
	s_mov_b64 s[0:1], 0
.LBB47_230:
	s_mov_b64 s[44:45], 0
.LBB47_231:
	s_and_b64 vcc, exec, s[44:45]
	s_cbranch_vccz .LBB47_234
; %bb.232:
	s_cmp_eq_u32 s51, 11
	s_mov_b64 s[0:1], -1
	s_cbranch_scc0 .LBB47_234
; %bb.233:
	v_mov_b32_e32 v3, 0
	v_cmp_ne_u16_sdwa s[0:1], v2, v3 src0_sel:BYTE_0 src1_sel:DWORD
	v_cndmask_b32_e64 v3, 0, 1, s[0:1]
	s_mov_b64 s[36:37], -1
	s_mov_b64 s[0:1], 0
	global_store_byte v[0:1], v3, off
.LBB47_234:
	s_mov_b64 s[44:45], 0
.LBB47_235:
	s_and_b64 vcc, exec, s[44:45]
	s_cbranch_vccz .LBB47_274
; %bb.236:
	s_and_b32 s44, 0xffff, s50
	s_cmp_lt_i32 s44, 5
	s_mov_b64 s[36:37], -1
	s_cbranch_scc1 .LBB47_257
; %bb.237:
	s_cmp_lt_i32 s44, 8
	s_cbranch_scc1 .LBB47_247
; %bb.238:
	s_cmp_lt_i32 s44, 9
	s_cbranch_scc1 .LBB47_244
; %bb.239:
	s_cmp_gt_i32 s44, 9
	s_cbranch_scc0 .LBB47_241
; %bb.240:
	v_bfe_i32 v3, v2, 0, 8
	v_bfe_i32 v3, v3, 0, 16
	v_cvt_f64_i32_e32 v[3:4], v3
	v_mov_b32_e32 v5, 0
	v_mov_b32_e32 v6, v5
	s_mov_b64 s[36:37], 0
	global_store_dwordx4 v[0:1], v[3:6], off
.LBB47_241:
	s_andn2_b64 vcc, exec, s[36:37]
	s_cbranch_vccnz .LBB47_243
; %bb.242:
	v_bfe_i32 v3, v2, 0, 8
	v_cvt_f32_i32_sdwa v3, sext(v3) dst_sel:DWORD dst_unused:UNUSED_PAD src0_sel:WORD_0
	v_mov_b32_e32 v4, 0
	global_store_dwordx2 v[0:1], v[3:4], off
.LBB47_243:
	s_mov_b64 s[36:37], 0
.LBB47_244:
	s_andn2_b64 vcc, exec, s[36:37]
	s_cbranch_vccnz .LBB47_246
; %bb.245:
	v_cvt_f16_i16_sdwa v3, sext(v2) dst_sel:DWORD dst_unused:UNUSED_PAD src0_sel:BYTE_0
	global_store_dword v[0:1], v3, off
.LBB47_246:
	s_mov_b64 s[36:37], 0
.LBB47_247:
	s_andn2_b64 vcc, exec, s[36:37]
	s_cbranch_vccnz .LBB47_256
; %bb.248:
	s_cmp_lt_i32 s44, 6
	s_mov_b64 s[36:37], -1
	s_cbranch_scc1 .LBB47_254
; %bb.249:
	s_cmp_gt_i32 s44, 6
	s_cbranch_scc0 .LBB47_251
; %bb.250:
	v_bfe_i32 v3, v2, 0, 8
	v_bfe_i32 v3, v3, 0, 16
	v_cvt_f64_i32_e32 v[3:4], v3
	s_mov_b64 s[36:37], 0
	global_store_dwordx2 v[0:1], v[3:4], off
.LBB47_251:
	s_andn2_b64 vcc, exec, s[36:37]
	s_cbranch_vccnz .LBB47_253
; %bb.252:
	v_bfe_i32 v3, v2, 0, 8
	v_cvt_f32_i32_sdwa v3, sext(v3) dst_sel:DWORD dst_unused:UNUSED_PAD src0_sel:WORD_0
	global_store_dword v[0:1], v3, off
.LBB47_253:
	s_mov_b64 s[36:37], 0
.LBB47_254:
	s_andn2_b64 vcc, exec, s[36:37]
	s_cbranch_vccnz .LBB47_256
; %bb.255:
	v_cvt_f16_i16_sdwa v3, sext(v2) dst_sel:DWORD dst_unused:UNUSED_PAD src0_sel:BYTE_0
	global_store_short v[0:1], v3, off
.LBB47_256:
	s_mov_b64 s[36:37], 0
.LBB47_257:
	s_andn2_b64 vcc, exec, s[36:37]
	s_cbranch_vccnz .LBB47_273
; %bb.258:
	s_cmp_lt_i32 s44, 2
	s_mov_b64 s[36:37], -1
	s_cbranch_scc1 .LBB47_268
; %bb.259:
	s_cmp_lt_i32 s44, 3
	s_cbranch_scc1 .LBB47_265
; %bb.260:
	s_cmp_gt_i32 s44, 3
	s_cbranch_scc0 .LBB47_262
; %bb.261:
	v_bfe_i32 v3, v2, 0, 8
	v_ashrrev_i32_e32 v4, 31, v3
	global_store_dwordx2 v[0:1], v[3:4], off
	s_mov_b64 s[36:37], 0
.LBB47_262:
	s_andn2_b64 vcc, exec, s[36:37]
	s_cbranch_vccnz .LBB47_264
; %bb.263:
	v_bfe_i32 v3, v2, 0, 8
	global_store_dword v[0:1], v3, off
.LBB47_264:
	s_mov_b64 s[36:37], 0
.LBB47_265:
	s_andn2_b64 vcc, exec, s[36:37]
	s_cbranch_vccnz .LBB47_267
; %bb.266:
	v_bfe_i32 v3, v2, 0, 8
	global_store_short v[0:1], v3, off
.LBB47_267:
	s_mov_b64 s[36:37], 0
.LBB47_268:
	s_andn2_b64 vcc, exec, s[36:37]
	s_cbranch_vccnz .LBB47_273
; %bb.269:
	s_cmp_gt_i32 s44, 0
	s_mov_b64 s[36:37], -1
	s_cbranch_scc0 .LBB47_271
; %bb.270:
	global_store_byte v[0:1], v2, off
	s_mov_b64 s[36:37], 0
.LBB47_271:
	s_andn2_b64 vcc, exec, s[36:37]
	s_cbranch_vccnz .LBB47_273
; %bb.272:
	global_store_byte v[0:1], v2, off
.LBB47_273:
	s_mov_b64 s[36:37], -1
.LBB47_274:
	s_andn2_b64 vcc, exec, s[36:37]
	s_cbranch_vccnz .LBB47_276
; %bb.275:
	v_add_u32_e32 v10, 0x80, v10
	s_mov_b64 s[44:45], -1
	s_branch .LBB47_385
.LBB47_276:
	s_mov_b64 s[44:45], 0
                                        ; implicit-def: $vgpr10
	s_branch .LBB47_385
.LBB47_277:
	s_mov_b64 s[38:39], -1
                                        ; implicit-def: $vgpr4
.LBB47_278:
	s_mov_b64 s[36:37], 0
.LBB47_279:
	s_and_b64 vcc, exec, s[36:37]
	s_cbranch_vccz .LBB47_283
; %bb.280:
	s_cmp_eq_u32 s45, 29
	s_cbranch_scc0 .LBB47_282
; %bb.281:
	global_load_dwordx2 v[4:5], v[2:3], off
	s_mov_b64 s[0:1], -1
	s_mov_b64 s[38:39], 0
	s_branch .LBB47_283
.LBB47_282:
	s_mov_b64 s[38:39], -1
                                        ; implicit-def: $vgpr4
.LBB47_283:
	s_mov_b64 s[36:37], 0
.LBB47_284:
	s_and_b64 vcc, exec, s[36:37]
	s_cbranch_vccz .LBB47_300
; %bb.285:
	s_cmp_lt_i32 s45, 27
	s_cbranch_scc1 .LBB47_288
; %bb.286:
	s_cmp_gt_i32 s45, 27
	s_cbranch_scc0 .LBB47_289
; %bb.287:
	global_load_dword v4, v[2:3], off
	s_mov_b64 s[0:1], 0
	s_branch .LBB47_290
.LBB47_288:
	s_mov_b64 s[0:1], -1
                                        ; implicit-def: $vgpr4
	s_branch .LBB47_293
.LBB47_289:
	s_mov_b64 s[0:1], -1
                                        ; implicit-def: $vgpr4
.LBB47_290:
	s_andn2_b64 vcc, exec, s[0:1]
	s_cbranch_vccnz .LBB47_292
; %bb.291:
	global_load_ushort v4, v[2:3], off
.LBB47_292:
	s_mov_b64 s[0:1], 0
.LBB47_293:
	s_andn2_b64 vcc, exec, s[0:1]
	s_cbranch_vccnz .LBB47_299
; %bb.294:
	global_load_ubyte v5, v[2:3], off
	s_movk_i32 s0, 0x7f
	s_mov_b64 s[36:37], 0
	s_waitcnt vmcnt(0)
	v_cmp_lt_i16_e32 vcc, s0, v5
	s_and_saveexec_b64 s[0:1], vcc
	s_xor_b64 s[0:1], exec, s[0:1]
	s_cbranch_execz .LBB47_311
; %bb.295:
	s_movk_i32 s36, 0x80
	v_cmp_ne_u16_e32 vcc, s36, v5
	s_and_b64 s[36:37], vcc, exec
	s_andn2_saveexec_b64 s[0:1], s[0:1]
	s_cbranch_execnz .LBB47_312
.LBB47_296:
	s_or_b64 exec, exec, s[0:1]
	v_mov_b32_e32 v4, 0
	s_and_saveexec_b64 s[0:1], s[36:37]
	s_cbranch_execz .LBB47_298
.LBB47_297:
	v_lshlrev_b32_e32 v4, 24, v5
	v_and_b32_e32 v5, 0xffff, v5
	v_and_b32_e32 v6, 7, v5
	v_ffbh_u32_e32 v8, v6
	v_min_u32_e32 v8, 32, v8
	v_subrev_u32_e32 v9, 28, v8
	v_bfe_u32 v7, v5, 3, 4
	v_lshlrev_b32_e32 v5, v9, v5
	v_sub_u32_e32 v8, 29, v8
	v_and_b32_e32 v5, 7, v5
	v_cmp_eq_u32_e32 vcc, 0, v7
	v_cndmask_b32_e32 v7, v7, v8, vcc
	v_cndmask_b32_e32 v5, v6, v5, vcc
	v_mov_b32_e32 v6, 0x3b800000
	v_lshlrev_b32_e32 v5, 20, v5
	v_and_b32_e32 v4, 0x80000000, v4
	v_lshl_add_u32 v6, v7, 23, v6
	v_or3_b32 v4, v4, v6, v5
	v_cvt_i32_f32_e32 v4, v4
.LBB47_298:
	s_or_b64 exec, exec, s[0:1]
.LBB47_299:
	s_mov_b64 s[0:1], -1
.LBB47_300:
	s_mov_b64 s[36:37], 0
.LBB47_301:
	s_and_b64 vcc, exec, s[36:37]
	s_cbranch_vccz .LBB47_334
; %bb.302:
	s_cmp_gt_i32 s45, 22
	s_cbranch_scc0 .LBB47_310
; %bb.303:
	s_cmp_lt_i32 s45, 24
	s_cbranch_scc1 .LBB47_313
; %bb.304:
	s_cmp_gt_i32 s45, 24
	s_cbranch_scc0 .LBB47_314
; %bb.305:
	global_load_ubyte v5, v[2:3], off
	s_movk_i32 s0, 0x7f
	s_mov_b64 s[36:37], 0
	s_waitcnt vmcnt(0)
	v_cmp_lt_i16_e32 vcc, s0, v5
	s_and_saveexec_b64 s[0:1], vcc
	s_xor_b64 s[0:1], exec, s[0:1]
	s_cbranch_execz .LBB47_326
; %bb.306:
	s_movk_i32 s36, 0x80
	v_cmp_ne_u16_e32 vcc, s36, v5
	s_and_b64 s[36:37], vcc, exec
	s_andn2_saveexec_b64 s[0:1], s[0:1]
	s_cbranch_execnz .LBB47_327
.LBB47_307:
	s_or_b64 exec, exec, s[0:1]
	v_mov_b32_e32 v4, 0
	s_and_saveexec_b64 s[0:1], s[36:37]
	s_cbranch_execz .LBB47_309
.LBB47_308:
	v_lshlrev_b32_e32 v4, 24, v5
	v_and_b32_e32 v5, 0xffff, v5
	v_and_b32_e32 v6, 3, v5
	v_ffbh_u32_e32 v8, v6
	v_min_u32_e32 v8, 32, v8
	v_subrev_u32_e32 v9, 29, v8
	v_bfe_u32 v7, v5, 2, 5
	v_lshlrev_b32_e32 v5, v9, v5
	v_sub_u32_e32 v8, 30, v8
	v_and_b32_e32 v5, 3, v5
	v_cmp_eq_u32_e32 vcc, 0, v7
	v_cndmask_b32_e32 v7, v7, v8, vcc
	v_cndmask_b32_e32 v5, v6, v5, vcc
	v_mov_b32_e32 v6, 0x37800000
	v_lshlrev_b32_e32 v5, 21, v5
	v_and_b32_e32 v4, 0x80000000, v4
	v_lshl_add_u32 v6, v7, 23, v6
	v_or3_b32 v4, v4, v6, v5
	v_cvt_i32_f32_e32 v4, v4
.LBB47_309:
	s_or_b64 exec, exec, s[0:1]
	s_mov_b64 s[0:1], 0
	s_branch .LBB47_315
.LBB47_310:
	s_mov_b64 s[36:37], -1
                                        ; implicit-def: $vgpr4
	s_branch .LBB47_321
.LBB47_311:
	s_andn2_saveexec_b64 s[0:1], s[0:1]
	s_cbranch_execz .LBB47_296
.LBB47_312:
	v_cmp_ne_u16_e32 vcc, 0, v5
	s_andn2_b64 s[36:37], s[36:37], exec
	s_and_b64 s[48:49], vcc, exec
	s_or_b64 s[36:37], s[36:37], s[48:49]
	s_or_b64 exec, exec, s[0:1]
	v_mov_b32_e32 v4, 0
	s_and_saveexec_b64 s[0:1], s[36:37]
	s_cbranch_execnz .LBB47_297
	s_branch .LBB47_298
.LBB47_313:
	s_mov_b64 s[0:1], -1
                                        ; implicit-def: $vgpr4
	s_branch .LBB47_318
.LBB47_314:
	s_mov_b64 s[0:1], -1
                                        ; implicit-def: $vgpr4
.LBB47_315:
	s_and_b64 vcc, exec, s[0:1]
	s_cbranch_vccz .LBB47_317
; %bb.316:
	global_load_ubyte v4, v[2:3], off
	s_mov_b32 s0, 0x7f800000
	s_waitcnt vmcnt(0)
	v_lshlrev_b32_e32 v4, 24, v4
	v_and_b32_e32 v5, 0x7f000000, v4
	v_ffbh_u32_e32 v6, v5
	v_min_u32_e32 v6, 32, v6
	v_sub_u32_e64 v6, v6, 4 clamp
	v_lshlrev_b32_e32 v8, v6, v5
	v_lshlrev_b32_e32 v6, 23, v6
	v_lshrrev_b32_e32 v8, 4, v8
	v_add_u32_e32 v7, 0x1000000, v5
	v_sub_u32_e32 v6, v8, v6
	v_ashrrev_i32_e32 v7, 8, v7
	v_add_u32_e32 v6, 0x3c000000, v6
	v_and_or_b32 v6, v7, s0, v6
	v_cmp_ne_u32_e32 vcc, 0, v5
	v_cndmask_b32_e32 v5, 0, v6, vcc
	s_brev_b32 s0, 1
	v_and_or_b32 v4, v4, s0, v5
	v_cvt_i32_f32_e32 v4, v4
.LBB47_317:
	s_mov_b64 s[0:1], 0
.LBB47_318:
	s_andn2_b64 vcc, exec, s[0:1]
	s_cbranch_vccnz .LBB47_320
; %bb.319:
	global_load_ubyte v4, v[2:3], off
	s_movk_i32 s0, 0x7f00
	s_brev_b32 s1, 16
	s_waitcnt vmcnt(0)
	v_lshlrev_b16_e32 v5, 8, v4
	v_lshlrev_b32_e32 v4, 25, v4
	v_lshrrev_b32_e32 v6, 4, v4
	v_and_or_b32 v7, v5, s0, 0.5
	v_or_b32_e32 v6, 0x70000000, v6
	v_add_f32_e32 v7, -0.5, v7
	v_mul_f32_e32 v6, 0x7800000, v6
	v_cmp_gt_u32_e32 vcc, s1, v4
	v_bfe_i32 v5, v5, 0, 16
	v_cndmask_b32_e32 v4, v6, v7, vcc
	s_brev_b32 s0, 1
	v_and_or_b32 v4, v5, s0, v4
	v_cvt_i32_f32_e32 v4, v4
.LBB47_320:
	s_mov_b64 s[36:37], 0
	s_mov_b64 s[0:1], -1
.LBB47_321:
	s_andn2_b64 vcc, exec, s[36:37]
	s_cbranch_vccnz .LBB47_334
; %bb.322:
	s_cmp_gt_i32 s45, 14
	s_cbranch_scc0 .LBB47_325
; %bb.323:
	s_cmp_eq_u32 s45, 15
	s_cbranch_scc0 .LBB47_328
; %bb.324:
	global_load_ushort v4, v[2:3], off
	s_mov_b64 s[0:1], -1
	s_mov_b64 s[38:39], 0
	s_waitcnt vmcnt(0)
	v_lshlrev_b32_e32 v4, 16, v4
	v_cvt_i32_f32_e32 v4, v4
	s_branch .LBB47_329
.LBB47_325:
	s_mov_b64 s[36:37], -1
                                        ; implicit-def: $vgpr4
	s_branch .LBB47_330
.LBB47_326:
	s_andn2_saveexec_b64 s[0:1], s[0:1]
	s_cbranch_execz .LBB47_307
.LBB47_327:
	v_cmp_ne_u16_e32 vcc, 0, v5
	s_andn2_b64 s[36:37], s[36:37], exec
	s_and_b64 s[48:49], vcc, exec
	s_or_b64 s[36:37], s[36:37], s[48:49]
	s_or_b64 exec, exec, s[0:1]
	v_mov_b32_e32 v4, 0
	s_and_saveexec_b64 s[0:1], s[36:37]
	s_cbranch_execnz .LBB47_308
	s_branch .LBB47_309
.LBB47_328:
	s_mov_b64 s[38:39], -1
                                        ; implicit-def: $vgpr4
.LBB47_329:
	s_mov_b64 s[36:37], 0
.LBB47_330:
	s_and_b64 vcc, exec, s[36:37]
	s_cbranch_vccz .LBB47_334
; %bb.331:
	s_cmp_eq_u32 s45, 11
	s_cbranch_scc0 .LBB47_333
; %bb.332:
	global_load_ubyte v4, v[2:3], off
	s_mov_b64 s[0:1], -1
	s_mov_b64 s[38:39], 0
	s_waitcnt vmcnt(0)
	v_cmp_ne_u16_e32 vcc, 0, v4
	v_cndmask_b32_e64 v4, 0, 1, vcc
	s_branch .LBB47_334
.LBB47_333:
	s_mov_b64 s[38:39], -1
                                        ; implicit-def: $vgpr4
.LBB47_334:
	s_branch .LBB47_31
.LBB47_335:
	s_and_b32 s36, 0xffff, s44
	s_cmp_lt_i32 s36, 5
	s_cbranch_scc1 .LBB47_340
; %bb.336:
	s_cmp_lt_i32 s36, 8
	s_cbranch_scc1 .LBB47_341
; %bb.337:
	;; [unrolled: 3-line block ×3, first 2 shown]
	s_cmp_gt_i32 s36, 9
	s_cbranch_scc0 .LBB47_343
; %bb.339:
	global_load_dwordx2 v[4:5], v[2:3], off
	s_mov_b64 s[0:1], 0
	s_waitcnt vmcnt(0)
	v_cvt_i32_f64_e32 v4, v[4:5]
	s_branch .LBB47_344
.LBB47_340:
	s_mov_b64 s[0:1], -1
                                        ; implicit-def: $vgpr4
	s_branch .LBB47_362
.LBB47_341:
	s_mov_b64 s[0:1], -1
                                        ; implicit-def: $vgpr4
	s_branch .LBB47_350
.LBB47_342:
	s_mov_b64 s[0:1], -1
                                        ; implicit-def: $vgpr4
	s_branch .LBB47_347
.LBB47_343:
	s_mov_b64 s[0:1], -1
                                        ; implicit-def: $vgpr4
.LBB47_344:
	s_andn2_b64 vcc, exec, s[0:1]
	s_cbranch_vccnz .LBB47_346
; %bb.345:
	global_load_dword v4, v[2:3], off
	s_waitcnt vmcnt(0)
	v_cvt_i32_f32_e32 v4, v4
.LBB47_346:
	s_mov_b64 s[0:1], 0
.LBB47_347:
	s_andn2_b64 vcc, exec, s[0:1]
	s_cbranch_vccnz .LBB47_349
; %bb.348:
	global_load_dword v4, v[2:3], off
	s_waitcnt vmcnt(0)
	v_cvt_i16_f16_e32 v4, v4
.LBB47_349:
	s_mov_b64 s[0:1], 0
.LBB47_350:
	s_andn2_b64 vcc, exec, s[0:1]
	s_cbranch_vccnz .LBB47_361
; %bb.351:
	s_cmp_lt_i32 s36, 6
	s_cbranch_scc1 .LBB47_354
; %bb.352:
	s_cmp_gt_i32 s36, 6
	s_cbranch_scc0 .LBB47_355
; %bb.353:
	global_load_dwordx2 v[4:5], v[2:3], off
	s_mov_b64 s[0:1], 0
	s_waitcnt vmcnt(0)
	v_cvt_i32_f64_e32 v4, v[4:5]
	s_branch .LBB47_356
.LBB47_354:
	s_mov_b64 s[0:1], -1
                                        ; implicit-def: $vgpr4
	s_branch .LBB47_359
.LBB47_355:
	s_mov_b64 s[0:1], -1
                                        ; implicit-def: $vgpr4
.LBB47_356:
	s_andn2_b64 vcc, exec, s[0:1]
	s_cbranch_vccnz .LBB47_358
; %bb.357:
	global_load_dword v4, v[2:3], off
	s_waitcnt vmcnt(0)
	v_cvt_i32_f32_e32 v4, v4
.LBB47_358:
	s_mov_b64 s[0:1], 0
.LBB47_359:
	s_andn2_b64 vcc, exec, s[0:1]
	s_cbranch_vccnz .LBB47_361
; %bb.360:
	global_load_ushort v4, v[2:3], off
	s_waitcnt vmcnt(0)
	v_cvt_i16_f16_e32 v4, v4
.LBB47_361:
	s_mov_b64 s[0:1], 0
.LBB47_362:
	s_andn2_b64 vcc, exec, s[0:1]
	s_cbranch_vccnz .LBB47_382
; %bb.363:
	s_cmp_lt_i32 s36, 2
	s_cbranch_scc1 .LBB47_367
; %bb.364:
	s_cmp_lt_i32 s36, 3
	s_cbranch_scc1 .LBB47_368
; %bb.365:
	s_cmp_gt_i32 s36, 3
	s_cbranch_scc0 .LBB47_369
; %bb.366:
	global_load_dwordx2 v[4:5], v[2:3], off
	s_mov_b64 s[0:1], 0
	s_branch .LBB47_370
.LBB47_367:
	s_mov_b64 s[0:1], -1
                                        ; implicit-def: $vgpr4
	s_branch .LBB47_376
.LBB47_368:
	s_mov_b64 s[0:1], -1
                                        ; implicit-def: $vgpr4
	s_branch .LBB47_373
.LBB47_369:
	s_mov_b64 s[0:1], -1
                                        ; implicit-def: $vgpr4
.LBB47_370:
	s_andn2_b64 vcc, exec, s[0:1]
	s_cbranch_vccnz .LBB47_372
; %bb.371:
	global_load_dword v4, v[2:3], off
.LBB47_372:
	s_mov_b64 s[0:1], 0
.LBB47_373:
	s_andn2_b64 vcc, exec, s[0:1]
	s_cbranch_vccnz .LBB47_375
; %bb.374:
	global_load_ushort v4, v[2:3], off
.LBB47_375:
	s_mov_b64 s[0:1], 0
.LBB47_376:
	s_andn2_b64 vcc, exec, s[0:1]
	s_cbranch_vccnz .LBB47_382
; %bb.377:
	s_cmp_gt_i32 s36, 0
	s_cbranch_scc0 .LBB47_379
; %bb.378:
	global_load_ubyte v4, v[2:3], off
	s_mov_b64 s[0:1], 0
	s_branch .LBB47_380
.LBB47_379:
	s_mov_b64 s[0:1], -1
                                        ; implicit-def: $vgpr4
.LBB47_380:
	s_andn2_b64 vcc, exec, s[0:1]
	s_cbranch_vccnz .LBB47_382
; %bb.381:
	global_load_ubyte v4, v[2:3], off
.LBB47_382:
	s_branch .LBB47_32
.LBB47_383:
	s_mov_b64 s[0:1], 0
.LBB47_384:
                                        ; implicit-def: $vgpr10
	s_mov_b64 s[44:45], 0
.LBB47_385:
	s_and_b64 s[36:37], s[0:1], exec
	s_and_b64 s[38:39], s[38:39], exec
	;; [unrolled: 1-line block ×3, first 2 shown]
	s_orn2_b64 s[0:1], s[44:45], exec
.LBB47_386:
	s_or_b64 exec, exec, s[42:43]
	s_mov_b64 s[50:51], 0
	s_mov_b64 s[48:49], 0
                                        ; implicit-def: $sgpr73
                                        ; implicit-def: $vgpr4_vgpr5
                                        ; implicit-def: $vgpr0
                                        ; implicit-def: $vgpr3
                                        ; implicit-def: $vgpr1
	s_and_saveexec_b64 s[42:43], s[0:1]
	s_cbranch_execz .LBB47_394
; %bb.387:
	v_cmp_gt_i32_e32 vcc, s66, v10
	s_mov_b64 s[0:1], -1
	s_mov_b64 s[44:45], s[40:41]
	s_mov_b64 s[46:47], s[38:39]
	;; [unrolled: 1-line block ×3, first 2 shown]
	s_and_saveexec_b64 s[50:51], vcc
	s_cbranch_execz .LBB47_779
; %bb.388:
	s_andn2_b64 vcc, exec, s[20:21]
	s_cbranch_vccnz .LBB47_397
; %bb.389:
	s_andn2_b64 vcc, exec, s[34:35]
	s_cbranch_vccnz .LBB47_398
; %bb.390:
	s_add_i32 s0, s72, 1
	s_and_b32 s44, s0, 30
	s_add_u32 s0, s2, 0xffffffe8
	s_addc_u32 s1, s3, -1
	v_mov_b32_e32 v3, 0
	s_waitcnt vmcnt(0)
	v_mov_b32_e32 v5, 0
	v_mov_b32_e32 v0, 0
	v_mov_b32_e32 v1, v10
.LBB47_391:                             ; =>This Inner Loop Header: Depth=1
	s_load_dwordx4 s[52:55], s[0:1], 0x1c
	s_load_dwordx2 s[46:47], s[0:1], 0x2c
	s_load_dwordx2 s[48:49], s[0:1], 0xec
	s_load_dwordx4 s[56:59], s[0:1], 0xdc
	s_add_u32 s0, s0, 24
	s_waitcnt lgkmcnt(0)
	v_mul_hi_u32 v2, s53, v1
	s_addc_u32 s1, s1, 0
	s_add_i32 s44, s44, -2
	s_cmp_eq_u32 s44, 0
	v_add_u32_e32 v2, v1, v2
	v_lshrrev_b32_e32 v2, s54, v2
	v_mul_lo_u32 v4, v2, s52
	v_mul_hi_u32 v6, s46, v2
	v_sub_u32_e32 v4, v1, v4
	v_add_u32_e32 v1, v2, v6
	v_lshrrev_b32_e32 v1, s47, v1
	v_mul_lo_u32 v8, v1, s55
	v_mul_lo_u32 v6, v4, s56
	;; [unrolled: 1-line block ×4, first 2 shown]
	v_sub_u32_e32 v2, v2, v8
	v_mul_lo_u32 v8, v2, s59
	v_mul_lo_u32 v9, v2, s48
	;; [unrolled: 1-line block ×3, first 2 shown]
	v_add3_u32 v0, v6, v0, v8
	v_add3_u32 v5, v7, v5, v9
	;; [unrolled: 1-line block ×3, first 2 shown]
	s_cbranch_scc0 .LBB47_391
; %bb.392:
	s_bitcmp1_b32 s72, 0
	s_cselect_b64 s[44:45], -1, 0
	s_and_b64 vcc, exec, s[44:45]
	s_cbranch_vccnz .LBB47_399
; %bb.393:
	s_load_dwordx2 s[44:45], s[0:1], 0x1c
	s_load_dword s48, s[0:1], 0x24
	s_load_dwordx2 s[46:47], s[0:1], 0xdc
	s_waitcnt lgkmcnt(0)
	v_mul_hi_u32 v2, s45, v1
	v_add_u32_e32 v2, v1, v2
	v_lshrrev_b32_e32 v2, s48, v2
	v_mul_lo_u32 v2, v2, s44
	s_load_dword s44, s[0:1], 0xe4
	v_sub_u32_e32 v2, v1, v2
	v_mad_u64_u32 v[0:1], s[0:1], v2, s46, v[0:1]
	v_mad_u64_u32 v[5:6], s[0:1], v2, s47, v[5:6]
	s_waitcnt lgkmcnt(0)
	v_mad_u64_u32 v[3:4], s[0:1], v2, s44, v[3:4]
	s_branch .LBB47_399
.LBB47_394:
	s_or_b64 exec, exec, s[42:43]
	s_waitcnt lgkmcnt(0)
	s_mov_b64 s[10:11], 0
	s_and_saveexec_b64 s[0:1], s[40:41]
	s_cbranch_execnz .LBB47_1265
.LBB47_395:
	s_or_b64 exec, exec, s[0:1]
	s_and_saveexec_b64 s[0:1], s[46:47]
	s_xor_b64 s[0:1], exec, s[0:1]
	s_cbranch_execz .LBB47_1266
.LBB47_396:
	s_waitcnt vmcnt(0)
	global_load_ubyte v1, v[4:5], off
	s_or_b64 s[48:49], s[48:49], exec
	s_waitcnt vmcnt(0)
	v_cmp_ne_u16_e32 vcc, 0, v1
	v_cndmask_b32_e64 v1, 0, 1, vcc
	s_or_b64 exec, exec, s[0:1]
	s_and_saveexec_b64 s[0:1], s[50:51]
	s_cbranch_execz .LBB47_1312
	s_branch .LBB47_1267
.LBB47_397:
                                        ; implicit-def: $vgpr0
                                        ; implicit-def: $vgpr5
                                        ; implicit-def: $vgpr3
	s_andn2_b64 vcc, exec, s[0:1]
	s_cbranch_vccz .LBB47_400
	s_branch .LBB47_402
.LBB47_398:
	v_mov_b32_e32 v0, 0
	s_waitcnt vmcnt(0)
	v_mov_b32_e32 v5, 0
	v_mov_b32_e32 v3, 0
.LBB47_399:
	s_cbranch_execnz .LBB47_402
.LBB47_400:
	s_waitcnt lgkmcnt(0)
	v_mul_hi_u32 v0, s17, v10
	s_andn2_b64 vcc, exec, s[30:31]
	v_add_u32_e32 v0, v10, v0
	s_waitcnt vmcnt(0)
	v_lshrrev_b32_e32 v1, s18, v0
	v_mul_lo_u32 v0, v1, s16
	v_sub_u32_e32 v2, v10, v0
	v_mul_lo_u32 v0, v2, s12
	v_mul_lo_u32 v5, v2, s13
	;; [unrolled: 1-line block ×3, first 2 shown]
	s_cbranch_vccnz .LBB47_402
; %bb.401:
	v_mul_hi_u32 v2, s28, v1
	v_add_u32_e32 v2, v1, v2
	v_lshrrev_b32_e32 v2, s29, v2
	v_mul_lo_u32 v2, v2, s19
	v_sub_u32_e32 v2, v1, v2
	v_mad_u64_u32 v[0:1], s[0:1], v2, s15, v[0:1]
	v_mad_u64_u32 v[5:6], s[0:1], v2, s26, v[5:6]
	;; [unrolled: 1-line block ×3, first 2 shown]
.LBB47_402:
	s_waitcnt vmcnt(0) lgkmcnt(0)
	v_mov_b32_e32 v1, s11
	s_and_b32 s48, s71, 0xff
	v_add_co_u32_e32 v4, vcc, s10, v5
	s_cmp_lt_i32 s48, 11
	v_addc_co_u32_e32 v5, vcc, 0, v1, vcc
	s_cbranch_scc1 .LBB47_409
; %bb.403:
	s_and_b32 s49, 0xffff, s48
	s_cmp_gt_i32 s49, 25
	s_cbranch_scc0 .LBB47_418
; %bb.404:
	s_cmp_gt_i32 s49, 28
	s_cbranch_scc0 .LBB47_420
; %bb.405:
	;; [unrolled: 3-line block ×4, first 2 shown]
	s_cmp_eq_u32 s49, 46
	s_mov_b64 s[46:47], 0
	s_cbranch_scc0 .LBB47_428
; %bb.408:
	global_load_dword v1, v[4:5], off
	s_mov_b64 s[0:1], -1
	s_mov_b64 s[44:45], 0
	s_waitcnt vmcnt(0)
	v_lshlrev_b32_e32 v1, 16, v1
	v_cvt_i32_f32_e32 v1, v1
	s_branch .LBB47_429
.LBB47_409:
	s_mov_b64 s[0:1], 0
                                        ; implicit-def: $vgpr1
	s_mov_b64 s[44:45], s[40:41]
	s_cbranch_execnz .LBB47_491
.LBB47_410:
	s_andn2_b64 vcc, exec, s[0:1]
	s_cbranch_vccnz .LBB47_539
.LBB47_411:
	v_mov_b32_e32 v4, s25
	s_and_b32 s52, s70, 0xff
	s_waitcnt vmcnt(0)
	v_add_co_u32_e32 v2, vcc, s24, v3
	s_cmp_lt_i32 s52, 11
	v_addc_co_u32_e32 v3, vcc, 0, v4, vcc
	s_cbranch_scc1 .LBB47_419
; %bb.412:
	s_and_b32 s53, 0xffff, s52
	s_cmp_gt_i32 s53, 25
	s_cbranch_scc0 .LBB47_421
; %bb.413:
	s_cmp_gt_i32 s53, 28
	s_cbranch_scc0 .LBB47_423
; %bb.414:
	;; [unrolled: 3-line block ×4, first 2 shown]
	s_cmp_eq_u32 s53, 46
	s_mov_b64 s[48:49], 0
	s_cbranch_scc0 .LBB47_543
; %bb.417:
	global_load_dword v4, v[2:3], off
	s_mov_b64 s[0:1], -1
	s_mov_b64 s[46:47], 0
	s_waitcnt vmcnt(0)
	v_lshlrev_b32_e32 v4, 16, v4
	v_cvt_i32_f32_e32 v4, v4
	s_branch .LBB47_544
.LBB47_418:
	s_mov_b64 s[46:47], -1
	s_mov_b64 s[0:1], 0
	s_mov_b64 s[44:45], s[40:41]
                                        ; implicit-def: $vgpr1
	s_branch .LBB47_457
.LBB47_419:
	s_mov_b64 s[48:49], -1
	s_mov_b64 s[0:1], 0
                                        ; implicit-def: $vgpr4
	s_mov_b64 s[46:47], s[38:39]
	s_branch .LBB47_605
.LBB47_420:
	s_mov_b64 s[46:47], -1
	s_mov_b64 s[0:1], 0
	s_mov_b64 s[44:45], s[40:41]
                                        ; implicit-def: $vgpr1
	s_branch .LBB47_440
.LBB47_421:
	s_mov_b64 s[48:49], -1
	s_mov_b64 s[0:1], 0
	s_mov_b64 s[46:47], s[38:39]
                                        ; implicit-def: $vgpr4
	s_branch .LBB47_571
.LBB47_422:
	s_mov_b64 s[46:47], -1
	s_mov_b64 s[0:1], 0
	s_mov_b64 s[44:45], s[40:41]
                                        ; implicit-def: $vgpr1
	s_branch .LBB47_435
.LBB47_423:
	s_mov_b64 s[48:49], -1
	s_mov_b64 s[0:1], 0
	s_mov_b64 s[46:47], s[38:39]
                                        ; implicit-def: $vgpr4
	s_branch .LBB47_554
.LBB47_424:
	s_mov_b64 s[46:47], -1
	s_mov_b64 s[0:1], 0
	s_mov_b64 s[44:45], s[40:41]
                                        ; implicit-def: $vgpr1
	s_branch .LBB47_429
.LBB47_425:
	s_mov_b64 s[48:49], -1
	s_mov_b64 s[0:1], 0
	s_mov_b64 s[46:47], s[38:39]
                                        ; implicit-def: $vgpr4
	s_branch .LBB47_549
.LBB47_426:
	s_andn2_saveexec_b64 s[48:49], s[48:49]
	s_cbranch_execz .LBB47_187
.LBB47_427:
	s_mov_b32 s52, 0x46000000
	v_add_f32_e64 v4, |v3|, s52
	v_and_b32_e32 v4, 0xff, v4
	v_cmp_ne_u32_e32 vcc, 0, v4
	s_andn2_b64 s[44:45], s[44:45], exec
	s_and_b64 s[52:53], vcc, exec
	s_or_b64 s[44:45], s[44:45], s[52:53]
	s_or_b64 exec, exec, s[48:49]
	v_mov_b32_e32 v5, 0
	s_and_saveexec_b64 s[48:49], s[44:45]
	s_cbranch_execnz .LBB47_188
	s_branch .LBB47_189
.LBB47_428:
	s_mov_b64 s[44:45], -1
                                        ; implicit-def: $vgpr1
	s_mov_b64 s[0:1], 0
.LBB47_429:
	s_and_b64 vcc, exec, s[46:47]
	s_cbranch_vccz .LBB47_434
; %bb.430:
	s_cmp_eq_u32 s49, 44
	s_cbranch_scc0 .LBB47_433
; %bb.431:
	global_load_ubyte v1, v[4:5], off
	s_mov_b64 s[0:1], -1
	s_mov_b64 s[44:45], 0
	s_waitcnt vmcnt(0)
	v_lshlrev_b32_e32 v2, 23, v1
	v_cvt_i32_f32_e32 v2, v2
	v_cmp_ne_u32_e32 vcc, 0, v1
	v_cndmask_b32_e32 v1, 0, v2, vcc
	s_branch .LBB47_434
.LBB47_432:
	s_mov_b64 s[48:49], -1
	s_mov_b64 s[0:1], 0
	s_mov_b64 s[46:47], s[38:39]
                                        ; implicit-def: $vgpr4
	s_branch .LBB47_544
.LBB47_433:
	s_mov_b64 s[44:45], -1
                                        ; implicit-def: $vgpr1
.LBB47_434:
	s_mov_b64 s[46:47], 0
.LBB47_435:
	s_and_b64 vcc, exec, s[46:47]
	s_cbranch_vccz .LBB47_439
; %bb.436:
	s_cmp_eq_u32 s49, 29
	s_cbranch_scc0 .LBB47_438
; %bb.437:
	global_load_dwordx2 v[1:2], v[4:5], off
	s_mov_b64 s[0:1], -1
	s_mov_b64 s[44:45], 0
	s_branch .LBB47_439
.LBB47_438:
	s_mov_b64 s[44:45], -1
                                        ; implicit-def: $vgpr1
.LBB47_439:
	s_mov_b64 s[46:47], 0
.LBB47_440:
	s_and_b64 vcc, exec, s[46:47]
	s_cbranch_vccz .LBB47_456
; %bb.441:
	s_cmp_lt_i32 s49, 27
	s_cbranch_scc1 .LBB47_444
; %bb.442:
	s_cmp_gt_i32 s49, 27
	s_cbranch_scc0 .LBB47_445
; %bb.443:
	global_load_dword v1, v[4:5], off
	s_mov_b64 s[0:1], 0
	s_branch .LBB47_446
.LBB47_444:
	s_mov_b64 s[0:1], -1
                                        ; implicit-def: $vgpr1
	s_branch .LBB47_449
.LBB47_445:
	s_mov_b64 s[0:1], -1
                                        ; implicit-def: $vgpr1
.LBB47_446:
	s_andn2_b64 vcc, exec, s[0:1]
	s_cbranch_vccnz .LBB47_448
; %bb.447:
	global_load_ushort v1, v[4:5], off
.LBB47_448:
	s_mov_b64 s[0:1], 0
.LBB47_449:
	s_andn2_b64 vcc, exec, s[0:1]
	s_cbranch_vccnz .LBB47_455
; %bb.450:
	global_load_ubyte v2, v[4:5], off
	s_movk_i32 s0, 0x7f
	s_mov_b64 s[46:47], 0
	s_waitcnt vmcnt(0)
	v_cmp_lt_i16_e32 vcc, s0, v2
	s_and_saveexec_b64 s[0:1], vcc
	s_xor_b64 s[0:1], exec, s[0:1]
	s_cbranch_execz .LBB47_467
; %bb.451:
	s_movk_i32 s46, 0x80
	v_cmp_ne_u16_e32 vcc, s46, v2
	s_and_b64 s[46:47], vcc, exec
	s_andn2_saveexec_b64 s[0:1], s[0:1]
	s_cbranch_execnz .LBB47_468
.LBB47_452:
	s_or_b64 exec, exec, s[0:1]
	v_mov_b32_e32 v1, 0
	s_and_saveexec_b64 s[0:1], s[46:47]
	s_cbranch_execz .LBB47_454
.LBB47_453:
	v_lshlrev_b32_e32 v1, 24, v2
	v_and_b32_e32 v2, 0xffff, v2
	v_and_b32_e32 v6, 7, v2
	v_ffbh_u32_e32 v8, v6
	v_min_u32_e32 v8, 32, v8
	v_subrev_u32_e32 v9, 28, v8
	v_bfe_u32 v7, v2, 3, 4
	v_lshlrev_b32_e32 v2, v9, v2
	v_sub_u32_e32 v8, 29, v8
	v_and_b32_e32 v2, 7, v2
	v_cmp_eq_u32_e32 vcc, 0, v7
	v_cndmask_b32_e32 v7, v7, v8, vcc
	v_cndmask_b32_e32 v2, v6, v2, vcc
	v_mov_b32_e32 v6, 0x3b800000
	v_lshlrev_b32_e32 v2, 20, v2
	v_and_b32_e32 v1, 0x80000000, v1
	v_lshl_add_u32 v6, v7, 23, v6
	v_or3_b32 v1, v1, v6, v2
	v_cvt_i32_f32_e32 v1, v1
.LBB47_454:
	s_or_b64 exec, exec, s[0:1]
.LBB47_455:
	s_mov_b64 s[0:1], -1
.LBB47_456:
	s_mov_b64 s[46:47], 0
.LBB47_457:
	s_and_b64 vcc, exec, s[46:47]
	s_cbranch_vccz .LBB47_490
; %bb.458:
	s_cmp_gt_i32 s49, 22
	s_cbranch_scc0 .LBB47_466
; %bb.459:
	s_cmp_lt_i32 s49, 24
	s_cbranch_scc1 .LBB47_469
; %bb.460:
	s_cmp_gt_i32 s49, 24
	s_cbranch_scc0 .LBB47_470
; %bb.461:
	global_load_ubyte v2, v[4:5], off
	s_movk_i32 s0, 0x7f
	s_mov_b64 s[46:47], 0
	s_waitcnt vmcnt(0)
	v_cmp_lt_i16_e32 vcc, s0, v2
	s_and_saveexec_b64 s[0:1], vcc
	s_xor_b64 s[0:1], exec, s[0:1]
	s_cbranch_execz .LBB47_482
; %bb.462:
	s_movk_i32 s46, 0x80
	v_cmp_ne_u16_e32 vcc, s46, v2
	s_and_b64 s[46:47], vcc, exec
	s_andn2_saveexec_b64 s[0:1], s[0:1]
	s_cbranch_execnz .LBB47_483
.LBB47_463:
	s_or_b64 exec, exec, s[0:1]
	v_mov_b32_e32 v1, 0
	s_and_saveexec_b64 s[0:1], s[46:47]
	s_cbranch_execz .LBB47_465
.LBB47_464:
	v_lshlrev_b32_e32 v1, 24, v2
	v_and_b32_e32 v2, 0xffff, v2
	v_and_b32_e32 v6, 3, v2
	v_ffbh_u32_e32 v8, v6
	v_min_u32_e32 v8, 32, v8
	v_subrev_u32_e32 v9, 29, v8
	v_bfe_u32 v7, v2, 2, 5
	v_lshlrev_b32_e32 v2, v9, v2
	v_sub_u32_e32 v8, 30, v8
	v_and_b32_e32 v2, 3, v2
	v_cmp_eq_u32_e32 vcc, 0, v7
	v_cndmask_b32_e32 v7, v7, v8, vcc
	v_cndmask_b32_e32 v2, v6, v2, vcc
	v_mov_b32_e32 v6, 0x37800000
	v_lshlrev_b32_e32 v2, 21, v2
	v_and_b32_e32 v1, 0x80000000, v1
	v_lshl_add_u32 v6, v7, 23, v6
	v_or3_b32 v1, v1, v6, v2
	v_cvt_i32_f32_e32 v1, v1
.LBB47_465:
	s_or_b64 exec, exec, s[0:1]
	s_mov_b64 s[0:1], 0
	s_branch .LBB47_471
.LBB47_466:
	s_mov_b64 s[46:47], -1
                                        ; implicit-def: $vgpr1
	s_branch .LBB47_477
.LBB47_467:
	s_andn2_saveexec_b64 s[0:1], s[0:1]
	s_cbranch_execz .LBB47_452
.LBB47_468:
	v_cmp_ne_u16_e32 vcc, 0, v2
	s_andn2_b64 s[46:47], s[46:47], exec
	s_and_b64 s[52:53], vcc, exec
	s_or_b64 s[46:47], s[46:47], s[52:53]
	s_or_b64 exec, exec, s[0:1]
	v_mov_b32_e32 v1, 0
	s_and_saveexec_b64 s[0:1], s[46:47]
	s_cbranch_execnz .LBB47_453
	s_branch .LBB47_454
.LBB47_469:
	s_mov_b64 s[0:1], -1
                                        ; implicit-def: $vgpr1
	s_branch .LBB47_474
.LBB47_470:
	s_mov_b64 s[0:1], -1
                                        ; implicit-def: $vgpr1
.LBB47_471:
	s_and_b64 vcc, exec, s[0:1]
	s_cbranch_vccz .LBB47_473
; %bb.472:
	global_load_ubyte v1, v[4:5], off
	s_mov_b32 s0, 0x7f800000
	s_waitcnt vmcnt(0)
	v_lshlrev_b32_e32 v1, 24, v1
	v_and_b32_e32 v2, 0x7f000000, v1
	v_ffbh_u32_e32 v6, v2
	v_min_u32_e32 v6, 32, v6
	v_sub_u32_e64 v6, v6, 4 clamp
	v_lshlrev_b32_e32 v8, v6, v2
	v_lshlrev_b32_e32 v6, 23, v6
	v_lshrrev_b32_e32 v8, 4, v8
	v_add_u32_e32 v7, 0x1000000, v2
	v_sub_u32_e32 v6, v8, v6
	v_ashrrev_i32_e32 v7, 8, v7
	v_add_u32_e32 v6, 0x3c000000, v6
	v_and_or_b32 v6, v7, s0, v6
	v_cmp_ne_u32_e32 vcc, 0, v2
	v_cndmask_b32_e32 v2, 0, v6, vcc
	s_brev_b32 s0, 1
	v_and_or_b32 v1, v1, s0, v2
	v_cvt_i32_f32_e32 v1, v1
.LBB47_473:
	s_mov_b64 s[0:1], 0
.LBB47_474:
	s_andn2_b64 vcc, exec, s[0:1]
	s_cbranch_vccnz .LBB47_476
; %bb.475:
	global_load_ubyte v1, v[4:5], off
	s_movk_i32 s0, 0x7f00
	s_brev_b32 s1, 16
	s_waitcnt vmcnt(0)
	v_lshlrev_b16_e32 v2, 8, v1
	v_lshlrev_b32_e32 v1, 25, v1
	v_lshrrev_b32_e32 v6, 4, v1
	v_and_or_b32 v7, v2, s0, 0.5
	v_or_b32_e32 v6, 0x70000000, v6
	v_add_f32_e32 v7, -0.5, v7
	v_mul_f32_e32 v6, 0x7800000, v6
	v_cmp_gt_u32_e32 vcc, s1, v1
	v_bfe_i32 v2, v2, 0, 16
	v_cndmask_b32_e32 v1, v6, v7, vcc
	s_brev_b32 s0, 1
	v_and_or_b32 v1, v2, s0, v1
	v_cvt_i32_f32_e32 v1, v1
.LBB47_476:
	s_mov_b64 s[46:47], 0
	s_mov_b64 s[0:1], -1
.LBB47_477:
	s_andn2_b64 vcc, exec, s[46:47]
	s_cbranch_vccnz .LBB47_490
; %bb.478:
	s_cmp_gt_i32 s49, 14
	s_cbranch_scc0 .LBB47_481
; %bb.479:
	s_cmp_eq_u32 s49, 15
	s_cbranch_scc0 .LBB47_484
; %bb.480:
	global_load_ushort v1, v[4:5], off
	s_mov_b64 s[0:1], -1
	s_mov_b64 s[44:45], 0
	s_waitcnt vmcnt(0)
	v_lshlrev_b32_e32 v1, 16, v1
	v_cvt_i32_f32_e32 v1, v1
	s_branch .LBB47_485
.LBB47_481:
	s_mov_b64 s[46:47], -1
                                        ; implicit-def: $vgpr1
	s_branch .LBB47_486
.LBB47_482:
	s_andn2_saveexec_b64 s[0:1], s[0:1]
	s_cbranch_execz .LBB47_463
.LBB47_483:
	v_cmp_ne_u16_e32 vcc, 0, v2
	s_andn2_b64 s[46:47], s[46:47], exec
	s_and_b64 s[52:53], vcc, exec
	s_or_b64 s[46:47], s[46:47], s[52:53]
	s_or_b64 exec, exec, s[0:1]
	v_mov_b32_e32 v1, 0
	s_and_saveexec_b64 s[0:1], s[46:47]
	s_cbranch_execnz .LBB47_464
	s_branch .LBB47_465
.LBB47_484:
	s_mov_b64 s[44:45], -1
                                        ; implicit-def: $vgpr1
.LBB47_485:
	s_mov_b64 s[46:47], 0
.LBB47_486:
	s_and_b64 vcc, exec, s[46:47]
	s_cbranch_vccz .LBB47_490
; %bb.487:
	s_cmp_eq_u32 s49, 11
	s_cbranch_scc0 .LBB47_489
; %bb.488:
	global_load_ubyte v1, v[4:5], off
	s_mov_b64 s[0:1], -1
	s_mov_b64 s[44:45], 0
	s_waitcnt vmcnt(0)
	v_cmp_ne_u16_e32 vcc, 0, v1
	v_cndmask_b32_e64 v1, 0, 1, vcc
	s_branch .LBB47_490
.LBB47_489:
	s_mov_b64 s[44:45], -1
                                        ; implicit-def: $vgpr1
.LBB47_490:
	s_branch .LBB47_410
.LBB47_491:
	s_and_b32 s46, 0xffff, s48
	s_cmp_lt_i32 s46, 5
	s_cbranch_scc1 .LBB47_496
; %bb.492:
	s_cmp_lt_i32 s46, 8
	s_cbranch_scc1 .LBB47_497
; %bb.493:
	;; [unrolled: 3-line block ×3, first 2 shown]
	s_cmp_gt_i32 s46, 9
	s_cbranch_scc0 .LBB47_499
; %bb.495:
	global_load_dwordx2 v[1:2], v[4:5], off
	s_mov_b64 s[0:1], 0
	s_waitcnt vmcnt(0)
	v_cvt_i32_f64_e32 v1, v[1:2]
	s_branch .LBB47_500
.LBB47_496:
	s_mov_b64 s[0:1], -1
                                        ; implicit-def: $vgpr1
	s_branch .LBB47_518
.LBB47_497:
	s_mov_b64 s[0:1], -1
                                        ; implicit-def: $vgpr1
	s_branch .LBB47_506
.LBB47_498:
	s_mov_b64 s[0:1], -1
                                        ; implicit-def: $vgpr1
	s_branch .LBB47_503
.LBB47_499:
	s_mov_b64 s[0:1], -1
                                        ; implicit-def: $vgpr1
.LBB47_500:
	s_andn2_b64 vcc, exec, s[0:1]
	s_cbranch_vccnz .LBB47_502
; %bb.501:
	global_load_dword v1, v[4:5], off
	s_waitcnt vmcnt(0)
	v_cvt_i32_f32_e32 v1, v1
.LBB47_502:
	s_mov_b64 s[0:1], 0
.LBB47_503:
	s_andn2_b64 vcc, exec, s[0:1]
	s_cbranch_vccnz .LBB47_505
; %bb.504:
	global_load_dword v1, v[4:5], off
	s_waitcnt vmcnt(0)
	v_cvt_i16_f16_e32 v1, v1
.LBB47_505:
	s_mov_b64 s[0:1], 0
.LBB47_506:
	s_andn2_b64 vcc, exec, s[0:1]
	s_cbranch_vccnz .LBB47_517
; %bb.507:
	s_cmp_lt_i32 s46, 6
	s_cbranch_scc1 .LBB47_510
; %bb.508:
	s_cmp_gt_i32 s46, 6
	s_cbranch_scc0 .LBB47_511
; %bb.509:
	global_load_dwordx2 v[1:2], v[4:5], off
	s_mov_b64 s[0:1], 0
	s_waitcnt vmcnt(0)
	v_cvt_i32_f64_e32 v1, v[1:2]
	s_branch .LBB47_512
.LBB47_510:
	s_mov_b64 s[0:1], -1
                                        ; implicit-def: $vgpr1
	s_branch .LBB47_515
.LBB47_511:
	s_mov_b64 s[0:1], -1
                                        ; implicit-def: $vgpr1
.LBB47_512:
	s_andn2_b64 vcc, exec, s[0:1]
	s_cbranch_vccnz .LBB47_514
; %bb.513:
	global_load_dword v1, v[4:5], off
	s_waitcnt vmcnt(0)
	v_cvt_i32_f32_e32 v1, v1
.LBB47_514:
	s_mov_b64 s[0:1], 0
.LBB47_515:
	s_andn2_b64 vcc, exec, s[0:1]
	s_cbranch_vccnz .LBB47_517
; %bb.516:
	global_load_ushort v1, v[4:5], off
	s_waitcnt vmcnt(0)
	v_cvt_i16_f16_e32 v1, v1
.LBB47_517:
	s_mov_b64 s[0:1], 0
.LBB47_518:
	s_andn2_b64 vcc, exec, s[0:1]
	s_cbranch_vccnz .LBB47_538
; %bb.519:
	s_cmp_lt_i32 s46, 2
	s_cbranch_scc1 .LBB47_523
; %bb.520:
	s_cmp_lt_i32 s46, 3
	s_cbranch_scc1 .LBB47_524
; %bb.521:
	s_cmp_gt_i32 s46, 3
	s_cbranch_scc0 .LBB47_525
; %bb.522:
	global_load_dwordx2 v[1:2], v[4:5], off
	s_mov_b64 s[0:1], 0
	s_branch .LBB47_526
.LBB47_523:
	s_mov_b64 s[0:1], -1
                                        ; implicit-def: $vgpr1
	s_branch .LBB47_532
.LBB47_524:
	s_mov_b64 s[0:1], -1
                                        ; implicit-def: $vgpr1
	s_branch .LBB47_529
.LBB47_525:
	s_mov_b64 s[0:1], -1
                                        ; implicit-def: $vgpr1
.LBB47_526:
	s_andn2_b64 vcc, exec, s[0:1]
	s_cbranch_vccnz .LBB47_528
; %bb.527:
	global_load_dword v1, v[4:5], off
.LBB47_528:
	s_mov_b64 s[0:1], 0
.LBB47_529:
	s_andn2_b64 vcc, exec, s[0:1]
	s_cbranch_vccnz .LBB47_531
; %bb.530:
	global_load_ushort v1, v[4:5], off
.LBB47_531:
	s_mov_b64 s[0:1], 0
.LBB47_532:
	s_andn2_b64 vcc, exec, s[0:1]
	s_cbranch_vccnz .LBB47_538
; %bb.533:
	s_cmp_gt_i32 s46, 0
	s_cbranch_scc0 .LBB47_535
; %bb.534:
	global_load_ubyte v1, v[4:5], off
	s_mov_b64 s[0:1], 0
	s_branch .LBB47_536
.LBB47_535:
	s_mov_b64 s[0:1], -1
                                        ; implicit-def: $vgpr1
.LBB47_536:
	s_andn2_b64 vcc, exec, s[0:1]
	s_cbranch_vccnz .LBB47_538
; %bb.537:
	global_load_ubyte v1, v[4:5], off
.LBB47_538:
	s_branch .LBB47_411
.LBB47_539:
	s_mov_b64 s[52:53], 0
	s_mov_b64 s[0:1], s[36:37]
	;; [unrolled: 1-line block ×3, first 2 shown]
.LBB47_540:
                                        ; implicit-def: $vgpr10
	s_branch .LBB47_778
.LBB47_541:
	s_andn2_saveexec_b64 s[48:49], s[48:49]
	s_cbranch_execz .LBB47_200
.LBB47_542:
	s_mov_b32 s52, 0x42800000
	v_add_f32_e64 v4, |v3|, s52
	v_and_b32_e32 v4, 0xff, v4
	v_cmp_ne_u32_e32 vcc, 0, v4
	s_andn2_b64 s[44:45], s[44:45], exec
	s_and_b64 s[52:53], vcc, exec
	s_or_b64 s[44:45], s[44:45], s[52:53]
	s_or_b64 exec, exec, s[48:49]
	v_mov_b32_e32 v5, 0
	s_and_saveexec_b64 s[48:49], s[44:45]
	s_cbranch_execnz .LBB47_201
	s_branch .LBB47_202
.LBB47_543:
	s_mov_b64 s[46:47], -1
                                        ; implicit-def: $vgpr4
	s_mov_b64 s[0:1], 0
.LBB47_544:
	s_and_b64 vcc, exec, s[48:49]
	s_cbranch_vccz .LBB47_548
; %bb.545:
	s_cmp_eq_u32 s53, 44
	s_cbranch_scc0 .LBB47_547
; %bb.546:
	global_load_ubyte v4, v[2:3], off
	s_mov_b64 s[0:1], -1
	s_mov_b64 s[46:47], 0
	s_waitcnt vmcnt(0)
	v_lshlrev_b32_e32 v5, 23, v4
	v_cvt_i32_f32_e32 v5, v5
	v_cmp_ne_u32_e32 vcc, 0, v4
	v_cndmask_b32_e32 v4, 0, v5, vcc
	s_branch .LBB47_548
.LBB47_547:
	s_mov_b64 s[46:47], -1
                                        ; implicit-def: $vgpr4
.LBB47_548:
	s_mov_b64 s[48:49], 0
.LBB47_549:
	s_and_b64 vcc, exec, s[48:49]
	s_cbranch_vccz .LBB47_553
; %bb.550:
	s_cmp_eq_u32 s53, 29
	s_cbranch_scc0 .LBB47_552
; %bb.551:
	global_load_dwordx2 v[4:5], v[2:3], off
	s_mov_b64 s[0:1], -1
	s_mov_b64 s[46:47], 0
	s_branch .LBB47_553
.LBB47_552:
	s_mov_b64 s[46:47], -1
                                        ; implicit-def: $vgpr4
.LBB47_553:
	s_mov_b64 s[48:49], 0
.LBB47_554:
	s_and_b64 vcc, exec, s[48:49]
	s_cbranch_vccz .LBB47_570
; %bb.555:
	s_cmp_lt_i32 s53, 27
	s_cbranch_scc1 .LBB47_558
; %bb.556:
	s_cmp_gt_i32 s53, 27
	s_cbranch_scc0 .LBB47_559
; %bb.557:
	global_load_dword v4, v[2:3], off
	s_mov_b64 s[0:1], 0
	s_branch .LBB47_560
.LBB47_558:
	s_mov_b64 s[0:1], -1
                                        ; implicit-def: $vgpr4
	s_branch .LBB47_563
.LBB47_559:
	s_mov_b64 s[0:1], -1
                                        ; implicit-def: $vgpr4
.LBB47_560:
	s_andn2_b64 vcc, exec, s[0:1]
	s_cbranch_vccnz .LBB47_562
; %bb.561:
	global_load_ushort v4, v[2:3], off
.LBB47_562:
	s_mov_b64 s[0:1], 0
.LBB47_563:
	s_andn2_b64 vcc, exec, s[0:1]
	s_cbranch_vccnz .LBB47_569
; %bb.564:
	global_load_ubyte v5, v[2:3], off
	s_movk_i32 s0, 0x7f
	s_mov_b64 s[48:49], 0
	s_waitcnt vmcnt(0)
	v_cmp_lt_i16_e32 vcc, s0, v5
	s_and_saveexec_b64 s[0:1], vcc
	s_xor_b64 s[0:1], exec, s[0:1]
	s_cbranch_execz .LBB47_581
; %bb.565:
	s_movk_i32 s48, 0x80
	v_cmp_ne_u16_e32 vcc, s48, v5
	s_and_b64 s[48:49], vcc, exec
	s_andn2_saveexec_b64 s[0:1], s[0:1]
	s_cbranch_execnz .LBB47_582
.LBB47_566:
	s_or_b64 exec, exec, s[0:1]
	v_mov_b32_e32 v4, 0
	s_and_saveexec_b64 s[0:1], s[48:49]
	s_cbranch_execz .LBB47_568
.LBB47_567:
	v_lshlrev_b32_e32 v4, 24, v5
	v_and_b32_e32 v5, 0xffff, v5
	v_and_b32_e32 v6, 7, v5
	v_ffbh_u32_e32 v8, v6
	v_min_u32_e32 v8, 32, v8
	v_subrev_u32_e32 v9, 28, v8
	v_bfe_u32 v7, v5, 3, 4
	v_lshlrev_b32_e32 v5, v9, v5
	v_sub_u32_e32 v8, 29, v8
	v_and_b32_e32 v5, 7, v5
	v_cmp_eq_u32_e32 vcc, 0, v7
	v_cndmask_b32_e32 v7, v7, v8, vcc
	v_cndmask_b32_e32 v5, v6, v5, vcc
	v_mov_b32_e32 v6, 0x3b800000
	v_lshlrev_b32_e32 v5, 20, v5
	v_and_b32_e32 v4, 0x80000000, v4
	v_lshl_add_u32 v6, v7, 23, v6
	v_or3_b32 v4, v4, v6, v5
	v_cvt_i32_f32_e32 v4, v4
.LBB47_568:
	s_or_b64 exec, exec, s[0:1]
.LBB47_569:
	s_mov_b64 s[0:1], -1
.LBB47_570:
	s_mov_b64 s[48:49], 0
.LBB47_571:
	s_and_b64 vcc, exec, s[48:49]
	s_cbranch_vccz .LBB47_604
; %bb.572:
	s_cmp_gt_i32 s53, 22
	s_cbranch_scc0 .LBB47_580
; %bb.573:
	s_cmp_lt_i32 s53, 24
	s_cbranch_scc1 .LBB47_583
; %bb.574:
	s_cmp_gt_i32 s53, 24
	s_cbranch_scc0 .LBB47_584
; %bb.575:
	global_load_ubyte v5, v[2:3], off
	s_movk_i32 s0, 0x7f
	s_mov_b64 s[48:49], 0
	s_waitcnt vmcnt(0)
	v_cmp_lt_i16_e32 vcc, s0, v5
	s_and_saveexec_b64 s[0:1], vcc
	s_xor_b64 s[0:1], exec, s[0:1]
	s_cbranch_execz .LBB47_596
; %bb.576:
	s_movk_i32 s48, 0x80
	v_cmp_ne_u16_e32 vcc, s48, v5
	s_and_b64 s[48:49], vcc, exec
	s_andn2_saveexec_b64 s[0:1], s[0:1]
	s_cbranch_execnz .LBB47_597
.LBB47_577:
	s_or_b64 exec, exec, s[0:1]
	v_mov_b32_e32 v4, 0
	s_and_saveexec_b64 s[0:1], s[48:49]
	s_cbranch_execz .LBB47_579
.LBB47_578:
	v_lshlrev_b32_e32 v4, 24, v5
	v_and_b32_e32 v5, 0xffff, v5
	v_and_b32_e32 v6, 3, v5
	v_ffbh_u32_e32 v8, v6
	v_min_u32_e32 v8, 32, v8
	v_subrev_u32_e32 v9, 29, v8
	v_bfe_u32 v7, v5, 2, 5
	v_lshlrev_b32_e32 v5, v9, v5
	v_sub_u32_e32 v8, 30, v8
	v_and_b32_e32 v5, 3, v5
	v_cmp_eq_u32_e32 vcc, 0, v7
	v_cndmask_b32_e32 v7, v7, v8, vcc
	v_cndmask_b32_e32 v5, v6, v5, vcc
	v_mov_b32_e32 v6, 0x37800000
	v_lshlrev_b32_e32 v5, 21, v5
	v_and_b32_e32 v4, 0x80000000, v4
	v_lshl_add_u32 v6, v7, 23, v6
	v_or3_b32 v4, v4, v6, v5
	v_cvt_i32_f32_e32 v4, v4
.LBB47_579:
	s_or_b64 exec, exec, s[0:1]
	s_mov_b64 s[0:1], 0
	s_branch .LBB47_585
.LBB47_580:
	s_mov_b64 s[48:49], -1
                                        ; implicit-def: $vgpr4
	s_branch .LBB47_591
.LBB47_581:
	s_andn2_saveexec_b64 s[0:1], s[0:1]
	s_cbranch_execz .LBB47_566
.LBB47_582:
	v_cmp_ne_u16_e32 vcc, 0, v5
	s_andn2_b64 s[48:49], s[48:49], exec
	s_and_b64 s[54:55], vcc, exec
	s_or_b64 s[48:49], s[48:49], s[54:55]
	s_or_b64 exec, exec, s[0:1]
	v_mov_b32_e32 v4, 0
	s_and_saveexec_b64 s[0:1], s[48:49]
	s_cbranch_execnz .LBB47_567
	s_branch .LBB47_568
.LBB47_583:
	s_mov_b64 s[0:1], -1
                                        ; implicit-def: $vgpr4
	s_branch .LBB47_588
.LBB47_584:
	s_mov_b64 s[0:1], -1
                                        ; implicit-def: $vgpr4
.LBB47_585:
	s_and_b64 vcc, exec, s[0:1]
	s_cbranch_vccz .LBB47_587
; %bb.586:
	global_load_ubyte v4, v[2:3], off
	s_mov_b32 s0, 0x7f800000
	s_waitcnt vmcnt(0)
	v_lshlrev_b32_e32 v4, 24, v4
	v_and_b32_e32 v5, 0x7f000000, v4
	v_ffbh_u32_e32 v6, v5
	v_min_u32_e32 v6, 32, v6
	v_sub_u32_e64 v6, v6, 4 clamp
	v_lshlrev_b32_e32 v8, v6, v5
	v_lshlrev_b32_e32 v6, 23, v6
	v_lshrrev_b32_e32 v8, 4, v8
	v_add_u32_e32 v7, 0x1000000, v5
	v_sub_u32_e32 v6, v8, v6
	v_ashrrev_i32_e32 v7, 8, v7
	v_add_u32_e32 v6, 0x3c000000, v6
	v_and_or_b32 v6, v7, s0, v6
	v_cmp_ne_u32_e32 vcc, 0, v5
	v_cndmask_b32_e32 v5, 0, v6, vcc
	s_brev_b32 s0, 1
	v_and_or_b32 v4, v4, s0, v5
	v_cvt_i32_f32_e32 v4, v4
.LBB47_587:
	s_mov_b64 s[0:1], 0
.LBB47_588:
	s_andn2_b64 vcc, exec, s[0:1]
	s_cbranch_vccnz .LBB47_590
; %bb.589:
	global_load_ubyte v4, v[2:3], off
	s_movk_i32 s0, 0x7f00
	s_brev_b32 s1, 16
	s_waitcnt vmcnt(0)
	v_lshlrev_b16_e32 v5, 8, v4
	v_lshlrev_b32_e32 v4, 25, v4
	v_lshrrev_b32_e32 v6, 4, v4
	v_and_or_b32 v7, v5, s0, 0.5
	v_or_b32_e32 v6, 0x70000000, v6
	v_add_f32_e32 v7, -0.5, v7
	v_mul_f32_e32 v6, 0x7800000, v6
	v_cmp_gt_u32_e32 vcc, s1, v4
	v_bfe_i32 v5, v5, 0, 16
	v_cndmask_b32_e32 v4, v6, v7, vcc
	s_brev_b32 s0, 1
	v_and_or_b32 v4, v5, s0, v4
	v_cvt_i32_f32_e32 v4, v4
.LBB47_590:
	s_mov_b64 s[48:49], 0
	s_mov_b64 s[0:1], -1
.LBB47_591:
	s_andn2_b64 vcc, exec, s[48:49]
	s_cbranch_vccnz .LBB47_604
; %bb.592:
	s_cmp_gt_i32 s53, 14
	s_cbranch_scc0 .LBB47_595
; %bb.593:
	s_cmp_eq_u32 s53, 15
	s_cbranch_scc0 .LBB47_598
; %bb.594:
	global_load_ushort v4, v[2:3], off
	s_mov_b64 s[0:1], -1
	s_mov_b64 s[46:47], 0
	s_waitcnt vmcnt(0)
	v_lshlrev_b32_e32 v4, 16, v4
	v_cvt_i32_f32_e32 v4, v4
	s_branch .LBB47_599
.LBB47_595:
	s_mov_b64 s[48:49], -1
                                        ; implicit-def: $vgpr4
	s_branch .LBB47_600
.LBB47_596:
	s_andn2_saveexec_b64 s[0:1], s[0:1]
	s_cbranch_execz .LBB47_577
.LBB47_597:
	v_cmp_ne_u16_e32 vcc, 0, v5
	s_andn2_b64 s[48:49], s[48:49], exec
	s_and_b64 s[54:55], vcc, exec
	s_or_b64 s[48:49], s[48:49], s[54:55]
	s_or_b64 exec, exec, s[0:1]
	v_mov_b32_e32 v4, 0
	s_and_saveexec_b64 s[0:1], s[48:49]
	s_cbranch_execnz .LBB47_578
	s_branch .LBB47_579
.LBB47_598:
	s_mov_b64 s[46:47], -1
                                        ; implicit-def: $vgpr4
.LBB47_599:
	s_mov_b64 s[48:49], 0
.LBB47_600:
	s_and_b64 vcc, exec, s[48:49]
	s_cbranch_vccz .LBB47_604
; %bb.601:
	s_cmp_eq_u32 s53, 11
	s_cbranch_scc0 .LBB47_603
; %bb.602:
	global_load_ubyte v4, v[2:3], off
	s_mov_b64 s[0:1], -1
	s_mov_b64 s[46:47], 0
	s_waitcnt vmcnt(0)
	v_cmp_ne_u16_e32 vcc, 0, v4
	v_cndmask_b32_e64 v4, 0, 1, vcc
	s_branch .LBB47_604
.LBB47_603:
	s_mov_b64 s[46:47], -1
                                        ; implicit-def: $vgpr4
.LBB47_604:
	s_mov_b64 s[48:49], 0
.LBB47_605:
	s_and_b64 vcc, exec, s[48:49]
	s_cbranch_vccz .LBB47_654
; %bb.606:
	s_and_b32 s48, 0xffff, s52
	s_cmp_lt_i32 s48, 5
	s_cbranch_scc1 .LBB47_611
; %bb.607:
	s_cmp_lt_i32 s48, 8
	s_cbranch_scc1 .LBB47_612
; %bb.608:
	;; [unrolled: 3-line block ×3, first 2 shown]
	s_cmp_gt_i32 s48, 9
	s_cbranch_scc0 .LBB47_614
; %bb.610:
	global_load_dwordx2 v[4:5], v[2:3], off
	s_mov_b64 s[0:1], 0
	s_waitcnt vmcnt(0)
	v_cvt_i32_f64_e32 v4, v[4:5]
	s_branch .LBB47_615
.LBB47_611:
	s_mov_b64 s[0:1], -1
                                        ; implicit-def: $vgpr4
	s_branch .LBB47_633
.LBB47_612:
	s_mov_b64 s[0:1], -1
                                        ; implicit-def: $vgpr4
	s_branch .LBB47_621
.LBB47_613:
	s_mov_b64 s[0:1], -1
                                        ; implicit-def: $vgpr4
	s_branch .LBB47_618
.LBB47_614:
	s_mov_b64 s[0:1], -1
                                        ; implicit-def: $vgpr4
.LBB47_615:
	s_andn2_b64 vcc, exec, s[0:1]
	s_cbranch_vccnz .LBB47_617
; %bb.616:
	global_load_dword v4, v[2:3], off
	s_waitcnt vmcnt(0)
	v_cvt_i32_f32_e32 v4, v4
.LBB47_617:
	s_mov_b64 s[0:1], 0
.LBB47_618:
	s_andn2_b64 vcc, exec, s[0:1]
	s_cbranch_vccnz .LBB47_620
; %bb.619:
	global_load_dword v4, v[2:3], off
	s_waitcnt vmcnt(0)
	v_cvt_i16_f16_e32 v4, v4
.LBB47_620:
	s_mov_b64 s[0:1], 0
.LBB47_621:
	s_andn2_b64 vcc, exec, s[0:1]
	s_cbranch_vccnz .LBB47_632
; %bb.622:
	s_cmp_lt_i32 s48, 6
	s_cbranch_scc1 .LBB47_625
; %bb.623:
	s_cmp_gt_i32 s48, 6
	s_cbranch_scc0 .LBB47_626
; %bb.624:
	global_load_dwordx2 v[4:5], v[2:3], off
	s_mov_b64 s[0:1], 0
	s_waitcnt vmcnt(0)
	v_cvt_i32_f64_e32 v4, v[4:5]
	s_branch .LBB47_627
.LBB47_625:
	s_mov_b64 s[0:1], -1
                                        ; implicit-def: $vgpr4
	s_branch .LBB47_630
.LBB47_626:
	s_mov_b64 s[0:1], -1
                                        ; implicit-def: $vgpr4
.LBB47_627:
	s_andn2_b64 vcc, exec, s[0:1]
	s_cbranch_vccnz .LBB47_629
; %bb.628:
	global_load_dword v4, v[2:3], off
	s_waitcnt vmcnt(0)
	v_cvt_i32_f32_e32 v4, v4
.LBB47_629:
	s_mov_b64 s[0:1], 0
.LBB47_630:
	s_andn2_b64 vcc, exec, s[0:1]
	s_cbranch_vccnz .LBB47_632
; %bb.631:
	global_load_ushort v4, v[2:3], off
	s_waitcnt vmcnt(0)
	v_cvt_i16_f16_e32 v4, v4
.LBB47_632:
	s_mov_b64 s[0:1], 0
.LBB47_633:
	s_andn2_b64 vcc, exec, s[0:1]
	s_cbranch_vccnz .LBB47_653
; %bb.634:
	s_cmp_lt_i32 s48, 2
	s_cbranch_scc1 .LBB47_638
; %bb.635:
	s_cmp_lt_i32 s48, 3
	s_cbranch_scc1 .LBB47_639
; %bb.636:
	s_cmp_gt_i32 s48, 3
	s_cbranch_scc0 .LBB47_640
; %bb.637:
	global_load_dwordx2 v[4:5], v[2:3], off
	s_mov_b64 s[0:1], 0
	s_branch .LBB47_641
.LBB47_638:
	s_mov_b64 s[0:1], -1
                                        ; implicit-def: $vgpr4
	s_branch .LBB47_647
.LBB47_639:
	s_mov_b64 s[0:1], -1
                                        ; implicit-def: $vgpr4
	s_branch .LBB47_644
.LBB47_640:
	s_mov_b64 s[0:1], -1
                                        ; implicit-def: $vgpr4
.LBB47_641:
	s_andn2_b64 vcc, exec, s[0:1]
	s_cbranch_vccnz .LBB47_643
; %bb.642:
	global_load_dword v4, v[2:3], off
.LBB47_643:
	s_mov_b64 s[0:1], 0
.LBB47_644:
	s_andn2_b64 vcc, exec, s[0:1]
	s_cbranch_vccnz .LBB47_646
; %bb.645:
	global_load_ushort v4, v[2:3], off
.LBB47_646:
	s_mov_b64 s[0:1], 0
.LBB47_647:
	s_andn2_b64 vcc, exec, s[0:1]
	s_cbranch_vccnz .LBB47_653
; %bb.648:
	s_cmp_gt_i32 s48, 0
	s_cbranch_scc0 .LBB47_650
; %bb.649:
	global_load_ubyte v4, v[2:3], off
	s_mov_b64 s[0:1], 0
	s_branch .LBB47_651
.LBB47_650:
	s_mov_b64 s[0:1], -1
                                        ; implicit-def: $vgpr4
.LBB47_651:
	s_andn2_b64 vcc, exec, s[0:1]
	s_cbranch_vccnz .LBB47_653
; %bb.652:
	global_load_ubyte v4, v[2:3], off
.LBB47_653:
	s_mov_b64 s[0:1], -1
.LBB47_654:
	s_andn2_b64 vcc, exec, s[0:1]
	s_cbranch_vccnz .LBB47_662
; %bb.655:
	v_mov_b32_e32 v2, 8
	s_waitcnt vmcnt(0)
	v_lshlrev_b32_e32 v1, v4, v1
	v_cmp_lt_u16_sdwa vcc, v4, v2 src0_sel:BYTE_0 src1_sel:DWORD
	v_cndmask_b32_e32 v2, 0, v1, vcc
	v_mov_b32_e32 v1, s9
	s_and_b32 s56, s69, 0xff
	v_add_co_u32_e32 v0, vcc, s8, v0
	s_cmp_lt_i32 s56, 11
	v_addc_co_u32_e32 v1, vcc, 0, v1, vcc
	s_cbranch_scc1 .LBB47_663
; %bb.656:
	s_and_b32 s57, 0xffff, s56
	s_cmp_gt_i32 s57, 25
	s_cbranch_scc0 .LBB47_664
; %bb.657:
	s_cmp_gt_i32 s57, 28
	s_cbranch_scc0 .LBB47_665
; %bb.658:
	;; [unrolled: 3-line block ×4, first 2 shown]
	s_mov_b64 s[52:53], 0
	s_mov_b64 s[0:1], -1
	s_cmp_eq_u32 s57, 46
	s_mov_b64 s[48:49], 0
	s_cbranch_scc0 .LBB47_668
; %bb.661:
	v_bfe_i32 v3, v2, 0, 8
	v_cvt_f32_i32_sdwa v3, sext(v3) dst_sel:DWORD dst_unused:UNUSED_PAD src0_sel:WORD_0
	s_movk_i32 s0, 0x7fff
	s_mov_b64 s[48:49], -1
	v_bfe_u32 v4, v3, 16, 1
	v_add3_u32 v3, v3, v4, s0
	v_lshrrev_b32_e32 v3, 16, v3
	global_store_dword v[0:1], v3, off
	s_mov_b64 s[0:1], 0
	s_branch .LBB47_668
.LBB47_662:
	s_mov_b64 s[52:53], 0
                                        ; implicit-def: $vgpr10
	s_mov_b64 s[0:1], s[36:37]
	s_branch .LBB47_778
.LBB47_663:
	s_mov_b64 s[52:53], -1
	s_mov_b64 s[48:49], 0
	s_mov_b64 s[0:1], s[36:37]
	s_branch .LBB47_737
.LBB47_664:
	s_mov_b64 s[52:53], -1
	s_mov_b64 s[48:49], 0
	s_mov_b64 s[0:1], s[36:37]
	s_branch .LBB47_695
.LBB47_665:
	s_mov_b64 s[52:53], -1
	s_mov_b64 s[48:49], 0
	s_mov_b64 s[0:1], s[36:37]
	s_branch .LBB47_678
.LBB47_666:
	s_mov_b64 s[52:53], -1
	s_mov_b64 s[48:49], 0
	s_mov_b64 s[0:1], s[36:37]
	s_branch .LBB47_674
.LBB47_667:
	s_mov_b64 s[52:53], -1
	s_mov_b64 s[48:49], 0
	s_mov_b64 s[0:1], s[36:37]
.LBB47_668:
	s_and_b64 vcc, exec, s[52:53]
	s_cbranch_vccz .LBB47_673
; %bb.669:
	s_cmp_eq_u32 s57, 44
	s_mov_b64 s[0:1], -1
	s_cbranch_scc0 .LBB47_673
; %bb.670:
	v_bfe_i32 v3, v2, 0, 8
	v_cvt_f32_i32_sdwa v3, sext(v3) dst_sel:DWORD dst_unused:UNUSED_PAD src0_sel:WORD_0
	s_movk_i32 s0, 0xff
	v_mov_b32_e32 v5, 0xff
	v_bfe_u32 v4, v3, 23, 8
	v_cmp_ne_u32_e32 vcc, s0, v4
	s_and_saveexec_b64 s[48:49], vcc
; %bb.671:
	s_mov_b32 s0, 0x3fffff
	v_lshrrev_b32_e32 v5, 23, v3
	v_and_b32_e32 v6, 0x400000, v3
	v_and_or_b32 v3, v3, s0, v4
	v_cmp_ne_u32_e32 vcc, 0, v6
	v_cmp_ne_u32_e64 s[0:1], 0, v3
	s_and_b64 s[0:1], vcc, s[0:1]
	v_cndmask_b32_e64 v3, 0, 1, s[0:1]
	v_add_u32_e32 v5, v5, v3
; %bb.672:
	s_or_b64 exec, exec, s[48:49]
	s_mov_b64 s[48:49], -1
	s_mov_b64 s[0:1], 0
	global_store_byte v[0:1], v5, off
.LBB47_673:
	s_mov_b64 s[52:53], 0
.LBB47_674:
	s_and_b64 vcc, exec, s[52:53]
	s_cbranch_vccz .LBB47_677
; %bb.675:
	s_cmp_eq_u32 s57, 29
	s_mov_b64 s[0:1], -1
	s_cbranch_scc0 .LBB47_677
; %bb.676:
	v_bfe_i32 v3, v2, 0, 8
	v_ashrrev_i32_e32 v4, 31, v3
	global_store_dwordx2 v[0:1], v[3:4], off
	s_mov_b64 s[48:49], -1
	s_mov_b64 s[0:1], 0
.LBB47_677:
	s_mov_b64 s[52:53], 0
.LBB47_678:
	s_and_b64 vcc, exec, s[52:53]
	s_cbranch_vccz .LBB47_694
; %bb.679:
	s_cmp_lt_i32 s57, 27
	s_mov_b64 s[48:49], -1
	s_cbranch_scc1 .LBB47_685
; %bb.680:
	s_cmp_gt_i32 s57, 27
	s_cbranch_scc0 .LBB47_682
; %bb.681:
	v_bfe_i32 v3, v2, 0, 8
	s_mov_b64 s[48:49], 0
	global_store_dword v[0:1], v3, off
.LBB47_682:
	s_andn2_b64 vcc, exec, s[48:49]
	s_cbranch_vccnz .LBB47_684
; %bb.683:
	v_bfe_i32 v3, v2, 0, 8
	global_store_short v[0:1], v3, off
.LBB47_684:
	s_mov_b64 s[48:49], 0
.LBB47_685:
	s_andn2_b64 vcc, exec, s[48:49]
	s_cbranch_vccnz .LBB47_693
; %bb.686:
	v_bfe_i32 v3, v2, 0, 8
	v_cvt_f32_i32_sdwa v3, sext(v3) dst_sel:DWORD dst_unused:UNUSED_PAD src0_sel:WORD_0
	s_mov_b32 s48, 0x43800000
	v_mov_b32_e32 v5, 0x80
	v_and_b32_e32 v4, 0x7fffffff, v3
	v_cmp_gt_u32_e32 vcc, s48, v4
	s_and_saveexec_b64 s[48:49], vcc
	s_cbranch_execz .LBB47_692
; %bb.687:
	s_mov_b32 s52, 0x3bffffff
	v_cmp_lt_u32_e32 vcc, s52, v4
	s_mov_b64 s[52:53], 0
                                        ; implicit-def: $vgpr4
	s_and_saveexec_b64 s[54:55], vcc
	s_xor_b64 s[54:55], exec, s[54:55]
	s_cbranch_execz .LBB47_806
; %bb.688:
	v_bfe_u32 v4, v3, 20, 1
	s_mov_b32 s58, 0x487ffff
	v_add3_u32 v4, v3, v4, s58
	s_mov_b64 s[52:53], exec
	v_lshrrev_b32_e32 v4, 20, v4
	s_andn2_saveexec_b64 s[54:55], s[54:55]
	s_cbranch_execnz .LBB47_807
.LBB47_689:
	s_or_b64 exec, exec, s[54:55]
	v_mov_b32_e32 v5, 0
	s_and_saveexec_b64 s[54:55], s[52:53]
.LBB47_690:
	v_lshrrev_b32_e32 v3, 24, v3
	s_movk_i32 s52, 0x80
	v_and_or_b32 v5, v3, s52, v4
.LBB47_691:
	s_or_b64 exec, exec, s[54:55]
.LBB47_692:
	s_or_b64 exec, exec, s[48:49]
	global_store_byte v[0:1], v5, off
.LBB47_693:
	s_mov_b64 s[48:49], -1
.LBB47_694:
	s_mov_b64 s[52:53], 0
.LBB47_695:
	s_and_b64 vcc, exec, s[52:53]
	s_cbranch_vccz .LBB47_736
; %bb.696:
	s_cmp_gt_i32 s57, 22
	s_mov_b64 s[52:53], -1
	s_cbranch_scc0 .LBB47_728
; %bb.697:
	s_cmp_lt_i32 s57, 24
	s_mov_b64 s[48:49], -1
	s_cbranch_scc1 .LBB47_717
; %bb.698:
	s_cmp_gt_i32 s57, 24
	s_cbranch_scc0 .LBB47_706
; %bb.699:
	v_bfe_i32 v3, v2, 0, 8
	v_cvt_f32_i32_sdwa v3, sext(v3) dst_sel:DWORD dst_unused:UNUSED_PAD src0_sel:WORD_0
	s_mov_b32 s48, 0x47800000
	v_mov_b32_e32 v5, 0x80
	v_and_b32_e32 v4, 0x7fffffff, v3
	v_cmp_gt_u32_e32 vcc, s48, v4
	s_and_saveexec_b64 s[48:49], vcc
	s_cbranch_execz .LBB47_705
; %bb.700:
	s_mov_b32 s52, 0x37ffffff
	v_cmp_lt_u32_e32 vcc, s52, v4
	s_mov_b64 s[52:53], 0
                                        ; implicit-def: $vgpr4
	s_and_saveexec_b64 s[54:55], vcc
	s_xor_b64 s[54:55], exec, s[54:55]
	s_cbranch_execz .LBB47_934
; %bb.701:
	v_bfe_u32 v4, v3, 21, 1
	s_mov_b32 s58, 0x88fffff
	v_add3_u32 v4, v3, v4, s58
	s_mov_b64 s[52:53], exec
	v_lshrrev_b32_e32 v4, 21, v4
	s_andn2_saveexec_b64 s[54:55], s[54:55]
	s_cbranch_execnz .LBB47_935
.LBB47_702:
	s_or_b64 exec, exec, s[54:55]
	v_mov_b32_e32 v5, 0
	s_and_saveexec_b64 s[54:55], s[52:53]
.LBB47_703:
	v_lshrrev_b32_e32 v3, 24, v3
	s_movk_i32 s52, 0x80
	v_and_or_b32 v5, v3, s52, v4
.LBB47_704:
	s_or_b64 exec, exec, s[54:55]
.LBB47_705:
	s_or_b64 exec, exec, s[48:49]
	s_mov_b64 s[48:49], 0
	global_store_byte v[0:1], v5, off
.LBB47_706:
	s_and_b64 vcc, exec, s[48:49]
	s_cbranch_vccz .LBB47_716
; %bb.707:
	v_bfe_i32 v3, v2, 0, 8
	v_cvt_f32_i32_sdwa v3, sext(v3) dst_sel:DWORD dst_unused:UNUSED_PAD src0_sel:WORD_0
	s_mov_b32 s48, 0x43f00000
                                        ; implicit-def: $vgpr4
	v_and_b32_e32 v5, 0x7fffffff, v3
	v_cmp_gt_u32_e32 vcc, s48, v5
	s_and_saveexec_b64 s[48:49], vcc
	s_xor_b64 s[48:49], exec, s[48:49]
	s_cbranch_execz .LBB47_713
; %bb.708:
	s_mov_b32 s52, 0x3c7fffff
	v_cmp_lt_u32_e32 vcc, s52, v5
                                        ; implicit-def: $vgpr4
	s_and_saveexec_b64 s[52:53], vcc
	s_xor_b64 s[52:53], exec, s[52:53]
; %bb.709:
	v_bfe_u32 v4, v3, 20, 1
	s_mov_b32 s54, 0x407ffff
	v_add3_u32 v4, v3, v4, s54
	v_lshrrev_b32_e32 v5, 20, v4
	v_and_b32_e32 v4, 0xff00000, v4
	s_mov_b32 s54, 0x7f00000
	v_mov_b32_e32 v6, 0x7e
	v_cmp_ne_u32_e32 vcc, s54, v4
	v_cndmask_b32_e32 v4, v6, v5, vcc
; %bb.710:
	s_andn2_saveexec_b64 s[52:53], s[52:53]
; %bb.711:
	s_mov_b32 s54, 0x46800000
	v_add_f32_e64 v4, |v3|, s54
; %bb.712:
	s_or_b64 exec, exec, s[52:53]
                                        ; implicit-def: $vgpr5
.LBB47_713:
	s_andn2_saveexec_b64 s[48:49], s[48:49]
; %bb.714:
	s_mov_b32 s52, 0x7f800000
	v_mov_b32_e32 v4, 0x7e
	v_mov_b32_e32 v6, 0x7f
	v_cmp_lt_u32_e32 vcc, s52, v5
	v_cndmask_b32_e32 v4, v4, v6, vcc
; %bb.715:
	s_or_b64 exec, exec, s[48:49]
	v_lshrrev_b32_e32 v3, 24, v3
	s_movk_i32 s48, 0x80
	v_and_or_b32 v3, v3, s48, v4
	global_store_byte v[0:1], v3, off
.LBB47_716:
	s_mov_b64 s[48:49], 0
.LBB47_717:
	s_andn2_b64 vcc, exec, s[48:49]
	s_cbranch_vccnz .LBB47_727
; %bb.718:
	v_bfe_i32 v3, v2, 0, 8
	v_cvt_f32_i32_sdwa v3, sext(v3) dst_sel:DWORD dst_unused:UNUSED_PAD src0_sel:WORD_0
	s_mov_b32 s48, 0x47800000
                                        ; implicit-def: $vgpr4
	v_and_b32_e32 v5, 0x7fffffff, v3
	v_cmp_gt_u32_e32 vcc, s48, v5
	s_and_saveexec_b64 s[48:49], vcc
	s_xor_b64 s[48:49], exec, s[48:49]
	s_cbranch_execz .LBB47_724
; %bb.719:
	s_mov_b32 s52, 0x387fffff
	v_cmp_lt_u32_e32 vcc, s52, v5
                                        ; implicit-def: $vgpr4
	s_and_saveexec_b64 s[52:53], vcc
	s_xor_b64 s[52:53], exec, s[52:53]
; %bb.720:
	v_bfe_u32 v4, v3, 21, 1
	s_mov_b32 s54, 0x80fffff
	v_add3_u32 v4, v3, v4, s54
	v_lshrrev_b32_e32 v4, 21, v4
; %bb.721:
	s_andn2_saveexec_b64 s[52:53], s[52:53]
; %bb.722:
	s_mov_b32 s54, 0x43000000
	v_add_f32_e64 v4, |v3|, s54
; %bb.723:
	s_or_b64 exec, exec, s[52:53]
                                        ; implicit-def: $vgpr5
.LBB47_724:
	s_andn2_saveexec_b64 s[48:49], s[48:49]
; %bb.725:
	s_mov_b32 s52, 0x7f800000
	v_mov_b32_e32 v4, 0x7c
	v_mov_b32_e32 v6, 0x7f
	v_cmp_lt_u32_e32 vcc, s52, v5
	v_cndmask_b32_e32 v4, v4, v6, vcc
; %bb.726:
	s_or_b64 exec, exec, s[48:49]
	v_lshrrev_b32_e32 v3, 24, v3
	s_movk_i32 s48, 0x80
	v_and_or_b32 v3, v3, s48, v4
	global_store_byte v[0:1], v3, off
.LBB47_727:
	s_mov_b64 s[52:53], 0
	s_mov_b64 s[48:49], -1
.LBB47_728:
	s_andn2_b64 vcc, exec, s[52:53]
	s_cbranch_vccnz .LBB47_736
; %bb.729:
	s_cmp_gt_i32 s57, 14
	s_mov_b64 s[52:53], -1
	s_cbranch_scc0 .LBB47_733
; %bb.730:
	s_cmp_eq_u32 s57, 15
	s_mov_b64 s[0:1], -1
	s_cbranch_scc0 .LBB47_732
; %bb.731:
	v_bfe_i32 v3, v2, 0, 8
	v_cvt_f32_i32_sdwa v3, sext(v3) dst_sel:DWORD dst_unused:UNUSED_PAD src0_sel:WORD_0
	s_movk_i32 s0, 0x7fff
	s_mov_b64 s[48:49], -1
	v_bfe_u32 v4, v3, 16, 1
	v_add3_u32 v3, v3, v4, s0
	global_store_short_d16_hi v[0:1], v3, off
	s_mov_b64 s[0:1], 0
.LBB47_732:
	s_mov_b64 s[52:53], 0
.LBB47_733:
	s_and_b64 vcc, exec, s[52:53]
	s_cbranch_vccz .LBB47_736
; %bb.734:
	s_cmp_eq_u32 s57, 11
	s_mov_b64 s[0:1], -1
	s_cbranch_scc0 .LBB47_736
; %bb.735:
	v_mov_b32_e32 v3, 0
	v_cmp_ne_u16_sdwa s[0:1], v2, v3 src0_sel:BYTE_0 src1_sel:DWORD
	v_cndmask_b32_e64 v3, 0, 1, s[0:1]
	s_mov_b64 s[48:49], -1
	s_mov_b64 s[0:1], 0
	global_store_byte v[0:1], v3, off
.LBB47_736:
	s_mov_b64 s[52:53], 0
.LBB47_737:
	s_and_b64 vcc, exec, s[52:53]
	s_cbranch_vccz .LBB47_776
; %bb.738:
	s_and_b32 s52, 0xffff, s56
	s_cmp_lt_i32 s52, 5
	s_mov_b64 s[48:49], -1
	s_cbranch_scc1 .LBB47_759
; %bb.739:
	s_cmp_lt_i32 s52, 8
	s_cbranch_scc1 .LBB47_749
; %bb.740:
	s_cmp_lt_i32 s52, 9
	s_cbranch_scc1 .LBB47_746
; %bb.741:
	s_cmp_gt_i32 s52, 9
	s_cbranch_scc0 .LBB47_743
; %bb.742:
	v_bfe_i32 v3, v2, 0, 8
	v_bfe_i32 v3, v3, 0, 16
	v_cvt_f64_i32_e32 v[3:4], v3
	v_mov_b32_e32 v5, 0
	v_mov_b32_e32 v6, v5
	s_mov_b64 s[48:49], 0
	global_store_dwordx4 v[0:1], v[3:6], off
.LBB47_743:
	s_andn2_b64 vcc, exec, s[48:49]
	s_cbranch_vccnz .LBB47_745
; %bb.744:
	v_bfe_i32 v3, v2, 0, 8
	v_cvt_f32_i32_sdwa v3, sext(v3) dst_sel:DWORD dst_unused:UNUSED_PAD src0_sel:WORD_0
	v_mov_b32_e32 v4, 0
	global_store_dwordx2 v[0:1], v[3:4], off
.LBB47_745:
	s_mov_b64 s[48:49], 0
.LBB47_746:
	s_andn2_b64 vcc, exec, s[48:49]
	s_cbranch_vccnz .LBB47_748
; %bb.747:
	v_cvt_f16_i16_sdwa v3, sext(v2) dst_sel:DWORD dst_unused:UNUSED_PAD src0_sel:BYTE_0
	global_store_dword v[0:1], v3, off
.LBB47_748:
	s_mov_b64 s[48:49], 0
.LBB47_749:
	s_andn2_b64 vcc, exec, s[48:49]
	s_cbranch_vccnz .LBB47_758
; %bb.750:
	s_cmp_lt_i32 s52, 6
	s_mov_b64 s[48:49], -1
	s_cbranch_scc1 .LBB47_756
; %bb.751:
	s_cmp_gt_i32 s52, 6
	s_cbranch_scc0 .LBB47_753
; %bb.752:
	v_bfe_i32 v3, v2, 0, 8
	v_bfe_i32 v3, v3, 0, 16
	v_cvt_f64_i32_e32 v[3:4], v3
	s_mov_b64 s[48:49], 0
	global_store_dwordx2 v[0:1], v[3:4], off
.LBB47_753:
	s_andn2_b64 vcc, exec, s[48:49]
	s_cbranch_vccnz .LBB47_755
; %bb.754:
	v_bfe_i32 v3, v2, 0, 8
	v_cvt_f32_i32_sdwa v3, sext(v3) dst_sel:DWORD dst_unused:UNUSED_PAD src0_sel:WORD_0
	global_store_dword v[0:1], v3, off
.LBB47_755:
	s_mov_b64 s[48:49], 0
.LBB47_756:
	s_andn2_b64 vcc, exec, s[48:49]
	s_cbranch_vccnz .LBB47_758
; %bb.757:
	v_cvt_f16_i16_sdwa v3, sext(v2) dst_sel:DWORD dst_unused:UNUSED_PAD src0_sel:BYTE_0
	global_store_short v[0:1], v3, off
.LBB47_758:
	s_mov_b64 s[48:49], 0
.LBB47_759:
	s_andn2_b64 vcc, exec, s[48:49]
	s_cbranch_vccnz .LBB47_775
; %bb.760:
	s_cmp_lt_i32 s52, 2
	s_mov_b64 s[48:49], -1
	s_cbranch_scc1 .LBB47_770
; %bb.761:
	s_cmp_lt_i32 s52, 3
	s_cbranch_scc1 .LBB47_767
; %bb.762:
	s_cmp_gt_i32 s52, 3
	s_cbranch_scc0 .LBB47_764
; %bb.763:
	v_bfe_i32 v3, v2, 0, 8
	v_ashrrev_i32_e32 v4, 31, v3
	s_mov_b64 s[48:49], 0
	global_store_dwordx2 v[0:1], v[3:4], off
.LBB47_764:
	s_andn2_b64 vcc, exec, s[48:49]
	s_cbranch_vccnz .LBB47_766
; %bb.765:
	v_bfe_i32 v3, v2, 0, 8
	global_store_dword v[0:1], v3, off
.LBB47_766:
	s_mov_b64 s[48:49], 0
.LBB47_767:
	s_andn2_b64 vcc, exec, s[48:49]
	s_cbranch_vccnz .LBB47_769
; %bb.768:
	v_bfe_i32 v3, v2, 0, 8
	global_store_short v[0:1], v3, off
.LBB47_769:
	s_mov_b64 s[48:49], 0
.LBB47_770:
	s_andn2_b64 vcc, exec, s[48:49]
	s_cbranch_vccnz .LBB47_775
; %bb.771:
	s_cmp_gt_i32 s52, 0
	s_mov_b64 s[48:49], -1
	s_cbranch_scc0 .LBB47_773
; %bb.772:
	s_mov_b64 s[48:49], 0
	global_store_byte v[0:1], v2, off
.LBB47_773:
	s_andn2_b64 vcc, exec, s[48:49]
	s_cbranch_vccnz .LBB47_775
; %bb.774:
	global_store_byte v[0:1], v2, off
.LBB47_775:
	s_mov_b64 s[48:49], -1
.LBB47_776:
	s_andn2_b64 vcc, exec, s[48:49]
	s_cbranch_vccnz .LBB47_788
; %bb.777:
	v_add_u32_e32 v10, 0x80, v10
	s_mov_b64 s[52:53], -1
.LBB47_778:
	s_andn2_b64 s[48:49], s[36:37], exec
	s_and_b64 s[0:1], s[0:1], exec
	s_or_b64 s[48:49], s[48:49], s[0:1]
	s_andn2_b64 s[0:1], s[38:39], exec
	s_and_b64 s[46:47], s[46:47], exec
	s_or_b64 s[46:47], s[0:1], s[46:47]
	;; [unrolled: 3-line block ×3, first 2 shown]
	s_orn2_b64 s[0:1], s[52:53], exec
.LBB47_779:
	s_or_b64 exec, exec, s[50:51]
	s_mov_b64 s[52:53], 0
	s_mov_b64 s[54:55], 0
	;; [unrolled: 1-line block ×3, first 2 shown]
                                        ; implicit-def: $sgpr73
                                        ; implicit-def: $vgpr4_vgpr5
                                        ; implicit-def: $vgpr0
                                        ; implicit-def: $vgpr3
                                        ; implicit-def: $vgpr1
	s_and_saveexec_b64 s[50:51], s[0:1]
	s_cbranch_execz .LBB47_1264
; %bb.780:
	v_cmp_gt_i32_e32 vcc, s66, v10
	s_mov_b64 s[64:65], -1
	s_mov_b64 s[0:1], s[44:45]
	s_mov_b64 s[56:57], s[46:47]
	;; [unrolled: 1-line block ×3, first 2 shown]
	s_and_saveexec_b64 s[52:53], vcc
	s_cbranch_execz .LBB47_1172
; %bb.781:
	s_andn2_b64 vcc, exec, s[20:21]
	s_cbranch_vccnz .LBB47_787
; %bb.782:
	s_andn2_b64 vcc, exec, s[34:35]
	s_cbranch_vccnz .LBB47_789
; %bb.783:
	s_add_i32 s0, s72, 1
	s_and_b32 s54, s0, 30
	s_add_u32 s0, s2, 0xffffffe8
	s_addc_u32 s1, s3, -1
	v_mov_b32_e32 v3, 0
	s_waitcnt vmcnt(0)
	v_mov_b32_e32 v5, 0
	v_mov_b32_e32 v0, 0
	;; [unrolled: 1-line block ×3, first 2 shown]
.LBB47_784:                             ; =>This Inner Loop Header: Depth=1
	s_load_dwordx4 s[56:59], s[0:1], 0x1c
	s_load_dwordx2 s[64:65], s[0:1], 0x2c
	s_load_dwordx2 s[74:75], s[0:1], 0xec
	s_load_dwordx4 s[60:63], s[0:1], 0xdc
	s_add_u32 s0, s0, 24
	s_waitcnt lgkmcnt(0)
	v_mul_hi_u32 v2, s57, v1
	s_addc_u32 s1, s1, 0
	s_add_i32 s54, s54, -2
	s_cmp_eq_u32 s54, 0
	v_add_u32_e32 v2, v1, v2
	v_lshrrev_b32_e32 v2, s58, v2
	v_mul_lo_u32 v4, v2, s56
	v_mul_hi_u32 v6, s64, v2
	v_sub_u32_e32 v4, v1, v4
	v_add_u32_e32 v1, v2, v6
	v_lshrrev_b32_e32 v1, s65, v1
	v_mul_lo_u32 v8, v1, s59
	v_mul_lo_u32 v6, v4, s60
	;; [unrolled: 1-line block ×4, first 2 shown]
	v_sub_u32_e32 v2, v2, v8
	v_mul_lo_u32 v8, v2, s63
	v_mul_lo_u32 v9, v2, s74
	;; [unrolled: 1-line block ×3, first 2 shown]
	v_add3_u32 v0, v6, v0, v8
	v_add3_u32 v5, v7, v5, v9
	;; [unrolled: 1-line block ×3, first 2 shown]
	s_cbranch_scc0 .LBB47_784
; %bb.785:
	s_bitcmp1_b32 s72, 0
	s_cselect_b64 s[54:55], -1, 0
	s_and_b64 vcc, exec, s[54:55]
	s_cbranch_vccnz .LBB47_790
; %bb.786:
	s_load_dwordx2 s[54:55], s[0:1], 0x1c
	s_load_dword s58, s[0:1], 0x24
	s_load_dwordx2 s[56:57], s[0:1], 0xdc
	s_waitcnt lgkmcnt(0)
	v_mul_hi_u32 v2, s55, v1
	v_add_u32_e32 v2, v1, v2
	v_lshrrev_b32_e32 v2, s58, v2
	v_mul_lo_u32 v2, v2, s54
	s_load_dword s54, s[0:1], 0xe4
	v_sub_u32_e32 v2, v1, v2
	v_mad_u64_u32 v[0:1], s[0:1], v2, s56, v[0:1]
	v_mad_u64_u32 v[5:6], s[0:1], v2, s57, v[5:6]
	s_waitcnt lgkmcnt(0)
	v_mad_u64_u32 v[3:4], s[0:1], v2, s54, v[3:4]
	s_branch .LBB47_790
.LBB47_787:
	s_mov_b64 s[0:1], -1
                                        ; implicit-def: $vgpr0
                                        ; implicit-def: $vgpr5
                                        ; implicit-def: $vgpr3
	s_branch .LBB47_791
.LBB47_788:
	s_mov_b64 s[52:53], 0
	s_branch .LBB47_540
.LBB47_789:
	v_mov_b32_e32 v0, 0
	s_waitcnt vmcnt(0)
	v_mov_b32_e32 v5, 0
	v_mov_b32_e32 v3, 0
.LBB47_790:
	s_mov_b64 s[0:1], 0
.LBB47_791:
	s_andn2_b64 vcc, exec, s[0:1]
	s_cbranch_vccnz .LBB47_794
; %bb.792:
	s_waitcnt lgkmcnt(0)
	v_mul_hi_u32 v0, s17, v10
	s_andn2_b64 vcc, exec, s[30:31]
	v_add_u32_e32 v0, v10, v0
	s_waitcnt vmcnt(0)
	v_lshrrev_b32_e32 v1, s18, v0
	v_mul_lo_u32 v0, v1, s16
	v_sub_u32_e32 v2, v10, v0
	v_mul_lo_u32 v0, v2, s12
	v_mul_lo_u32 v5, v2, s13
	;; [unrolled: 1-line block ×3, first 2 shown]
	s_cbranch_vccnz .LBB47_794
; %bb.793:
	v_mul_hi_u32 v2, s28, v1
	v_add_u32_e32 v2, v1, v2
	v_lshrrev_b32_e32 v2, s29, v2
	v_mul_lo_u32 v2, v2, s19
	v_sub_u32_e32 v2, v1, v2
	v_mad_u64_u32 v[0:1], s[0:1], v2, s15, v[0:1]
	v_mad_u64_u32 v[5:6], s[0:1], v2, s26, v[5:6]
	;; [unrolled: 1-line block ×3, first 2 shown]
.LBB47_794:
	s_waitcnt vmcnt(0) lgkmcnt(0)
	v_mov_b32_e32 v1, s11
	s_and_b32 s58, s71, 0xff
	v_add_co_u32_e32 v4, vcc, s10, v5
	s_cmp_lt_i32 s58, 11
	v_addc_co_u32_e32 v5, vcc, 0, v1, vcc
	s_cbranch_scc1 .LBB47_801
; %bb.795:
	s_and_b32 s59, 0xffff, s58
	s_cmp_gt_i32 s59, 25
	s_cbranch_scc0 .LBB47_802
; %bb.796:
	s_cmp_gt_i32 s59, 28
	s_cbranch_scc0 .LBB47_803
; %bb.797:
	;; [unrolled: 3-line block ×4, first 2 shown]
	s_cmp_eq_u32 s59, 46
	s_mov_b64 s[56:57], 0
	s_cbranch_scc0 .LBB47_808
; %bb.800:
	global_load_dword v1, v[4:5], off
	s_mov_b64 s[0:1], -1
	s_mov_b64 s[54:55], 0
	s_waitcnt vmcnt(0)
	v_lshlrev_b32_e32 v1, 16, v1
	v_cvt_i32_f32_e32 v1, v1
	s_branch .LBB47_809
.LBB47_801:
	s_mov_b64 s[56:57], -1
	s_mov_b64 s[0:1], 0
                                        ; implicit-def: $vgpr1
	s_mov_b64 s[54:55], s[44:45]
	s_branch .LBB47_870
.LBB47_802:
	s_mov_b64 s[56:57], -1
	s_mov_b64 s[0:1], 0
	s_mov_b64 s[54:55], s[44:45]
                                        ; implicit-def: $vgpr1
	s_branch .LBB47_836
.LBB47_803:
	s_mov_b64 s[56:57], -1
	s_mov_b64 s[0:1], 0
	s_mov_b64 s[54:55], s[44:45]
                                        ; implicit-def: $vgpr1
	s_branch .LBB47_819
.LBB47_804:
	s_mov_b64 s[56:57], -1
	s_mov_b64 s[0:1], 0
	s_mov_b64 s[54:55], s[44:45]
                                        ; implicit-def: $vgpr1
	s_branch .LBB47_814
.LBB47_805:
	s_mov_b64 s[56:57], -1
	s_mov_b64 s[0:1], 0
	s_mov_b64 s[54:55], s[44:45]
                                        ; implicit-def: $vgpr1
	s_branch .LBB47_809
.LBB47_806:
	s_andn2_saveexec_b64 s[54:55], s[54:55]
	s_cbranch_execz .LBB47_689
.LBB47_807:
	s_mov_b32 s58, 0x46000000
	v_add_f32_e64 v4, |v3|, s58
	v_and_b32_e32 v4, 0xff, v4
	v_cmp_ne_u32_e32 vcc, 0, v4
	s_andn2_b64 s[52:53], s[52:53], exec
	s_and_b64 s[58:59], vcc, exec
	s_or_b64 s[52:53], s[52:53], s[58:59]
	s_or_b64 exec, exec, s[54:55]
	v_mov_b32_e32 v5, 0
	s_and_saveexec_b64 s[54:55], s[52:53]
	s_cbranch_execnz .LBB47_690
	s_branch .LBB47_691
.LBB47_808:
	s_mov_b64 s[54:55], -1
                                        ; implicit-def: $vgpr1
	s_mov_b64 s[0:1], 0
.LBB47_809:
	s_and_b64 vcc, exec, s[56:57]
	s_cbranch_vccz .LBB47_813
; %bb.810:
	s_cmp_eq_u32 s59, 44
	s_cbranch_scc0 .LBB47_812
; %bb.811:
	global_load_ubyte v1, v[4:5], off
	s_mov_b64 s[0:1], -1
	s_mov_b64 s[54:55], 0
	s_waitcnt vmcnt(0)
	v_lshlrev_b32_e32 v2, 23, v1
	v_cvt_i32_f32_e32 v2, v2
	v_cmp_ne_u32_e32 vcc, 0, v1
	v_cndmask_b32_e32 v1, 0, v2, vcc
	s_branch .LBB47_813
.LBB47_812:
	s_mov_b64 s[54:55], -1
                                        ; implicit-def: $vgpr1
.LBB47_813:
	s_mov_b64 s[56:57], 0
.LBB47_814:
	s_and_b64 vcc, exec, s[56:57]
	s_cbranch_vccz .LBB47_818
; %bb.815:
	s_cmp_eq_u32 s59, 29
	s_cbranch_scc0 .LBB47_817
; %bb.816:
	global_load_dwordx2 v[1:2], v[4:5], off
	s_mov_b64 s[0:1], -1
	s_mov_b64 s[54:55], 0
	s_branch .LBB47_818
.LBB47_817:
	s_mov_b64 s[54:55], -1
                                        ; implicit-def: $vgpr1
.LBB47_818:
	s_mov_b64 s[56:57], 0
.LBB47_819:
	s_and_b64 vcc, exec, s[56:57]
	s_cbranch_vccz .LBB47_835
; %bb.820:
	s_cmp_lt_i32 s59, 27
	s_cbranch_scc1 .LBB47_823
; %bb.821:
	s_cmp_gt_i32 s59, 27
	s_cbranch_scc0 .LBB47_824
; %bb.822:
	global_load_dword v1, v[4:5], off
	s_mov_b64 s[0:1], 0
	s_branch .LBB47_825
.LBB47_823:
	s_mov_b64 s[0:1], -1
                                        ; implicit-def: $vgpr1
	s_branch .LBB47_828
.LBB47_824:
	s_mov_b64 s[0:1], -1
                                        ; implicit-def: $vgpr1
.LBB47_825:
	s_andn2_b64 vcc, exec, s[0:1]
	s_cbranch_vccnz .LBB47_827
; %bb.826:
	global_load_ushort v1, v[4:5], off
.LBB47_827:
	s_mov_b64 s[0:1], 0
.LBB47_828:
	s_andn2_b64 vcc, exec, s[0:1]
	s_cbranch_vccnz .LBB47_834
; %bb.829:
	global_load_ubyte v2, v[4:5], off
	s_movk_i32 s0, 0x7f
	s_mov_b64 s[56:57], 0
	s_waitcnt vmcnt(0)
	v_cmp_lt_i16_e32 vcc, s0, v2
	s_and_saveexec_b64 s[0:1], vcc
	s_xor_b64 s[0:1], exec, s[0:1]
	s_cbranch_execz .LBB47_846
; %bb.830:
	s_movk_i32 s56, 0x80
	v_cmp_ne_u16_e32 vcc, s56, v2
	s_and_b64 s[56:57], vcc, exec
	s_andn2_saveexec_b64 s[0:1], s[0:1]
	s_cbranch_execnz .LBB47_847
.LBB47_831:
	s_or_b64 exec, exec, s[0:1]
	v_mov_b32_e32 v1, 0
	s_and_saveexec_b64 s[0:1], s[56:57]
	s_cbranch_execz .LBB47_833
.LBB47_832:
	v_lshlrev_b32_e32 v1, 24, v2
	v_and_b32_e32 v2, 0xffff, v2
	v_and_b32_e32 v6, 7, v2
	v_ffbh_u32_e32 v8, v6
	v_min_u32_e32 v8, 32, v8
	v_subrev_u32_e32 v9, 28, v8
	v_bfe_u32 v7, v2, 3, 4
	v_lshlrev_b32_e32 v2, v9, v2
	v_sub_u32_e32 v8, 29, v8
	v_and_b32_e32 v2, 7, v2
	v_cmp_eq_u32_e32 vcc, 0, v7
	v_cndmask_b32_e32 v7, v7, v8, vcc
	v_cndmask_b32_e32 v2, v6, v2, vcc
	v_mov_b32_e32 v6, 0x3b800000
	v_lshlrev_b32_e32 v2, 20, v2
	v_and_b32_e32 v1, 0x80000000, v1
	v_lshl_add_u32 v6, v7, 23, v6
	v_or3_b32 v1, v1, v6, v2
	v_cvt_i32_f32_e32 v1, v1
.LBB47_833:
	s_or_b64 exec, exec, s[0:1]
.LBB47_834:
	s_mov_b64 s[0:1], -1
.LBB47_835:
	s_mov_b64 s[56:57], 0
.LBB47_836:
	s_and_b64 vcc, exec, s[56:57]
	s_cbranch_vccz .LBB47_869
; %bb.837:
	s_cmp_gt_i32 s59, 22
	s_cbranch_scc0 .LBB47_845
; %bb.838:
	s_cmp_lt_i32 s59, 24
	s_cbranch_scc1 .LBB47_848
; %bb.839:
	s_cmp_gt_i32 s59, 24
	s_cbranch_scc0 .LBB47_849
; %bb.840:
	global_load_ubyte v2, v[4:5], off
	s_movk_i32 s0, 0x7f
	s_mov_b64 s[56:57], 0
	s_waitcnt vmcnt(0)
	v_cmp_lt_i16_e32 vcc, s0, v2
	s_and_saveexec_b64 s[0:1], vcc
	s_xor_b64 s[0:1], exec, s[0:1]
	s_cbranch_execz .LBB47_861
; %bb.841:
	s_movk_i32 s56, 0x80
	v_cmp_ne_u16_e32 vcc, s56, v2
	s_and_b64 s[56:57], vcc, exec
	s_andn2_saveexec_b64 s[0:1], s[0:1]
	s_cbranch_execnz .LBB47_862
.LBB47_842:
	s_or_b64 exec, exec, s[0:1]
	v_mov_b32_e32 v1, 0
	s_and_saveexec_b64 s[0:1], s[56:57]
	s_cbranch_execz .LBB47_844
.LBB47_843:
	v_lshlrev_b32_e32 v1, 24, v2
	v_and_b32_e32 v2, 0xffff, v2
	v_and_b32_e32 v6, 3, v2
	v_ffbh_u32_e32 v8, v6
	v_min_u32_e32 v8, 32, v8
	v_subrev_u32_e32 v9, 29, v8
	v_bfe_u32 v7, v2, 2, 5
	v_lshlrev_b32_e32 v2, v9, v2
	v_sub_u32_e32 v8, 30, v8
	v_and_b32_e32 v2, 3, v2
	v_cmp_eq_u32_e32 vcc, 0, v7
	v_cndmask_b32_e32 v7, v7, v8, vcc
	v_cndmask_b32_e32 v2, v6, v2, vcc
	v_mov_b32_e32 v6, 0x37800000
	v_lshlrev_b32_e32 v2, 21, v2
	v_and_b32_e32 v1, 0x80000000, v1
	v_lshl_add_u32 v6, v7, 23, v6
	v_or3_b32 v1, v1, v6, v2
	v_cvt_i32_f32_e32 v1, v1
.LBB47_844:
	s_or_b64 exec, exec, s[0:1]
	s_mov_b64 s[0:1], 0
	s_branch .LBB47_850
.LBB47_845:
	s_mov_b64 s[56:57], -1
                                        ; implicit-def: $vgpr1
	s_branch .LBB47_856
.LBB47_846:
	s_andn2_saveexec_b64 s[0:1], s[0:1]
	s_cbranch_execz .LBB47_831
.LBB47_847:
	v_cmp_ne_u16_e32 vcc, 0, v2
	s_andn2_b64 s[56:57], s[56:57], exec
	s_and_b64 s[60:61], vcc, exec
	s_or_b64 s[56:57], s[56:57], s[60:61]
	s_or_b64 exec, exec, s[0:1]
	v_mov_b32_e32 v1, 0
	s_and_saveexec_b64 s[0:1], s[56:57]
	s_cbranch_execnz .LBB47_832
	s_branch .LBB47_833
.LBB47_848:
	s_mov_b64 s[0:1], -1
                                        ; implicit-def: $vgpr1
	s_branch .LBB47_853
.LBB47_849:
	s_mov_b64 s[0:1], -1
                                        ; implicit-def: $vgpr1
.LBB47_850:
	s_and_b64 vcc, exec, s[0:1]
	s_cbranch_vccz .LBB47_852
; %bb.851:
	global_load_ubyte v1, v[4:5], off
	s_mov_b32 s0, 0x7f800000
	s_waitcnt vmcnt(0)
	v_lshlrev_b32_e32 v1, 24, v1
	v_and_b32_e32 v2, 0x7f000000, v1
	v_ffbh_u32_e32 v6, v2
	v_min_u32_e32 v6, 32, v6
	v_sub_u32_e64 v6, v6, 4 clamp
	v_lshlrev_b32_e32 v8, v6, v2
	v_lshlrev_b32_e32 v6, 23, v6
	v_lshrrev_b32_e32 v8, 4, v8
	v_add_u32_e32 v7, 0x1000000, v2
	v_sub_u32_e32 v6, v8, v6
	v_ashrrev_i32_e32 v7, 8, v7
	v_add_u32_e32 v6, 0x3c000000, v6
	v_and_or_b32 v6, v7, s0, v6
	v_cmp_ne_u32_e32 vcc, 0, v2
	v_cndmask_b32_e32 v2, 0, v6, vcc
	s_brev_b32 s0, 1
	v_and_or_b32 v1, v1, s0, v2
	v_cvt_i32_f32_e32 v1, v1
.LBB47_852:
	s_mov_b64 s[0:1], 0
.LBB47_853:
	s_andn2_b64 vcc, exec, s[0:1]
	s_cbranch_vccnz .LBB47_855
; %bb.854:
	global_load_ubyte v1, v[4:5], off
	s_movk_i32 s0, 0x7f00
	s_brev_b32 s1, 16
	s_waitcnt vmcnt(0)
	v_lshlrev_b16_e32 v2, 8, v1
	v_lshlrev_b32_e32 v1, 25, v1
	v_lshrrev_b32_e32 v6, 4, v1
	v_and_or_b32 v7, v2, s0, 0.5
	v_or_b32_e32 v6, 0x70000000, v6
	v_add_f32_e32 v7, -0.5, v7
	v_mul_f32_e32 v6, 0x7800000, v6
	v_cmp_gt_u32_e32 vcc, s1, v1
	v_bfe_i32 v2, v2, 0, 16
	v_cndmask_b32_e32 v1, v6, v7, vcc
	s_brev_b32 s0, 1
	v_and_or_b32 v1, v2, s0, v1
	v_cvt_i32_f32_e32 v1, v1
.LBB47_855:
	s_mov_b64 s[56:57], 0
	s_mov_b64 s[0:1], -1
.LBB47_856:
	s_andn2_b64 vcc, exec, s[56:57]
	s_cbranch_vccnz .LBB47_869
; %bb.857:
	s_cmp_gt_i32 s59, 14
	s_cbranch_scc0 .LBB47_860
; %bb.858:
	s_cmp_eq_u32 s59, 15
	s_cbranch_scc0 .LBB47_863
; %bb.859:
	global_load_ushort v1, v[4:5], off
	s_mov_b64 s[0:1], -1
	s_mov_b64 s[54:55], 0
	s_waitcnt vmcnt(0)
	v_lshlrev_b32_e32 v1, 16, v1
	v_cvt_i32_f32_e32 v1, v1
	s_branch .LBB47_864
.LBB47_860:
	s_mov_b64 s[56:57], -1
                                        ; implicit-def: $vgpr1
	s_branch .LBB47_865
.LBB47_861:
	s_andn2_saveexec_b64 s[0:1], s[0:1]
	s_cbranch_execz .LBB47_842
.LBB47_862:
	v_cmp_ne_u16_e32 vcc, 0, v2
	s_andn2_b64 s[56:57], s[56:57], exec
	s_and_b64 s[60:61], vcc, exec
	s_or_b64 s[56:57], s[56:57], s[60:61]
	s_or_b64 exec, exec, s[0:1]
	v_mov_b32_e32 v1, 0
	s_and_saveexec_b64 s[0:1], s[56:57]
	s_cbranch_execnz .LBB47_843
	s_branch .LBB47_844
.LBB47_863:
	s_mov_b64 s[54:55], -1
                                        ; implicit-def: $vgpr1
.LBB47_864:
	s_mov_b64 s[56:57], 0
.LBB47_865:
	s_and_b64 vcc, exec, s[56:57]
	s_cbranch_vccz .LBB47_869
; %bb.866:
	s_cmp_eq_u32 s59, 11
	s_cbranch_scc0 .LBB47_868
; %bb.867:
	global_load_ubyte v1, v[4:5], off
	s_mov_b64 s[0:1], -1
	s_mov_b64 s[54:55], 0
	s_waitcnt vmcnt(0)
	v_cmp_ne_u16_e32 vcc, 0, v1
	v_cndmask_b32_e64 v1, 0, 1, vcc
	s_branch .LBB47_869
.LBB47_868:
	s_mov_b64 s[54:55], -1
                                        ; implicit-def: $vgpr1
.LBB47_869:
	s_mov_b64 s[56:57], 0
.LBB47_870:
	s_and_b64 vcc, exec, s[56:57]
	s_cbranch_vccz .LBB47_919
; %bb.871:
	s_and_b32 s56, 0xffff, s58
	s_cmp_lt_i32 s56, 5
	s_cbranch_scc1 .LBB47_876
; %bb.872:
	s_cmp_lt_i32 s56, 8
	s_cbranch_scc1 .LBB47_877
; %bb.873:
	;; [unrolled: 3-line block ×3, first 2 shown]
	s_cmp_gt_i32 s56, 9
	s_cbranch_scc0 .LBB47_879
; %bb.875:
	global_load_dwordx2 v[1:2], v[4:5], off
	s_mov_b64 s[0:1], 0
	s_waitcnt vmcnt(0)
	v_cvt_i32_f64_e32 v1, v[1:2]
	s_branch .LBB47_880
.LBB47_876:
	s_mov_b64 s[0:1], -1
                                        ; implicit-def: $vgpr1
	s_branch .LBB47_898
.LBB47_877:
	s_mov_b64 s[0:1], -1
                                        ; implicit-def: $vgpr1
	s_branch .LBB47_886
.LBB47_878:
	s_mov_b64 s[0:1], -1
                                        ; implicit-def: $vgpr1
	s_branch .LBB47_883
.LBB47_879:
	s_mov_b64 s[0:1], -1
                                        ; implicit-def: $vgpr1
.LBB47_880:
	s_andn2_b64 vcc, exec, s[0:1]
	s_cbranch_vccnz .LBB47_882
; %bb.881:
	global_load_dword v1, v[4:5], off
	s_waitcnt vmcnt(0)
	v_cvt_i32_f32_e32 v1, v1
.LBB47_882:
	s_mov_b64 s[0:1], 0
.LBB47_883:
	s_andn2_b64 vcc, exec, s[0:1]
	s_cbranch_vccnz .LBB47_885
; %bb.884:
	global_load_dword v1, v[4:5], off
	s_waitcnt vmcnt(0)
	v_cvt_i16_f16_e32 v1, v1
.LBB47_885:
	s_mov_b64 s[0:1], 0
.LBB47_886:
	s_andn2_b64 vcc, exec, s[0:1]
	s_cbranch_vccnz .LBB47_897
; %bb.887:
	s_cmp_lt_i32 s56, 6
	s_cbranch_scc1 .LBB47_890
; %bb.888:
	s_cmp_gt_i32 s56, 6
	s_cbranch_scc0 .LBB47_891
; %bb.889:
	global_load_dwordx2 v[1:2], v[4:5], off
	s_mov_b64 s[0:1], 0
	s_waitcnt vmcnt(0)
	v_cvt_i32_f64_e32 v1, v[1:2]
	s_branch .LBB47_892
.LBB47_890:
	s_mov_b64 s[0:1], -1
                                        ; implicit-def: $vgpr1
	s_branch .LBB47_895
.LBB47_891:
	s_mov_b64 s[0:1], -1
                                        ; implicit-def: $vgpr1
.LBB47_892:
	s_andn2_b64 vcc, exec, s[0:1]
	s_cbranch_vccnz .LBB47_894
; %bb.893:
	global_load_dword v1, v[4:5], off
	s_waitcnt vmcnt(0)
	v_cvt_i32_f32_e32 v1, v1
.LBB47_894:
	s_mov_b64 s[0:1], 0
.LBB47_895:
	s_andn2_b64 vcc, exec, s[0:1]
	s_cbranch_vccnz .LBB47_897
; %bb.896:
	global_load_ushort v1, v[4:5], off
	s_waitcnt vmcnt(0)
	v_cvt_i16_f16_e32 v1, v1
.LBB47_897:
	s_mov_b64 s[0:1], 0
.LBB47_898:
	s_andn2_b64 vcc, exec, s[0:1]
	s_cbranch_vccnz .LBB47_918
; %bb.899:
	s_cmp_lt_i32 s56, 2
	s_cbranch_scc1 .LBB47_903
; %bb.900:
	s_cmp_lt_i32 s56, 3
	s_cbranch_scc1 .LBB47_904
; %bb.901:
	s_cmp_gt_i32 s56, 3
	s_cbranch_scc0 .LBB47_905
; %bb.902:
	global_load_dwordx2 v[1:2], v[4:5], off
	s_mov_b64 s[0:1], 0
	s_branch .LBB47_906
.LBB47_903:
	s_mov_b64 s[0:1], -1
                                        ; implicit-def: $vgpr1
	s_branch .LBB47_912
.LBB47_904:
	s_mov_b64 s[0:1], -1
                                        ; implicit-def: $vgpr1
	s_branch .LBB47_909
.LBB47_905:
	s_mov_b64 s[0:1], -1
                                        ; implicit-def: $vgpr1
.LBB47_906:
	s_andn2_b64 vcc, exec, s[0:1]
	s_cbranch_vccnz .LBB47_908
; %bb.907:
	global_load_dword v1, v[4:5], off
.LBB47_908:
	s_mov_b64 s[0:1], 0
.LBB47_909:
	s_andn2_b64 vcc, exec, s[0:1]
	s_cbranch_vccnz .LBB47_911
; %bb.910:
	global_load_ushort v1, v[4:5], off
.LBB47_911:
	s_mov_b64 s[0:1], 0
.LBB47_912:
	s_andn2_b64 vcc, exec, s[0:1]
	s_cbranch_vccnz .LBB47_918
; %bb.913:
	s_cmp_gt_i32 s56, 0
	s_cbranch_scc0 .LBB47_915
; %bb.914:
	global_load_ubyte v1, v[4:5], off
	s_mov_b64 s[0:1], 0
	s_branch .LBB47_916
.LBB47_915:
	s_mov_b64 s[0:1], -1
                                        ; implicit-def: $vgpr1
.LBB47_916:
	s_andn2_b64 vcc, exec, s[0:1]
	s_cbranch_vccnz .LBB47_918
; %bb.917:
	global_load_ubyte v1, v[4:5], off
.LBB47_918:
	s_mov_b64 s[0:1], -1
.LBB47_919:
	s_andn2_b64 vcc, exec, s[0:1]
	s_cbranch_vccnz .LBB47_927
; %bb.920:
	v_mov_b32_e32 v4, s25
	s_and_b32 s60, s70, 0xff
	s_waitcnt vmcnt(0)
	v_add_co_u32_e32 v2, vcc, s24, v3
	s_cmp_lt_i32 s60, 11
	v_addc_co_u32_e32 v3, vcc, 0, v4, vcc
	s_cbranch_scc1 .LBB47_929
; %bb.921:
	s_and_b32 s61, 0xffff, s60
	s_cmp_gt_i32 s61, 25
	s_cbranch_scc0 .LBB47_930
; %bb.922:
	s_cmp_gt_i32 s61, 28
	s_cbranch_scc0 .LBB47_931
; %bb.923:
	;; [unrolled: 3-line block ×4, first 2 shown]
	s_cmp_eq_u32 s61, 46
	s_mov_b64 s[58:59], 0
	s_cbranch_scc0 .LBB47_936
; %bb.926:
	global_load_dword v4, v[2:3], off
	s_mov_b64 s[0:1], -1
	s_mov_b64 s[56:57], 0
	s_waitcnt vmcnt(0)
	v_lshlrev_b32_e32 v4, 16, v4
	v_cvt_i32_f32_e32 v4, v4
	s_branch .LBB47_937
.LBB47_927:
	s_mov_b64 s[60:61], 0
	s_mov_b64 s[0:1], s[48:49]
	s_mov_b64 s[56:57], s[46:47]
.LBB47_928:
                                        ; implicit-def: $vgpr10
	s_branch .LBB47_1171
.LBB47_929:
	s_mov_b64 s[58:59], -1
	s_mov_b64 s[0:1], 0
                                        ; implicit-def: $vgpr4
	s_mov_b64 s[56:57], s[46:47]
	s_branch .LBB47_998
.LBB47_930:
	s_mov_b64 s[58:59], -1
	s_mov_b64 s[0:1], 0
	s_mov_b64 s[56:57], s[46:47]
                                        ; implicit-def: $vgpr4
	s_branch .LBB47_964
.LBB47_931:
	s_mov_b64 s[58:59], -1
	s_mov_b64 s[0:1], 0
	s_mov_b64 s[56:57], s[46:47]
                                        ; implicit-def: $vgpr4
	s_branch .LBB47_947
.LBB47_932:
	s_mov_b64 s[58:59], -1
	s_mov_b64 s[0:1], 0
	s_mov_b64 s[56:57], s[46:47]
                                        ; implicit-def: $vgpr4
	s_branch .LBB47_942
.LBB47_933:
	s_mov_b64 s[58:59], -1
	s_mov_b64 s[0:1], 0
	s_mov_b64 s[56:57], s[46:47]
                                        ; implicit-def: $vgpr4
	s_branch .LBB47_937
.LBB47_934:
	s_andn2_saveexec_b64 s[54:55], s[54:55]
	s_cbranch_execz .LBB47_702
.LBB47_935:
	s_mov_b32 s58, 0x42800000
	v_add_f32_e64 v4, |v3|, s58
	v_and_b32_e32 v4, 0xff, v4
	v_cmp_ne_u32_e32 vcc, 0, v4
	s_andn2_b64 s[52:53], s[52:53], exec
	s_and_b64 s[58:59], vcc, exec
	s_or_b64 s[52:53], s[52:53], s[58:59]
	s_or_b64 exec, exec, s[54:55]
	v_mov_b32_e32 v5, 0
	s_and_saveexec_b64 s[54:55], s[52:53]
	s_cbranch_execnz .LBB47_703
	s_branch .LBB47_704
.LBB47_936:
	s_mov_b64 s[56:57], -1
                                        ; implicit-def: $vgpr4
	s_mov_b64 s[0:1], 0
.LBB47_937:
	s_and_b64 vcc, exec, s[58:59]
	s_cbranch_vccz .LBB47_941
; %bb.938:
	s_cmp_eq_u32 s61, 44
	s_cbranch_scc0 .LBB47_940
; %bb.939:
	global_load_ubyte v4, v[2:3], off
	s_mov_b64 s[0:1], -1
	s_mov_b64 s[56:57], 0
	s_waitcnt vmcnt(0)
	v_lshlrev_b32_e32 v5, 23, v4
	v_cvt_i32_f32_e32 v5, v5
	v_cmp_ne_u32_e32 vcc, 0, v4
	v_cndmask_b32_e32 v4, 0, v5, vcc
	s_branch .LBB47_941
.LBB47_940:
	s_mov_b64 s[56:57], -1
                                        ; implicit-def: $vgpr4
.LBB47_941:
	s_mov_b64 s[58:59], 0
.LBB47_942:
	s_and_b64 vcc, exec, s[58:59]
	s_cbranch_vccz .LBB47_946
; %bb.943:
	s_cmp_eq_u32 s61, 29
	s_cbranch_scc0 .LBB47_945
; %bb.944:
	global_load_dwordx2 v[4:5], v[2:3], off
	s_mov_b64 s[0:1], -1
	s_mov_b64 s[56:57], 0
	s_branch .LBB47_946
.LBB47_945:
	s_mov_b64 s[56:57], -1
                                        ; implicit-def: $vgpr4
.LBB47_946:
	s_mov_b64 s[58:59], 0
.LBB47_947:
	s_and_b64 vcc, exec, s[58:59]
	s_cbranch_vccz .LBB47_963
; %bb.948:
	s_cmp_lt_i32 s61, 27
	s_cbranch_scc1 .LBB47_951
; %bb.949:
	s_cmp_gt_i32 s61, 27
	s_cbranch_scc0 .LBB47_952
; %bb.950:
	global_load_dword v4, v[2:3], off
	s_mov_b64 s[0:1], 0
	s_branch .LBB47_953
.LBB47_951:
	s_mov_b64 s[0:1], -1
                                        ; implicit-def: $vgpr4
	s_branch .LBB47_956
.LBB47_952:
	s_mov_b64 s[0:1], -1
                                        ; implicit-def: $vgpr4
.LBB47_953:
	s_andn2_b64 vcc, exec, s[0:1]
	s_cbranch_vccnz .LBB47_955
; %bb.954:
	global_load_ushort v4, v[2:3], off
.LBB47_955:
	s_mov_b64 s[0:1], 0
.LBB47_956:
	s_andn2_b64 vcc, exec, s[0:1]
	s_cbranch_vccnz .LBB47_962
; %bb.957:
	global_load_ubyte v5, v[2:3], off
	s_movk_i32 s0, 0x7f
	s_mov_b64 s[58:59], 0
	s_waitcnt vmcnt(0)
	v_cmp_lt_i16_e32 vcc, s0, v5
	s_and_saveexec_b64 s[0:1], vcc
	s_xor_b64 s[0:1], exec, s[0:1]
	s_cbranch_execz .LBB47_974
; %bb.958:
	s_movk_i32 s58, 0x80
	v_cmp_ne_u16_e32 vcc, s58, v5
	s_and_b64 s[58:59], vcc, exec
	s_andn2_saveexec_b64 s[0:1], s[0:1]
	s_cbranch_execnz .LBB47_975
.LBB47_959:
	s_or_b64 exec, exec, s[0:1]
	v_mov_b32_e32 v4, 0
	s_and_saveexec_b64 s[0:1], s[58:59]
	s_cbranch_execz .LBB47_961
.LBB47_960:
	v_lshlrev_b32_e32 v4, 24, v5
	v_and_b32_e32 v5, 0xffff, v5
	v_and_b32_e32 v6, 7, v5
	v_ffbh_u32_e32 v8, v6
	v_min_u32_e32 v8, 32, v8
	v_subrev_u32_e32 v9, 28, v8
	v_bfe_u32 v7, v5, 3, 4
	v_lshlrev_b32_e32 v5, v9, v5
	v_sub_u32_e32 v8, 29, v8
	v_and_b32_e32 v5, 7, v5
	v_cmp_eq_u32_e32 vcc, 0, v7
	v_cndmask_b32_e32 v7, v7, v8, vcc
	v_cndmask_b32_e32 v5, v6, v5, vcc
	v_mov_b32_e32 v6, 0x3b800000
	v_lshlrev_b32_e32 v5, 20, v5
	v_and_b32_e32 v4, 0x80000000, v4
	v_lshl_add_u32 v6, v7, 23, v6
	v_or3_b32 v4, v4, v6, v5
	v_cvt_i32_f32_e32 v4, v4
.LBB47_961:
	s_or_b64 exec, exec, s[0:1]
.LBB47_962:
	s_mov_b64 s[0:1], -1
.LBB47_963:
	s_mov_b64 s[58:59], 0
.LBB47_964:
	s_and_b64 vcc, exec, s[58:59]
	s_cbranch_vccz .LBB47_997
; %bb.965:
	s_cmp_gt_i32 s61, 22
	s_cbranch_scc0 .LBB47_973
; %bb.966:
	s_cmp_lt_i32 s61, 24
	s_cbranch_scc1 .LBB47_976
; %bb.967:
	s_cmp_gt_i32 s61, 24
	s_cbranch_scc0 .LBB47_977
; %bb.968:
	global_load_ubyte v5, v[2:3], off
	s_movk_i32 s0, 0x7f
	s_mov_b64 s[58:59], 0
	s_waitcnt vmcnt(0)
	v_cmp_lt_i16_e32 vcc, s0, v5
	s_and_saveexec_b64 s[0:1], vcc
	s_xor_b64 s[0:1], exec, s[0:1]
	s_cbranch_execz .LBB47_989
; %bb.969:
	s_movk_i32 s58, 0x80
	v_cmp_ne_u16_e32 vcc, s58, v5
	s_and_b64 s[58:59], vcc, exec
	s_andn2_saveexec_b64 s[0:1], s[0:1]
	s_cbranch_execnz .LBB47_990
.LBB47_970:
	s_or_b64 exec, exec, s[0:1]
	v_mov_b32_e32 v4, 0
	s_and_saveexec_b64 s[0:1], s[58:59]
	s_cbranch_execz .LBB47_972
.LBB47_971:
	v_lshlrev_b32_e32 v4, 24, v5
	v_and_b32_e32 v5, 0xffff, v5
	v_and_b32_e32 v6, 3, v5
	v_ffbh_u32_e32 v8, v6
	v_min_u32_e32 v8, 32, v8
	v_subrev_u32_e32 v9, 29, v8
	v_bfe_u32 v7, v5, 2, 5
	v_lshlrev_b32_e32 v5, v9, v5
	v_sub_u32_e32 v8, 30, v8
	v_and_b32_e32 v5, 3, v5
	v_cmp_eq_u32_e32 vcc, 0, v7
	v_cndmask_b32_e32 v7, v7, v8, vcc
	v_cndmask_b32_e32 v5, v6, v5, vcc
	v_mov_b32_e32 v6, 0x37800000
	v_lshlrev_b32_e32 v5, 21, v5
	v_and_b32_e32 v4, 0x80000000, v4
	v_lshl_add_u32 v6, v7, 23, v6
	v_or3_b32 v4, v4, v6, v5
	v_cvt_i32_f32_e32 v4, v4
.LBB47_972:
	s_or_b64 exec, exec, s[0:1]
	s_mov_b64 s[0:1], 0
	s_branch .LBB47_978
.LBB47_973:
	s_mov_b64 s[58:59], -1
                                        ; implicit-def: $vgpr4
	s_branch .LBB47_984
.LBB47_974:
	s_andn2_saveexec_b64 s[0:1], s[0:1]
	s_cbranch_execz .LBB47_959
.LBB47_975:
	v_cmp_ne_u16_e32 vcc, 0, v5
	s_andn2_b64 s[58:59], s[58:59], exec
	s_and_b64 s[62:63], vcc, exec
	s_or_b64 s[58:59], s[58:59], s[62:63]
	s_or_b64 exec, exec, s[0:1]
	v_mov_b32_e32 v4, 0
	s_and_saveexec_b64 s[0:1], s[58:59]
	s_cbranch_execnz .LBB47_960
	s_branch .LBB47_961
.LBB47_976:
	s_mov_b64 s[0:1], -1
                                        ; implicit-def: $vgpr4
	s_branch .LBB47_981
.LBB47_977:
	s_mov_b64 s[0:1], -1
                                        ; implicit-def: $vgpr4
.LBB47_978:
	s_and_b64 vcc, exec, s[0:1]
	s_cbranch_vccz .LBB47_980
; %bb.979:
	global_load_ubyte v4, v[2:3], off
	s_mov_b32 s0, 0x7f800000
	s_waitcnt vmcnt(0)
	v_lshlrev_b32_e32 v4, 24, v4
	v_and_b32_e32 v5, 0x7f000000, v4
	v_ffbh_u32_e32 v6, v5
	v_min_u32_e32 v6, 32, v6
	v_sub_u32_e64 v6, v6, 4 clamp
	v_lshlrev_b32_e32 v8, v6, v5
	v_lshlrev_b32_e32 v6, 23, v6
	v_lshrrev_b32_e32 v8, 4, v8
	v_add_u32_e32 v7, 0x1000000, v5
	v_sub_u32_e32 v6, v8, v6
	v_ashrrev_i32_e32 v7, 8, v7
	v_add_u32_e32 v6, 0x3c000000, v6
	v_and_or_b32 v6, v7, s0, v6
	v_cmp_ne_u32_e32 vcc, 0, v5
	v_cndmask_b32_e32 v5, 0, v6, vcc
	s_brev_b32 s0, 1
	v_and_or_b32 v4, v4, s0, v5
	v_cvt_i32_f32_e32 v4, v4
.LBB47_980:
	s_mov_b64 s[0:1], 0
.LBB47_981:
	s_andn2_b64 vcc, exec, s[0:1]
	s_cbranch_vccnz .LBB47_983
; %bb.982:
	global_load_ubyte v4, v[2:3], off
	s_movk_i32 s0, 0x7f00
	s_brev_b32 s1, 16
	s_waitcnt vmcnt(0)
	v_lshlrev_b16_e32 v5, 8, v4
	v_lshlrev_b32_e32 v4, 25, v4
	v_lshrrev_b32_e32 v6, 4, v4
	v_and_or_b32 v7, v5, s0, 0.5
	v_or_b32_e32 v6, 0x70000000, v6
	v_add_f32_e32 v7, -0.5, v7
	v_mul_f32_e32 v6, 0x7800000, v6
	v_cmp_gt_u32_e32 vcc, s1, v4
	v_bfe_i32 v5, v5, 0, 16
	v_cndmask_b32_e32 v4, v6, v7, vcc
	s_brev_b32 s0, 1
	v_and_or_b32 v4, v5, s0, v4
	v_cvt_i32_f32_e32 v4, v4
.LBB47_983:
	s_mov_b64 s[58:59], 0
	s_mov_b64 s[0:1], -1
.LBB47_984:
	s_andn2_b64 vcc, exec, s[58:59]
	s_cbranch_vccnz .LBB47_997
; %bb.985:
	s_cmp_gt_i32 s61, 14
	s_cbranch_scc0 .LBB47_988
; %bb.986:
	s_cmp_eq_u32 s61, 15
	s_cbranch_scc0 .LBB47_991
; %bb.987:
	global_load_ushort v4, v[2:3], off
	s_mov_b64 s[0:1], -1
	s_mov_b64 s[56:57], 0
	s_waitcnt vmcnt(0)
	v_lshlrev_b32_e32 v4, 16, v4
	v_cvt_i32_f32_e32 v4, v4
	s_branch .LBB47_992
.LBB47_988:
	s_mov_b64 s[58:59], -1
                                        ; implicit-def: $vgpr4
	s_branch .LBB47_993
.LBB47_989:
	s_andn2_saveexec_b64 s[0:1], s[0:1]
	s_cbranch_execz .LBB47_970
.LBB47_990:
	v_cmp_ne_u16_e32 vcc, 0, v5
	s_andn2_b64 s[58:59], s[58:59], exec
	s_and_b64 s[62:63], vcc, exec
	s_or_b64 s[58:59], s[58:59], s[62:63]
	s_or_b64 exec, exec, s[0:1]
	v_mov_b32_e32 v4, 0
	s_and_saveexec_b64 s[0:1], s[58:59]
	s_cbranch_execnz .LBB47_971
	s_branch .LBB47_972
.LBB47_991:
	s_mov_b64 s[56:57], -1
                                        ; implicit-def: $vgpr4
.LBB47_992:
	s_mov_b64 s[58:59], 0
.LBB47_993:
	s_and_b64 vcc, exec, s[58:59]
	s_cbranch_vccz .LBB47_997
; %bb.994:
	s_cmp_eq_u32 s61, 11
	s_cbranch_scc0 .LBB47_996
; %bb.995:
	global_load_ubyte v4, v[2:3], off
	s_mov_b64 s[0:1], -1
	s_mov_b64 s[56:57], 0
	s_waitcnt vmcnt(0)
	v_cmp_ne_u16_e32 vcc, 0, v4
	v_cndmask_b32_e64 v4, 0, 1, vcc
	s_branch .LBB47_997
.LBB47_996:
	s_mov_b64 s[56:57], -1
                                        ; implicit-def: $vgpr4
.LBB47_997:
	s_mov_b64 s[58:59], 0
.LBB47_998:
	s_and_b64 vcc, exec, s[58:59]
	s_cbranch_vccz .LBB47_1047
; %bb.999:
	s_and_b32 s58, 0xffff, s60
	s_cmp_lt_i32 s58, 5
	s_cbranch_scc1 .LBB47_1004
; %bb.1000:
	s_cmp_lt_i32 s58, 8
	s_cbranch_scc1 .LBB47_1005
; %bb.1001:
	;; [unrolled: 3-line block ×3, first 2 shown]
	s_cmp_gt_i32 s58, 9
	s_cbranch_scc0 .LBB47_1007
; %bb.1003:
	global_load_dwordx2 v[4:5], v[2:3], off
	s_mov_b64 s[0:1], 0
	s_waitcnt vmcnt(0)
	v_cvt_i32_f64_e32 v4, v[4:5]
	s_branch .LBB47_1008
.LBB47_1004:
	s_mov_b64 s[0:1], -1
                                        ; implicit-def: $vgpr4
	s_branch .LBB47_1026
.LBB47_1005:
	s_mov_b64 s[0:1], -1
                                        ; implicit-def: $vgpr4
	s_branch .LBB47_1014
.LBB47_1006:
	s_mov_b64 s[0:1], -1
                                        ; implicit-def: $vgpr4
	s_branch .LBB47_1011
.LBB47_1007:
	s_mov_b64 s[0:1], -1
                                        ; implicit-def: $vgpr4
.LBB47_1008:
	s_andn2_b64 vcc, exec, s[0:1]
	s_cbranch_vccnz .LBB47_1010
; %bb.1009:
	global_load_dword v4, v[2:3], off
	s_waitcnt vmcnt(0)
	v_cvt_i32_f32_e32 v4, v4
.LBB47_1010:
	s_mov_b64 s[0:1], 0
.LBB47_1011:
	s_andn2_b64 vcc, exec, s[0:1]
	s_cbranch_vccnz .LBB47_1013
; %bb.1012:
	global_load_dword v4, v[2:3], off
	s_waitcnt vmcnt(0)
	v_cvt_i16_f16_e32 v4, v4
.LBB47_1013:
	s_mov_b64 s[0:1], 0
.LBB47_1014:
	s_andn2_b64 vcc, exec, s[0:1]
	s_cbranch_vccnz .LBB47_1025
; %bb.1015:
	s_cmp_lt_i32 s58, 6
	s_cbranch_scc1 .LBB47_1018
; %bb.1016:
	s_cmp_gt_i32 s58, 6
	s_cbranch_scc0 .LBB47_1019
; %bb.1017:
	global_load_dwordx2 v[4:5], v[2:3], off
	s_mov_b64 s[0:1], 0
	s_waitcnt vmcnt(0)
	v_cvt_i32_f64_e32 v4, v[4:5]
	s_branch .LBB47_1020
.LBB47_1018:
	s_mov_b64 s[0:1], -1
                                        ; implicit-def: $vgpr4
	s_branch .LBB47_1023
.LBB47_1019:
	s_mov_b64 s[0:1], -1
                                        ; implicit-def: $vgpr4
.LBB47_1020:
	s_andn2_b64 vcc, exec, s[0:1]
	s_cbranch_vccnz .LBB47_1022
; %bb.1021:
	global_load_dword v4, v[2:3], off
	s_waitcnt vmcnt(0)
	v_cvt_i32_f32_e32 v4, v4
.LBB47_1022:
	s_mov_b64 s[0:1], 0
.LBB47_1023:
	s_andn2_b64 vcc, exec, s[0:1]
	s_cbranch_vccnz .LBB47_1025
; %bb.1024:
	global_load_ushort v4, v[2:3], off
	s_waitcnt vmcnt(0)
	v_cvt_i16_f16_e32 v4, v4
.LBB47_1025:
	s_mov_b64 s[0:1], 0
.LBB47_1026:
	s_andn2_b64 vcc, exec, s[0:1]
	s_cbranch_vccnz .LBB47_1046
; %bb.1027:
	s_cmp_lt_i32 s58, 2
	s_cbranch_scc1 .LBB47_1031
; %bb.1028:
	s_cmp_lt_i32 s58, 3
	s_cbranch_scc1 .LBB47_1032
; %bb.1029:
	s_cmp_gt_i32 s58, 3
	s_cbranch_scc0 .LBB47_1033
; %bb.1030:
	global_load_dwordx2 v[4:5], v[2:3], off
	s_mov_b64 s[0:1], 0
	s_branch .LBB47_1034
.LBB47_1031:
	s_mov_b64 s[0:1], -1
                                        ; implicit-def: $vgpr4
	s_branch .LBB47_1040
.LBB47_1032:
	s_mov_b64 s[0:1], -1
                                        ; implicit-def: $vgpr4
	s_branch .LBB47_1037
.LBB47_1033:
	s_mov_b64 s[0:1], -1
                                        ; implicit-def: $vgpr4
.LBB47_1034:
	s_andn2_b64 vcc, exec, s[0:1]
	s_cbranch_vccnz .LBB47_1036
; %bb.1035:
	global_load_dword v4, v[2:3], off
.LBB47_1036:
	s_mov_b64 s[0:1], 0
.LBB47_1037:
	s_andn2_b64 vcc, exec, s[0:1]
	s_cbranch_vccnz .LBB47_1039
; %bb.1038:
	global_load_ushort v4, v[2:3], off
.LBB47_1039:
	s_mov_b64 s[0:1], 0
.LBB47_1040:
	s_andn2_b64 vcc, exec, s[0:1]
	s_cbranch_vccnz .LBB47_1046
; %bb.1041:
	s_cmp_gt_i32 s58, 0
	s_cbranch_scc0 .LBB47_1043
; %bb.1042:
	global_load_ubyte v4, v[2:3], off
	s_mov_b64 s[0:1], 0
	s_branch .LBB47_1044
.LBB47_1043:
	s_mov_b64 s[0:1], -1
                                        ; implicit-def: $vgpr4
.LBB47_1044:
	s_andn2_b64 vcc, exec, s[0:1]
	s_cbranch_vccnz .LBB47_1046
; %bb.1045:
	global_load_ubyte v4, v[2:3], off
.LBB47_1046:
	s_mov_b64 s[0:1], -1
.LBB47_1047:
	s_andn2_b64 vcc, exec, s[0:1]
	s_cbranch_vccnz .LBB47_1055
; %bb.1048:
	v_mov_b32_e32 v2, 8
	s_waitcnt vmcnt(0)
	v_lshlrev_b32_e32 v1, v4, v1
	v_cmp_lt_u16_sdwa vcc, v4, v2 src0_sel:BYTE_0 src1_sel:DWORD
	v_cndmask_b32_e32 v2, 0, v1, vcc
	v_mov_b32_e32 v1, s9
	s_and_b32 s64, s69, 0xff
	v_add_co_u32_e32 v0, vcc, s8, v0
	s_cmp_lt_i32 s64, 11
	v_addc_co_u32_e32 v1, vcc, 0, v1, vcc
	s_cbranch_scc1 .LBB47_1056
; %bb.1049:
	s_and_b32 s65, 0xffff, s64
	s_cmp_gt_i32 s65, 25
	s_cbranch_scc0 .LBB47_1057
; %bb.1050:
	s_cmp_gt_i32 s65, 28
	s_cbranch_scc0 .LBB47_1058
; %bb.1051:
	;; [unrolled: 3-line block ×4, first 2 shown]
	s_mov_b64 s[60:61], 0
	s_mov_b64 s[0:1], -1
	s_cmp_eq_u32 s65, 46
	s_mov_b64 s[58:59], 0
	s_cbranch_scc0 .LBB47_1061
; %bb.1054:
	v_bfe_i32 v3, v2, 0, 8
	v_cvt_f32_i32_sdwa v3, sext(v3) dst_sel:DWORD dst_unused:UNUSED_PAD src0_sel:WORD_0
	s_movk_i32 s0, 0x7fff
	s_mov_b64 s[58:59], -1
	v_bfe_u32 v4, v3, 16, 1
	v_add3_u32 v3, v3, v4, s0
	v_lshrrev_b32_e32 v3, 16, v3
	global_store_dword v[0:1], v3, off
	s_mov_b64 s[0:1], 0
	s_branch .LBB47_1061
.LBB47_1055:
	s_mov_b64 s[60:61], 0
                                        ; implicit-def: $vgpr10
	s_mov_b64 s[0:1], s[48:49]
	s_branch .LBB47_1171
.LBB47_1056:
	s_mov_b64 s[60:61], -1
	s_mov_b64 s[58:59], 0
	s_mov_b64 s[0:1], s[48:49]
	s_branch .LBB47_1130
.LBB47_1057:
	s_mov_b64 s[60:61], -1
	s_mov_b64 s[58:59], 0
	s_mov_b64 s[0:1], s[48:49]
	s_branch .LBB47_1088
.LBB47_1058:
	s_mov_b64 s[60:61], -1
	s_mov_b64 s[58:59], 0
	s_mov_b64 s[0:1], s[48:49]
	s_branch .LBB47_1071
.LBB47_1059:
	s_mov_b64 s[60:61], -1
	s_mov_b64 s[58:59], 0
	s_mov_b64 s[0:1], s[48:49]
	s_branch .LBB47_1067
.LBB47_1060:
	s_mov_b64 s[60:61], -1
	s_mov_b64 s[58:59], 0
	s_mov_b64 s[0:1], s[48:49]
.LBB47_1061:
	s_and_b64 vcc, exec, s[60:61]
	s_cbranch_vccz .LBB47_1066
; %bb.1062:
	s_cmp_eq_u32 s65, 44
	s_mov_b64 s[0:1], -1
	s_cbranch_scc0 .LBB47_1066
; %bb.1063:
	v_bfe_i32 v3, v2, 0, 8
	v_cvt_f32_i32_sdwa v3, sext(v3) dst_sel:DWORD dst_unused:UNUSED_PAD src0_sel:WORD_0
	s_movk_i32 s0, 0xff
	v_mov_b32_e32 v5, 0xff
	v_bfe_u32 v4, v3, 23, 8
	v_cmp_ne_u32_e32 vcc, s0, v4
	s_and_saveexec_b64 s[58:59], vcc
; %bb.1064:
	s_mov_b32 s0, 0x3fffff
	v_lshrrev_b32_e32 v5, 23, v3
	v_and_b32_e32 v6, 0x400000, v3
	v_and_or_b32 v3, v3, s0, v4
	v_cmp_ne_u32_e32 vcc, 0, v6
	v_cmp_ne_u32_e64 s[0:1], 0, v3
	s_and_b64 s[0:1], vcc, s[0:1]
	v_cndmask_b32_e64 v3, 0, 1, s[0:1]
	v_add_u32_e32 v5, v5, v3
; %bb.1065:
	s_or_b64 exec, exec, s[58:59]
	s_mov_b64 s[58:59], -1
	s_mov_b64 s[0:1], 0
	global_store_byte v[0:1], v5, off
.LBB47_1066:
	s_mov_b64 s[60:61], 0
.LBB47_1067:
	s_and_b64 vcc, exec, s[60:61]
	s_cbranch_vccz .LBB47_1070
; %bb.1068:
	s_cmp_eq_u32 s65, 29
	s_mov_b64 s[0:1], -1
	s_cbranch_scc0 .LBB47_1070
; %bb.1069:
	v_bfe_i32 v3, v2, 0, 8
	v_ashrrev_i32_e32 v4, 31, v3
	global_store_dwordx2 v[0:1], v[3:4], off
	s_mov_b64 s[58:59], -1
	s_mov_b64 s[0:1], 0
.LBB47_1070:
	s_mov_b64 s[60:61], 0
.LBB47_1071:
	s_and_b64 vcc, exec, s[60:61]
	s_cbranch_vccz .LBB47_1087
; %bb.1072:
	s_cmp_lt_i32 s65, 27
	s_mov_b64 s[58:59], -1
	s_cbranch_scc1 .LBB47_1078
; %bb.1073:
	s_cmp_gt_i32 s65, 27
	s_cbranch_scc0 .LBB47_1075
; %bb.1074:
	v_bfe_i32 v3, v2, 0, 8
	s_mov_b64 s[58:59], 0
	global_store_dword v[0:1], v3, off
.LBB47_1075:
	s_andn2_b64 vcc, exec, s[58:59]
	s_cbranch_vccnz .LBB47_1077
; %bb.1076:
	v_bfe_i32 v3, v2, 0, 8
	global_store_short v[0:1], v3, off
.LBB47_1077:
	s_mov_b64 s[58:59], 0
.LBB47_1078:
	s_andn2_b64 vcc, exec, s[58:59]
	s_cbranch_vccnz .LBB47_1086
; %bb.1079:
	v_bfe_i32 v3, v2, 0, 8
	v_cvt_f32_i32_sdwa v3, sext(v3) dst_sel:DWORD dst_unused:UNUSED_PAD src0_sel:WORD_0
	s_mov_b32 s58, 0x43800000
	v_mov_b32_e32 v5, 0x80
	v_and_b32_e32 v4, 0x7fffffff, v3
	v_cmp_gt_u32_e32 vcc, s58, v4
	s_and_saveexec_b64 s[58:59], vcc
	s_cbranch_execz .LBB47_1085
; %bb.1080:
	s_mov_b32 s60, 0x3bffffff
	v_cmp_lt_u32_e32 vcc, s60, v4
	s_mov_b64 s[60:61], 0
                                        ; implicit-def: $vgpr4
	s_and_saveexec_b64 s[62:63], vcc
	s_xor_b64 s[62:63], exec, s[62:63]
	s_cbranch_execz .LBB47_1199
; %bb.1081:
	v_bfe_u32 v4, v3, 20, 1
	s_mov_b32 s67, 0x487ffff
	v_add3_u32 v4, v3, v4, s67
	s_mov_b64 s[60:61], exec
	v_lshrrev_b32_e32 v4, 20, v4
	s_andn2_saveexec_b64 s[62:63], s[62:63]
	s_cbranch_execnz .LBB47_1200
.LBB47_1082:
	s_or_b64 exec, exec, s[62:63]
	v_mov_b32_e32 v5, 0
	s_and_saveexec_b64 s[62:63], s[60:61]
.LBB47_1083:
	v_lshrrev_b32_e32 v3, 24, v3
	s_movk_i32 s60, 0x80
	v_and_or_b32 v5, v3, s60, v4
.LBB47_1084:
	s_or_b64 exec, exec, s[62:63]
.LBB47_1085:
	s_or_b64 exec, exec, s[58:59]
	global_store_byte v[0:1], v5, off
.LBB47_1086:
	s_mov_b64 s[58:59], -1
.LBB47_1087:
	s_mov_b64 s[60:61], 0
.LBB47_1088:
	s_and_b64 vcc, exec, s[60:61]
	s_cbranch_vccz .LBB47_1129
; %bb.1089:
	s_cmp_gt_i32 s65, 22
	s_mov_b64 s[60:61], -1
	s_cbranch_scc0 .LBB47_1121
; %bb.1090:
	s_cmp_lt_i32 s65, 24
	s_mov_b64 s[58:59], -1
	s_cbranch_scc1 .LBB47_1110
; %bb.1091:
	s_cmp_gt_i32 s65, 24
	s_cbranch_scc0 .LBB47_1099
; %bb.1092:
	v_bfe_i32 v3, v2, 0, 8
	v_cvt_f32_i32_sdwa v3, sext(v3) dst_sel:DWORD dst_unused:UNUSED_PAD src0_sel:WORD_0
	s_mov_b32 s58, 0x47800000
	v_mov_b32_e32 v5, 0x80
	v_and_b32_e32 v4, 0x7fffffff, v3
	v_cmp_gt_u32_e32 vcc, s58, v4
	s_and_saveexec_b64 s[58:59], vcc
	s_cbranch_execz .LBB47_1098
; %bb.1093:
	s_mov_b32 s60, 0x37ffffff
	v_cmp_lt_u32_e32 vcc, s60, v4
	s_mov_b64 s[60:61], 0
                                        ; implicit-def: $vgpr4
	s_and_saveexec_b64 s[62:63], vcc
	s_xor_b64 s[62:63], exec, s[62:63]
	s_cbranch_execz .LBB47_2236
; %bb.1094:
	v_bfe_u32 v4, v3, 21, 1
	s_mov_b32 s67, 0x88fffff
	v_add3_u32 v4, v3, v4, s67
	s_mov_b64 s[60:61], exec
	v_lshrrev_b32_e32 v4, 21, v4
	s_andn2_saveexec_b64 s[62:63], s[62:63]
	s_cbranch_execnz .LBB47_2237
.LBB47_1095:
	s_or_b64 exec, exec, s[62:63]
	v_mov_b32_e32 v5, 0
	s_and_saveexec_b64 s[62:63], s[60:61]
.LBB47_1096:
	v_lshrrev_b32_e32 v3, 24, v3
	s_movk_i32 s60, 0x80
	v_and_or_b32 v5, v3, s60, v4
.LBB47_1097:
	s_or_b64 exec, exec, s[62:63]
.LBB47_1098:
	s_or_b64 exec, exec, s[58:59]
	s_mov_b64 s[58:59], 0
	global_store_byte v[0:1], v5, off
.LBB47_1099:
	s_and_b64 vcc, exec, s[58:59]
	s_cbranch_vccz .LBB47_1109
; %bb.1100:
	v_bfe_i32 v3, v2, 0, 8
	v_cvt_f32_i32_sdwa v3, sext(v3) dst_sel:DWORD dst_unused:UNUSED_PAD src0_sel:WORD_0
	s_mov_b32 s58, 0x43f00000
                                        ; implicit-def: $vgpr4
	v_and_b32_e32 v5, 0x7fffffff, v3
	v_cmp_gt_u32_e32 vcc, s58, v5
	s_and_saveexec_b64 s[58:59], vcc
	s_xor_b64 s[58:59], exec, s[58:59]
	s_cbranch_execz .LBB47_1106
; %bb.1101:
	s_mov_b32 s60, 0x3c7fffff
	v_cmp_lt_u32_e32 vcc, s60, v5
                                        ; implicit-def: $vgpr4
	s_and_saveexec_b64 s[60:61], vcc
	s_xor_b64 s[60:61], exec, s[60:61]
; %bb.1102:
	v_bfe_u32 v4, v3, 20, 1
	s_mov_b32 s62, 0x407ffff
	v_add3_u32 v4, v3, v4, s62
	v_lshrrev_b32_e32 v5, 20, v4
	v_and_b32_e32 v4, 0xff00000, v4
	s_mov_b32 s62, 0x7f00000
	v_mov_b32_e32 v6, 0x7e
	v_cmp_ne_u32_e32 vcc, s62, v4
	v_cndmask_b32_e32 v4, v6, v5, vcc
; %bb.1103:
	s_andn2_saveexec_b64 s[60:61], s[60:61]
; %bb.1104:
	s_mov_b32 s62, 0x46800000
	v_add_f32_e64 v4, |v3|, s62
; %bb.1105:
	s_or_b64 exec, exec, s[60:61]
                                        ; implicit-def: $vgpr5
.LBB47_1106:
	s_andn2_saveexec_b64 s[58:59], s[58:59]
; %bb.1107:
	s_mov_b32 s60, 0x7f800000
	v_mov_b32_e32 v4, 0x7e
	v_mov_b32_e32 v6, 0x7f
	v_cmp_lt_u32_e32 vcc, s60, v5
	v_cndmask_b32_e32 v4, v4, v6, vcc
; %bb.1108:
	s_or_b64 exec, exec, s[58:59]
	v_lshrrev_b32_e32 v3, 24, v3
	s_movk_i32 s58, 0x80
	v_and_or_b32 v3, v3, s58, v4
	global_store_byte v[0:1], v3, off
.LBB47_1109:
	s_mov_b64 s[58:59], 0
.LBB47_1110:
	s_andn2_b64 vcc, exec, s[58:59]
	s_cbranch_vccnz .LBB47_1120
; %bb.1111:
	v_bfe_i32 v3, v2, 0, 8
	v_cvt_f32_i32_sdwa v3, sext(v3) dst_sel:DWORD dst_unused:UNUSED_PAD src0_sel:WORD_0
	s_mov_b32 s58, 0x47800000
                                        ; implicit-def: $vgpr4
	v_and_b32_e32 v5, 0x7fffffff, v3
	v_cmp_gt_u32_e32 vcc, s58, v5
	s_and_saveexec_b64 s[58:59], vcc
	s_xor_b64 s[58:59], exec, s[58:59]
	s_cbranch_execz .LBB47_1117
; %bb.1112:
	s_mov_b32 s60, 0x387fffff
	v_cmp_lt_u32_e32 vcc, s60, v5
                                        ; implicit-def: $vgpr4
	s_and_saveexec_b64 s[60:61], vcc
	s_xor_b64 s[60:61], exec, s[60:61]
; %bb.1113:
	v_bfe_u32 v4, v3, 21, 1
	s_mov_b32 s62, 0x80fffff
	v_add3_u32 v4, v3, v4, s62
	v_lshrrev_b32_e32 v4, 21, v4
; %bb.1114:
	s_andn2_saveexec_b64 s[60:61], s[60:61]
; %bb.1115:
	s_mov_b32 s62, 0x43000000
	v_add_f32_e64 v4, |v3|, s62
; %bb.1116:
	s_or_b64 exec, exec, s[60:61]
                                        ; implicit-def: $vgpr5
.LBB47_1117:
	s_andn2_saveexec_b64 s[58:59], s[58:59]
; %bb.1118:
	s_mov_b32 s60, 0x7f800000
	v_mov_b32_e32 v4, 0x7c
	v_mov_b32_e32 v6, 0x7f
	v_cmp_lt_u32_e32 vcc, s60, v5
	v_cndmask_b32_e32 v4, v4, v6, vcc
; %bb.1119:
	s_or_b64 exec, exec, s[58:59]
	v_lshrrev_b32_e32 v3, 24, v3
	s_movk_i32 s58, 0x80
	v_and_or_b32 v3, v3, s58, v4
	global_store_byte v[0:1], v3, off
.LBB47_1120:
	s_mov_b64 s[60:61], 0
	s_mov_b64 s[58:59], -1
.LBB47_1121:
	s_andn2_b64 vcc, exec, s[60:61]
	s_cbranch_vccnz .LBB47_1129
; %bb.1122:
	s_cmp_gt_i32 s65, 14
	s_mov_b64 s[60:61], -1
	s_cbranch_scc0 .LBB47_1126
; %bb.1123:
	s_cmp_eq_u32 s65, 15
	s_mov_b64 s[0:1], -1
	s_cbranch_scc0 .LBB47_1125
; %bb.1124:
	v_bfe_i32 v3, v2, 0, 8
	v_cvt_f32_i32_sdwa v3, sext(v3) dst_sel:DWORD dst_unused:UNUSED_PAD src0_sel:WORD_0
	s_movk_i32 s0, 0x7fff
	s_mov_b64 s[58:59], -1
	v_bfe_u32 v4, v3, 16, 1
	v_add3_u32 v3, v3, v4, s0
	global_store_short_d16_hi v[0:1], v3, off
	s_mov_b64 s[0:1], 0
.LBB47_1125:
	s_mov_b64 s[60:61], 0
.LBB47_1126:
	s_and_b64 vcc, exec, s[60:61]
	s_cbranch_vccz .LBB47_1129
; %bb.1127:
	s_cmp_eq_u32 s65, 11
	s_mov_b64 s[0:1], -1
	s_cbranch_scc0 .LBB47_1129
; %bb.1128:
	v_mov_b32_e32 v3, 0
	v_cmp_ne_u16_sdwa s[0:1], v2, v3 src0_sel:BYTE_0 src1_sel:DWORD
	v_cndmask_b32_e64 v3, 0, 1, s[0:1]
	s_mov_b64 s[58:59], -1
	s_mov_b64 s[0:1], 0
	global_store_byte v[0:1], v3, off
.LBB47_1129:
	s_mov_b64 s[60:61], 0
.LBB47_1130:
	s_and_b64 vcc, exec, s[60:61]
	s_cbranch_vccz .LBB47_1169
; %bb.1131:
	s_and_b32 s60, 0xffff, s64
	s_cmp_lt_i32 s60, 5
	s_mov_b64 s[58:59], -1
	s_cbranch_scc1 .LBB47_1152
; %bb.1132:
	s_cmp_lt_i32 s60, 8
	s_cbranch_scc1 .LBB47_1142
; %bb.1133:
	s_cmp_lt_i32 s60, 9
	s_cbranch_scc1 .LBB47_1139
; %bb.1134:
	s_cmp_gt_i32 s60, 9
	s_cbranch_scc0 .LBB47_1136
; %bb.1135:
	v_bfe_i32 v3, v2, 0, 8
	v_bfe_i32 v3, v3, 0, 16
	v_cvt_f64_i32_e32 v[3:4], v3
	v_mov_b32_e32 v5, 0
	v_mov_b32_e32 v6, v5
	s_mov_b64 s[58:59], 0
	global_store_dwordx4 v[0:1], v[3:6], off
.LBB47_1136:
	s_andn2_b64 vcc, exec, s[58:59]
	s_cbranch_vccnz .LBB47_1138
; %bb.1137:
	v_bfe_i32 v3, v2, 0, 8
	v_cvt_f32_i32_sdwa v3, sext(v3) dst_sel:DWORD dst_unused:UNUSED_PAD src0_sel:WORD_0
	v_mov_b32_e32 v4, 0
	global_store_dwordx2 v[0:1], v[3:4], off
.LBB47_1138:
	s_mov_b64 s[58:59], 0
.LBB47_1139:
	s_andn2_b64 vcc, exec, s[58:59]
	s_cbranch_vccnz .LBB47_1141
; %bb.1140:
	v_cvt_f16_i16_sdwa v3, sext(v2) dst_sel:DWORD dst_unused:UNUSED_PAD src0_sel:BYTE_0
	global_store_dword v[0:1], v3, off
.LBB47_1141:
	s_mov_b64 s[58:59], 0
.LBB47_1142:
	s_andn2_b64 vcc, exec, s[58:59]
	s_cbranch_vccnz .LBB47_1151
; %bb.1143:
	s_cmp_lt_i32 s60, 6
	s_mov_b64 s[58:59], -1
	s_cbranch_scc1 .LBB47_1149
; %bb.1144:
	s_cmp_gt_i32 s60, 6
	s_cbranch_scc0 .LBB47_1146
; %bb.1145:
	v_bfe_i32 v3, v2, 0, 8
	v_bfe_i32 v3, v3, 0, 16
	v_cvt_f64_i32_e32 v[3:4], v3
	s_mov_b64 s[58:59], 0
	global_store_dwordx2 v[0:1], v[3:4], off
.LBB47_1146:
	s_andn2_b64 vcc, exec, s[58:59]
	s_cbranch_vccnz .LBB47_1148
; %bb.1147:
	v_bfe_i32 v3, v2, 0, 8
	v_cvt_f32_i32_sdwa v3, sext(v3) dst_sel:DWORD dst_unused:UNUSED_PAD src0_sel:WORD_0
	global_store_dword v[0:1], v3, off
.LBB47_1148:
	s_mov_b64 s[58:59], 0
.LBB47_1149:
	s_andn2_b64 vcc, exec, s[58:59]
	s_cbranch_vccnz .LBB47_1151
; %bb.1150:
	v_cvt_f16_i16_sdwa v3, sext(v2) dst_sel:DWORD dst_unused:UNUSED_PAD src0_sel:BYTE_0
	global_store_short v[0:1], v3, off
.LBB47_1151:
	s_mov_b64 s[58:59], 0
.LBB47_1152:
	s_andn2_b64 vcc, exec, s[58:59]
	s_cbranch_vccnz .LBB47_1168
; %bb.1153:
	s_cmp_lt_i32 s60, 2
	s_mov_b64 s[58:59], -1
	s_cbranch_scc1 .LBB47_1163
; %bb.1154:
	s_cmp_lt_i32 s60, 3
	s_cbranch_scc1 .LBB47_1160
; %bb.1155:
	s_cmp_gt_i32 s60, 3
	s_cbranch_scc0 .LBB47_1157
; %bb.1156:
	v_bfe_i32 v3, v2, 0, 8
	v_ashrrev_i32_e32 v4, 31, v3
	s_mov_b64 s[58:59], 0
	global_store_dwordx2 v[0:1], v[3:4], off
.LBB47_1157:
	s_andn2_b64 vcc, exec, s[58:59]
	s_cbranch_vccnz .LBB47_1159
; %bb.1158:
	v_bfe_i32 v3, v2, 0, 8
	global_store_dword v[0:1], v3, off
.LBB47_1159:
	s_mov_b64 s[58:59], 0
.LBB47_1160:
	s_andn2_b64 vcc, exec, s[58:59]
	s_cbranch_vccnz .LBB47_1162
; %bb.1161:
	v_bfe_i32 v3, v2, 0, 8
	global_store_short v[0:1], v3, off
.LBB47_1162:
	s_mov_b64 s[58:59], 0
.LBB47_1163:
	s_andn2_b64 vcc, exec, s[58:59]
	s_cbranch_vccnz .LBB47_1168
; %bb.1164:
	s_cmp_gt_i32 s60, 0
	s_mov_b64 s[58:59], -1
	s_cbranch_scc0 .LBB47_1166
; %bb.1165:
	s_mov_b64 s[58:59], 0
	global_store_byte v[0:1], v2, off
.LBB47_1166:
	s_andn2_b64 vcc, exec, s[58:59]
	s_cbranch_vccnz .LBB47_1168
; %bb.1167:
	global_store_byte v[0:1], v2, off
.LBB47_1168:
	s_mov_b64 s[58:59], -1
.LBB47_1169:
	s_andn2_b64 vcc, exec, s[58:59]
	s_cbranch_vccnz .LBB47_1181
; %bb.1170:
	v_add_u32_e32 v10, 0x80, v10
	s_mov_b64 s[60:61], -1
.LBB47_1171:
	s_andn2_b64 s[58:59], s[48:49], exec
	s_and_b64 s[0:1], s[0:1], exec
	s_or_b64 s[58:59], s[58:59], s[0:1]
	s_andn2_b64 s[0:1], s[46:47], exec
	s_and_b64 s[56:57], s[56:57], exec
	s_or_b64 s[56:57], s[0:1], s[56:57]
	;; [unrolled: 3-line block ×3, first 2 shown]
	s_orn2_b64 s[64:65], s[60:61], exec
.LBB47_1172:
	s_or_b64 exec, exec, s[52:53]
	s_mov_b64 s[60:61], 0
	s_mov_b64 s[54:55], 0
	;; [unrolled: 1-line block ×3, first 2 shown]
                                        ; implicit-def: $sgpr73
                                        ; implicit-def: $vgpr4_vgpr5
                                        ; implicit-def: $vgpr0
                                        ; implicit-def: $vgpr3
                                        ; implicit-def: $vgpr1
	s_and_saveexec_b64 s[52:53], s[64:65]
	s_cbranch_execz .LBB47_1263
; %bb.1173:
	v_cmp_gt_i32_e32 vcc, s66, v10
	s_mov_b64 s[64:65], s[0:1]
	s_mov_b64 s[66:67], 0
                                        ; implicit-def: $sgpr73
                                        ; implicit-def: $vgpr4_vgpr5
                                        ; implicit-def: $vgpr0
                                        ; implicit-def: $vgpr3
                                        ; implicit-def: $vgpr1
	s_and_saveexec_b64 s[54:55], vcc
	s_cbranch_execz .LBB47_1262
; %bb.1174:
	s_andn2_b64 vcc, exec, s[20:21]
	s_cbranch_vccnz .LBB47_1180
; %bb.1175:
	s_andn2_b64 vcc, exec, s[34:35]
	s_cbranch_vccnz .LBB47_1182
; %bb.1176:
	s_add_i32 s34, s72, 1
	s_and_b32 s60, s34, 30
	s_add_u32 s34, s2, 0xffffffe8
	s_addc_u32 s35, s3, -1
	v_mov_b32_e32 v3, 0
	s_waitcnt vmcnt(0)
	v_mov_b32_e32 v5, 0
	v_mov_b32_e32 v0, 0
	;; [unrolled: 1-line block ×3, first 2 shown]
.LBB47_1177:                            ; =>This Inner Loop Header: Depth=1
	s_load_dwordx4 s[64:67], s[34:35], 0x1c
	s_load_dwordx2 s[62:63], s[34:35], 0x2c
	s_load_dwordx2 s[74:75], s[34:35], 0xec
	s_load_dwordx4 s[76:79], s[34:35], 0xdc
	s_add_u32 s34, s34, 24
	s_waitcnt lgkmcnt(0)
	v_mul_hi_u32 v2, s65, v1
	s_addc_u32 s35, s35, 0
	s_add_i32 s60, s60, -2
	s_cmp_eq_u32 s60, 0
	v_add_u32_e32 v2, v1, v2
	v_lshrrev_b32_e32 v2, s66, v2
	v_mul_lo_u32 v4, v2, s64
	v_mul_hi_u32 v6, s62, v2
	v_sub_u32_e32 v4, v1, v4
	v_add_u32_e32 v1, v2, v6
	v_lshrrev_b32_e32 v1, s63, v1
	v_mul_lo_u32 v8, v1, s67
	v_mul_lo_u32 v6, v4, s76
	;; [unrolled: 1-line block ×4, first 2 shown]
	v_sub_u32_e32 v2, v2, v8
	v_mul_lo_u32 v8, v2, s79
	v_mul_lo_u32 v9, v2, s74
	;; [unrolled: 1-line block ×3, first 2 shown]
	v_add3_u32 v0, v6, v0, v8
	v_add3_u32 v5, v7, v5, v9
	;; [unrolled: 1-line block ×3, first 2 shown]
	s_cbranch_scc0 .LBB47_1177
; %bb.1178:
	s_bitcmp1_b32 s72, 0
	s_cselect_b64 s[60:61], -1, 0
	s_and_b64 vcc, exec, s[60:61]
	s_cbranch_vccnz .LBB47_1183
; %bb.1179:
	s_load_dwordx2 s[60:61], s[34:35], 0x1c
	s_load_dword s64, s[34:35], 0x24
	s_load_dwordx2 s[62:63], s[34:35], 0xdc
	s_waitcnt lgkmcnt(0)
	v_mul_hi_u32 v2, s61, v1
	v_add_u32_e32 v2, v1, v2
	v_lshrrev_b32_e32 v2, s64, v2
	v_mul_lo_u32 v2, v2, s60
	s_load_dword s60, s[34:35], 0xe4
	v_sub_u32_e32 v2, v1, v2
	v_mad_u64_u32 v[0:1], s[34:35], v2, s62, v[0:1]
	v_mad_u64_u32 v[5:6], s[34:35], v2, s63, v[5:6]
	s_waitcnt lgkmcnt(0)
	v_mad_u64_u32 v[3:4], s[34:35], v2, s60, v[3:4]
	s_branch .LBB47_1183
.LBB47_1180:
	s_mov_b64 s[34:35], -1
                                        ; implicit-def: $vgpr0
                                        ; implicit-def: $vgpr5
                                        ; implicit-def: $vgpr3
	s_branch .LBB47_1184
.LBB47_1181:
	s_mov_b64 s[60:61], 0
	s_branch .LBB47_928
.LBB47_1182:
	v_mov_b32_e32 v0, 0
	s_waitcnt vmcnt(0)
	v_mov_b32_e32 v5, 0
	v_mov_b32_e32 v3, 0
.LBB47_1183:
	s_mov_b64 s[34:35], 0
.LBB47_1184:
	s_andn2_b64 vcc, exec, s[34:35]
	s_cbranch_vccnz .LBB47_1187
; %bb.1185:
	s_waitcnt lgkmcnt(0)
	v_mul_hi_u32 v0, s17, v10
	s_andn2_b64 vcc, exec, s[30:31]
	v_add_u32_e32 v0, v10, v0
	s_waitcnt vmcnt(0)
	v_lshrrev_b32_e32 v1, s18, v0
	v_mul_lo_u32 v0, v1, s16
	v_sub_u32_e32 v2, v10, v0
	v_mul_lo_u32 v0, v2, s12
	v_mul_lo_u32 v5, v2, s13
	;; [unrolled: 1-line block ×3, first 2 shown]
	s_cbranch_vccnz .LBB47_1187
; %bb.1186:
	v_mul_hi_u32 v2, s28, v1
	v_add_u32_e32 v2, v1, v2
	v_lshrrev_b32_e32 v2, s29, v2
	v_mul_lo_u32 v2, v2, s19
	v_sub_u32_e32 v2, v1, v2
	v_mad_u64_u32 v[0:1], s[12:13], v2, s15, v[0:1]
	v_mad_u64_u32 v[5:6], s[12:13], v2, s26, v[5:6]
	;; [unrolled: 1-line block ×3, first 2 shown]
.LBB47_1187:
	s_waitcnt vmcnt(0) lgkmcnt(0)
	v_mov_b32_e32 v1, s11
	s_and_b32 s73, s71, 0xff
	v_add_co_u32_e32 v4, vcc, s10, v5
	s_cmp_lt_i32 s73, 11
	v_addc_co_u32_e32 v5, vcc, 0, v1, vcc
	s_cbranch_scc1 .LBB47_1194
; %bb.1188:
	s_and_b32 s18, 0xffff, s73
	s_cmp_gt_i32 s18, 25
	s_mov_b64 s[12:13], 0
	s_cbranch_scc0 .LBB47_1195
; %bb.1189:
	s_cmp_gt_i32 s18, 28
	s_cbranch_scc0 .LBB47_1196
; %bb.1190:
	s_cmp_gt_i32 s18, 43
	s_cbranch_scc0 .LBB47_1197
; %bb.1191:
	s_cmp_gt_i32 s18, 45
	s_cbranch_scc0 .LBB47_1198
; %bb.1192:
	s_cmp_eq_u32 s18, 46
	s_mov_b64 s[16:17], 0
	s_cbranch_scc0 .LBB47_1201
; %bb.1193:
	global_load_dword v1, v[4:5], off
	s_mov_b64 s[10:11], 0
	s_mov_b64 s[14:15], -1
	s_waitcnt vmcnt(0)
	v_lshlrev_b32_e32 v1, 16, v1
	v_cvt_i32_f32_e32 v1, v1
	s_branch .LBB47_1202
.LBB47_1194:
	s_mov_b64 s[16:17], -1
	s_mov_b64 s[14:15], 0
	s_mov_b64 s[12:13], 0
	s_mov_b64 s[10:11], s[0:1]
                                        ; implicit-def: $vgpr1
	s_branch .LBB47_1261
.LBB47_1195:
	s_mov_b64 s[16:17], -1
	s_mov_b64 s[14:15], 0
	s_mov_b64 s[10:11], s[0:1]
                                        ; implicit-def: $vgpr1
	s_branch .LBB47_1229
.LBB47_1196:
	s_mov_b64 s[16:17], -1
	s_mov_b64 s[14:15], 0
	s_mov_b64 s[10:11], s[0:1]
                                        ; implicit-def: $vgpr1
	s_branch .LBB47_1212
.LBB47_1197:
	s_mov_b64 s[16:17], -1
	s_mov_b64 s[14:15], 0
	s_mov_b64 s[10:11], s[0:1]
                                        ; implicit-def: $vgpr1
	s_branch .LBB47_1207
.LBB47_1198:
	s_mov_b64 s[16:17], -1
	s_mov_b64 s[14:15], 0
	s_mov_b64 s[10:11], s[0:1]
                                        ; implicit-def: $vgpr1
	s_branch .LBB47_1202
.LBB47_1199:
	s_andn2_saveexec_b64 s[62:63], s[62:63]
	s_cbranch_execz .LBB47_1082
.LBB47_1200:
	s_mov_b32 s67, 0x46000000
	v_add_f32_e64 v4, |v3|, s67
	v_and_b32_e32 v4, 0xff, v4
	v_cmp_ne_u32_e32 vcc, 0, v4
	s_andn2_b64 s[60:61], s[60:61], exec
	s_and_b64 s[74:75], vcc, exec
	s_or_b64 s[60:61], s[60:61], s[74:75]
	s_or_b64 exec, exec, s[62:63]
	v_mov_b32_e32 v5, 0
	s_and_saveexec_b64 s[62:63], s[60:61]
	s_cbranch_execnz .LBB47_1083
	s_branch .LBB47_1084
.LBB47_1201:
	s_mov_b64 s[10:11], -1
                                        ; implicit-def: $vgpr1
	s_mov_b64 s[14:15], 0
.LBB47_1202:
	s_and_b64 vcc, exec, s[16:17]
	s_cbranch_vccz .LBB47_1206
; %bb.1203:
	s_cmp_eq_u32 s18, 44
	s_cbranch_scc0 .LBB47_1205
; %bb.1204:
	global_load_ubyte v1, v[4:5], off
	s_mov_b64 s[10:11], 0
	s_mov_b64 s[14:15], -1
	s_waitcnt vmcnt(0)
	v_lshlrev_b32_e32 v2, 23, v1
	v_cvt_i32_f32_e32 v2, v2
	v_cmp_ne_u32_e32 vcc, 0, v1
	v_cndmask_b32_e32 v1, 0, v2, vcc
	s_branch .LBB47_1206
.LBB47_1205:
	s_mov_b64 s[10:11], -1
                                        ; implicit-def: $vgpr1
.LBB47_1206:
	s_mov_b64 s[16:17], 0
.LBB47_1207:
	s_and_b64 vcc, exec, s[16:17]
	s_cbranch_vccz .LBB47_1211
; %bb.1208:
	s_cmp_eq_u32 s18, 29
	s_cbranch_scc0 .LBB47_1210
; %bb.1209:
	global_load_dwordx2 v[1:2], v[4:5], off
	s_mov_b64 s[10:11], 0
	s_mov_b64 s[14:15], -1
	s_branch .LBB47_1211
.LBB47_1210:
	s_mov_b64 s[10:11], -1
                                        ; implicit-def: $vgpr1
.LBB47_1211:
	s_mov_b64 s[16:17], 0
.LBB47_1212:
	s_and_b64 vcc, exec, s[16:17]
	s_cbranch_vccz .LBB47_1228
; %bb.1213:
	s_cmp_lt_i32 s18, 27
	s_cbranch_scc1 .LBB47_1216
; %bb.1214:
	s_cmp_gt_i32 s18, 27
	s_cbranch_scc0 .LBB47_1217
; %bb.1215:
	global_load_dword v1, v[4:5], off
	s_mov_b64 s[14:15], 0
	s_branch .LBB47_1218
.LBB47_1216:
	s_mov_b64 s[14:15], -1
                                        ; implicit-def: $vgpr1
	s_branch .LBB47_1221
.LBB47_1217:
	s_mov_b64 s[14:15], -1
                                        ; implicit-def: $vgpr1
.LBB47_1218:
	s_andn2_b64 vcc, exec, s[14:15]
	s_cbranch_vccnz .LBB47_1220
; %bb.1219:
	global_load_ushort v1, v[4:5], off
.LBB47_1220:
	s_mov_b64 s[14:15], 0
.LBB47_1221:
	s_andn2_b64 vcc, exec, s[14:15]
	s_cbranch_vccnz .LBB47_1227
; %bb.1222:
	global_load_ubyte v2, v[4:5], off
	s_movk_i32 s14, 0x7f
	s_mov_b64 s[16:17], 0
	s_waitcnt vmcnt(0)
	v_cmp_lt_i16_e32 vcc, s14, v2
	s_and_saveexec_b64 s[14:15], vcc
	s_xor_b64 s[14:15], exec, s[14:15]
	s_cbranch_execz .LBB47_1239
; %bb.1223:
	s_movk_i32 s16, 0x80
	v_cmp_ne_u16_e32 vcc, s16, v2
	s_and_b64 s[16:17], vcc, exec
	s_andn2_saveexec_b64 s[14:15], s[14:15]
	s_cbranch_execnz .LBB47_1240
.LBB47_1224:
	s_or_b64 exec, exec, s[14:15]
	v_mov_b32_e32 v1, 0
	s_and_saveexec_b64 s[14:15], s[16:17]
	s_cbranch_execz .LBB47_1226
.LBB47_1225:
	v_lshlrev_b32_e32 v1, 24, v2
	v_and_b32_e32 v2, 0xffff, v2
	v_and_b32_e32 v6, 7, v2
	v_ffbh_u32_e32 v8, v6
	v_min_u32_e32 v8, 32, v8
	v_subrev_u32_e32 v9, 28, v8
	v_bfe_u32 v7, v2, 3, 4
	v_lshlrev_b32_e32 v2, v9, v2
	v_sub_u32_e32 v8, 29, v8
	v_and_b32_e32 v2, 7, v2
	v_cmp_eq_u32_e32 vcc, 0, v7
	v_cndmask_b32_e32 v7, v7, v8, vcc
	v_cndmask_b32_e32 v2, v6, v2, vcc
	v_mov_b32_e32 v6, 0x3b800000
	v_lshlrev_b32_e32 v2, 20, v2
	v_and_b32_e32 v1, 0x80000000, v1
	v_lshl_add_u32 v6, v7, 23, v6
	v_or3_b32 v1, v1, v6, v2
	v_cvt_i32_f32_e32 v1, v1
.LBB47_1226:
	s_or_b64 exec, exec, s[14:15]
.LBB47_1227:
	s_mov_b64 s[14:15], -1
.LBB47_1228:
	s_mov_b64 s[16:17], 0
.LBB47_1229:
	s_and_b64 vcc, exec, s[16:17]
	s_cbranch_vccz .LBB47_1260
; %bb.1230:
	s_cmp_gt_i32 s18, 22
	s_cbranch_scc0 .LBB47_1238
; %bb.1231:
	s_cmp_lt_i32 s18, 24
	s_cbranch_scc1 .LBB47_1241
; %bb.1232:
	s_cmp_gt_i32 s18, 24
	s_cbranch_scc0 .LBB47_1242
; %bb.1233:
	global_load_ubyte v2, v[4:5], off
	s_movk_i32 s12, 0x7f
	s_mov_b64 s[14:15], 0
	s_waitcnt vmcnt(0)
	v_cmp_lt_i16_e32 vcc, s12, v2
	s_and_saveexec_b64 s[12:13], vcc
	s_xor_b64 s[12:13], exec, s[12:13]
	s_cbranch_execz .LBB47_1254
; %bb.1234:
	s_movk_i32 s14, 0x80
	v_cmp_ne_u16_e32 vcc, s14, v2
	s_and_b64 s[14:15], vcc, exec
	s_andn2_saveexec_b64 s[12:13], s[12:13]
	s_cbranch_execnz .LBB47_1255
.LBB47_1235:
	s_or_b64 exec, exec, s[12:13]
	v_mov_b32_e32 v1, 0
	s_and_saveexec_b64 s[12:13], s[14:15]
	s_cbranch_execz .LBB47_1237
.LBB47_1236:
	v_lshlrev_b32_e32 v1, 24, v2
	v_and_b32_e32 v2, 0xffff, v2
	v_and_b32_e32 v6, 3, v2
	v_ffbh_u32_e32 v8, v6
	v_min_u32_e32 v8, 32, v8
	v_subrev_u32_e32 v9, 29, v8
	v_bfe_u32 v7, v2, 2, 5
	v_lshlrev_b32_e32 v2, v9, v2
	v_sub_u32_e32 v8, 30, v8
	v_and_b32_e32 v2, 3, v2
	v_cmp_eq_u32_e32 vcc, 0, v7
	v_cndmask_b32_e32 v7, v7, v8, vcc
	v_cndmask_b32_e32 v2, v6, v2, vcc
	v_mov_b32_e32 v6, 0x37800000
	v_lshlrev_b32_e32 v2, 21, v2
	v_and_b32_e32 v1, 0x80000000, v1
	v_lshl_add_u32 v6, v7, 23, v6
	v_or3_b32 v1, v1, v6, v2
	v_cvt_i32_f32_e32 v1, v1
.LBB47_1237:
	s_or_b64 exec, exec, s[12:13]
	s_mov_b64 s[12:13], 0
	s_branch .LBB47_1243
.LBB47_1238:
	s_mov_b64 s[12:13], -1
                                        ; implicit-def: $vgpr1
	s_branch .LBB47_1249
.LBB47_1239:
	s_andn2_saveexec_b64 s[14:15], s[14:15]
	s_cbranch_execz .LBB47_1224
.LBB47_1240:
	v_cmp_ne_u16_e32 vcc, 0, v2
	s_andn2_b64 s[16:17], s[16:17], exec
	s_and_b64 s[26:27], vcc, exec
	s_or_b64 s[16:17], s[16:17], s[26:27]
	s_or_b64 exec, exec, s[14:15]
	v_mov_b32_e32 v1, 0
	s_and_saveexec_b64 s[14:15], s[16:17]
	s_cbranch_execnz .LBB47_1225
	s_branch .LBB47_1226
.LBB47_1241:
	s_mov_b64 s[12:13], -1
                                        ; implicit-def: $vgpr1
	s_branch .LBB47_1246
.LBB47_1242:
	s_mov_b64 s[12:13], -1
                                        ; implicit-def: $vgpr1
.LBB47_1243:
	s_and_b64 vcc, exec, s[12:13]
	s_cbranch_vccz .LBB47_1245
; %bb.1244:
	global_load_ubyte v1, v[4:5], off
	s_mov_b32 s12, 0x7f800000
	s_waitcnt vmcnt(0)
	v_lshlrev_b32_e32 v1, 24, v1
	v_and_b32_e32 v2, 0x7f000000, v1
	v_ffbh_u32_e32 v6, v2
	v_min_u32_e32 v6, 32, v6
	v_sub_u32_e64 v6, v6, 4 clamp
	v_lshlrev_b32_e32 v8, v6, v2
	v_lshlrev_b32_e32 v6, 23, v6
	v_lshrrev_b32_e32 v8, 4, v8
	v_add_u32_e32 v7, 0x1000000, v2
	v_sub_u32_e32 v6, v8, v6
	v_ashrrev_i32_e32 v7, 8, v7
	v_add_u32_e32 v6, 0x3c000000, v6
	v_and_or_b32 v6, v7, s12, v6
	v_cmp_ne_u32_e32 vcc, 0, v2
	v_cndmask_b32_e32 v2, 0, v6, vcc
	s_brev_b32 s12, 1
	v_and_or_b32 v1, v1, s12, v2
	v_cvt_i32_f32_e32 v1, v1
.LBB47_1245:
	s_mov_b64 s[12:13], 0
.LBB47_1246:
	s_andn2_b64 vcc, exec, s[12:13]
	s_cbranch_vccnz .LBB47_1248
; %bb.1247:
	global_load_ubyte v1, v[4:5], off
	s_movk_i32 s12, 0x7f00
	s_brev_b32 s13, 16
	s_waitcnt vmcnt(0)
	v_lshlrev_b16_e32 v2, 8, v1
	v_lshlrev_b32_e32 v1, 25, v1
	v_lshrrev_b32_e32 v6, 4, v1
	v_and_or_b32 v7, v2, s12, 0.5
	v_or_b32_e32 v6, 0x70000000, v6
	v_add_f32_e32 v7, -0.5, v7
	v_mul_f32_e32 v6, 0x7800000, v6
	v_cmp_gt_u32_e32 vcc, s13, v1
	v_bfe_i32 v2, v2, 0, 16
	v_cndmask_b32_e32 v1, v6, v7, vcc
	s_brev_b32 s12, 1
	v_and_or_b32 v1, v2, s12, v1
	v_cvt_i32_f32_e32 v1, v1
.LBB47_1248:
	s_mov_b64 s[12:13], 0
	s_mov_b64 s[14:15], -1
.LBB47_1249:
	s_andn2_b64 vcc, exec, s[12:13]
	s_mov_b64 s[12:13], 0
	s_cbranch_vccnz .LBB47_1260
; %bb.1250:
	s_cmp_gt_i32 s18, 14
	s_cbranch_scc0 .LBB47_1253
; %bb.1251:
	s_cmp_eq_u32 s18, 15
	s_cbranch_scc0 .LBB47_1256
; %bb.1252:
	global_load_ushort v1, v[4:5], off
	s_mov_b64 s[10:11], 0
	s_mov_b64 s[14:15], -1
	s_waitcnt vmcnt(0)
	v_lshlrev_b32_e32 v1, 16, v1
	v_cvt_i32_f32_e32 v1, v1
	s_branch .LBB47_1257
.LBB47_1253:
	s_mov_b64 s[16:17], -1
                                        ; implicit-def: $vgpr1
	s_branch .LBB47_1258
.LBB47_1254:
	s_andn2_saveexec_b64 s[12:13], s[12:13]
	s_cbranch_execz .LBB47_1235
.LBB47_1255:
	v_cmp_ne_u16_e32 vcc, 0, v2
	s_andn2_b64 s[14:15], s[14:15], exec
	s_and_b64 s[16:17], vcc, exec
	s_or_b64 s[14:15], s[14:15], s[16:17]
	s_or_b64 exec, exec, s[12:13]
	v_mov_b32_e32 v1, 0
	s_and_saveexec_b64 s[12:13], s[14:15]
	s_cbranch_execnz .LBB47_1236
	s_branch .LBB47_1237
.LBB47_1256:
	s_mov_b64 s[10:11], -1
                                        ; implicit-def: $vgpr1
.LBB47_1257:
	s_mov_b64 s[16:17], 0
.LBB47_1258:
	s_and_b64 vcc, exec, s[16:17]
	s_cbranch_vccz .LBB47_1260
; %bb.1259:
	s_cmp_lg_u32 s18, 11
	s_cselect_b64 s[16:17], -1, 0
	s_andn2_b64 s[10:11], s[10:11], exec
	s_and_b64 s[16:17], s[16:17], exec
	s_mov_b64 s[12:13], -1
	s_or_b64 s[10:11], s[10:11], s[16:17]
.LBB47_1260:
	s_mov_b64 s[16:17], 0
.LBB47_1261:
	s_and_b64 s[60:61], s[12:13], exec
	s_andn2_b64 s[12:13], s[0:1], exec
	s_and_b64 s[10:11], s[10:11], exec
	s_and_b64 s[62:63], s[14:15], exec
	;; [unrolled: 1-line block ×3, first 2 shown]
	s_or_b64 s[64:65], s[12:13], s[10:11]
.LBB47_1262:
	s_or_b64 exec, exec, s[54:55]
	s_andn2_b64 s[0:1], s[0:1], exec
	s_waitcnt lgkmcnt(0)
	s_and_b64 s[10:11], s[64:65], exec
	s_and_b64 s[62:63], s[62:63], exec
	;; [unrolled: 1-line block ×4, first 2 shown]
	s_or_b64 s[0:1], s[0:1], s[10:11]
.LBB47_1263:
	s_or_b64 exec, exec, s[52:53]
	s_waitcnt lgkmcnt(0)
	s_andn2_b64 s[10:11], s[48:49], exec
	s_and_b64 s[12:13], s[58:59], exec
	s_or_b64 s[48:49], s[10:11], s[12:13]
	s_andn2_b64 s[10:11], s[46:47], exec
	s_and_b64 s[12:13], s[56:57], exec
	s_or_b64 s[46:47], s[10:11], s[12:13]
	s_andn2_b64 s[10:11], s[44:45], exec
	s_and_b64 s[0:1], s[0:1], exec
	s_and_b64 s[56:57], s[62:63], exec
	;; [unrolled: 1-line block ×4, first 2 shown]
	s_or_b64 s[44:45], s[10:11], s[0:1]
.LBB47_1264:
	s_or_b64 exec, exec, s[50:51]
	s_andn2_b64 s[0:1], s[36:37], exec
	s_waitcnt lgkmcnt(0)
	s_and_b64 s[10:11], s[48:49], exec
	s_or_b64 s[36:37], s[0:1], s[10:11]
	s_andn2_b64 s[0:1], s[38:39], exec
	s_and_b64 s[10:11], s[46:47], exec
	s_or_b64 s[38:39], s[0:1], s[10:11]
	s_andn2_b64 s[0:1], s[40:41], exec
	s_and_b64 s[10:11], s[44:45], exec
	s_and_b64 s[48:49], s[56:57], exec
	;; [unrolled: 1-line block ×4, first 2 shown]
	s_or_b64 s[40:41], s[0:1], s[10:11]
	s_or_b64 exec, exec, s[42:43]
	s_mov_b64 s[10:11], 0
	s_and_saveexec_b64 s[0:1], s[40:41]
	s_cbranch_execz .LBB47_395
.LBB47_1265:
	s_mov_b64 s[10:11], exec
	s_andn2_b64 s[46:47], s[46:47], exec
	s_trap 2
	s_or_b64 exec, exec, s[0:1]
	s_and_saveexec_b64 s[0:1], s[46:47]
	s_xor_b64 s[0:1], exec, s[0:1]
	s_cbranch_execnz .LBB47_396
.LBB47_1266:
	s_or_b64 exec, exec, s[0:1]
	s_and_saveexec_b64 s[0:1], s[50:51]
	s_cbranch_execz .LBB47_1312
.LBB47_1267:
	s_sext_i32_i16 s12, s73
	s_cmp_lt_i32 s12, 5
	s_cbranch_scc1 .LBB47_1272
; %bb.1268:
	s_cmp_lt_i32 s12, 8
	s_cbranch_scc1 .LBB47_1273
; %bb.1269:
	;; [unrolled: 3-line block ×3, first 2 shown]
	s_cmp_gt_i32 s12, 9
	s_cbranch_scc0 .LBB47_1275
; %bb.1271:
	s_waitcnt vmcnt(0)
	global_load_dwordx2 v[1:2], v[4:5], off
	s_mov_b64 s[12:13], 0
	s_waitcnt vmcnt(0)
	v_cvt_i32_f64_e32 v1, v[1:2]
	s_branch .LBB47_1276
.LBB47_1272:
                                        ; implicit-def: $vgpr1
	s_branch .LBB47_1293
.LBB47_1273:
                                        ; implicit-def: $vgpr1
	s_branch .LBB47_1282
.LBB47_1274:
	s_mov_b64 s[12:13], -1
                                        ; implicit-def: $vgpr1
	s_branch .LBB47_1279
.LBB47_1275:
	s_mov_b64 s[12:13], -1
                                        ; implicit-def: $vgpr1
.LBB47_1276:
	s_andn2_b64 vcc, exec, s[12:13]
	s_cbranch_vccnz .LBB47_1278
; %bb.1277:
	s_waitcnt vmcnt(0)
	global_load_dword v1, v[4:5], off
	s_waitcnt vmcnt(0)
	v_cvt_i32_f32_e32 v1, v1
.LBB47_1278:
	s_mov_b64 s[12:13], 0
.LBB47_1279:
	s_andn2_b64 vcc, exec, s[12:13]
	s_cbranch_vccnz .LBB47_1281
; %bb.1280:
	s_waitcnt vmcnt(0)
	global_load_dword v1, v[4:5], off
	s_waitcnt vmcnt(0)
	v_cvt_i16_f16_e32 v1, v1
.LBB47_1281:
	s_cbranch_execnz .LBB47_1292
.LBB47_1282:
	s_sext_i32_i16 s12, s73
	s_cmp_lt_i32 s12, 6
	s_cbranch_scc1 .LBB47_1285
; %bb.1283:
	s_cmp_gt_i32 s12, 6
	s_cbranch_scc0 .LBB47_1286
; %bb.1284:
	s_waitcnt vmcnt(0)
	global_load_dwordx2 v[1:2], v[4:5], off
	s_mov_b64 s[12:13], 0
	s_waitcnt vmcnt(0)
	v_cvt_i32_f64_e32 v1, v[1:2]
	s_branch .LBB47_1287
.LBB47_1285:
	s_mov_b64 s[12:13], -1
                                        ; implicit-def: $vgpr1
	s_branch .LBB47_1290
.LBB47_1286:
	s_mov_b64 s[12:13], -1
                                        ; implicit-def: $vgpr1
.LBB47_1287:
	s_andn2_b64 vcc, exec, s[12:13]
	s_cbranch_vccnz .LBB47_1289
; %bb.1288:
	s_waitcnt vmcnt(0)
	global_load_dword v1, v[4:5], off
	s_waitcnt vmcnt(0)
	v_cvt_i32_f32_e32 v1, v1
.LBB47_1289:
	s_mov_b64 s[12:13], 0
.LBB47_1290:
	s_andn2_b64 vcc, exec, s[12:13]
	s_cbranch_vccnz .LBB47_1292
; %bb.1291:
	s_waitcnt vmcnt(0)
	global_load_ushort v1, v[4:5], off
	s_waitcnt vmcnt(0)
	v_cvt_i16_f16_e32 v1, v1
.LBB47_1292:
	s_cbranch_execnz .LBB47_1311
.LBB47_1293:
	s_sext_i32_i16 s12, s73
	s_cmp_lt_i32 s12, 2
	s_cbranch_scc1 .LBB47_1297
; %bb.1294:
	s_cmp_lt_i32 s12, 3
	s_cbranch_scc1 .LBB47_1298
; %bb.1295:
	s_cmp_gt_i32 s12, 3
	s_cbranch_scc0 .LBB47_1299
; %bb.1296:
	s_waitcnt vmcnt(0)
	global_load_dwordx2 v[1:2], v[4:5], off
	s_mov_b64 s[12:13], 0
	s_branch .LBB47_1300
.LBB47_1297:
                                        ; implicit-def: $vgpr1
	s_branch .LBB47_1306
.LBB47_1298:
	s_mov_b64 s[12:13], -1
                                        ; implicit-def: $vgpr1
	s_branch .LBB47_1303
.LBB47_1299:
	s_mov_b64 s[12:13], -1
                                        ; implicit-def: $vgpr1
.LBB47_1300:
	s_andn2_b64 vcc, exec, s[12:13]
	s_cbranch_vccnz .LBB47_1302
; %bb.1301:
	s_waitcnt vmcnt(0)
	global_load_dword v1, v[4:5], off
.LBB47_1302:
	s_mov_b64 s[12:13], 0
.LBB47_1303:
	s_andn2_b64 vcc, exec, s[12:13]
	s_cbranch_vccnz .LBB47_1305
; %bb.1304:
	s_waitcnt vmcnt(0)
	global_load_ushort v1, v[4:5], off
.LBB47_1305:
	s_cbranch_execnz .LBB47_1311
.LBB47_1306:
	s_sext_i32_i16 s12, s73
	s_cmp_gt_i32 s12, 0
	s_cbranch_scc0 .LBB47_1308
; %bb.1307:
	s_waitcnt vmcnt(0)
	global_load_ubyte v1, v[4:5], off
	s_mov_b64 s[12:13], 0
	s_branch .LBB47_1309
.LBB47_1308:
	s_mov_b64 s[12:13], -1
                                        ; implicit-def: $vgpr1
.LBB47_1309:
	s_andn2_b64 vcc, exec, s[12:13]
	s_cbranch_vccnz .LBB47_1311
; %bb.1310:
	s_waitcnt vmcnt(0)
	global_load_ubyte v1, v[4:5], off
.LBB47_1311:
	s_or_b64 s[48:49], s[48:49], exec
.LBB47_1312:
	s_or_b64 exec, exec, s[0:1]
	s_mov_b64 s[16:17], 0
	s_mov_b64 s[18:19], 0
	;; [unrolled: 1-line block ×3, first 2 shown]
                                        ; implicit-def: $sgpr26
                                        ; implicit-def: $vgpr4_vgpr5
                                        ; implicit-def: $vgpr6
	s_and_saveexec_b64 s[0:1], s[48:49]
	s_cbranch_execz .LBB47_1320
; %bb.1313:
	s_waitcnt vmcnt(0)
	v_mov_b32_e32 v2, s25
	s_and_b32 s26, s70, 0xff
	v_add_co_u32_e32 v4, vcc, s24, v3
	s_cmp_lt_i32 s26, 11
	v_addc_co_u32_e32 v5, vcc, 0, v2, vcc
	s_cbranch_scc1 .LBB47_1323
; %bb.1314:
	s_and_b32 s24, 0xffff, s26
	s_cmp_gt_i32 s24, 25
	s_cbranch_scc0 .LBB47_1324
; %bb.1315:
	s_cmp_gt_i32 s24, 28
	s_cbranch_scc0 .LBB47_1325
; %bb.1316:
	;; [unrolled: 3-line block ×4, first 2 shown]
	s_cmp_eq_u32 s24, 46
	s_cbranch_scc0 .LBB47_1328
; %bb.1319:
	global_load_dword v2, v[4:5], off
	s_mov_b64 s[12:13], 0
	s_mov_b64 s[14:15], -1
	s_waitcnt vmcnt(0)
	v_lshlrev_b32_e32 v2, 16, v2
	v_cvt_i32_f32_e32 v6, v2
	s_branch .LBB47_1330
.LBB47_1320:
	s_or_b64 exec, exec, s[0:1]
	s_and_saveexec_b64 s[0:1], s[38:39]
	s_cbranch_execnz .LBB47_1389
.LBB47_1321:
	s_or_b64 exec, exec, s[0:1]
	s_and_saveexec_b64 s[0:1], s[16:17]
	s_xor_b64 s[0:1], exec, s[0:1]
	s_cbranch_execz .LBB47_1390
.LBB47_1322:
	s_waitcnt vmcnt(0)
	global_load_ubyte v2, v[4:5], off
	s_or_b64 s[14:15], s[14:15], exec
	s_waitcnt vmcnt(0)
	v_cmp_ne_u16_e32 vcc, 0, v2
	v_cndmask_b32_e64 v6, 0, 1, vcc
	s_or_b64 exec, exec, s[0:1]
	s_and_saveexec_b64 s[0:1], s[18:19]
	s_cbranch_execz .LBB47_1436
	s_branch .LBB47_1391
.LBB47_1323:
	s_mov_b64 s[18:19], -1
                                        ; implicit-def: $vgpr6
	s_mov_b64 s[12:13], s[38:39]
	s_branch .LBB47_1388
.LBB47_1324:
	s_mov_b64 s[12:13], s[38:39]
                                        ; implicit-def: $vgpr6
	s_cbranch_execnz .LBB47_1357
	s_branch .LBB47_1387
.LBB47_1325:
	s_mov_b64 s[18:19], -1
	s_mov_b64 s[12:13], s[38:39]
                                        ; implicit-def: $vgpr6
	s_branch .LBB47_1340
.LBB47_1326:
	s_mov_b64 s[18:19], -1
	s_mov_b64 s[12:13], s[38:39]
                                        ; implicit-def: $vgpr6
	s_branch .LBB47_1335
.LBB47_1327:
	s_mov_b64 s[18:19], -1
	s_mov_b64 s[12:13], s[38:39]
	s_branch .LBB47_1329
.LBB47_1328:
	s_mov_b64 s[12:13], -1
.LBB47_1329:
                                        ; implicit-def: $vgpr6
.LBB47_1330:
	s_and_b64 vcc, exec, s[18:19]
	s_cbranch_vccz .LBB47_1334
; %bb.1331:
	s_cmp_eq_u32 s24, 44
	s_cbranch_scc0 .LBB47_1333
; %bb.1332:
	global_load_ubyte v2, v[4:5], off
	s_mov_b64 s[12:13], 0
	s_mov_b64 s[14:15], -1
	s_waitcnt vmcnt(0)
	v_lshlrev_b32_e32 v3, 23, v2
	v_cvt_i32_f32_e32 v3, v3
	v_cmp_ne_u32_e32 vcc, 0, v2
	v_cndmask_b32_e32 v6, 0, v3, vcc
	s_branch .LBB47_1334
.LBB47_1333:
	s_mov_b64 s[12:13], -1
                                        ; implicit-def: $vgpr6
.LBB47_1334:
	s_mov_b64 s[18:19], 0
.LBB47_1335:
	s_and_b64 vcc, exec, s[18:19]
	s_cbranch_vccz .LBB47_1339
; %bb.1336:
	s_cmp_eq_u32 s24, 29
	s_cbranch_scc0 .LBB47_1338
; %bb.1337:
	global_load_dwordx2 v[6:7], v[4:5], off
	s_mov_b64 s[12:13], 0
	s_mov_b64 s[14:15], -1
	s_branch .LBB47_1339
.LBB47_1338:
	s_mov_b64 s[12:13], -1
                                        ; implicit-def: $vgpr6
.LBB47_1339:
	s_mov_b64 s[18:19], 0
.LBB47_1340:
	s_and_b64 vcc, exec, s[18:19]
	s_cbranch_vccz .LBB47_1356
; %bb.1341:
	s_cmp_lt_i32 s24, 27
	s_cbranch_scc1 .LBB47_1344
; %bb.1342:
	s_cmp_gt_i32 s24, 27
	s_cbranch_scc0 .LBB47_1345
; %bb.1343:
	global_load_dword v6, v[4:5], off
	s_mov_b64 s[14:15], 0
	s_branch .LBB47_1346
.LBB47_1344:
	s_mov_b64 s[14:15], -1
                                        ; implicit-def: $vgpr6
	s_branch .LBB47_1349
.LBB47_1345:
	s_mov_b64 s[14:15], -1
                                        ; implicit-def: $vgpr6
.LBB47_1346:
	s_andn2_b64 vcc, exec, s[14:15]
	s_cbranch_vccnz .LBB47_1348
; %bb.1347:
	global_load_ushort v6, v[4:5], off
.LBB47_1348:
	s_mov_b64 s[14:15], 0
.LBB47_1349:
	s_andn2_b64 vcc, exec, s[14:15]
	s_cbranch_vccnz .LBB47_1355
; %bb.1350:
	global_load_ubyte v2, v[4:5], off
	s_movk_i32 s14, 0x7f
	s_mov_b64 s[18:19], 0
	s_waitcnt vmcnt(0)
	v_cmp_lt_i16_e32 vcc, s14, v2
	s_and_saveexec_b64 s[14:15], vcc
	s_xor_b64 s[14:15], exec, s[14:15]
	s_cbranch_execz .LBB47_1366
; %bb.1351:
	s_movk_i32 s18, 0x80
	v_cmp_ne_u16_e32 vcc, s18, v2
	s_and_b64 s[18:19], vcc, exec
	s_andn2_saveexec_b64 s[14:15], s[14:15]
	s_cbranch_execnz .LBB47_1367
.LBB47_1352:
	s_or_b64 exec, exec, s[14:15]
	v_mov_b32_e32 v6, 0
	s_and_saveexec_b64 s[14:15], s[18:19]
	s_cbranch_execz .LBB47_1354
.LBB47_1353:
	v_lshlrev_b32_e32 v3, 24, v2
	v_and_b32_e32 v2, 0xffff, v2
	v_and_b32_e32 v6, 7, v2
	v_ffbh_u32_e32 v8, v6
	v_min_u32_e32 v8, 32, v8
	v_subrev_u32_e32 v9, 28, v8
	v_bfe_u32 v7, v2, 3, 4
	v_lshlrev_b32_e32 v2, v9, v2
	v_sub_u32_e32 v8, 29, v8
	v_and_b32_e32 v2, 7, v2
	v_cmp_eq_u32_e32 vcc, 0, v7
	v_cndmask_b32_e32 v7, v7, v8, vcc
	v_cndmask_b32_e32 v2, v6, v2, vcc
	v_mov_b32_e32 v6, 0x3b800000
	v_lshlrev_b32_e32 v2, 20, v2
	v_and_b32_e32 v3, 0x80000000, v3
	v_lshl_add_u32 v6, v7, 23, v6
	v_or3_b32 v2, v3, v6, v2
	v_cvt_i32_f32_e32 v6, v2
.LBB47_1354:
	s_or_b64 exec, exec, s[14:15]
.LBB47_1355:
	s_mov_b64 s[14:15], -1
.LBB47_1356:
	s_branch .LBB47_1387
.LBB47_1357:
	s_cmp_gt_i32 s24, 22
	s_cbranch_scc0 .LBB47_1365
; %bb.1358:
	s_cmp_lt_i32 s24, 24
	s_cbranch_scc1 .LBB47_1368
; %bb.1359:
	s_cmp_gt_i32 s24, 24
	s_cbranch_scc0 .LBB47_1369
; %bb.1360:
	global_load_ubyte v2, v[4:5], off
	s_movk_i32 s14, 0x7f
	s_waitcnt vmcnt(0)
	v_cmp_lt_i16_e32 vcc, s14, v2
	s_and_saveexec_b64 s[14:15], vcc
	s_xor_b64 s[14:15], exec, s[14:15]
	s_cbranch_execz .LBB47_1381
; %bb.1361:
	s_movk_i32 s16, 0x80
	v_cmp_ne_u16_e32 vcc, s16, v2
	s_and_b64 s[16:17], vcc, exec
	s_andn2_saveexec_b64 s[14:15], s[14:15]
	s_cbranch_execnz .LBB47_1382
.LBB47_1362:
	s_or_b64 exec, exec, s[14:15]
	v_mov_b32_e32 v6, 0
	s_and_saveexec_b64 s[14:15], s[16:17]
	s_cbranch_execz .LBB47_1364
.LBB47_1363:
	v_lshlrev_b32_e32 v3, 24, v2
	v_and_b32_e32 v2, 0xffff, v2
	v_and_b32_e32 v6, 3, v2
	v_ffbh_u32_e32 v8, v6
	v_min_u32_e32 v8, 32, v8
	v_subrev_u32_e32 v9, 29, v8
	v_bfe_u32 v7, v2, 2, 5
	v_lshlrev_b32_e32 v2, v9, v2
	v_sub_u32_e32 v8, 30, v8
	v_and_b32_e32 v2, 3, v2
	v_cmp_eq_u32_e32 vcc, 0, v7
	v_cndmask_b32_e32 v7, v7, v8, vcc
	v_cndmask_b32_e32 v2, v6, v2, vcc
	v_mov_b32_e32 v6, 0x37800000
	v_lshlrev_b32_e32 v2, 21, v2
	v_and_b32_e32 v3, 0x80000000, v3
	v_lshl_add_u32 v6, v7, 23, v6
	v_or3_b32 v2, v3, v6, v2
	v_cvt_i32_f32_e32 v6, v2
.LBB47_1364:
	s_or_b64 exec, exec, s[14:15]
	s_mov_b64 s[14:15], 0
	s_branch .LBB47_1370
.LBB47_1365:
	s_mov_b64 s[16:17], -1
                                        ; implicit-def: $vgpr6
	s_branch .LBB47_1376
.LBB47_1366:
	s_andn2_saveexec_b64 s[14:15], s[14:15]
	s_cbranch_execz .LBB47_1352
.LBB47_1367:
	v_cmp_ne_u16_e32 vcc, 0, v2
	s_andn2_b64 s[18:19], s[18:19], exec
	s_and_b64 s[28:29], vcc, exec
	s_or_b64 s[18:19], s[18:19], s[28:29]
	s_or_b64 exec, exec, s[14:15]
	v_mov_b32_e32 v6, 0
	s_and_saveexec_b64 s[14:15], s[18:19]
	s_cbranch_execnz .LBB47_1353
	s_branch .LBB47_1354
.LBB47_1368:
	s_mov_b64 s[14:15], -1
                                        ; implicit-def: $vgpr6
	s_branch .LBB47_1373
.LBB47_1369:
	s_mov_b64 s[14:15], -1
                                        ; implicit-def: $vgpr6
.LBB47_1370:
	s_and_b64 vcc, exec, s[14:15]
	s_cbranch_vccz .LBB47_1372
; %bb.1371:
	global_load_ubyte v2, v[4:5], off
	s_mov_b32 s14, 0x7f800000
	s_waitcnt vmcnt(0)
	v_lshlrev_b32_e32 v2, 24, v2
	v_and_b32_e32 v3, 0x7f000000, v2
	v_ffbh_u32_e32 v6, v3
	v_min_u32_e32 v6, 32, v6
	v_sub_u32_e64 v6, v6, 4 clamp
	v_lshlrev_b32_e32 v8, v6, v3
	v_lshlrev_b32_e32 v6, 23, v6
	v_lshrrev_b32_e32 v8, 4, v8
	v_add_u32_e32 v7, 0x1000000, v3
	v_sub_u32_e32 v6, v8, v6
	v_ashrrev_i32_e32 v7, 8, v7
	v_add_u32_e32 v6, 0x3c000000, v6
	v_and_or_b32 v6, v7, s14, v6
	v_cmp_ne_u32_e32 vcc, 0, v3
	v_cndmask_b32_e32 v3, 0, v6, vcc
	s_brev_b32 s14, 1
	v_and_or_b32 v2, v2, s14, v3
	v_cvt_i32_f32_e32 v6, v2
.LBB47_1372:
	s_mov_b64 s[14:15], 0
.LBB47_1373:
	s_andn2_b64 vcc, exec, s[14:15]
	s_cbranch_vccnz .LBB47_1375
; %bb.1374:
	global_load_ubyte v2, v[4:5], off
	s_movk_i32 s14, 0x7f00
	s_brev_b32 s15, 16
	s_waitcnt vmcnt(0)
	v_lshlrev_b16_e32 v3, 8, v2
	v_lshlrev_b32_e32 v2, 25, v2
	v_lshrrev_b32_e32 v6, 4, v2
	v_and_or_b32 v7, v3, s14, 0.5
	v_or_b32_e32 v6, 0x70000000, v6
	v_add_f32_e32 v7, -0.5, v7
	v_mul_f32_e32 v6, 0x7800000, v6
	v_cmp_gt_u32_e32 vcc, s15, v2
	v_bfe_i32 v3, v3, 0, 16
	v_cndmask_b32_e32 v2, v6, v7, vcc
	s_brev_b32 s14, 1
	v_and_or_b32 v2, v3, s14, v2
	v_cvt_i32_f32_e32 v6, v2
.LBB47_1375:
	s_mov_b64 s[16:17], 0
	s_mov_b64 s[14:15], -1
.LBB47_1376:
	s_andn2_b64 vcc, exec, s[16:17]
	s_mov_b64 s[16:17], 0
	s_cbranch_vccnz .LBB47_1387
; %bb.1377:
	s_cmp_gt_i32 s24, 14
	s_cbranch_scc0 .LBB47_1380
; %bb.1378:
	s_cmp_eq_u32 s24, 15
	s_cbranch_scc0 .LBB47_1383
; %bb.1379:
	global_load_ushort v2, v[4:5], off
	s_mov_b64 s[12:13], 0
	s_mov_b64 s[14:15], -1
	s_waitcnt vmcnt(0)
	v_lshlrev_b32_e32 v2, 16, v2
	v_cvt_i32_f32_e32 v6, v2
	s_branch .LBB47_1384
.LBB47_1380:
	s_mov_b64 s[18:19], -1
                                        ; implicit-def: $vgpr6
	s_branch .LBB47_1385
.LBB47_1381:
	s_andn2_saveexec_b64 s[14:15], s[14:15]
	s_cbranch_execz .LBB47_1362
.LBB47_1382:
	v_cmp_ne_u16_e32 vcc, 0, v2
	s_andn2_b64 s[16:17], s[16:17], exec
	s_and_b64 s[18:19], vcc, exec
	s_or_b64 s[16:17], s[16:17], s[18:19]
	s_or_b64 exec, exec, s[14:15]
	v_mov_b32_e32 v6, 0
	s_and_saveexec_b64 s[14:15], s[16:17]
	s_cbranch_execnz .LBB47_1363
	s_branch .LBB47_1364
.LBB47_1383:
	s_mov_b64 s[12:13], -1
                                        ; implicit-def: $vgpr6
.LBB47_1384:
	s_mov_b64 s[18:19], 0
.LBB47_1385:
	s_and_b64 vcc, exec, s[18:19]
	s_cbranch_vccz .LBB47_1387
; %bb.1386:
	s_cmp_lg_u32 s24, 11
	s_cselect_b64 s[18:19], -1, 0
	s_andn2_b64 s[12:13], s[12:13], exec
	s_and_b64 s[18:19], s[18:19], exec
	s_mov_b64 s[16:17], -1
	s_or_b64 s[12:13], s[12:13], s[18:19]
.LBB47_1387:
	s_mov_b64 s[18:19], 0
.LBB47_1388:
	s_andn2_b64 s[24:25], s[38:39], exec
	s_and_b64 s[12:13], s[12:13], exec
	s_and_b64 s[14:15], s[14:15], exec
	;; [unrolled: 1-line block ×4, first 2 shown]
	s_or_b64 s[38:39], s[24:25], s[12:13]
	s_or_b64 exec, exec, s[0:1]
	s_and_saveexec_b64 s[0:1], s[38:39]
	s_cbranch_execz .LBB47_1321
.LBB47_1389:
	s_or_b64 s[10:11], s[10:11], exec
	s_andn2_b64 s[16:17], s[16:17], exec
	s_trap 2
	s_or_b64 exec, exec, s[0:1]
	s_and_saveexec_b64 s[0:1], s[16:17]
	s_xor_b64 s[0:1], exec, s[0:1]
	s_cbranch_execnz .LBB47_1322
.LBB47_1390:
	s_or_b64 exec, exec, s[0:1]
	s_and_saveexec_b64 s[0:1], s[18:19]
	s_cbranch_execz .LBB47_1436
.LBB47_1391:
	s_sext_i32_i16 s12, s26
	s_cmp_lt_i32 s12, 5
	s_cbranch_scc1 .LBB47_1396
; %bb.1392:
	s_cmp_lt_i32 s12, 8
	s_cbranch_scc1 .LBB47_1397
; %bb.1393:
	s_cmp_lt_i32 s12, 9
	s_cbranch_scc1 .LBB47_1398
; %bb.1394:
	s_cmp_gt_i32 s12, 9
	s_cbranch_scc0 .LBB47_1399
; %bb.1395:
	s_waitcnt vmcnt(0)
	global_load_dwordx2 v[2:3], v[4:5], off
	s_mov_b64 s[12:13], 0
	s_waitcnt vmcnt(0)
	v_cvt_i32_f64_e32 v6, v[2:3]
	s_branch .LBB47_1400
.LBB47_1396:
                                        ; implicit-def: $vgpr6
	s_branch .LBB47_1417
.LBB47_1397:
                                        ; implicit-def: $vgpr6
	s_branch .LBB47_1406
.LBB47_1398:
	s_mov_b64 s[12:13], -1
                                        ; implicit-def: $vgpr6
	s_branch .LBB47_1403
.LBB47_1399:
	s_mov_b64 s[12:13], -1
                                        ; implicit-def: $vgpr6
.LBB47_1400:
	s_andn2_b64 vcc, exec, s[12:13]
	s_cbranch_vccnz .LBB47_1402
; %bb.1401:
	s_waitcnt vmcnt(0)
	global_load_dword v2, v[4:5], off
	s_waitcnt vmcnt(0)
	v_cvt_i32_f32_e32 v6, v2
.LBB47_1402:
	s_mov_b64 s[12:13], 0
.LBB47_1403:
	s_andn2_b64 vcc, exec, s[12:13]
	s_cbranch_vccnz .LBB47_1405
; %bb.1404:
	s_waitcnt vmcnt(0)
	global_load_dword v2, v[4:5], off
	s_waitcnt vmcnt(0)
	v_cvt_i16_f16_e32 v6, v2
.LBB47_1405:
	s_cbranch_execnz .LBB47_1416
.LBB47_1406:
	s_sext_i32_i16 s12, s26
	s_cmp_lt_i32 s12, 6
	s_cbranch_scc1 .LBB47_1409
; %bb.1407:
	s_cmp_gt_i32 s12, 6
	s_cbranch_scc0 .LBB47_1410
; %bb.1408:
	s_waitcnt vmcnt(0)
	global_load_dwordx2 v[2:3], v[4:5], off
	s_mov_b64 s[12:13], 0
	s_waitcnt vmcnt(0)
	v_cvt_i32_f64_e32 v6, v[2:3]
	s_branch .LBB47_1411
.LBB47_1409:
	s_mov_b64 s[12:13], -1
                                        ; implicit-def: $vgpr6
	s_branch .LBB47_1414
.LBB47_1410:
	s_mov_b64 s[12:13], -1
                                        ; implicit-def: $vgpr6
.LBB47_1411:
	s_andn2_b64 vcc, exec, s[12:13]
	s_cbranch_vccnz .LBB47_1413
; %bb.1412:
	s_waitcnt vmcnt(0)
	global_load_dword v2, v[4:5], off
	s_waitcnt vmcnt(0)
	v_cvt_i32_f32_e32 v6, v2
.LBB47_1413:
	s_mov_b64 s[12:13], 0
.LBB47_1414:
	s_andn2_b64 vcc, exec, s[12:13]
	s_cbranch_vccnz .LBB47_1416
; %bb.1415:
	s_waitcnt vmcnt(0)
	global_load_ushort v2, v[4:5], off
	s_waitcnt vmcnt(0)
	v_cvt_i16_f16_e32 v6, v2
.LBB47_1416:
	s_cbranch_execnz .LBB47_1435
.LBB47_1417:
	s_sext_i32_i16 s12, s26
	s_cmp_lt_i32 s12, 2
	s_cbranch_scc1 .LBB47_1421
; %bb.1418:
	s_cmp_lt_i32 s12, 3
	s_cbranch_scc1 .LBB47_1422
; %bb.1419:
	s_cmp_gt_i32 s12, 3
	s_cbranch_scc0 .LBB47_1423
; %bb.1420:
	s_waitcnt vmcnt(0)
	global_load_dwordx2 v[6:7], v[4:5], off
	s_mov_b64 s[12:13], 0
	s_branch .LBB47_1424
.LBB47_1421:
                                        ; implicit-def: $vgpr6
	s_branch .LBB47_1430
.LBB47_1422:
	s_mov_b64 s[12:13], -1
                                        ; implicit-def: $vgpr6
	s_branch .LBB47_1427
.LBB47_1423:
	s_mov_b64 s[12:13], -1
                                        ; implicit-def: $vgpr6
.LBB47_1424:
	s_andn2_b64 vcc, exec, s[12:13]
	s_cbranch_vccnz .LBB47_1426
; %bb.1425:
	s_waitcnt vmcnt(0)
	global_load_dword v6, v[4:5], off
.LBB47_1426:
	s_mov_b64 s[12:13], 0
.LBB47_1427:
	s_andn2_b64 vcc, exec, s[12:13]
	s_cbranch_vccnz .LBB47_1429
; %bb.1428:
	s_waitcnt vmcnt(0)
	global_load_ushort v6, v[4:5], off
.LBB47_1429:
	s_cbranch_execnz .LBB47_1435
.LBB47_1430:
	s_sext_i32_i16 s12, s26
	s_cmp_gt_i32 s12, 0
	s_cbranch_scc0 .LBB47_1432
; %bb.1431:
	s_waitcnt vmcnt(0)
	global_load_ubyte v6, v[4:5], off
	s_mov_b64 s[12:13], 0
	s_branch .LBB47_1433
.LBB47_1432:
	s_mov_b64 s[12:13], -1
                                        ; implicit-def: $vgpr6
.LBB47_1433:
	s_andn2_b64 vcc, exec, s[12:13]
	s_cbranch_vccnz .LBB47_1435
; %bb.1434:
	s_waitcnt vmcnt(0)
	global_load_ubyte v6, v[4:5], off
.LBB47_1435:
	s_or_b64 s[14:15], s[14:15], exec
.LBB47_1436:
	s_or_b64 exec, exec, s[0:1]
	s_mov_b64 s[18:19], 0
	s_mov_b64 s[16:17], 0
                                        ; implicit-def: $sgpr24
                                        ; implicit-def: $vgpr2_vgpr3
                                        ; implicit-def: $vgpr4
	s_and_saveexec_b64 s[12:13], s[14:15]
	s_cbranch_execz .LBB47_1444
; %bb.1437:
	s_waitcnt vmcnt(0)
	v_mov_b32_e32 v2, 8
	v_lshlrev_b32_e32 v1, v6, v1
	v_cmp_lt_u16_sdwa vcc, v6, v2 src0_sel:BYTE_0 src1_sel:DWORD
	v_cndmask_b32_e32 v4, 0, v1, vcc
	v_mov_b32_e32 v1, s9
	s_and_b32 s24, s69, 0xff
	v_add_co_u32_e32 v2, vcc, s8, v0
	s_cmp_lt_i32 s24, 11
	v_addc_co_u32_e32 v3, vcc, 0, v1, vcc
	s_cbranch_scc1 .LBB47_1447
; %bb.1438:
	s_and_b32 s25, 0xffff, s24
	s_mov_b64 s[14:15], -1
	s_cmp_gt_i32 s25, 25
	s_mov_b64 s[0:1], s[36:37]
	s_cbranch_scc0 .LBB47_1475
; %bb.1439:
	s_mov_b64 s[8:9], -1
	s_cmp_gt_i32 s25, 28
	s_mov_b64 s[0:1], s[36:37]
	s_cbranch_scc0 .LBB47_1459
; %bb.1440:
	s_cmp_gt_i32 s25, 43
	s_mov_b64 s[0:1], s[36:37]
	s_cbranch_scc0 .LBB47_1455
; %bb.1441:
	;; [unrolled: 4-line block ×3, first 2 shown]
	s_cmp_eq_u32 s25, 46
	s_mov_b64 s[0:1], -1
	s_cbranch_scc0 .LBB47_1448
; %bb.1443:
	v_bfe_i32 v0, v4, 0, 8
	v_cvt_f32_i32_sdwa v0, sext(v0) dst_sel:DWORD dst_unused:UNUSED_PAD src0_sel:WORD_0
	s_movk_i32 s0, 0x7fff
	s_mov_b64 s[8:9], 0
	v_bfe_u32 v1, v0, 16, 1
	v_add3_u32 v0, v0, v1, s0
	v_lshrrev_b32_e32 v0, 16, v0
	global_store_dword v[2:3], v0, off
	s_mov_b64 s[0:1], 0
	s_branch .LBB47_1449
.LBB47_1444:
	s_or_b64 exec, exec, s[12:13]
	s_and_saveexec_b64 s[0:1], s[36:37]
	s_cbranch_execnz .LBB47_1517
.LBB47_1445:
	s_or_b64 exec, exec, s[0:1]
	s_and_saveexec_b64 s[0:1], s[18:19]
	s_xor_b64 s[0:1], exec, s[0:1]
	s_cbranch_execz .LBB47_1518
.LBB47_1446:
	v_mov_b32_e32 v0, 0
	s_waitcnt vmcnt(0)
	v_cmp_ne_u16_sdwa s[8:9], v4, v0 src0_sel:BYTE_0 src1_sel:DWORD
	v_cndmask_b32_e64 v0, 0, 1, s[8:9]
	global_store_byte v[2:3], v0, off
	s_or_b64 exec, exec, s[0:1]
	s_and_saveexec_b64 s[0:1], s[16:17]
	s_xor_b64 s[0:1], exec, s[0:1]
	s_cbranch_execz .LBB47_1556
	s_branch .LBB47_1519
.LBB47_1447:
	s_mov_b64 s[14:15], 0
	s_mov_b64 s[8:9], -1
	s_mov_b64 s[0:1], s[36:37]
	s_branch .LBB47_1516
.LBB47_1448:
	s_mov_b64 s[8:9], 0
.LBB47_1449:
	s_and_b64 vcc, exec, s[8:9]
	s_cbranch_vccz .LBB47_1454
; %bb.1450:
	s_cmp_eq_u32 s25, 44
	s_mov_b64 s[0:1], -1
	s_cbranch_scc0 .LBB47_1454
; %bb.1451:
	v_bfe_i32 v0, v4, 0, 8
	v_cvt_f32_i32_sdwa v0, sext(v0) dst_sel:DWORD dst_unused:UNUSED_PAD src0_sel:WORD_0
	s_movk_i32 s0, 0xff
	v_mov_b32_e32 v5, 0xff
	v_bfe_u32 v1, v0, 23, 8
	v_cmp_ne_u32_e32 vcc, s0, v1
	s_and_saveexec_b64 s[8:9], vcc
; %bb.1452:
	s_mov_b32 s0, 0x3fffff
	v_lshrrev_b32_e32 v5, 23, v0
	v_and_b32_e32 v6, 0x400000, v0
	v_and_or_b32 v0, v0, s0, v1
	v_cmp_ne_u32_e32 vcc, 0, v6
	v_cmp_ne_u32_e64 s[0:1], 0, v0
	s_and_b64 s[0:1], vcc, s[0:1]
	v_cndmask_b32_e64 v0, 0, 1, s[0:1]
	v_add_u32_e32 v5, v5, v0
; %bb.1453:
	s_or_b64 exec, exec, s[8:9]
	s_mov_b64 s[0:1], 0
	global_store_byte v[2:3], v5, off
.LBB47_1454:
	s_mov_b64 s[8:9], 0
.LBB47_1455:
	s_and_b64 vcc, exec, s[8:9]
	s_cbranch_vccz .LBB47_1458
; %bb.1456:
	s_cmp_eq_u32 s25, 29
	s_mov_b64 s[0:1], -1
	s_cbranch_scc0 .LBB47_1458
; %bb.1457:
	v_bfe_i32 v0, v4, 0, 8
	v_ashrrev_i32_e32 v1, 31, v0
	global_store_dwordx2 v[2:3], v[0:1], off
	s_mov_b64 s[0:1], 0
.LBB47_1458:
	s_mov_b64 s[8:9], 0
.LBB47_1459:
	s_and_b64 vcc, exec, s[8:9]
	s_cbranch_vccz .LBB47_1474
; %bb.1460:
	s_cmp_lt_i32 s25, 27
	s_mov_b64 s[8:9], -1
	s_cbranch_scc1 .LBB47_1466
; %bb.1461:
	s_cmp_gt_i32 s25, 27
	s_cbranch_scc0 .LBB47_1463
; %bb.1462:
	v_bfe_i32 v0, v4, 0, 8
	s_mov_b64 s[8:9], 0
	global_store_dword v[2:3], v0, off
.LBB47_1463:
	s_andn2_b64 vcc, exec, s[8:9]
	s_cbranch_vccnz .LBB47_1465
; %bb.1464:
	v_bfe_i32 v0, v4, 0, 8
	global_store_short v[2:3], v0, off
.LBB47_1465:
	s_mov_b64 s[8:9], 0
.LBB47_1466:
	s_andn2_b64 vcc, exec, s[8:9]
	s_cbranch_vccnz .LBB47_1474
; %bb.1467:
	v_bfe_i32 v0, v4, 0, 8
	v_cvt_f32_i32_sdwa v0, sext(v0) dst_sel:DWORD dst_unused:UNUSED_PAD src0_sel:WORD_0
	s_mov_b32 s8, 0x43800000
	v_mov_b32_e32 v5, 0x80
	v_and_b32_e32 v1, 0x7fffffff, v0
	v_cmp_gt_u32_e32 vcc, s8, v1
	s_and_saveexec_b64 s[8:9], vcc
	s_cbranch_execz .LBB47_1473
; %bb.1468:
	s_mov_b32 s14, 0x3bffffff
	v_cmp_lt_u32_e32 vcc, s14, v1
	s_mov_b64 s[14:15], 0
                                        ; implicit-def: $vgpr1
	s_and_saveexec_b64 s[16:17], vcc
	s_xor_b64 s[16:17], exec, s[16:17]
	s_cbranch_execz .LBB47_1615
; %bb.1469:
	v_bfe_u32 v1, v0, 20, 1
	s_mov_b32 s18, 0x487ffff
	v_add3_u32 v1, v0, v1, s18
	s_mov_b64 s[14:15], exec
	v_lshrrev_b32_e32 v1, 20, v1
	s_andn2_saveexec_b64 s[16:17], s[16:17]
	s_cbranch_execnz .LBB47_1616
.LBB47_1470:
	s_or_b64 exec, exec, s[16:17]
	v_mov_b32_e32 v5, 0
	s_and_saveexec_b64 s[16:17], s[14:15]
.LBB47_1471:
	v_lshrrev_b32_e32 v0, 24, v0
	s_movk_i32 s14, 0x80
	v_and_or_b32 v5, v0, s14, v1
.LBB47_1472:
	s_or_b64 exec, exec, s[16:17]
.LBB47_1473:
	s_or_b64 exec, exec, s[8:9]
	global_store_byte v[2:3], v5, off
.LBB47_1474:
	s_mov_b64 s[14:15], 0
.LBB47_1475:
	s_mov_b64 s[8:9], 0
	s_and_b64 vcc, exec, s[14:15]
	s_cbranch_vccz .LBB47_1515
; %bb.1476:
	s_cmp_gt_i32 s25, 22
	s_mov_b64 s[14:15], -1
	s_cbranch_scc0 .LBB47_1508
; %bb.1477:
	s_cmp_lt_i32 s25, 24
	s_cbranch_scc1 .LBB47_1497
; %bb.1478:
	s_cmp_gt_i32 s25, 24
	s_cbranch_scc0 .LBB47_1486
; %bb.1479:
	v_bfe_i32 v0, v4, 0, 8
	v_cvt_f32_i32_sdwa v0, sext(v0) dst_sel:DWORD dst_unused:UNUSED_PAD src0_sel:WORD_0
	s_mov_b32 s14, 0x47800000
	v_mov_b32_e32 v5, 0x80
	v_and_b32_e32 v1, 0x7fffffff, v0
	v_cmp_gt_u32_e32 vcc, s14, v1
	s_and_saveexec_b64 s[14:15], vcc
	s_cbranch_execz .LBB47_1485
; %bb.1480:
	s_mov_b32 s16, 0x37ffffff
	v_cmp_lt_u32_e32 vcc, s16, v1
	s_mov_b64 s[16:17], 0
                                        ; implicit-def: $vgpr1
	s_and_saveexec_b64 s[18:19], vcc
	s_xor_b64 s[18:19], exec, s[18:19]
	s_cbranch_execz .LBB47_1735
; %bb.1481:
	v_bfe_u32 v1, v0, 21, 1
	s_mov_b32 s26, 0x88fffff
	v_add3_u32 v1, v0, v1, s26
	s_mov_b64 s[16:17], exec
	v_lshrrev_b32_e32 v1, 21, v1
	s_andn2_saveexec_b64 s[18:19], s[18:19]
	s_cbranch_execnz .LBB47_1736
.LBB47_1482:
	s_or_b64 exec, exec, s[18:19]
	v_mov_b32_e32 v5, 0
	s_and_saveexec_b64 s[18:19], s[16:17]
.LBB47_1483:
	v_lshrrev_b32_e32 v0, 24, v0
	s_movk_i32 s16, 0x80
	v_and_or_b32 v5, v0, s16, v1
.LBB47_1484:
	s_or_b64 exec, exec, s[18:19]
.LBB47_1485:
	s_or_b64 exec, exec, s[14:15]
	s_mov_b64 s[14:15], 0
	global_store_byte v[2:3], v5, off
.LBB47_1486:
	s_and_b64 vcc, exec, s[14:15]
	s_cbranch_vccz .LBB47_1496
; %bb.1487:
	v_bfe_i32 v0, v4, 0, 8
	v_cvt_f32_i32_sdwa v0, sext(v0) dst_sel:DWORD dst_unused:UNUSED_PAD src0_sel:WORD_0
	s_mov_b32 s14, 0x43f00000
                                        ; implicit-def: $vgpr1
	v_and_b32_e32 v5, 0x7fffffff, v0
	v_cmp_gt_u32_e32 vcc, s14, v5
	s_and_saveexec_b64 s[14:15], vcc
	s_xor_b64 s[14:15], exec, s[14:15]
	s_cbranch_execz .LBB47_1493
; %bb.1488:
	s_mov_b32 s16, 0x3c7fffff
	v_cmp_lt_u32_e32 vcc, s16, v5
                                        ; implicit-def: $vgpr1
	s_and_saveexec_b64 s[16:17], vcc
	s_xor_b64 s[16:17], exec, s[16:17]
; %bb.1489:
	v_bfe_u32 v1, v0, 20, 1
	s_mov_b32 s18, 0x407ffff
	v_add3_u32 v1, v0, v1, s18
	v_lshrrev_b32_e32 v5, 20, v1
	v_and_b32_e32 v1, 0xff00000, v1
	s_mov_b32 s18, 0x7f00000
	v_mov_b32_e32 v6, 0x7e
	v_cmp_ne_u32_e32 vcc, s18, v1
	v_cndmask_b32_e32 v1, v6, v5, vcc
; %bb.1490:
	s_andn2_saveexec_b64 s[16:17], s[16:17]
; %bb.1491:
	s_mov_b32 s18, 0x46800000
	v_add_f32_e64 v1, |v0|, s18
; %bb.1492:
	s_or_b64 exec, exec, s[16:17]
                                        ; implicit-def: $vgpr5
.LBB47_1493:
	s_andn2_saveexec_b64 s[14:15], s[14:15]
; %bb.1494:
	s_mov_b32 s16, 0x7f800000
	v_mov_b32_e32 v1, 0x7e
	v_mov_b32_e32 v6, 0x7f
	v_cmp_lt_u32_e32 vcc, s16, v5
	v_cndmask_b32_e32 v1, v1, v6, vcc
; %bb.1495:
	s_or_b64 exec, exec, s[14:15]
	v_lshrrev_b32_e32 v0, 24, v0
	s_movk_i32 s14, 0x80
	v_and_or_b32 v0, v0, s14, v1
	global_store_byte v[2:3], v0, off
.LBB47_1496:
	s_mov_b64 s[14:15], 0
.LBB47_1497:
	s_andn2_b64 vcc, exec, s[14:15]
	s_cbranch_vccnz .LBB47_1507
; %bb.1498:
	v_bfe_i32 v0, v4, 0, 8
	v_cvt_f32_i32_sdwa v0, sext(v0) dst_sel:DWORD dst_unused:UNUSED_PAD src0_sel:WORD_0
	s_mov_b32 s14, 0x47800000
                                        ; implicit-def: $vgpr1
	v_and_b32_e32 v5, 0x7fffffff, v0
	v_cmp_gt_u32_e32 vcc, s14, v5
	s_and_saveexec_b64 s[14:15], vcc
	s_xor_b64 s[14:15], exec, s[14:15]
	s_cbranch_execz .LBB47_1504
; %bb.1499:
	s_mov_b32 s16, 0x387fffff
	v_cmp_lt_u32_e32 vcc, s16, v5
                                        ; implicit-def: $vgpr1
	s_and_saveexec_b64 s[16:17], vcc
	s_xor_b64 s[16:17], exec, s[16:17]
; %bb.1500:
	v_bfe_u32 v1, v0, 21, 1
	s_mov_b32 s18, 0x80fffff
	v_add3_u32 v1, v0, v1, s18
	v_lshrrev_b32_e32 v1, 21, v1
; %bb.1501:
	s_andn2_saveexec_b64 s[16:17], s[16:17]
; %bb.1502:
	s_mov_b32 s18, 0x43000000
	v_add_f32_e64 v1, |v0|, s18
; %bb.1503:
	s_or_b64 exec, exec, s[16:17]
                                        ; implicit-def: $vgpr5
.LBB47_1504:
	s_andn2_saveexec_b64 s[14:15], s[14:15]
; %bb.1505:
	s_mov_b32 s16, 0x7f800000
	v_mov_b32_e32 v1, 0x7c
	v_mov_b32_e32 v6, 0x7f
	v_cmp_lt_u32_e32 vcc, s16, v5
	v_cndmask_b32_e32 v1, v1, v6, vcc
; %bb.1506:
	s_or_b64 exec, exec, s[14:15]
	v_lshrrev_b32_e32 v0, 24, v0
	s_movk_i32 s14, 0x80
	v_and_or_b32 v0, v0, s14, v1
	global_store_byte v[2:3], v0, off
.LBB47_1507:
	s_mov_b64 s[14:15], 0
.LBB47_1508:
	s_andn2_b64 vcc, exec, s[14:15]
	s_mov_b64 s[14:15], 0
	s_cbranch_vccnz .LBB47_1516
; %bb.1509:
	s_cmp_gt_i32 s25, 14
	s_mov_b64 s[16:17], -1
	s_cbranch_scc0 .LBB47_1513
; %bb.1510:
	s_cmp_eq_u32 s25, 15
	s_mov_b64 s[0:1], -1
	s_cbranch_scc0 .LBB47_1512
; %bb.1511:
	v_bfe_i32 v0, v4, 0, 8
	v_cvt_f32_i32_sdwa v0, sext(v0) dst_sel:DWORD dst_unused:UNUSED_PAD src0_sel:WORD_0
	s_movk_i32 s0, 0x7fff
	v_bfe_u32 v1, v0, 16, 1
	v_add3_u32 v0, v0, v1, s0
	global_store_short_d16_hi v[2:3], v0, off
	s_mov_b64 s[0:1], 0
.LBB47_1512:
	s_mov_b64 s[16:17], 0
.LBB47_1513:
	s_and_b64 vcc, exec, s[16:17]
	s_cbranch_vccz .LBB47_1516
; %bb.1514:
	s_cmp_lg_u32 s25, 11
	s_cselect_b64 s[16:17], -1, 0
	s_andn2_b64 s[0:1], s[0:1], exec
	s_and_b64 s[16:17], s[16:17], exec
	s_mov_b64 s[14:15], -1
	s_or_b64 s[0:1], s[0:1], s[16:17]
	s_branch .LBB47_1516
.LBB47_1515:
	s_mov_b64 s[14:15], 0
.LBB47_1516:
	s_and_b64 s[16:17], s[8:9], exec
	s_andn2_b64 s[8:9], s[36:37], exec
	s_and_b64 s[0:1], s[0:1], exec
	s_and_b64 s[18:19], s[14:15], exec
	s_or_b64 s[36:37], s[8:9], s[0:1]
	s_or_b64 exec, exec, s[12:13]
	s_and_saveexec_b64 s[0:1], s[36:37]
	s_cbranch_execz .LBB47_1445
.LBB47_1517:
	s_or_b64 s[10:11], s[10:11], exec
	s_andn2_b64 s[18:19], s[18:19], exec
	s_trap 2
	s_or_b64 exec, exec, s[0:1]
	s_and_saveexec_b64 s[0:1], s[18:19]
	s_xor_b64 s[0:1], exec, s[0:1]
	s_cbranch_execnz .LBB47_1446
.LBB47_1518:
	s_or_b64 exec, exec, s[0:1]
	s_and_saveexec_b64 s[0:1], s[16:17]
	s_xor_b64 s[0:1], exec, s[0:1]
	s_cbranch_execz .LBB47_1556
.LBB47_1519:
	s_sext_i32_i16 s12, s24
	s_cmp_lt_i32 s12, 5
	s_mov_b64 s[8:9], -1
	s_cbranch_scc1 .LBB47_1540
; %bb.1520:
	s_cmp_lt_i32 s12, 8
	s_cbranch_scc1 .LBB47_1530
; %bb.1521:
	s_cmp_lt_i32 s12, 9
	s_cbranch_scc1 .LBB47_1527
; %bb.1522:
	s_cmp_gt_i32 s12, 9
	s_cbranch_scc0 .LBB47_1524
; %bb.1523:
	s_waitcnt vmcnt(0)
	v_bfe_i32 v0, v4, 0, 8
	v_bfe_i32 v0, v0, 0, 16
	v_cvt_f64_i32_e32 v[5:6], v0
	v_mov_b32_e32 v7, 0
	v_mov_b32_e32 v8, v7
	s_mov_b64 s[8:9], 0
	global_store_dwordx4 v[2:3], v[5:8], off
.LBB47_1524:
	s_andn2_b64 vcc, exec, s[8:9]
	s_cbranch_vccnz .LBB47_1526
; %bb.1525:
	s_waitcnt vmcnt(0)
	v_bfe_i32 v0, v4, 0, 8
	v_cvt_f32_i32_sdwa v0, sext(v0) dst_sel:DWORD dst_unused:UNUSED_PAD src0_sel:WORD_0
	v_mov_b32_e32 v1, 0
	global_store_dwordx2 v[2:3], v[0:1], off
.LBB47_1526:
	s_mov_b64 s[8:9], 0
.LBB47_1527:
	s_andn2_b64 vcc, exec, s[8:9]
	s_cbranch_vccnz .LBB47_1529
; %bb.1528:
	s_waitcnt vmcnt(0)
	v_cvt_f16_i16_sdwa v0, sext(v4) dst_sel:DWORD dst_unused:UNUSED_PAD src0_sel:BYTE_0
	global_store_dword v[2:3], v0, off
.LBB47_1529:
	s_mov_b64 s[8:9], 0
.LBB47_1530:
	s_andn2_b64 vcc, exec, s[8:9]
	s_cbranch_vccnz .LBB47_1539
; %bb.1531:
	s_sext_i32_i16 s12, s24
	s_cmp_lt_i32 s12, 6
	s_mov_b64 s[8:9], -1
	s_cbranch_scc1 .LBB47_1537
; %bb.1532:
	s_cmp_gt_i32 s12, 6
	s_cbranch_scc0 .LBB47_1534
; %bb.1533:
	s_waitcnt vmcnt(0)
	v_bfe_i32 v0, v4, 0, 8
	v_bfe_i32 v0, v0, 0, 16
	v_cvt_f64_i32_e32 v[0:1], v0
	s_mov_b64 s[8:9], 0
	global_store_dwordx2 v[2:3], v[0:1], off
.LBB47_1534:
	s_andn2_b64 vcc, exec, s[8:9]
	s_cbranch_vccnz .LBB47_1536
; %bb.1535:
	s_waitcnt vmcnt(0)
	v_bfe_i32 v0, v4, 0, 8
	v_cvt_f32_i32_sdwa v0, sext(v0) dst_sel:DWORD dst_unused:UNUSED_PAD src0_sel:WORD_0
	global_store_dword v[2:3], v0, off
.LBB47_1536:
	s_mov_b64 s[8:9], 0
.LBB47_1537:
	s_andn2_b64 vcc, exec, s[8:9]
	s_cbranch_vccnz .LBB47_1539
; %bb.1538:
	s_waitcnt vmcnt(0)
	v_cvt_f16_i16_sdwa v0, sext(v4) dst_sel:DWORD dst_unused:UNUSED_PAD src0_sel:BYTE_0
	global_store_short v[2:3], v0, off
.LBB47_1539:
	s_mov_b64 s[8:9], 0
.LBB47_1540:
	s_andn2_b64 vcc, exec, s[8:9]
	s_cbranch_vccnz .LBB47_1556
; %bb.1541:
	s_sext_i32_i16 s12, s24
	s_cmp_lt_i32 s12, 2
	s_mov_b64 s[8:9], -1
	s_cbranch_scc1 .LBB47_1551
; %bb.1542:
	s_cmp_lt_i32 s12, 3
	s_cbranch_scc1 .LBB47_1548
; %bb.1543:
	s_cmp_gt_i32 s12, 3
	s_cbranch_scc0 .LBB47_1545
; %bb.1544:
	s_waitcnt vmcnt(0)
	v_bfe_i32 v0, v4, 0, 8
	v_ashrrev_i32_e32 v1, 31, v0
	s_mov_b64 s[8:9], 0
	global_store_dwordx2 v[2:3], v[0:1], off
.LBB47_1545:
	s_andn2_b64 vcc, exec, s[8:9]
	s_cbranch_vccnz .LBB47_1547
; %bb.1546:
	s_waitcnt vmcnt(0)
	v_bfe_i32 v0, v4, 0, 8
	global_store_dword v[2:3], v0, off
.LBB47_1547:
	s_mov_b64 s[8:9], 0
.LBB47_1548:
	s_andn2_b64 vcc, exec, s[8:9]
	s_cbranch_vccnz .LBB47_1550
; %bb.1549:
	s_waitcnt vmcnt(0)
	v_bfe_i32 v0, v4, 0, 8
	global_store_short v[2:3], v0, off
.LBB47_1550:
	s_mov_b64 s[8:9], 0
.LBB47_1551:
	s_andn2_b64 vcc, exec, s[8:9]
	s_cbranch_vccnz .LBB47_1556
; %bb.1552:
	s_sext_i32_i16 s8, s24
	s_cmp_gt_i32 s8, 0
	s_mov_b64 s[8:9], -1
	s_cbranch_scc0 .LBB47_1554
; %bb.1553:
	s_mov_b64 s[8:9], 0
	s_waitcnt vmcnt(0)
	global_store_byte v[2:3], v4, off
.LBB47_1554:
	s_andn2_b64 vcc, exec, s[8:9]
	s_cbranch_vccnz .LBB47_1556
; %bb.1555:
	s_waitcnt vmcnt(0)
	global_store_byte v[2:3], v4, off
.LBB47_1556:
	s_or_b64 exec, exec, s[0:1]
	s_and_b64 s[12:13], s[10:11], exec
                                        ; implicit-def: $vgpr21
                                        ; implicit-def: $vgpr10
.LBB47_1557:
	s_or_saveexec_b64 s[14:15], s[22:23]
	s_mov_b64 s[0:1], 0
                                        ; implicit-def: $vgpr0_vgpr1
                                        ; implicit-def: $sgpr18
                                        ; implicit-def: $vgpr2
	s_xor_b64 exec, exec, s[14:15]
	s_cbranch_execz .LBB47_3038
; %bb.1558:
	v_cndmask_b32_e64 v0, 0, 1, s[20:21]
	v_cmp_ne_u32_e64 s[0:1], 1, v0
	s_andn2_b64 vcc, exec, s[20:21]
	s_cbranch_vccnz .LBB47_1564
; %bb.1559:
	s_cmp_lg_u32 s33, 0
	s_cbranch_scc0 .LBB47_1565
; %bb.1560:
	s_min_u32 s8, s68, 15
	s_add_i32 s6, s8, 1
	s_and_b32 s9, s6, 30
	s_add_u32 s6, s2, 0xffffffe8
	s_addc_u32 s7, s3, -1
	v_mov_b32_e32 v13, 0
	v_mov_b32_e32 v8, 0
	s_waitcnt vmcnt(0)
	v_mov_b32_e32 v6, 0
	v_mov_b32_e32 v0, v10
.LBB47_1561:                            ; =>This Inner Loop Header: Depth=1
	s_load_dwordx4 s[16:19], s[6:7], 0x1c
	s_load_dwordx2 s[10:11], s[6:7], 0x2c
	s_load_dwordx2 s[24:25], s[6:7], 0xec
	s_load_dwordx4 s[20:23], s[6:7], 0xdc
	s_add_u32 s6, s6, 24
	s_waitcnt lgkmcnt(0)
	v_mul_hi_u32 v1, s17, v0
	s_addc_u32 s7, s7, 0
	s_add_i32 s9, s9, -2
	s_cmp_lg_u32 s9, 0
	v_add_u32_e32 v1, v0, v1
	v_lshrrev_b32_e32 v1, s18, v1
	v_mul_lo_u32 v2, v1, s16
	v_mul_hi_u32 v3, s10, v1
	v_sub_u32_e32 v2, v0, v2
	v_add_u32_e32 v0, v1, v3
	v_lshrrev_b32_e32 v0, s11, v0
	v_mul_lo_u32 v5, v0, s19
	v_mul_lo_u32 v3, v2, s20
	;; [unrolled: 1-line block ×4, first 2 shown]
	v_sub_u32_e32 v1, v1, v5
	v_mul_lo_u32 v5, v1, s23
	v_mul_lo_u32 v7, v1, s24
	v_mul_lo_u32 v1, v1, s25
	v_add3_u32 v6, v3, v6, v5
	v_add3_u32 v8, v4, v8, v7
	;; [unrolled: 1-line block ×3, first 2 shown]
	s_cbranch_scc1 .LBB47_1561
; %bb.1562:
	s_bitcmp1_b32 s8, 0
	s_cselect_b64 s[8:9], -1, 0
	s_and_b64 vcc, exec, s[8:9]
	s_cbranch_vccnz .LBB47_1566
; %bb.1563:
	s_load_dwordx2 s[8:9], s[6:7], 0x1c
	s_load_dword s16, s[6:7], 0x24
	s_load_dwordx2 s[10:11], s[6:7], 0xdc
	s_waitcnt lgkmcnt(0)
	v_mul_hi_u32 v1, s9, v0
	v_add_u32_e32 v1, v0, v1
	v_lshrrev_b32_e32 v1, s16, v1
	v_mul_lo_u32 v1, v1, s8
	s_load_dword s8, s[6:7], 0xe4
	v_sub_u32_e32 v0, v0, v1
	v_mad_u64_u32 v[6:7], s[6:7], v0, s10, v[6:7]
	v_mad_u64_u32 v[8:9], s[6:7], v0, s11, v[8:9]
	s_waitcnt lgkmcnt(0)
	v_mad_u64_u32 v[13:14], s[6:7], v0, s8, v[13:14]
	s_cbranch_execz .LBB47_1567
	s_branch .LBB47_1569
.LBB47_1564:
                                        ; implicit-def: $vgpr6
                                        ; implicit-def: $vgpr8
                                        ; implicit-def: $vgpr13
	s_branch .LBB47_1567
.LBB47_1565:
	s_waitcnt vmcnt(0)
	v_mov_b32_e32 v6, 0
	v_mov_b32_e32 v8, 0
	;; [unrolled: 1-line block ×3, first 2 shown]
.LBB47_1566:
	s_cbranch_execnz .LBB47_1569
.LBB47_1567:
	s_load_dwordx4 s[8:11], s[2:3], 0x4
	s_load_dwordx4 s[16:19], s[2:3], 0xc4
	s_cmp_lt_u32 s33, 2
	s_waitcnt lgkmcnt(0)
	v_mul_hi_u32 v0, s9, v10
	v_add_u32_e32 v0, v10, v0
	v_lshrrev_b32_e32 v0, s10, v0
	s_waitcnt vmcnt(0)
	v_mul_lo_u32 v1, v0, s8
	v_sub_u32_e32 v1, v10, v1
	v_mul_lo_u32 v6, v1, s16
	v_mul_lo_u32 v8, v1, s17
	;; [unrolled: 1-line block ×3, first 2 shown]
	s_cbranch_scc1 .LBB47_1569
; %bb.1568:
	s_load_dwordx4 s[8:11], s[2:3], 0x10
	s_load_dwordx4 s[16:19], s[2:3], 0xd0
	s_waitcnt lgkmcnt(0)
	v_mul_hi_u32 v1, s9, v0
	v_add_u32_e32 v1, v0, v1
	v_lshrrev_b32_e32 v1, s10, v1
	v_mul_lo_u32 v1, v1, s8
	v_sub_u32_e32 v0, v0, v1
	v_mad_u64_u32 v[6:7], s[6:7], v0, s16, v[6:7]
	v_mad_u64_u32 v[8:9], s[6:7], v0, s17, v[8:9]
	;; [unrolled: 1-line block ×3, first 2 shown]
.LBB47_1569:
	s_and_b64 vcc, exec, s[0:1]
	v_add_u32_e32 v0, 0x80, v10
	s_cbranch_vccnz .LBB47_1575
; %bb.1570:
	s_cmp_lg_u32 s33, 0
	s_cbranch_scc0 .LBB47_1576
; %bb.1571:
	s_min_u32 s8, s68, 15
	s_add_i32 s6, s8, 1
	s_and_b32 s9, s6, 30
	s_add_u32 s6, s2, 0xffffffe8
	s_addc_u32 s7, s3, -1
	v_mov_b32_e32 v18, 0
	v_mov_b32_e32 v11, 0
	s_waitcnt vmcnt(0)
	v_mov_b32_e32 v4, 0
	v_mov_b32_e32 v1, v0
.LBB47_1572:                            ; =>This Inner Loop Header: Depth=1
	s_load_dwordx4 s[16:19], s[6:7], 0x1c
	s_load_dwordx2 s[10:11], s[6:7], 0x2c
	s_load_dwordx2 s[24:25], s[6:7], 0xec
	s_load_dwordx4 s[20:23], s[6:7], 0xdc
	s_add_u32 s6, s6, 24
	s_waitcnt lgkmcnt(0)
	v_mul_hi_u32 v2, s17, v1
	s_addc_u32 s7, s7, 0
	s_add_i32 s9, s9, -2
	s_cmp_lg_u32 s9, 0
	v_add_u32_e32 v2, v1, v2
	v_lshrrev_b32_e32 v2, s18, v2
	v_mul_lo_u32 v3, v2, s16
	v_mul_hi_u32 v5, s10, v2
	v_sub_u32_e32 v3, v1, v3
	v_add_u32_e32 v1, v2, v5
	v_lshrrev_b32_e32 v1, s11, v1
	v_mul_lo_u32 v9, v1, s19
	v_mul_lo_u32 v5, v3, s20
	;; [unrolled: 1-line block ×4, first 2 shown]
	v_sub_u32_e32 v2, v2, v9
	v_mul_lo_u32 v9, v2, s23
	v_mul_lo_u32 v12, v2, s24
	;; [unrolled: 1-line block ×3, first 2 shown]
	v_add3_u32 v4, v5, v4, v9
	v_add3_u32 v11, v7, v11, v12
	;; [unrolled: 1-line block ×3, first 2 shown]
	s_cbranch_scc1 .LBB47_1572
; %bb.1573:
	s_bitcmp1_b32 s8, 0
	s_cselect_b64 s[8:9], -1, 0
	s_and_b64 vcc, exec, s[8:9]
	s_cbranch_vccnz .LBB47_1577
; %bb.1574:
	s_load_dwordx2 s[8:9], s[6:7], 0x1c
	s_load_dword s16, s[6:7], 0x24
	s_load_dwordx2 s[10:11], s[6:7], 0xdc
	s_waitcnt lgkmcnt(0)
	v_mul_hi_u32 v2, s9, v1
	v_add_u32_e32 v2, v1, v2
	v_lshrrev_b32_e32 v2, s16, v2
	v_mul_lo_u32 v2, v2, s8
	s_load_dword s8, s[6:7], 0xe4
	v_sub_u32_e32 v1, v1, v2
	v_mad_u64_u32 v[4:5], s[6:7], v1, s10, v[4:5]
	v_mad_u64_u32 v[11:12], s[6:7], v1, s11, v[11:12]
	s_waitcnt lgkmcnt(0)
	v_mad_u64_u32 v[18:19], s[6:7], v1, s8, v[18:19]
	s_cbranch_execz .LBB47_1578
	s_branch .LBB47_1580
.LBB47_1575:
                                        ; implicit-def: $vgpr4
                                        ; implicit-def: $vgpr11
                                        ; implicit-def: $vgpr18
	s_branch .LBB47_1578
.LBB47_1576:
	s_waitcnt vmcnt(0)
	v_mov_b32_e32 v4, 0
	v_mov_b32_e32 v11, 0
	;; [unrolled: 1-line block ×3, first 2 shown]
.LBB47_1577:
	s_cbranch_execnz .LBB47_1580
.LBB47_1578:
	s_load_dwordx4 s[8:11], s[2:3], 0x4
	s_load_dwordx4 s[16:19], s[2:3], 0xc4
	s_cmp_lt_u32 s33, 2
	s_waitcnt vmcnt(0) lgkmcnt(0)
	v_mul_hi_u32 v1, s9, v0
	v_add_u32_e32 v1, v0, v1
	v_lshrrev_b32_e32 v1, s10, v1
	v_mul_lo_u32 v2, v1, s8
	v_sub_u32_e32 v0, v0, v2
	v_mul_lo_u32 v4, v0, s16
	v_mul_lo_u32 v11, v0, s17
	v_mul_lo_u32 v18, v0, s18
	s_cbranch_scc1 .LBB47_1580
; %bb.1579:
	s_load_dwordx4 s[8:11], s[2:3], 0x10
	s_load_dwordx4 s[16:19], s[2:3], 0xd0
	s_waitcnt lgkmcnt(0)
	v_mul_hi_u32 v0, s9, v1
	v_add_u32_e32 v0, v1, v0
	v_lshrrev_b32_e32 v0, s10, v0
	v_mul_lo_u32 v0, v0, s8
	v_sub_u32_e32 v0, v1, v0
	v_mad_u64_u32 v[4:5], s[6:7], v0, s16, v[4:5]
	v_mad_u64_u32 v[11:12], s[6:7], v0, s17, v[11:12]
	;; [unrolled: 1-line block ×3, first 2 shown]
.LBB47_1580:
	s_and_b64 vcc, exec, s[0:1]
	v_add_u32_e32 v0, 0x100, v10
	s_cbranch_vccnz .LBB47_1586
; %bb.1581:
	s_cmp_lg_u32 s33, 0
	s_cbranch_scc0 .LBB47_1587
; %bb.1582:
	s_min_u32 s8, s68, 15
	s_add_i32 s6, s8, 1
	s_and_b32 s9, s6, 30
	s_add_u32 s6, s2, 0xffffffe8
	s_addc_u32 s7, s3, -1
	v_mov_b32_e32 v19, 0
	v_mov_b32_e32 v16, 0
	s_waitcnt vmcnt(0)
	v_mov_b32_e32 v2, 0
	v_mov_b32_e32 v1, v0
.LBB47_1583:                            ; =>This Inner Loop Header: Depth=1
	s_load_dwordx4 s[16:19], s[6:7], 0x1c
	s_load_dwordx2 s[10:11], s[6:7], 0x2c
	s_load_dwordx2 s[24:25], s[6:7], 0xec
	s_load_dwordx4 s[20:23], s[6:7], 0xdc
	s_add_u32 s6, s6, 24
	s_waitcnt lgkmcnt(0)
	v_mul_hi_u32 v3, s17, v1
	s_addc_u32 s7, s7, 0
	s_add_i32 s9, s9, -2
	s_cmp_lg_u32 s9, 0
	v_add_u32_e32 v3, v1, v3
	v_lshrrev_b32_e32 v3, s18, v3
	v_mul_lo_u32 v5, v3, s16
	v_mul_hi_u32 v7, s10, v3
	v_sub_u32_e32 v5, v1, v5
	v_add_u32_e32 v1, v3, v7
	v_lshrrev_b32_e32 v1, s11, v1
	v_mul_lo_u32 v10, v1, s19
	v_mul_lo_u32 v7, v5, s20
	;; [unrolled: 1-line block ×4, first 2 shown]
	v_sub_u32_e32 v3, v3, v10
	v_mul_lo_u32 v10, v3, s23
	v_mul_lo_u32 v12, v3, s24
	;; [unrolled: 1-line block ×3, first 2 shown]
	v_add3_u32 v2, v7, v2, v10
	v_add3_u32 v16, v9, v16, v12
	;; [unrolled: 1-line block ×3, first 2 shown]
	s_cbranch_scc1 .LBB47_1583
; %bb.1584:
	s_bitcmp1_b32 s8, 0
	s_cselect_b64 s[8:9], -1, 0
	s_and_b64 vcc, exec, s[8:9]
	s_cbranch_vccnz .LBB47_1588
; %bb.1585:
	s_load_dwordx2 s[8:9], s[6:7], 0x1c
	s_load_dword s16, s[6:7], 0x24
	s_load_dwordx2 s[10:11], s[6:7], 0xdc
	s_waitcnt lgkmcnt(0)
	v_mul_hi_u32 v3, s9, v1
	v_add_u32_e32 v3, v1, v3
	v_lshrrev_b32_e32 v3, s16, v3
	v_mul_lo_u32 v3, v3, s8
	s_load_dword s8, s[6:7], 0xe4
	v_sub_u32_e32 v1, v1, v3
	v_mad_u64_u32 v[2:3], s[6:7], v1, s10, v[2:3]
	v_mad_u64_u32 v[16:17], s[6:7], v1, s11, v[16:17]
	s_waitcnt lgkmcnt(0)
	v_mad_u64_u32 v[19:20], s[6:7], v1, s8, v[19:20]
	s_cbranch_execz .LBB47_1589
	s_branch .LBB47_1591
.LBB47_1586:
                                        ; implicit-def: $vgpr2
                                        ; implicit-def: $vgpr16
                                        ; implicit-def: $vgpr19
	s_branch .LBB47_1589
.LBB47_1587:
	s_waitcnt vmcnt(0)
	v_mov_b32_e32 v2, 0
	v_mov_b32_e32 v16, 0
	;; [unrolled: 1-line block ×3, first 2 shown]
.LBB47_1588:
	s_cbranch_execnz .LBB47_1591
.LBB47_1589:
	s_load_dwordx4 s[8:11], s[2:3], 0x4
	s_load_dwordx4 s[16:19], s[2:3], 0xc4
	s_cmp_lt_u32 s33, 2
	s_waitcnt vmcnt(0) lgkmcnt(0)
	v_mul_hi_u32 v1, s9, v0
	v_add_u32_e32 v1, v0, v1
	v_lshrrev_b32_e32 v1, s10, v1
	v_mul_lo_u32 v2, v1, s8
	v_sub_u32_e32 v0, v0, v2
	v_mul_lo_u32 v2, v0, s16
	v_mul_lo_u32 v16, v0, s17
	;; [unrolled: 1-line block ×3, first 2 shown]
	s_cbranch_scc1 .LBB47_1591
; %bb.1590:
	s_load_dwordx4 s[8:11], s[2:3], 0x10
	s_load_dwordx4 s[16:19], s[2:3], 0xd0
	s_waitcnt lgkmcnt(0)
	v_mul_hi_u32 v0, s9, v1
	v_add_u32_e32 v0, v1, v0
	v_lshrrev_b32_e32 v0, s10, v0
	v_mul_lo_u32 v0, v0, s8
	v_sub_u32_e32 v0, v1, v0
	v_mad_u64_u32 v[2:3], s[6:7], v0, s16, v[2:3]
	v_mad_u64_u32 v[16:17], s[6:7], v0, s17, v[16:17]
	;; [unrolled: 1-line block ×3, first 2 shown]
.LBB47_1591:
	s_and_b64 vcc, exec, s[0:1]
	s_cbranch_vccnz .LBB47_1597
; %bb.1592:
	s_cmp_lg_u32 s33, 0
	s_cbranch_scc0 .LBB47_1598
; %bb.1593:
	s_min_u32 s6, s68, 15
	s_add_i32 s0, s6, 1
	s_and_b32 s7, s0, 30
	s_add_u32 s0, s2, 0xffffffe8
	s_addc_u32 s1, s3, -1
	v_mov_b32_e32 v9, 0
	v_mov_b32_e32 v14, 0
	;; [unrolled: 1-line block ×3, first 2 shown]
	s_waitcnt vmcnt(0)
	v_mov_b32_e32 v1, v21
.LBB47_1594:                            ; =>This Inner Loop Header: Depth=1
	s_load_dwordx4 s[8:11], s[0:1], 0x1c
	s_load_dwordx2 s[20:21], s[0:1], 0x2c
	s_load_dwordx2 s[22:23], s[0:1], 0xec
	s_load_dwordx4 s[16:19], s[0:1], 0xdc
	s_add_u32 s0, s0, 24
	s_waitcnt lgkmcnt(0)
	v_mul_hi_u32 v3, s9, v1
	s_addc_u32 s1, s1, 0
	s_add_i32 s7, s7, -2
	s_cmp_lg_u32 s7, 0
	v_add_u32_e32 v3, v1, v3
	v_lshrrev_b32_e32 v3, s10, v3
	v_mul_lo_u32 v5, v3, s8
	v_mul_hi_u32 v7, s20, v3
	v_sub_u32_e32 v5, v1, v5
	v_add_u32_e32 v1, v3, v7
	v_lshrrev_b32_e32 v1, s21, v1
	v_mul_lo_u32 v12, v1, s11
	v_mul_lo_u32 v7, v5, s16
	;; [unrolled: 1-line block ×4, first 2 shown]
	v_sub_u32_e32 v3, v3, v12
	v_mul_lo_u32 v12, v3, s19
	v_mul_lo_u32 v15, v3, s22
	;; [unrolled: 1-line block ×3, first 2 shown]
	v_add3_u32 v0, v7, v0, v12
	v_add3_u32 v14, v10, v14, v15
	;; [unrolled: 1-line block ×3, first 2 shown]
	s_cbranch_scc1 .LBB47_1594
; %bb.1595:
	s_bitcmp1_b32 s6, 0
	s_cselect_b64 s[6:7], -1, 0
	s_and_b64 vcc, exec, s[6:7]
	s_cbranch_vccnz .LBB47_1599
; %bb.1596:
	s_load_dwordx2 s[6:7], s[0:1], 0x1c
	s_load_dword s10, s[0:1], 0x24
	s_load_dwordx2 s[8:9], s[0:1], 0xdc
	s_waitcnt lgkmcnt(0)
	v_mul_hi_u32 v3, s7, v1
	v_add_u32_e32 v3, v1, v3
	v_lshrrev_b32_e32 v3, s10, v3
	v_mul_lo_u32 v3, v3, s6
	s_load_dword s6, s[0:1], 0xe4
	v_sub_u32_e32 v3, v1, v3
	v_mad_u64_u32 v[0:1], s[0:1], v3, s8, v[0:1]
	v_mad_u64_u32 v[14:15], s[0:1], v3, s9, v[14:15]
	s_waitcnt lgkmcnt(0)
	v_mad_u64_u32 v[9:10], s[0:1], v3, s6, v[9:10]
	s_cbranch_execz .LBB47_1600
	s_branch .LBB47_1602
.LBB47_1597:
                                        ; implicit-def: $vgpr0
                                        ; implicit-def: $vgpr14
                                        ; implicit-def: $vgpr9
	s_branch .LBB47_1600
.LBB47_1598:
	v_mov_b32_e32 v0, 0
	v_mov_b32_e32 v14, 0
	;; [unrolled: 1-line block ×3, first 2 shown]
.LBB47_1599:
	s_cbranch_execnz .LBB47_1602
.LBB47_1600:
	s_load_dwordx4 s[8:11], s[2:3], 0x4
	s_load_dwordx4 s[16:19], s[2:3], 0xc4
	s_cmp_lt_u32 s33, 2
	s_waitcnt lgkmcnt(0)
	v_mul_hi_u32 v0, s9, v21
	v_add_u32_e32 v0, v21, v0
	s_waitcnt vmcnt(0)
	v_lshrrev_b32_e32 v1, s10, v0
	v_mul_lo_u32 v0, v1, s8
	v_sub_u32_e32 v3, v21, v0
	v_mul_lo_u32 v0, v3, s16
	v_mul_lo_u32 v14, v3, s17
	;; [unrolled: 1-line block ×3, first 2 shown]
	s_cbranch_scc1 .LBB47_1602
; %bb.1601:
	s_load_dwordx4 s[8:11], s[2:3], 0x10
	s_load_dwordx4 s[16:19], s[2:3], 0xd0
	s_waitcnt lgkmcnt(0)
	v_mul_hi_u32 v3, s9, v1
	v_add_u32_e32 v3, v1, v3
	v_lshrrev_b32_e32 v3, s10, v3
	v_mul_lo_u32 v3, v3, s8
	v_sub_u32_e32 v3, v1, v3
	v_mad_u64_u32 v[0:1], s[0:1], v3, s16, v[0:1]
	v_mad_u64_u32 v[14:15], s[0:1], v3, s17, v[14:15]
	;; [unrolled: 1-line block ×3, first 2 shown]
.LBB47_1602:
	s_load_dwordx4 s[8:11], s[2:3], 0x188
	s_load_dword s20, s[4:5], 0x1a8
	s_waitcnt vmcnt(0) lgkmcnt(0)
	v_mov_b32_e32 v1, s11
	s_bfe_u32 s18, s20, 0x80010
	v_add_co_u32_e32 v20, vcc, s10, v8
	s_cmp_lt_i32 s18, 11
	v_addc_co_u32_e32 v21, vcc, 0, v1, vcc
	s_cbranch_scc1 .LBB47_1609
; %bb.1603:
	s_and_b32 s19, 0xffff, s18
	s_cmp_gt_i32 s19, 25
	s_mov_b64 s[6:7], 0
	s_cbranch_scc0 .LBB47_1611
; %bb.1604:
	s_cmp_gt_i32 s19, 28
	s_cbranch_scc0 .LBB47_1612
; %bb.1605:
	s_cmp_gt_i32 s19, 43
	;; [unrolled: 3-line block ×3, first 2 shown]
	s_cbranch_scc0 .LBB47_1614
; %bb.1607:
	s_cmp_eq_u32 s19, 46
	s_mov_b64 s[4:5], 0
	s_cbranch_scc0 .LBB47_1617
; %bb.1608:
	global_load_dword v1, v[20:21], off
	s_mov_b64 s[0:1], 0
	s_mov_b64 s[16:17], -1
	s_waitcnt vmcnt(0)
	v_lshlrev_b32_e32 v1, 16, v1
	v_cvt_i32_f32_e32 v7, v1
	s_branch .LBB47_1618
.LBB47_1609:
	s_mov_b64 s[16:17], 0
                                        ; implicit-def: $vgpr7
	s_mov_b64 s[4:5], s[12:13]
	s_cbranch_execnz .LBB47_1676
.LBB47_1610:
	s_andn2_b64 vcc, exec, s[16:17]
	s_cbranch_vccz .LBB47_1721
	s_branch .LBB47_3036
.LBB47_1611:
	s_mov_b64 s[16:17], 0
	s_mov_b64 s[0:1], 0
                                        ; implicit-def: $vgpr7
	s_cbranch_execnz .LBB47_1643
	s_branch .LBB47_1672
.LBB47_1612:
	s_mov_b64 s[16:17], 0
	s_mov_b64 s[0:1], 0
                                        ; implicit-def: $vgpr7
	s_cbranch_execz .LBB47_1642
	s_branch .LBB47_1627
.LBB47_1613:
	s_mov_b64 s[16:17], 0
	s_mov_b64 s[0:1], 0
                                        ; implicit-def: $vgpr7
	s_cbranch_execnz .LBB47_1623
	s_branch .LBB47_1626
.LBB47_1614:
	s_mov_b64 s[4:5], -1
	s_mov_b64 s[16:17], 0
	s_mov_b64 s[0:1], 0
                                        ; implicit-def: $vgpr7
	s_branch .LBB47_1618
.LBB47_1615:
	s_andn2_saveexec_b64 s[16:17], s[16:17]
	s_cbranch_execz .LBB47_1470
.LBB47_1616:
	s_mov_b32 s18, 0x46000000
	v_add_f32_e64 v1, |v0|, s18
	v_and_b32_e32 v1, 0xff, v1
	v_cmp_ne_u32_e32 vcc, 0, v1
	s_andn2_b64 s[14:15], s[14:15], exec
	s_and_b64 s[18:19], vcc, exec
	s_or_b64 s[14:15], s[14:15], s[18:19]
	s_or_b64 exec, exec, s[16:17]
	v_mov_b32_e32 v5, 0
	s_and_saveexec_b64 s[16:17], s[14:15]
	s_cbranch_execnz .LBB47_1471
	s_branch .LBB47_1472
.LBB47_1617:
	s_mov_b64 s[0:1], -1
                                        ; implicit-def: $vgpr7
	s_mov_b64 s[16:17], 0
.LBB47_1618:
	s_and_b64 vcc, exec, s[4:5]
	s_cbranch_vccz .LBB47_1621
; %bb.1619:
	s_cmp_eq_u32 s19, 44
	s_cbranch_scc0 .LBB47_1622
; %bb.1620:
	global_load_ubyte v1, v[20:21], off
	s_mov_b64 s[0:1], 0
	s_mov_b64 s[16:17], -1
	s_waitcnt vmcnt(0)
	v_lshlrev_b32_e32 v3, 23, v1
	v_cvt_i32_f32_e32 v3, v3
	v_cmp_ne_u32_e32 vcc, 0, v1
	v_cndmask_b32_e32 v7, 0, v3, vcc
.LBB47_1621:
	s_branch .LBB47_1626
.LBB47_1622:
	s_mov_b64 s[0:1], -1
                                        ; implicit-def: $vgpr7
	s_branch .LBB47_1626
.LBB47_1623:
	s_cmp_eq_u32 s19, 29
	s_cbranch_scc0 .LBB47_1625
; %bb.1624:
	global_load_dwordx2 v[7:8], v[20:21], off
	s_mov_b64 s[0:1], 0
	s_mov_b64 s[16:17], -1
	s_branch .LBB47_1626
.LBB47_1625:
	s_mov_b64 s[0:1], -1
                                        ; implicit-def: $vgpr7
.LBB47_1626:
	s_branch .LBB47_1642
.LBB47_1627:
	s_cmp_lt_i32 s19, 27
	s_cbranch_scc1 .LBB47_1630
; %bb.1628:
	s_cmp_gt_i32 s19, 27
	s_cbranch_scc0 .LBB47_1631
; %bb.1629:
	global_load_dword v7, v[20:21], off
	s_mov_b64 s[4:5], 0
	s_branch .LBB47_1632
.LBB47_1630:
	s_mov_b64 s[4:5], -1
                                        ; implicit-def: $vgpr7
	s_branch .LBB47_1635
.LBB47_1631:
	s_mov_b64 s[4:5], -1
                                        ; implicit-def: $vgpr7
.LBB47_1632:
	s_andn2_b64 vcc, exec, s[4:5]
	s_cbranch_vccnz .LBB47_1634
; %bb.1633:
	global_load_ushort v7, v[20:21], off
.LBB47_1634:
	s_mov_b64 s[4:5], 0
.LBB47_1635:
	s_andn2_b64 vcc, exec, s[4:5]
	s_cbranch_vccnz .LBB47_1641
; %bb.1636:
	global_load_ubyte v1, v[20:21], off
	s_movk_i32 s4, 0x7f
	s_mov_b64 s[16:17], 0
	s_waitcnt vmcnt(0)
	v_cmp_lt_i16_e32 vcc, s4, v1
	s_and_saveexec_b64 s[4:5], vcc
	s_xor_b64 s[4:5], exec, s[4:5]
	s_cbranch_execz .LBB47_1652
; %bb.1637:
	s_movk_i32 s16, 0x80
	v_cmp_ne_u16_e32 vcc, s16, v1
	s_and_b64 s[16:17], vcc, exec
	s_andn2_saveexec_b64 s[4:5], s[4:5]
	s_cbranch_execnz .LBB47_1653
.LBB47_1638:
	s_or_b64 exec, exec, s[4:5]
	v_mov_b32_e32 v7, 0
	s_and_saveexec_b64 s[4:5], s[16:17]
	s_cbranch_execz .LBB47_1640
.LBB47_1639:
	v_lshlrev_b32_e32 v3, 24, v1
	v_and_b32_e32 v1, 0xffff, v1
	v_and_b32_e32 v5, 7, v1
	v_ffbh_u32_e32 v8, v5
	v_min_u32_e32 v8, 32, v8
	v_subrev_u32_e32 v10, 28, v8
	v_bfe_u32 v7, v1, 3, 4
	v_lshlrev_b32_e32 v1, v10, v1
	v_sub_u32_e32 v8, 29, v8
	v_and_b32_e32 v1, 7, v1
	v_cmp_eq_u32_e32 vcc, 0, v7
	v_cndmask_b32_e32 v7, v7, v8, vcc
	v_cndmask_b32_e32 v1, v5, v1, vcc
	v_mov_b32_e32 v5, 0x3b800000
	v_lshlrev_b32_e32 v1, 20, v1
	v_and_b32_e32 v3, 0x80000000, v3
	v_lshl_add_u32 v5, v7, 23, v5
	v_or3_b32 v1, v3, v5, v1
	v_cvt_i32_f32_e32 v7, v1
.LBB47_1640:
	s_or_b64 exec, exec, s[4:5]
.LBB47_1641:
	s_mov_b64 s[16:17], -1
.LBB47_1642:
	s_branch .LBB47_1672
.LBB47_1643:
	s_cmp_gt_i32 s19, 22
	s_cbranch_scc0 .LBB47_1651
; %bb.1644:
	s_cmp_lt_i32 s19, 24
	s_cbranch_scc1 .LBB47_1654
; %bb.1645:
	s_cmp_gt_i32 s19, 24
	s_cbranch_scc0 .LBB47_1655
; %bb.1646:
	global_load_ubyte v1, v[20:21], off
	s_movk_i32 s4, 0x7f
	s_waitcnt vmcnt(0)
	v_cmp_lt_i16_e32 vcc, s4, v1
	s_and_saveexec_b64 s[4:5], vcc
	s_xor_b64 s[4:5], exec, s[4:5]
	s_cbranch_execz .LBB47_1666
; %bb.1647:
	s_movk_i32 s6, 0x80
	v_cmp_ne_u16_e32 vcc, s6, v1
	s_and_b64 s[6:7], vcc, exec
	s_andn2_saveexec_b64 s[4:5], s[4:5]
	s_cbranch_execnz .LBB47_1667
.LBB47_1648:
	s_or_b64 exec, exec, s[4:5]
	v_mov_b32_e32 v7, 0
	s_and_saveexec_b64 s[4:5], s[6:7]
	s_cbranch_execz .LBB47_1650
.LBB47_1649:
	v_lshlrev_b32_e32 v3, 24, v1
	v_and_b32_e32 v1, 0xffff, v1
	v_and_b32_e32 v5, 3, v1
	v_ffbh_u32_e32 v8, v5
	v_min_u32_e32 v8, 32, v8
	v_subrev_u32_e32 v10, 29, v8
	v_bfe_u32 v7, v1, 2, 5
	v_lshlrev_b32_e32 v1, v10, v1
	v_sub_u32_e32 v8, 30, v8
	v_and_b32_e32 v1, 3, v1
	v_cmp_eq_u32_e32 vcc, 0, v7
	v_cndmask_b32_e32 v7, v7, v8, vcc
	v_cndmask_b32_e32 v1, v5, v1, vcc
	v_mov_b32_e32 v5, 0x37800000
	v_lshlrev_b32_e32 v1, 21, v1
	v_and_b32_e32 v3, 0x80000000, v3
	v_lshl_add_u32 v5, v7, 23, v5
	v_or3_b32 v1, v3, v5, v1
	v_cvt_i32_f32_e32 v7, v1
.LBB47_1650:
	s_or_b64 exec, exec, s[4:5]
	s_mov_b64 s[4:5], 0
	s_branch .LBB47_1656
.LBB47_1651:
                                        ; implicit-def: $vgpr7
	s_mov_b64 s[6:7], 0
	s_branch .LBB47_1662
.LBB47_1652:
	s_andn2_saveexec_b64 s[4:5], s[4:5]
	s_cbranch_execz .LBB47_1638
.LBB47_1653:
	v_cmp_ne_u16_e32 vcc, 0, v1
	s_andn2_b64 s[16:17], s[16:17], exec
	s_and_b64 s[22:23], vcc, exec
	s_or_b64 s[16:17], s[16:17], s[22:23]
	s_or_b64 exec, exec, s[4:5]
	v_mov_b32_e32 v7, 0
	s_and_saveexec_b64 s[4:5], s[16:17]
	s_cbranch_execnz .LBB47_1639
	s_branch .LBB47_1640
.LBB47_1654:
	s_mov_b64 s[4:5], -1
                                        ; implicit-def: $vgpr7
	s_branch .LBB47_1659
.LBB47_1655:
	s_mov_b64 s[4:5], -1
                                        ; implicit-def: $vgpr7
.LBB47_1656:
	s_and_b64 vcc, exec, s[4:5]
	s_cbranch_vccz .LBB47_1658
; %bb.1657:
	global_load_ubyte v1, v[20:21], off
	s_mov_b32 s4, 0x7f800000
	s_waitcnt vmcnt(0)
	v_lshlrev_b32_e32 v1, 24, v1
	v_and_b32_e32 v3, 0x7f000000, v1
	v_ffbh_u32_e32 v5, v3
	v_min_u32_e32 v5, 32, v5
	v_sub_u32_e64 v5, v5, 4 clamp
	v_lshlrev_b32_e32 v8, v5, v3
	v_lshlrev_b32_e32 v5, 23, v5
	v_lshrrev_b32_e32 v8, 4, v8
	v_add_u32_e32 v7, 0x1000000, v3
	v_sub_u32_e32 v5, v8, v5
	v_ashrrev_i32_e32 v7, 8, v7
	v_add_u32_e32 v5, 0x3c000000, v5
	v_and_or_b32 v5, v7, s4, v5
	v_cmp_ne_u32_e32 vcc, 0, v3
	v_cndmask_b32_e32 v3, 0, v5, vcc
	s_brev_b32 s4, 1
	v_and_or_b32 v1, v1, s4, v3
	v_cvt_i32_f32_e32 v7, v1
.LBB47_1658:
	s_mov_b64 s[4:5], 0
.LBB47_1659:
	s_andn2_b64 vcc, exec, s[4:5]
	s_cbranch_vccnz .LBB47_1661
; %bb.1660:
	global_load_ubyte v1, v[20:21], off
	s_movk_i32 s4, 0x7f00
	s_brev_b32 s5, 16
	s_waitcnt vmcnt(0)
	v_lshlrev_b16_e32 v3, 8, v1
	v_lshlrev_b32_e32 v1, 25, v1
	v_lshrrev_b32_e32 v5, 4, v1
	v_and_or_b32 v7, v3, s4, 0.5
	v_or_b32_e32 v5, 0x70000000, v5
	v_add_f32_e32 v7, -0.5, v7
	v_mul_f32_e32 v5, 0x7800000, v5
	v_cmp_gt_u32_e32 vcc, s5, v1
	v_bfe_i32 v3, v3, 0, 16
	v_cndmask_b32_e32 v1, v5, v7, vcc
	s_brev_b32 s4, 1
	v_and_or_b32 v1, v3, s4, v1
	v_cvt_i32_f32_e32 v7, v1
.LBB47_1661:
	s_mov_b64 s[16:17], -1
	s_mov_b64 s[6:7], 0
	s_cbranch_execnz .LBB47_1672
.LBB47_1662:
	s_cmp_gt_i32 s19, 14
	s_cbranch_scc0 .LBB47_1665
; %bb.1663:
	s_cmp_eq_u32 s19, 15
	s_cbranch_scc0 .LBB47_1668
; %bb.1664:
	global_load_ushort v1, v[20:21], off
	s_mov_b64 s[0:1], 0
	s_mov_b64 s[16:17], -1
	s_waitcnt vmcnt(0)
	v_lshlrev_b32_e32 v1, 16, v1
	v_cvt_i32_f32_e32 v7, v1
	s_branch .LBB47_1669
.LBB47_1665:
	s_mov_b64 s[4:5], -1
                                        ; implicit-def: $vgpr7
	s_branch .LBB47_1670
.LBB47_1666:
	s_andn2_saveexec_b64 s[4:5], s[4:5]
	s_cbranch_execz .LBB47_1648
.LBB47_1667:
	v_cmp_ne_u16_e32 vcc, 0, v1
	s_andn2_b64 s[6:7], s[6:7], exec
	s_and_b64 s[16:17], vcc, exec
	s_or_b64 s[6:7], s[6:7], s[16:17]
	s_or_b64 exec, exec, s[4:5]
	v_mov_b32_e32 v7, 0
	s_and_saveexec_b64 s[4:5], s[6:7]
	s_cbranch_execnz .LBB47_1649
	s_branch .LBB47_1650
.LBB47_1668:
	s_mov_b64 s[0:1], -1
                                        ; implicit-def: $vgpr7
.LBB47_1669:
	s_mov_b64 s[4:5], 0
.LBB47_1670:
	s_and_b64 vcc, exec, s[4:5]
	s_cbranch_vccz .LBB47_1672
; %bb.1671:
	s_cmp_lg_u32 s19, 11
	s_mov_b64 s[6:7], -1
	s_cselect_b64 s[0:1], -1, 0
.LBB47_1672:
	s_and_b64 vcc, exec, s[0:1]
	s_mov_b64 s[4:5], s[12:13]
	s_cbranch_vccnz .LBB47_1733
; %bb.1673:
	s_andn2_b64 vcc, exec, s[6:7]
	s_cbranch_vccnz .LBB47_1675
.LBB47_1674:
	global_load_ubyte v1, v[20:21], off
	s_mov_b64 s[16:17], -1
	s_waitcnt vmcnt(0)
	v_cmp_ne_u16_e32 vcc, 0, v1
	v_cndmask_b32_e64 v7, 0, 1, vcc
.LBB47_1675:
	s_branch .LBB47_1610
.LBB47_1676:
	s_and_b32 s6, 0xffff, s18
	s_cmp_lt_i32 s6, 5
	s_cbranch_scc1 .LBB47_1681
; %bb.1677:
	s_cmp_lt_i32 s6, 8
	s_cbranch_scc1 .LBB47_1682
; %bb.1678:
	;; [unrolled: 3-line block ×3, first 2 shown]
	s_cmp_gt_i32 s6, 9
	s_cbranch_scc0 .LBB47_1684
; %bb.1680:
	global_load_dwordx2 v[7:8], v[20:21], off
	s_mov_b64 s[0:1], 0
	s_waitcnt vmcnt(0)
	v_cvt_i32_f64_e32 v7, v[7:8]
	s_branch .LBB47_1685
.LBB47_1681:
                                        ; implicit-def: $vgpr7
	s_branch .LBB47_1702
.LBB47_1682:
                                        ; implicit-def: $vgpr7
	s_branch .LBB47_1691
.LBB47_1683:
	s_mov_b64 s[0:1], -1
                                        ; implicit-def: $vgpr7
	s_branch .LBB47_1688
.LBB47_1684:
	s_mov_b64 s[0:1], -1
                                        ; implicit-def: $vgpr7
.LBB47_1685:
	s_andn2_b64 vcc, exec, s[0:1]
	s_cbranch_vccnz .LBB47_1687
; %bb.1686:
	global_load_dword v1, v[20:21], off
	s_waitcnt vmcnt(0)
	v_cvt_i32_f32_e32 v7, v1
.LBB47_1687:
	s_mov_b64 s[0:1], 0
.LBB47_1688:
	s_andn2_b64 vcc, exec, s[0:1]
	s_cbranch_vccnz .LBB47_1690
; %bb.1689:
	global_load_dword v1, v[20:21], off
	s_waitcnt vmcnt(0)
	v_cvt_i16_f16_e32 v7, v1
.LBB47_1690:
	s_cbranch_execnz .LBB47_1701
.LBB47_1691:
	s_cmp_lt_i32 s6, 6
	s_cbranch_scc1 .LBB47_1694
; %bb.1692:
	s_cmp_gt_i32 s6, 6
	s_cbranch_scc0 .LBB47_1695
; %bb.1693:
	global_load_dwordx2 v[7:8], v[20:21], off
	s_mov_b64 s[0:1], 0
	s_waitcnt vmcnt(0)
	v_cvt_i32_f64_e32 v7, v[7:8]
	s_branch .LBB47_1696
.LBB47_1694:
	s_mov_b64 s[0:1], -1
                                        ; implicit-def: $vgpr7
	s_branch .LBB47_1699
.LBB47_1695:
	s_mov_b64 s[0:1], -1
                                        ; implicit-def: $vgpr7
.LBB47_1696:
	s_andn2_b64 vcc, exec, s[0:1]
	s_cbranch_vccnz .LBB47_1698
; %bb.1697:
	global_load_dword v1, v[20:21], off
	s_waitcnt vmcnt(0)
	v_cvt_i32_f32_e32 v7, v1
.LBB47_1698:
	s_mov_b64 s[0:1], 0
.LBB47_1699:
	s_andn2_b64 vcc, exec, s[0:1]
	s_cbranch_vccnz .LBB47_1701
; %bb.1700:
	global_load_ushort v1, v[20:21], off
	s_waitcnt vmcnt(0)
	v_cvt_i16_f16_e32 v7, v1
.LBB47_1701:
	s_cbranch_execnz .LBB47_1720
.LBB47_1702:
	s_cmp_lt_i32 s6, 2
	s_cbranch_scc1 .LBB47_1706
; %bb.1703:
	s_cmp_lt_i32 s6, 3
	s_cbranch_scc1 .LBB47_1707
; %bb.1704:
	s_cmp_gt_i32 s6, 3
	s_cbranch_scc0 .LBB47_1708
; %bb.1705:
	global_load_dwordx2 v[7:8], v[20:21], off
	s_mov_b64 s[0:1], 0
	s_branch .LBB47_1709
.LBB47_1706:
                                        ; implicit-def: $vgpr7
	s_branch .LBB47_1715
.LBB47_1707:
	s_mov_b64 s[0:1], -1
                                        ; implicit-def: $vgpr7
	s_branch .LBB47_1712
.LBB47_1708:
	s_mov_b64 s[0:1], -1
                                        ; implicit-def: $vgpr7
.LBB47_1709:
	s_andn2_b64 vcc, exec, s[0:1]
	s_cbranch_vccnz .LBB47_1711
; %bb.1710:
	global_load_dword v7, v[20:21], off
.LBB47_1711:
	s_mov_b64 s[0:1], 0
.LBB47_1712:
	s_andn2_b64 vcc, exec, s[0:1]
	s_cbranch_vccnz .LBB47_1714
; %bb.1713:
	global_load_ushort v7, v[20:21], off
.LBB47_1714:
	s_cbranch_execnz .LBB47_1720
.LBB47_1715:
	s_cmp_gt_i32 s6, 0
	s_cbranch_scc0 .LBB47_1717
; %bb.1716:
	global_load_ubyte v7, v[20:21], off
	s_mov_b64 s[0:1], 0
	s_branch .LBB47_1718
.LBB47_1717:
	s_mov_b64 s[0:1], -1
                                        ; implicit-def: $vgpr7
.LBB47_1718:
	s_andn2_b64 vcc, exec, s[0:1]
	s_cbranch_vccnz .LBB47_1720
; %bb.1719:
	global_load_ubyte v7, v[20:21], off
.LBB47_1720:
.LBB47_1721:
	s_load_dwordx2 s[0:1], s[2:3], 0x198
	s_lshr_b32 s21, s20, 24
	s_cmp_lt_i32 s21, 11
	s_waitcnt lgkmcnt(0)
	v_mov_b32_e32 v1, s1
	v_add_co_u32_e32 v20, vcc, s0, v13
	v_addc_co_u32_e32 v21, vcc, 0, v1, vcc
	s_cbranch_scc1 .LBB47_1728
; %bb.1722:
	s_and_b32 s22, 0xffff, s21
	s_cmp_gt_i32 s22, 25
	s_mov_b64 s[6:7], 0
	s_cbranch_scc0 .LBB47_1730
; %bb.1723:
	s_cmp_gt_i32 s22, 28
	s_cbranch_scc0 .LBB47_1731
; %bb.1724:
	s_cmp_gt_i32 s22, 43
	;; [unrolled: 3-line block ×3, first 2 shown]
	s_cbranch_scc0 .LBB47_1734
; %bb.1726:
	s_cmp_eq_u32 s22, 46
	s_mov_b64 s[18:19], 0
	s_cbranch_scc0 .LBB47_1737
; %bb.1727:
	global_load_dword v1, v[20:21], off
	s_mov_b64 s[2:3], 0
	s_mov_b64 s[16:17], -1
	s_waitcnt vmcnt(0)
	v_lshlrev_b32_e32 v1, 16, v1
	v_cvt_i32_f32_e32 v12, v1
	s_branch .LBB47_1738
.LBB47_1728:
	s_mov_b64 s[16:17], 0
                                        ; implicit-def: $vgpr12
	s_cbranch_execnz .LBB47_1799
.LBB47_1729:
	s_andn2_b64 vcc, exec, s[16:17]
	s_cbranch_vccnz .LBB47_3036
	s_branch .LBB47_1846
.LBB47_1730:
	s_mov_b64 s[16:17], 0
	s_mov_b64 s[2:3], 0
                                        ; implicit-def: $vgpr12
	s_cbranch_execnz .LBB47_1765
	s_branch .LBB47_1795
.LBB47_1731:
	s_mov_b64 s[18:19], -1
	s_mov_b64 s[16:17], 0
	s_mov_b64 s[2:3], 0
                                        ; implicit-def: $vgpr12
	s_branch .LBB47_1748
.LBB47_1732:
	s_mov_b64 s[18:19], -1
	s_mov_b64 s[16:17], 0
	s_mov_b64 s[2:3], 0
                                        ; implicit-def: $vgpr12
	s_branch .LBB47_1743
.LBB47_1733:
	s_or_b64 s[4:5], s[12:13], exec
	s_trap 2
	s_cbranch_execz .LBB47_1674
	s_branch .LBB47_1675
.LBB47_1734:
	s_mov_b64 s[18:19], -1
	s_mov_b64 s[16:17], 0
	s_mov_b64 s[2:3], 0
                                        ; implicit-def: $vgpr12
	s_branch .LBB47_1738
.LBB47_1735:
	s_andn2_saveexec_b64 s[18:19], s[18:19]
	s_cbranch_execz .LBB47_1482
.LBB47_1736:
	s_mov_b32 s26, 0x42800000
	v_add_f32_e64 v1, |v0|, s26
	v_and_b32_e32 v1, 0xff, v1
	v_cmp_ne_u32_e32 vcc, 0, v1
	s_andn2_b64 s[16:17], s[16:17], exec
	s_and_b64 s[26:27], vcc, exec
	s_or_b64 s[16:17], s[16:17], s[26:27]
	s_or_b64 exec, exec, s[18:19]
	v_mov_b32_e32 v5, 0
	s_and_saveexec_b64 s[18:19], s[16:17]
	s_cbranch_execnz .LBB47_1483
	s_branch .LBB47_1484
.LBB47_1737:
	s_mov_b64 s[2:3], -1
                                        ; implicit-def: $vgpr12
	s_mov_b64 s[16:17], 0
.LBB47_1738:
	s_and_b64 vcc, exec, s[18:19]
	s_cbranch_vccz .LBB47_1742
; %bb.1739:
	s_cmp_eq_u32 s22, 44
	s_cbranch_scc0 .LBB47_1741
; %bb.1740:
	global_load_ubyte v1, v[20:21], off
	s_mov_b64 s[2:3], 0
	s_mov_b64 s[16:17], -1
	s_waitcnt vmcnt(0)
	v_lshlrev_b32_e32 v3, 23, v1
	v_cvt_i32_f32_e32 v3, v3
	v_cmp_ne_u32_e32 vcc, 0, v1
	v_cndmask_b32_e32 v12, 0, v3, vcc
	s_branch .LBB47_1742
.LBB47_1741:
	s_mov_b64 s[2:3], -1
                                        ; implicit-def: $vgpr12
.LBB47_1742:
	s_mov_b64 s[18:19], 0
.LBB47_1743:
	s_and_b64 vcc, exec, s[18:19]
	s_cbranch_vccz .LBB47_1747
; %bb.1744:
	s_cmp_eq_u32 s22, 29
	s_cbranch_scc0 .LBB47_1746
; %bb.1745:
	global_load_dwordx2 v[12:13], v[20:21], off
	s_mov_b64 s[2:3], 0
	s_mov_b64 s[16:17], -1
	s_branch .LBB47_1747
.LBB47_1746:
	s_mov_b64 s[2:3], -1
                                        ; implicit-def: $vgpr12
.LBB47_1747:
	s_mov_b64 s[18:19], 0
.LBB47_1748:
	s_and_b64 vcc, exec, s[18:19]
	s_cbranch_vccz .LBB47_1764
; %bb.1749:
	s_cmp_lt_i32 s22, 27
	s_cbranch_scc1 .LBB47_1752
; %bb.1750:
	s_cmp_gt_i32 s22, 27
	s_cbranch_scc0 .LBB47_1753
; %bb.1751:
	global_load_dword v12, v[20:21], off
	s_mov_b64 s[16:17], 0
	s_branch .LBB47_1754
.LBB47_1752:
	s_mov_b64 s[16:17], -1
                                        ; implicit-def: $vgpr12
	s_branch .LBB47_1757
.LBB47_1753:
	s_mov_b64 s[16:17], -1
                                        ; implicit-def: $vgpr12
.LBB47_1754:
	s_andn2_b64 vcc, exec, s[16:17]
	s_cbranch_vccnz .LBB47_1756
; %bb.1755:
	global_load_ushort v12, v[20:21], off
.LBB47_1756:
	s_mov_b64 s[16:17], 0
.LBB47_1757:
	s_andn2_b64 vcc, exec, s[16:17]
	s_cbranch_vccnz .LBB47_1763
; %bb.1758:
	global_load_ubyte v1, v[20:21], off
	s_movk_i32 s16, 0x7f
	s_mov_b64 s[18:19], 0
	s_waitcnt vmcnt(0)
	v_cmp_lt_i16_e32 vcc, s16, v1
	s_and_saveexec_b64 s[16:17], vcc
	s_xor_b64 s[16:17], exec, s[16:17]
	s_cbranch_execz .LBB47_1774
; %bb.1759:
	s_movk_i32 s18, 0x80
	v_cmp_ne_u16_e32 vcc, s18, v1
	s_and_b64 s[18:19], vcc, exec
	s_andn2_saveexec_b64 s[16:17], s[16:17]
	s_cbranch_execnz .LBB47_1775
.LBB47_1760:
	s_or_b64 exec, exec, s[16:17]
	v_mov_b32_e32 v12, 0
	s_and_saveexec_b64 s[16:17], s[18:19]
	s_cbranch_execz .LBB47_1762
.LBB47_1761:
	v_lshlrev_b32_e32 v3, 24, v1
	v_and_b32_e32 v1, 0xffff, v1
	v_and_b32_e32 v5, 7, v1
	v_ffbh_u32_e32 v10, v5
	v_min_u32_e32 v10, 32, v10
	v_subrev_u32_e32 v12, 28, v10
	v_bfe_u32 v8, v1, 3, 4
	v_lshlrev_b32_e32 v1, v12, v1
	v_sub_u32_e32 v10, 29, v10
	v_and_b32_e32 v1, 7, v1
	v_cmp_eq_u32_e32 vcc, 0, v8
	v_cndmask_b32_e32 v8, v8, v10, vcc
	v_cndmask_b32_e32 v1, v5, v1, vcc
	v_mov_b32_e32 v5, 0x3b800000
	v_lshlrev_b32_e32 v1, 20, v1
	v_and_b32_e32 v3, 0x80000000, v3
	v_lshl_add_u32 v5, v8, 23, v5
	v_or3_b32 v1, v3, v5, v1
	v_cvt_i32_f32_e32 v12, v1
.LBB47_1762:
	s_or_b64 exec, exec, s[16:17]
.LBB47_1763:
	s_mov_b64 s[16:17], -1
.LBB47_1764:
	s_branch .LBB47_1795
.LBB47_1765:
	s_cmp_gt_i32 s22, 22
	s_cbranch_scc0 .LBB47_1773
; %bb.1766:
	s_cmp_lt_i32 s22, 24
	s_cbranch_scc1 .LBB47_1776
; %bb.1767:
	s_cmp_gt_i32 s22, 24
	s_cbranch_scc0 .LBB47_1777
; %bb.1768:
	global_load_ubyte v1, v[20:21], off
	s_movk_i32 s6, 0x7f
	s_mov_b64 s[16:17], 0
	s_waitcnt vmcnt(0)
	v_cmp_lt_i16_e32 vcc, s6, v1
	s_and_saveexec_b64 s[6:7], vcc
	s_xor_b64 s[6:7], exec, s[6:7]
	s_cbranch_execz .LBB47_1789
; %bb.1769:
	s_movk_i32 s16, 0x80
	v_cmp_ne_u16_e32 vcc, s16, v1
	s_and_b64 s[16:17], vcc, exec
	s_andn2_saveexec_b64 s[6:7], s[6:7]
	s_cbranch_execnz .LBB47_1790
.LBB47_1770:
	s_or_b64 exec, exec, s[6:7]
	v_mov_b32_e32 v12, 0
	s_and_saveexec_b64 s[6:7], s[16:17]
	s_cbranch_execz .LBB47_1772
.LBB47_1771:
	v_lshlrev_b32_e32 v3, 24, v1
	v_and_b32_e32 v1, 0xffff, v1
	v_and_b32_e32 v5, 3, v1
	v_ffbh_u32_e32 v10, v5
	v_min_u32_e32 v10, 32, v10
	v_subrev_u32_e32 v12, 29, v10
	v_bfe_u32 v8, v1, 2, 5
	v_lshlrev_b32_e32 v1, v12, v1
	v_sub_u32_e32 v10, 30, v10
	v_and_b32_e32 v1, 3, v1
	v_cmp_eq_u32_e32 vcc, 0, v8
	v_cndmask_b32_e32 v8, v8, v10, vcc
	v_cndmask_b32_e32 v1, v5, v1, vcc
	v_mov_b32_e32 v5, 0x37800000
	v_lshlrev_b32_e32 v1, 21, v1
	v_and_b32_e32 v3, 0x80000000, v3
	v_lshl_add_u32 v5, v8, 23, v5
	v_or3_b32 v1, v3, v5, v1
	v_cvt_i32_f32_e32 v12, v1
.LBB47_1772:
	s_or_b64 exec, exec, s[6:7]
	s_mov_b64 s[6:7], 0
	s_branch .LBB47_1778
.LBB47_1773:
	s_mov_b64 s[6:7], -1
                                        ; implicit-def: $vgpr12
	s_branch .LBB47_1784
.LBB47_1774:
	s_andn2_saveexec_b64 s[16:17], s[16:17]
	s_cbranch_execz .LBB47_1760
.LBB47_1775:
	v_cmp_ne_u16_e32 vcc, 0, v1
	s_andn2_b64 s[18:19], s[18:19], exec
	s_and_b64 s[24:25], vcc, exec
	s_or_b64 s[18:19], s[18:19], s[24:25]
	s_or_b64 exec, exec, s[16:17]
	v_mov_b32_e32 v12, 0
	s_and_saveexec_b64 s[16:17], s[18:19]
	s_cbranch_execnz .LBB47_1761
	s_branch .LBB47_1762
.LBB47_1776:
	s_mov_b64 s[6:7], -1
                                        ; implicit-def: $vgpr12
	s_branch .LBB47_1781
.LBB47_1777:
	s_mov_b64 s[6:7], -1
                                        ; implicit-def: $vgpr12
.LBB47_1778:
	s_and_b64 vcc, exec, s[6:7]
	s_cbranch_vccz .LBB47_1780
; %bb.1779:
	global_load_ubyte v1, v[20:21], off
	s_mov_b32 s6, 0x7f800000
	s_waitcnt vmcnt(0)
	v_lshlrev_b32_e32 v1, 24, v1
	v_and_b32_e32 v3, 0x7f000000, v1
	v_ffbh_u32_e32 v5, v3
	v_min_u32_e32 v5, 32, v5
	v_sub_u32_e64 v5, v5, 4 clamp
	v_lshlrev_b32_e32 v10, v5, v3
	v_lshlrev_b32_e32 v5, 23, v5
	v_lshrrev_b32_e32 v10, 4, v10
	v_add_u32_e32 v8, 0x1000000, v3
	v_sub_u32_e32 v5, v10, v5
	v_ashrrev_i32_e32 v8, 8, v8
	v_add_u32_e32 v5, 0x3c000000, v5
	v_and_or_b32 v5, v8, s6, v5
	v_cmp_ne_u32_e32 vcc, 0, v3
	v_cndmask_b32_e32 v3, 0, v5, vcc
	s_brev_b32 s6, 1
	v_and_or_b32 v1, v1, s6, v3
	v_cvt_i32_f32_e32 v12, v1
.LBB47_1780:
	s_mov_b64 s[6:7], 0
.LBB47_1781:
	s_andn2_b64 vcc, exec, s[6:7]
	s_cbranch_vccnz .LBB47_1783
; %bb.1782:
	global_load_ubyte v1, v[20:21], off
	s_movk_i32 s6, 0x7f00
	s_brev_b32 s7, 16
	s_waitcnt vmcnt(0)
	v_lshlrev_b16_e32 v3, 8, v1
	v_lshlrev_b32_e32 v1, 25, v1
	v_lshrrev_b32_e32 v5, 4, v1
	v_and_or_b32 v8, v3, s6, 0.5
	v_or_b32_e32 v5, 0x70000000, v5
	v_add_f32_e32 v8, -0.5, v8
	v_mul_f32_e32 v5, 0x7800000, v5
	v_cmp_gt_u32_e32 vcc, s7, v1
	v_bfe_i32 v3, v3, 0, 16
	v_cndmask_b32_e32 v1, v5, v8, vcc
	s_brev_b32 s6, 1
	v_and_or_b32 v1, v3, s6, v1
	v_cvt_i32_f32_e32 v12, v1
.LBB47_1783:
	s_mov_b64 s[6:7], 0
	s_mov_b64 s[16:17], -1
.LBB47_1784:
	s_andn2_b64 vcc, exec, s[6:7]
	s_mov_b64 s[6:7], 0
	s_cbranch_vccnz .LBB47_1795
; %bb.1785:
	s_cmp_gt_i32 s22, 14
	s_cbranch_scc0 .LBB47_1788
; %bb.1786:
	s_cmp_eq_u32 s22, 15
	s_cbranch_scc0 .LBB47_1791
; %bb.1787:
	global_load_ushort v1, v[20:21], off
	s_mov_b64 s[2:3], 0
	s_mov_b64 s[16:17], -1
	s_waitcnt vmcnt(0)
	v_lshlrev_b32_e32 v1, 16, v1
	v_cvt_i32_f32_e32 v12, v1
	s_branch .LBB47_1792
.LBB47_1788:
	s_mov_b64 s[18:19], -1
                                        ; implicit-def: $vgpr12
	s_branch .LBB47_1793
.LBB47_1789:
	s_andn2_saveexec_b64 s[6:7], s[6:7]
	s_cbranch_execz .LBB47_1770
.LBB47_1790:
	v_cmp_ne_u16_e32 vcc, 0, v1
	s_andn2_b64 s[16:17], s[16:17], exec
	s_and_b64 s[18:19], vcc, exec
	s_or_b64 s[16:17], s[16:17], s[18:19]
	s_or_b64 exec, exec, s[6:7]
	v_mov_b32_e32 v12, 0
	s_and_saveexec_b64 s[6:7], s[16:17]
	s_cbranch_execnz .LBB47_1771
	s_branch .LBB47_1772
.LBB47_1791:
	s_mov_b64 s[2:3], -1
                                        ; implicit-def: $vgpr12
.LBB47_1792:
	s_mov_b64 s[18:19], 0
.LBB47_1793:
	s_and_b64 vcc, exec, s[18:19]
	s_cbranch_vccz .LBB47_1795
; %bb.1794:
	s_cmp_lg_u32 s22, 11
	s_mov_b64 s[6:7], -1
	s_cselect_b64 s[2:3], -1, 0
.LBB47_1795:
	s_and_b64 vcc, exec, s[2:3]
	s_cbranch_vccnz .LBB47_1858
; %bb.1796:
	s_andn2_b64 vcc, exec, s[6:7]
	s_cbranch_vccnz .LBB47_1798
.LBB47_1797:
	global_load_ubyte v1, v[20:21], off
	s_mov_b64 s[16:17], -1
	s_waitcnt vmcnt(0)
	v_cmp_ne_u16_e32 vcc, 0, v1
	v_cndmask_b32_e64 v12, 0, 1, vcc
.LBB47_1798:
	s_branch .LBB47_1729
.LBB47_1799:
	s_and_b32 s6, 0xffff, s21
	s_cmp_lt_i32 s6, 5
	s_cbranch_scc1 .LBB47_1804
; %bb.1800:
	s_cmp_lt_i32 s6, 8
	s_cbranch_scc1 .LBB47_1805
; %bb.1801:
	;; [unrolled: 3-line block ×3, first 2 shown]
	s_cmp_gt_i32 s6, 9
	s_cbranch_scc0 .LBB47_1807
; %bb.1803:
	global_load_dwordx2 v[12:13], v[20:21], off
	s_mov_b64 s[2:3], 0
	s_waitcnt vmcnt(0)
	v_cvt_i32_f64_e32 v12, v[12:13]
	s_branch .LBB47_1808
.LBB47_1804:
                                        ; implicit-def: $vgpr12
	s_branch .LBB47_1826
.LBB47_1805:
	s_mov_b64 s[2:3], -1
                                        ; implicit-def: $vgpr12
	s_branch .LBB47_1814
.LBB47_1806:
	s_mov_b64 s[2:3], -1
                                        ; implicit-def: $vgpr12
	s_branch .LBB47_1811
.LBB47_1807:
	s_mov_b64 s[2:3], -1
                                        ; implicit-def: $vgpr12
.LBB47_1808:
	s_andn2_b64 vcc, exec, s[2:3]
	s_cbranch_vccnz .LBB47_1810
; %bb.1809:
	global_load_dword v1, v[20:21], off
	s_waitcnt vmcnt(0)
	v_cvt_i32_f32_e32 v12, v1
.LBB47_1810:
	s_mov_b64 s[2:3], 0
.LBB47_1811:
	s_andn2_b64 vcc, exec, s[2:3]
	s_cbranch_vccnz .LBB47_1813
; %bb.1812:
	global_load_dword v1, v[20:21], off
	s_waitcnt vmcnt(0)
	v_cvt_i16_f16_e32 v12, v1
.LBB47_1813:
	s_mov_b64 s[2:3], 0
.LBB47_1814:
	s_andn2_b64 vcc, exec, s[2:3]
	s_cbranch_vccnz .LBB47_1825
; %bb.1815:
	s_cmp_lt_i32 s6, 6
	s_cbranch_scc1 .LBB47_1818
; %bb.1816:
	s_cmp_gt_i32 s6, 6
	s_cbranch_scc0 .LBB47_1819
; %bb.1817:
	global_load_dwordx2 v[12:13], v[20:21], off
	s_mov_b64 s[2:3], 0
	s_waitcnt vmcnt(0)
	v_cvt_i32_f64_e32 v12, v[12:13]
	s_branch .LBB47_1820
.LBB47_1818:
	s_mov_b64 s[2:3], -1
                                        ; implicit-def: $vgpr12
	s_branch .LBB47_1823
.LBB47_1819:
	s_mov_b64 s[2:3], -1
                                        ; implicit-def: $vgpr12
.LBB47_1820:
	s_andn2_b64 vcc, exec, s[2:3]
	s_cbranch_vccnz .LBB47_1822
; %bb.1821:
	global_load_dword v1, v[20:21], off
	s_waitcnt vmcnt(0)
	v_cvt_i32_f32_e32 v12, v1
.LBB47_1822:
	s_mov_b64 s[2:3], 0
.LBB47_1823:
	s_andn2_b64 vcc, exec, s[2:3]
	s_cbranch_vccnz .LBB47_1825
; %bb.1824:
	global_load_ushort v1, v[20:21], off
	s_waitcnt vmcnt(0)
	v_cvt_i16_f16_e32 v12, v1
.LBB47_1825:
	s_cbranch_execnz .LBB47_1845
.LBB47_1826:
	s_cmp_lt_i32 s6, 2
	s_cbranch_scc1 .LBB47_1830
; %bb.1827:
	s_cmp_lt_i32 s6, 3
	s_cbranch_scc1 .LBB47_1831
; %bb.1828:
	s_cmp_gt_i32 s6, 3
	s_cbranch_scc0 .LBB47_1832
; %bb.1829:
	global_load_dwordx2 v[12:13], v[20:21], off
	s_mov_b64 s[2:3], 0
	s_branch .LBB47_1833
.LBB47_1830:
	s_mov_b64 s[2:3], -1
                                        ; implicit-def: $vgpr12
	s_branch .LBB47_1839
.LBB47_1831:
	s_mov_b64 s[2:3], -1
                                        ; implicit-def: $vgpr12
	s_branch .LBB47_1836
.LBB47_1832:
	s_mov_b64 s[2:3], -1
                                        ; implicit-def: $vgpr12
.LBB47_1833:
	s_andn2_b64 vcc, exec, s[2:3]
	s_cbranch_vccnz .LBB47_1835
; %bb.1834:
	global_load_dword v12, v[20:21], off
.LBB47_1835:
	s_mov_b64 s[2:3], 0
.LBB47_1836:
	s_andn2_b64 vcc, exec, s[2:3]
	s_cbranch_vccnz .LBB47_1838
; %bb.1837:
	global_load_ushort v12, v[20:21], off
.LBB47_1838:
	s_mov_b64 s[2:3], 0
.LBB47_1839:
	s_andn2_b64 vcc, exec, s[2:3]
	s_cbranch_vccnz .LBB47_1845
; %bb.1840:
	s_cmp_gt_i32 s6, 0
	s_cbranch_scc0 .LBB47_1842
; %bb.1841:
	global_load_ubyte v12, v[20:21], off
	s_mov_b64 s[2:3], 0
	s_branch .LBB47_1843
.LBB47_1842:
	s_mov_b64 s[2:3], -1
                                        ; implicit-def: $vgpr12
.LBB47_1843:
	s_andn2_b64 vcc, exec, s[2:3]
	s_cbranch_vccnz .LBB47_1845
; %bb.1844:
	global_load_ubyte v12, v[20:21], off
.LBB47_1845:
.LBB47_1846:
	s_lshr_b32 s2, s20, 16
	v_mov_b32_e32 v1, s11
	s_and_b32 s22, s2, 0xff
	v_add_co_u32_e32 v20, vcc, s10, v11
	s_cmp_lt_i32 s22, 11
	v_addc_co_u32_e32 v21, vcc, 0, v1, vcc
	s_cbranch_scc1 .LBB47_1853
; %bb.1847:
	s_and_b32 s23, 0xffff, s22
	s_cmp_gt_i32 s23, 25
	s_mov_b64 s[6:7], 0
	s_cbranch_scc0 .LBB47_1855
; %bb.1848:
	s_cmp_gt_i32 s23, 28
	s_cbranch_scc0 .LBB47_1856
; %bb.1849:
	s_cmp_gt_i32 s23, 43
	;; [unrolled: 3-line block ×3, first 2 shown]
	s_cbranch_scc0 .LBB47_1859
; %bb.1851:
	s_cmp_eq_u32 s23, 46
	s_mov_b64 s[18:19], 0
	s_cbranch_scc0 .LBB47_1860
; %bb.1852:
	global_load_dword v1, v[20:21], off
	s_mov_b64 s[2:3], 0
	s_mov_b64 s[16:17], -1
	s_waitcnt vmcnt(0)
	v_lshlrev_b32_e32 v1, 16, v1
	v_cvt_i32_f32_e32 v10, v1
	s_branch .LBB47_1861
.LBB47_1853:
	s_mov_b64 s[16:17], 0
                                        ; implicit-def: $vgpr10
	s_cbranch_execnz .LBB47_1923
.LBB47_1854:
	s_andn2_b64 vcc, exec, s[16:17]
	s_cbranch_vccnz .LBB47_3036
	s_branch .LBB47_1971
.LBB47_1855:
	s_mov_b64 s[18:19], -1
	s_mov_b64 s[16:17], 0
	s_mov_b64 s[2:3], 0
                                        ; implicit-def: $vgpr10
	s_branch .LBB47_1888
.LBB47_1856:
	s_mov_b64 s[18:19], -1
	s_mov_b64 s[16:17], 0
	s_mov_b64 s[2:3], 0
                                        ; implicit-def: $vgpr10
	s_branch .LBB47_1871
.LBB47_1857:
	s_mov_b64 s[18:19], -1
	s_mov_b64 s[16:17], 0
	s_mov_b64 s[2:3], 0
                                        ; implicit-def: $vgpr10
	s_branch .LBB47_1866
.LBB47_1858:
	s_trap 2
	s_or_b64 s[4:5], s[4:5], exec
	s_cbranch_execz .LBB47_1797
	s_branch .LBB47_1798
.LBB47_1859:
	s_mov_b64 s[18:19], -1
	s_mov_b64 s[16:17], 0
	s_mov_b64 s[2:3], 0
                                        ; implicit-def: $vgpr10
	s_branch .LBB47_1861
.LBB47_1860:
	s_mov_b64 s[2:3], -1
                                        ; implicit-def: $vgpr10
	s_mov_b64 s[16:17], 0
.LBB47_1861:
	s_and_b64 vcc, exec, s[18:19]
	s_cbranch_vccz .LBB47_1865
; %bb.1862:
	s_cmp_eq_u32 s23, 44
	s_cbranch_scc0 .LBB47_1864
; %bb.1863:
	global_load_ubyte v1, v[20:21], off
	s_mov_b64 s[2:3], 0
	s_mov_b64 s[16:17], -1
	s_waitcnt vmcnt(0)
	v_lshlrev_b32_e32 v3, 23, v1
	v_cvt_i32_f32_e32 v3, v3
	v_cmp_ne_u32_e32 vcc, 0, v1
	v_cndmask_b32_e32 v10, 0, v3, vcc
	s_branch .LBB47_1865
.LBB47_1864:
	s_mov_b64 s[2:3], -1
                                        ; implicit-def: $vgpr10
.LBB47_1865:
	s_mov_b64 s[18:19], 0
.LBB47_1866:
	s_and_b64 vcc, exec, s[18:19]
	s_cbranch_vccz .LBB47_1870
; %bb.1867:
	s_cmp_eq_u32 s23, 29
	s_cbranch_scc0 .LBB47_1869
; %bb.1868:
	global_load_dwordx2 v[10:11], v[20:21], off
	s_mov_b64 s[2:3], 0
	s_mov_b64 s[16:17], -1
	s_branch .LBB47_1870
.LBB47_1869:
	s_mov_b64 s[2:3], -1
                                        ; implicit-def: $vgpr10
.LBB47_1870:
	s_mov_b64 s[18:19], 0
.LBB47_1871:
	s_and_b64 vcc, exec, s[18:19]
	s_cbranch_vccz .LBB47_1887
; %bb.1872:
	s_cmp_lt_i32 s23, 27
	s_cbranch_scc1 .LBB47_1875
; %bb.1873:
	s_cmp_gt_i32 s23, 27
	s_cbranch_scc0 .LBB47_1876
; %bb.1874:
	global_load_dword v10, v[20:21], off
	s_mov_b64 s[16:17], 0
	s_branch .LBB47_1877
.LBB47_1875:
	s_mov_b64 s[16:17], -1
                                        ; implicit-def: $vgpr10
	s_branch .LBB47_1880
.LBB47_1876:
	s_mov_b64 s[16:17], -1
                                        ; implicit-def: $vgpr10
.LBB47_1877:
	s_andn2_b64 vcc, exec, s[16:17]
	s_cbranch_vccnz .LBB47_1879
; %bb.1878:
	global_load_ushort v10, v[20:21], off
.LBB47_1879:
	s_mov_b64 s[16:17], 0
.LBB47_1880:
	s_andn2_b64 vcc, exec, s[16:17]
	s_cbranch_vccnz .LBB47_1886
; %bb.1881:
	global_load_ubyte v1, v[20:21], off
	s_movk_i32 s16, 0x7f
	s_mov_b64 s[18:19], 0
	s_waitcnt vmcnt(0)
	v_cmp_lt_i16_e32 vcc, s16, v1
	s_and_saveexec_b64 s[16:17], vcc
	s_xor_b64 s[16:17], exec, s[16:17]
	s_cbranch_execz .LBB47_1898
; %bb.1882:
	s_movk_i32 s18, 0x80
	v_cmp_ne_u16_e32 vcc, s18, v1
	s_and_b64 s[18:19], vcc, exec
	s_andn2_saveexec_b64 s[16:17], s[16:17]
	s_cbranch_execnz .LBB47_1899
.LBB47_1883:
	s_or_b64 exec, exec, s[16:17]
	v_mov_b32_e32 v10, 0
	s_and_saveexec_b64 s[16:17], s[18:19]
	s_cbranch_execz .LBB47_1885
.LBB47_1884:
	v_lshlrev_b32_e32 v3, 24, v1
	v_and_b32_e32 v1, 0xffff, v1
	v_and_b32_e32 v5, 7, v1
	v_ffbh_u32_e32 v10, v5
	v_min_u32_e32 v10, 32, v10
	v_subrev_u32_e32 v11, 28, v10
	v_bfe_u32 v8, v1, 3, 4
	v_lshlrev_b32_e32 v1, v11, v1
	v_sub_u32_e32 v10, 29, v10
	v_and_b32_e32 v1, 7, v1
	v_cmp_eq_u32_e32 vcc, 0, v8
	v_cndmask_b32_e32 v8, v8, v10, vcc
	v_cndmask_b32_e32 v1, v5, v1, vcc
	v_mov_b32_e32 v5, 0x3b800000
	v_lshlrev_b32_e32 v1, 20, v1
	v_and_b32_e32 v3, 0x80000000, v3
	v_lshl_add_u32 v5, v8, 23, v5
	v_or3_b32 v1, v3, v5, v1
	v_cvt_i32_f32_e32 v10, v1
.LBB47_1885:
	s_or_b64 exec, exec, s[16:17]
.LBB47_1886:
	s_mov_b64 s[16:17], -1
.LBB47_1887:
	s_mov_b64 s[18:19], 0
.LBB47_1888:
	s_and_b64 vcc, exec, s[18:19]
	s_cbranch_vccz .LBB47_1919
; %bb.1889:
	s_cmp_gt_i32 s23, 22
	s_cbranch_scc0 .LBB47_1897
; %bb.1890:
	s_cmp_lt_i32 s23, 24
	s_cbranch_scc1 .LBB47_1900
; %bb.1891:
	s_cmp_gt_i32 s23, 24
	s_cbranch_scc0 .LBB47_1901
; %bb.1892:
	global_load_ubyte v1, v[20:21], off
	s_movk_i32 s6, 0x7f
	s_mov_b64 s[16:17], 0
	s_waitcnt vmcnt(0)
	v_cmp_lt_i16_e32 vcc, s6, v1
	s_and_saveexec_b64 s[6:7], vcc
	s_xor_b64 s[6:7], exec, s[6:7]
	s_cbranch_execz .LBB47_1913
; %bb.1893:
	s_movk_i32 s16, 0x80
	v_cmp_ne_u16_e32 vcc, s16, v1
	s_and_b64 s[16:17], vcc, exec
	s_andn2_saveexec_b64 s[6:7], s[6:7]
	s_cbranch_execnz .LBB47_1914
.LBB47_1894:
	s_or_b64 exec, exec, s[6:7]
	v_mov_b32_e32 v10, 0
	s_and_saveexec_b64 s[6:7], s[16:17]
	s_cbranch_execz .LBB47_1896
.LBB47_1895:
	v_lshlrev_b32_e32 v3, 24, v1
	v_and_b32_e32 v1, 0xffff, v1
	v_and_b32_e32 v5, 3, v1
	v_ffbh_u32_e32 v10, v5
	v_min_u32_e32 v10, 32, v10
	v_subrev_u32_e32 v11, 29, v10
	v_bfe_u32 v8, v1, 2, 5
	v_lshlrev_b32_e32 v1, v11, v1
	v_sub_u32_e32 v10, 30, v10
	v_and_b32_e32 v1, 3, v1
	v_cmp_eq_u32_e32 vcc, 0, v8
	v_cndmask_b32_e32 v8, v8, v10, vcc
	v_cndmask_b32_e32 v1, v5, v1, vcc
	v_mov_b32_e32 v5, 0x37800000
	v_lshlrev_b32_e32 v1, 21, v1
	v_and_b32_e32 v3, 0x80000000, v3
	v_lshl_add_u32 v5, v8, 23, v5
	v_or3_b32 v1, v3, v5, v1
	v_cvt_i32_f32_e32 v10, v1
.LBB47_1896:
	s_or_b64 exec, exec, s[6:7]
	s_mov_b64 s[6:7], 0
	s_branch .LBB47_1902
.LBB47_1897:
	s_mov_b64 s[6:7], -1
                                        ; implicit-def: $vgpr10
	s_branch .LBB47_1908
.LBB47_1898:
	s_andn2_saveexec_b64 s[16:17], s[16:17]
	s_cbranch_execz .LBB47_1883
.LBB47_1899:
	v_cmp_ne_u16_e32 vcc, 0, v1
	s_andn2_b64 s[18:19], s[18:19], exec
	s_and_b64 s[24:25], vcc, exec
	s_or_b64 s[18:19], s[18:19], s[24:25]
	s_or_b64 exec, exec, s[16:17]
	v_mov_b32_e32 v10, 0
	s_and_saveexec_b64 s[16:17], s[18:19]
	s_cbranch_execnz .LBB47_1884
	s_branch .LBB47_1885
.LBB47_1900:
	s_mov_b64 s[6:7], -1
                                        ; implicit-def: $vgpr10
	s_branch .LBB47_1905
.LBB47_1901:
	s_mov_b64 s[6:7], -1
                                        ; implicit-def: $vgpr10
.LBB47_1902:
	s_and_b64 vcc, exec, s[6:7]
	s_cbranch_vccz .LBB47_1904
; %bb.1903:
	global_load_ubyte v1, v[20:21], off
	s_mov_b32 s6, 0x7f800000
	s_waitcnt vmcnt(0)
	v_lshlrev_b32_e32 v1, 24, v1
	v_and_b32_e32 v3, 0x7f000000, v1
	v_ffbh_u32_e32 v5, v3
	v_min_u32_e32 v5, 32, v5
	v_sub_u32_e64 v5, v5, 4 clamp
	v_lshlrev_b32_e32 v10, v5, v3
	v_lshlrev_b32_e32 v5, 23, v5
	v_lshrrev_b32_e32 v10, 4, v10
	v_add_u32_e32 v8, 0x1000000, v3
	v_sub_u32_e32 v5, v10, v5
	v_ashrrev_i32_e32 v8, 8, v8
	v_add_u32_e32 v5, 0x3c000000, v5
	v_and_or_b32 v5, v8, s6, v5
	v_cmp_ne_u32_e32 vcc, 0, v3
	v_cndmask_b32_e32 v3, 0, v5, vcc
	s_brev_b32 s6, 1
	v_and_or_b32 v1, v1, s6, v3
	v_cvt_i32_f32_e32 v10, v1
.LBB47_1904:
	s_mov_b64 s[6:7], 0
.LBB47_1905:
	s_andn2_b64 vcc, exec, s[6:7]
	s_cbranch_vccnz .LBB47_1907
; %bb.1906:
	global_load_ubyte v1, v[20:21], off
	s_movk_i32 s6, 0x7f00
	s_brev_b32 s7, 16
	s_waitcnt vmcnt(0)
	v_lshlrev_b16_e32 v3, 8, v1
	v_lshlrev_b32_e32 v1, 25, v1
	v_lshrrev_b32_e32 v5, 4, v1
	v_and_or_b32 v8, v3, s6, 0.5
	v_or_b32_e32 v5, 0x70000000, v5
	v_add_f32_e32 v8, -0.5, v8
	v_mul_f32_e32 v5, 0x7800000, v5
	v_cmp_gt_u32_e32 vcc, s7, v1
	v_bfe_i32 v3, v3, 0, 16
	v_cndmask_b32_e32 v1, v5, v8, vcc
	s_brev_b32 s6, 1
	v_and_or_b32 v1, v3, s6, v1
	v_cvt_i32_f32_e32 v10, v1
.LBB47_1907:
	s_mov_b64 s[6:7], 0
	s_mov_b64 s[16:17], -1
.LBB47_1908:
	s_andn2_b64 vcc, exec, s[6:7]
	s_mov_b64 s[6:7], 0
	s_cbranch_vccnz .LBB47_1919
; %bb.1909:
	s_cmp_gt_i32 s23, 14
	s_cbranch_scc0 .LBB47_1912
; %bb.1910:
	s_cmp_eq_u32 s23, 15
	s_cbranch_scc0 .LBB47_1915
; %bb.1911:
	global_load_ushort v1, v[20:21], off
	s_mov_b64 s[2:3], 0
	s_mov_b64 s[16:17], -1
	s_waitcnt vmcnt(0)
	v_lshlrev_b32_e32 v1, 16, v1
	v_cvt_i32_f32_e32 v10, v1
	s_branch .LBB47_1916
.LBB47_1912:
	s_mov_b64 s[18:19], -1
                                        ; implicit-def: $vgpr10
	s_branch .LBB47_1917
.LBB47_1913:
	s_andn2_saveexec_b64 s[6:7], s[6:7]
	s_cbranch_execz .LBB47_1894
.LBB47_1914:
	v_cmp_ne_u16_e32 vcc, 0, v1
	s_andn2_b64 s[16:17], s[16:17], exec
	s_and_b64 s[18:19], vcc, exec
	s_or_b64 s[16:17], s[16:17], s[18:19]
	s_or_b64 exec, exec, s[6:7]
	v_mov_b32_e32 v10, 0
	s_and_saveexec_b64 s[6:7], s[16:17]
	s_cbranch_execnz .LBB47_1895
	s_branch .LBB47_1896
.LBB47_1915:
	s_mov_b64 s[2:3], -1
                                        ; implicit-def: $vgpr10
.LBB47_1916:
	s_mov_b64 s[18:19], 0
.LBB47_1917:
	s_and_b64 vcc, exec, s[18:19]
	s_cbranch_vccz .LBB47_1919
; %bb.1918:
	s_cmp_lg_u32 s23, 11
	s_mov_b64 s[6:7], -1
	s_cselect_b64 s[2:3], -1, 0
.LBB47_1919:
	s_and_b64 vcc, exec, s[2:3]
	s_cbranch_vccnz .LBB47_1982
; %bb.1920:
	s_andn2_b64 vcc, exec, s[6:7]
	s_cbranch_vccnz .LBB47_1922
.LBB47_1921:
	global_load_ubyte v1, v[20:21], off
	s_mov_b64 s[16:17], -1
	s_waitcnt vmcnt(0)
	v_cmp_ne_u16_e32 vcc, 0, v1
	v_cndmask_b32_e64 v10, 0, 1, vcc
.LBB47_1922:
	s_branch .LBB47_1854
.LBB47_1923:
	s_and_b32 s6, 0xffff, s22
	s_cmp_lt_i32 s6, 5
	s_cbranch_scc1 .LBB47_1928
; %bb.1924:
	s_cmp_lt_i32 s6, 8
	s_cbranch_scc1 .LBB47_1929
; %bb.1925:
	;; [unrolled: 3-line block ×3, first 2 shown]
	s_cmp_gt_i32 s6, 9
	s_cbranch_scc0 .LBB47_1931
; %bb.1927:
	global_load_dwordx2 v[10:11], v[20:21], off
	s_mov_b64 s[2:3], 0
	s_waitcnt vmcnt(0)
	v_cvt_i32_f64_e32 v10, v[10:11]
	s_branch .LBB47_1932
.LBB47_1928:
	s_mov_b64 s[2:3], -1
                                        ; implicit-def: $vgpr10
	s_branch .LBB47_1950
.LBB47_1929:
	s_mov_b64 s[2:3], -1
                                        ; implicit-def: $vgpr10
	s_branch .LBB47_1938
.LBB47_1930:
	s_mov_b64 s[2:3], -1
                                        ; implicit-def: $vgpr10
	s_branch .LBB47_1935
.LBB47_1931:
	s_mov_b64 s[2:3], -1
                                        ; implicit-def: $vgpr10
.LBB47_1932:
	s_andn2_b64 vcc, exec, s[2:3]
	s_cbranch_vccnz .LBB47_1934
; %bb.1933:
	global_load_dword v1, v[20:21], off
	s_waitcnt vmcnt(0)
	v_cvt_i32_f32_e32 v10, v1
.LBB47_1934:
	s_mov_b64 s[2:3], 0
.LBB47_1935:
	s_andn2_b64 vcc, exec, s[2:3]
	s_cbranch_vccnz .LBB47_1937
; %bb.1936:
	global_load_dword v1, v[20:21], off
	s_waitcnt vmcnt(0)
	v_cvt_i16_f16_e32 v10, v1
.LBB47_1937:
	s_mov_b64 s[2:3], 0
.LBB47_1938:
	s_andn2_b64 vcc, exec, s[2:3]
	s_cbranch_vccnz .LBB47_1949
; %bb.1939:
	s_cmp_lt_i32 s6, 6
	s_cbranch_scc1 .LBB47_1942
; %bb.1940:
	s_cmp_gt_i32 s6, 6
	s_cbranch_scc0 .LBB47_1943
; %bb.1941:
	global_load_dwordx2 v[10:11], v[20:21], off
	s_mov_b64 s[2:3], 0
	s_waitcnt vmcnt(0)
	v_cvt_i32_f64_e32 v10, v[10:11]
	s_branch .LBB47_1944
.LBB47_1942:
	s_mov_b64 s[2:3], -1
                                        ; implicit-def: $vgpr10
	s_branch .LBB47_1947
.LBB47_1943:
	s_mov_b64 s[2:3], -1
                                        ; implicit-def: $vgpr10
.LBB47_1944:
	s_andn2_b64 vcc, exec, s[2:3]
	s_cbranch_vccnz .LBB47_1946
; %bb.1945:
	global_load_dword v1, v[20:21], off
	s_waitcnt vmcnt(0)
	v_cvt_i32_f32_e32 v10, v1
.LBB47_1946:
	s_mov_b64 s[2:3], 0
.LBB47_1947:
	s_andn2_b64 vcc, exec, s[2:3]
	s_cbranch_vccnz .LBB47_1949
; %bb.1948:
	global_load_ushort v1, v[20:21], off
	s_waitcnt vmcnt(0)
	v_cvt_i16_f16_e32 v10, v1
.LBB47_1949:
	s_mov_b64 s[2:3], 0
.LBB47_1950:
	s_andn2_b64 vcc, exec, s[2:3]
	s_cbranch_vccnz .LBB47_1970
; %bb.1951:
	s_cmp_lt_i32 s6, 2
	s_cbranch_scc1 .LBB47_1955
; %bb.1952:
	s_cmp_lt_i32 s6, 3
	s_cbranch_scc1 .LBB47_1956
; %bb.1953:
	s_cmp_gt_i32 s6, 3
	s_cbranch_scc0 .LBB47_1957
; %bb.1954:
	global_load_dwordx2 v[10:11], v[20:21], off
	s_mov_b64 s[2:3], 0
	s_branch .LBB47_1958
.LBB47_1955:
	s_mov_b64 s[2:3], -1
                                        ; implicit-def: $vgpr10
	s_branch .LBB47_1964
.LBB47_1956:
	s_mov_b64 s[2:3], -1
                                        ; implicit-def: $vgpr10
	s_branch .LBB47_1961
.LBB47_1957:
	s_mov_b64 s[2:3], -1
                                        ; implicit-def: $vgpr10
.LBB47_1958:
	s_andn2_b64 vcc, exec, s[2:3]
	s_cbranch_vccnz .LBB47_1960
; %bb.1959:
	global_load_dword v10, v[20:21], off
.LBB47_1960:
	s_mov_b64 s[2:3], 0
.LBB47_1961:
	s_andn2_b64 vcc, exec, s[2:3]
	s_cbranch_vccnz .LBB47_1963
; %bb.1962:
	global_load_ushort v10, v[20:21], off
.LBB47_1963:
	s_mov_b64 s[2:3], 0
.LBB47_1964:
	s_andn2_b64 vcc, exec, s[2:3]
	s_cbranch_vccnz .LBB47_1970
; %bb.1965:
	s_cmp_gt_i32 s6, 0
	s_cbranch_scc0 .LBB47_1967
; %bb.1966:
	global_load_ubyte v10, v[20:21], off
	s_mov_b64 s[2:3], 0
	s_branch .LBB47_1968
.LBB47_1967:
	s_mov_b64 s[2:3], -1
                                        ; implicit-def: $vgpr10
.LBB47_1968:
	s_andn2_b64 vcc, exec, s[2:3]
	s_cbranch_vccnz .LBB47_1970
; %bb.1969:
	global_load_ubyte v10, v[20:21], off
.LBB47_1970:
.LBB47_1971:
	v_mov_b32_e32 v1, s1
	s_and_b32 s21, 0xffff, s21
	v_add_co_u32_e32 v20, vcc, s0, v18
	s_cmp_lt_i32 s21, 11
	v_addc_co_u32_e32 v21, vcc, 0, v1, vcc
	s_cbranch_scc1 .LBB47_1978
; %bb.1972:
	s_cmp_gt_i32 s21, 25
	s_mov_b64 s[6:7], 0
	s_cbranch_scc0 .LBB47_1979
; %bb.1973:
	s_cmp_gt_i32 s21, 28
	s_cbranch_scc0 .LBB47_1980
; %bb.1974:
	s_cmp_gt_i32 s21, 43
	;; [unrolled: 3-line block ×3, first 2 shown]
	s_cbranch_scc0 .LBB47_1983
; %bb.1976:
	s_cmp_eq_u32 s21, 46
	s_mov_b64 s[18:19], 0
	s_cbranch_scc0 .LBB47_1984
; %bb.1977:
	global_load_dword v1, v[20:21], off
	s_mov_b64 s[2:3], 0
	s_mov_b64 s[16:17], -1
	s_waitcnt vmcnt(0)
	v_lshlrev_b32_e32 v1, 16, v1
	v_cvt_i32_f32_e32 v17, v1
	s_branch .LBB47_1985
.LBB47_1978:
	s_mov_b64 s[2:3], -1
	s_mov_b64 s[16:17], 0
                                        ; implicit-def: $vgpr17
	s_branch .LBB47_2047
.LBB47_1979:
	s_mov_b64 s[18:19], -1
	s_mov_b64 s[16:17], 0
	s_mov_b64 s[2:3], 0
                                        ; implicit-def: $vgpr17
	s_branch .LBB47_2012
.LBB47_1980:
	s_mov_b64 s[18:19], -1
	s_mov_b64 s[16:17], 0
	s_mov_b64 s[2:3], 0
                                        ; implicit-def: $vgpr17
	s_branch .LBB47_1995
.LBB47_1981:
	s_mov_b64 s[18:19], -1
	s_mov_b64 s[16:17], 0
	s_mov_b64 s[2:3], 0
                                        ; implicit-def: $vgpr17
	s_branch .LBB47_1990
.LBB47_1982:
	s_trap 2
	s_or_b64 s[4:5], s[4:5], exec
	s_cbranch_execz .LBB47_1921
	s_branch .LBB47_1922
.LBB47_1983:
	s_mov_b64 s[18:19], -1
	s_mov_b64 s[16:17], 0
	s_mov_b64 s[2:3], 0
                                        ; implicit-def: $vgpr17
	s_branch .LBB47_1985
.LBB47_1984:
	s_mov_b64 s[2:3], -1
                                        ; implicit-def: $vgpr17
	s_mov_b64 s[16:17], 0
.LBB47_1985:
	s_and_b64 vcc, exec, s[18:19]
	s_cbranch_vccz .LBB47_1989
; %bb.1986:
	s_cmp_eq_u32 s21, 44
	s_cbranch_scc0 .LBB47_1988
; %bb.1987:
	global_load_ubyte v1, v[20:21], off
	s_mov_b64 s[2:3], 0
	s_mov_b64 s[16:17], -1
	s_waitcnt vmcnt(0)
	v_lshlrev_b32_e32 v3, 23, v1
	v_cvt_i32_f32_e32 v3, v3
	v_cmp_ne_u32_e32 vcc, 0, v1
	v_cndmask_b32_e32 v17, 0, v3, vcc
	s_branch .LBB47_1989
.LBB47_1988:
	s_mov_b64 s[2:3], -1
                                        ; implicit-def: $vgpr17
.LBB47_1989:
	s_mov_b64 s[18:19], 0
.LBB47_1990:
	s_and_b64 vcc, exec, s[18:19]
	s_cbranch_vccz .LBB47_1994
; %bb.1991:
	s_cmp_eq_u32 s21, 29
	s_cbranch_scc0 .LBB47_1993
; %bb.1992:
	global_load_dwordx2 v[17:18], v[20:21], off
	s_mov_b64 s[2:3], 0
	s_mov_b64 s[16:17], -1
	s_branch .LBB47_1994
.LBB47_1993:
	s_mov_b64 s[2:3], -1
                                        ; implicit-def: $vgpr17
.LBB47_1994:
	s_mov_b64 s[18:19], 0
.LBB47_1995:
	s_and_b64 vcc, exec, s[18:19]
	s_cbranch_vccz .LBB47_2011
; %bb.1996:
	s_cmp_lt_i32 s21, 27
	s_cbranch_scc1 .LBB47_1999
; %bb.1997:
	s_cmp_gt_i32 s21, 27
	s_cbranch_scc0 .LBB47_2000
; %bb.1998:
	global_load_dword v17, v[20:21], off
	s_mov_b64 s[16:17], 0
	s_branch .LBB47_2001
.LBB47_1999:
	s_mov_b64 s[16:17], -1
                                        ; implicit-def: $vgpr17
	s_branch .LBB47_2004
.LBB47_2000:
	s_mov_b64 s[16:17], -1
                                        ; implicit-def: $vgpr17
.LBB47_2001:
	s_andn2_b64 vcc, exec, s[16:17]
	s_cbranch_vccnz .LBB47_2003
; %bb.2002:
	global_load_ushort v17, v[20:21], off
.LBB47_2003:
	s_mov_b64 s[16:17], 0
.LBB47_2004:
	s_andn2_b64 vcc, exec, s[16:17]
	s_cbranch_vccnz .LBB47_2010
; %bb.2005:
	global_load_ubyte v1, v[20:21], off
	s_movk_i32 s16, 0x7f
	s_mov_b64 s[18:19], 0
	s_waitcnt vmcnt(0)
	v_cmp_lt_i16_e32 vcc, s16, v1
	s_and_saveexec_b64 s[16:17], vcc
	s_xor_b64 s[16:17], exec, s[16:17]
	s_cbranch_execz .LBB47_2022
; %bb.2006:
	s_movk_i32 s18, 0x80
	v_cmp_ne_u16_e32 vcc, s18, v1
	s_and_b64 s[18:19], vcc, exec
	s_andn2_saveexec_b64 s[16:17], s[16:17]
	s_cbranch_execnz .LBB47_2023
.LBB47_2007:
	s_or_b64 exec, exec, s[16:17]
	v_mov_b32_e32 v17, 0
	s_and_saveexec_b64 s[16:17], s[18:19]
	s_cbranch_execz .LBB47_2009
.LBB47_2008:
	v_lshlrev_b32_e32 v3, 24, v1
	v_and_b32_e32 v1, 0xffff, v1
	v_and_b32_e32 v5, 7, v1
	v_ffbh_u32_e32 v11, v5
	v_min_u32_e32 v11, 32, v11
	v_subrev_u32_e32 v13, 28, v11
	v_bfe_u32 v8, v1, 3, 4
	v_lshlrev_b32_e32 v1, v13, v1
	v_sub_u32_e32 v11, 29, v11
	v_and_b32_e32 v1, 7, v1
	v_cmp_eq_u32_e32 vcc, 0, v8
	v_cndmask_b32_e32 v8, v8, v11, vcc
	v_cndmask_b32_e32 v1, v5, v1, vcc
	v_mov_b32_e32 v5, 0x3b800000
	v_lshlrev_b32_e32 v1, 20, v1
	v_and_b32_e32 v3, 0x80000000, v3
	v_lshl_add_u32 v5, v8, 23, v5
	v_or3_b32 v1, v3, v5, v1
	v_cvt_i32_f32_e32 v17, v1
.LBB47_2009:
	s_or_b64 exec, exec, s[16:17]
.LBB47_2010:
	s_mov_b64 s[16:17], -1
.LBB47_2011:
	s_mov_b64 s[18:19], 0
.LBB47_2012:
	s_and_b64 vcc, exec, s[18:19]
	s_cbranch_vccz .LBB47_2043
; %bb.2013:
	s_cmp_gt_i32 s21, 22
	s_cbranch_scc0 .LBB47_2021
; %bb.2014:
	s_cmp_lt_i32 s21, 24
	s_cbranch_scc1 .LBB47_2024
; %bb.2015:
	s_cmp_gt_i32 s21, 24
	s_cbranch_scc0 .LBB47_2025
; %bb.2016:
	global_load_ubyte v1, v[20:21], off
	s_movk_i32 s6, 0x7f
	s_mov_b64 s[16:17], 0
	s_waitcnt vmcnt(0)
	v_cmp_lt_i16_e32 vcc, s6, v1
	s_and_saveexec_b64 s[6:7], vcc
	s_xor_b64 s[6:7], exec, s[6:7]
	s_cbranch_execz .LBB47_2037
; %bb.2017:
	s_movk_i32 s16, 0x80
	v_cmp_ne_u16_e32 vcc, s16, v1
	s_and_b64 s[16:17], vcc, exec
	s_andn2_saveexec_b64 s[6:7], s[6:7]
	s_cbranch_execnz .LBB47_2038
.LBB47_2018:
	s_or_b64 exec, exec, s[6:7]
	v_mov_b32_e32 v17, 0
	s_and_saveexec_b64 s[6:7], s[16:17]
	s_cbranch_execz .LBB47_2020
.LBB47_2019:
	v_lshlrev_b32_e32 v3, 24, v1
	v_and_b32_e32 v1, 0xffff, v1
	v_and_b32_e32 v5, 3, v1
	v_ffbh_u32_e32 v11, v5
	v_min_u32_e32 v11, 32, v11
	v_subrev_u32_e32 v13, 29, v11
	v_bfe_u32 v8, v1, 2, 5
	v_lshlrev_b32_e32 v1, v13, v1
	v_sub_u32_e32 v11, 30, v11
	v_and_b32_e32 v1, 3, v1
	v_cmp_eq_u32_e32 vcc, 0, v8
	v_cndmask_b32_e32 v8, v8, v11, vcc
	v_cndmask_b32_e32 v1, v5, v1, vcc
	v_mov_b32_e32 v5, 0x37800000
	v_lshlrev_b32_e32 v1, 21, v1
	v_and_b32_e32 v3, 0x80000000, v3
	v_lshl_add_u32 v5, v8, 23, v5
	v_or3_b32 v1, v3, v5, v1
	v_cvt_i32_f32_e32 v17, v1
.LBB47_2020:
	s_or_b64 exec, exec, s[6:7]
	s_mov_b64 s[6:7], 0
	s_branch .LBB47_2026
.LBB47_2021:
	s_mov_b64 s[6:7], -1
                                        ; implicit-def: $vgpr17
	s_branch .LBB47_2032
.LBB47_2022:
	s_andn2_saveexec_b64 s[16:17], s[16:17]
	s_cbranch_execz .LBB47_2007
.LBB47_2023:
	v_cmp_ne_u16_e32 vcc, 0, v1
	s_andn2_b64 s[18:19], s[18:19], exec
	s_and_b64 s[24:25], vcc, exec
	s_or_b64 s[18:19], s[18:19], s[24:25]
	s_or_b64 exec, exec, s[16:17]
	v_mov_b32_e32 v17, 0
	s_and_saveexec_b64 s[16:17], s[18:19]
	s_cbranch_execnz .LBB47_2008
	s_branch .LBB47_2009
.LBB47_2024:
	s_mov_b64 s[6:7], -1
                                        ; implicit-def: $vgpr17
	s_branch .LBB47_2029
.LBB47_2025:
	s_mov_b64 s[6:7], -1
                                        ; implicit-def: $vgpr17
.LBB47_2026:
	s_and_b64 vcc, exec, s[6:7]
	s_cbranch_vccz .LBB47_2028
; %bb.2027:
	global_load_ubyte v1, v[20:21], off
	s_mov_b32 s6, 0x7f800000
	s_waitcnt vmcnt(0)
	v_lshlrev_b32_e32 v1, 24, v1
	v_and_b32_e32 v3, 0x7f000000, v1
	v_ffbh_u32_e32 v5, v3
	v_min_u32_e32 v5, 32, v5
	v_sub_u32_e64 v5, v5, 4 clamp
	v_lshlrev_b32_e32 v11, v5, v3
	v_lshlrev_b32_e32 v5, 23, v5
	v_lshrrev_b32_e32 v11, 4, v11
	v_add_u32_e32 v8, 0x1000000, v3
	v_sub_u32_e32 v5, v11, v5
	v_ashrrev_i32_e32 v8, 8, v8
	v_add_u32_e32 v5, 0x3c000000, v5
	v_and_or_b32 v5, v8, s6, v5
	v_cmp_ne_u32_e32 vcc, 0, v3
	v_cndmask_b32_e32 v3, 0, v5, vcc
	s_brev_b32 s6, 1
	v_and_or_b32 v1, v1, s6, v3
	v_cvt_i32_f32_e32 v17, v1
.LBB47_2028:
	s_mov_b64 s[6:7], 0
.LBB47_2029:
	s_andn2_b64 vcc, exec, s[6:7]
	s_cbranch_vccnz .LBB47_2031
; %bb.2030:
	global_load_ubyte v1, v[20:21], off
	s_movk_i32 s6, 0x7f00
	s_brev_b32 s7, 16
	s_waitcnt vmcnt(0)
	v_lshlrev_b16_e32 v3, 8, v1
	v_lshlrev_b32_e32 v1, 25, v1
	v_lshrrev_b32_e32 v5, 4, v1
	v_and_or_b32 v8, v3, s6, 0.5
	v_or_b32_e32 v5, 0x70000000, v5
	v_add_f32_e32 v8, -0.5, v8
	v_mul_f32_e32 v5, 0x7800000, v5
	v_cmp_gt_u32_e32 vcc, s7, v1
	v_bfe_i32 v3, v3, 0, 16
	v_cndmask_b32_e32 v1, v5, v8, vcc
	s_brev_b32 s6, 1
	v_and_or_b32 v1, v3, s6, v1
	v_cvt_i32_f32_e32 v17, v1
.LBB47_2031:
	s_mov_b64 s[6:7], 0
	s_mov_b64 s[16:17], -1
.LBB47_2032:
	s_andn2_b64 vcc, exec, s[6:7]
	s_mov_b64 s[6:7], 0
	s_cbranch_vccnz .LBB47_2043
; %bb.2033:
	s_cmp_gt_i32 s21, 14
	s_cbranch_scc0 .LBB47_2036
; %bb.2034:
	s_cmp_eq_u32 s21, 15
	s_cbranch_scc0 .LBB47_2039
; %bb.2035:
	global_load_ushort v1, v[20:21], off
	s_mov_b64 s[2:3], 0
	s_mov_b64 s[16:17], -1
	s_waitcnt vmcnt(0)
	v_lshlrev_b32_e32 v1, 16, v1
	v_cvt_i32_f32_e32 v17, v1
	s_branch .LBB47_2040
.LBB47_2036:
	s_mov_b64 s[18:19], -1
                                        ; implicit-def: $vgpr17
	s_branch .LBB47_2041
.LBB47_2037:
	s_andn2_saveexec_b64 s[6:7], s[6:7]
	s_cbranch_execz .LBB47_2018
.LBB47_2038:
	v_cmp_ne_u16_e32 vcc, 0, v1
	s_andn2_b64 s[16:17], s[16:17], exec
	s_and_b64 s[18:19], vcc, exec
	s_or_b64 s[16:17], s[16:17], s[18:19]
	s_or_b64 exec, exec, s[6:7]
	v_mov_b32_e32 v17, 0
	s_and_saveexec_b64 s[6:7], s[16:17]
	s_cbranch_execnz .LBB47_2019
	s_branch .LBB47_2020
.LBB47_2039:
	s_mov_b64 s[2:3], -1
                                        ; implicit-def: $vgpr17
.LBB47_2040:
	s_mov_b64 s[18:19], 0
.LBB47_2041:
	s_and_b64 vcc, exec, s[18:19]
	s_cbranch_vccz .LBB47_2043
; %bb.2042:
	s_cmp_lg_u32 s21, 11
	s_mov_b64 s[6:7], -1
	s_cselect_b64 s[2:3], -1, 0
.LBB47_2043:
	s_and_b64 vcc, exec, s[2:3]
	s_cbranch_vccnz .LBB47_2108
; %bb.2044:
	s_andn2_b64 vcc, exec, s[6:7]
	s_cbranch_vccnz .LBB47_2046
.LBB47_2045:
	global_load_ubyte v1, v[20:21], off
	s_mov_b64 s[16:17], -1
	s_waitcnt vmcnt(0)
	v_cmp_ne_u16_e32 vcc, 0, v1
	v_cndmask_b32_e64 v17, 0, 1, vcc
.LBB47_2046:
	s_mov_b64 s[2:3], 0
.LBB47_2047:
	s_and_b64 vcc, exec, s[2:3]
	s_cbranch_vccz .LBB47_2096
; %bb.2048:
	s_cmp_lt_i32 s21, 5
	s_cbranch_scc1 .LBB47_2053
; %bb.2049:
	s_cmp_lt_i32 s21, 8
	s_cbranch_scc1 .LBB47_2054
	;; [unrolled: 3-line block ×3, first 2 shown]
; %bb.2051:
	s_cmp_gt_i32 s21, 9
	s_cbranch_scc0 .LBB47_2056
; %bb.2052:
	global_load_dwordx2 v[17:18], v[20:21], off
	s_mov_b64 s[2:3], 0
	s_waitcnt vmcnt(0)
	v_cvt_i32_f64_e32 v17, v[17:18]
	s_branch .LBB47_2057
.LBB47_2053:
	s_mov_b64 s[2:3], -1
                                        ; implicit-def: $vgpr17
	s_branch .LBB47_2075
.LBB47_2054:
	s_mov_b64 s[2:3], -1
                                        ; implicit-def: $vgpr17
	s_branch .LBB47_2063
.LBB47_2055:
	s_mov_b64 s[2:3], -1
                                        ; implicit-def: $vgpr17
	s_branch .LBB47_2060
.LBB47_2056:
	s_mov_b64 s[2:3], -1
                                        ; implicit-def: $vgpr17
.LBB47_2057:
	s_andn2_b64 vcc, exec, s[2:3]
	s_cbranch_vccnz .LBB47_2059
; %bb.2058:
	global_load_dword v1, v[20:21], off
	s_waitcnt vmcnt(0)
	v_cvt_i32_f32_e32 v17, v1
.LBB47_2059:
	s_mov_b64 s[2:3], 0
.LBB47_2060:
	s_andn2_b64 vcc, exec, s[2:3]
	s_cbranch_vccnz .LBB47_2062
; %bb.2061:
	global_load_dword v1, v[20:21], off
	s_waitcnt vmcnt(0)
	v_cvt_i16_f16_e32 v17, v1
.LBB47_2062:
	s_mov_b64 s[2:3], 0
.LBB47_2063:
	s_andn2_b64 vcc, exec, s[2:3]
	s_cbranch_vccnz .LBB47_2074
; %bb.2064:
	s_cmp_lt_i32 s21, 6
	s_cbranch_scc1 .LBB47_2067
; %bb.2065:
	s_cmp_gt_i32 s21, 6
	s_cbranch_scc0 .LBB47_2068
; %bb.2066:
	global_load_dwordx2 v[17:18], v[20:21], off
	s_mov_b64 s[2:3], 0
	s_waitcnt vmcnt(0)
	v_cvt_i32_f64_e32 v17, v[17:18]
	s_branch .LBB47_2069
.LBB47_2067:
	s_mov_b64 s[2:3], -1
                                        ; implicit-def: $vgpr17
	s_branch .LBB47_2072
.LBB47_2068:
	s_mov_b64 s[2:3], -1
                                        ; implicit-def: $vgpr17
.LBB47_2069:
	s_andn2_b64 vcc, exec, s[2:3]
	s_cbranch_vccnz .LBB47_2071
; %bb.2070:
	global_load_dword v1, v[20:21], off
	s_waitcnt vmcnt(0)
	v_cvt_i32_f32_e32 v17, v1
.LBB47_2071:
	s_mov_b64 s[2:3], 0
.LBB47_2072:
	s_andn2_b64 vcc, exec, s[2:3]
	s_cbranch_vccnz .LBB47_2074
; %bb.2073:
	global_load_ushort v1, v[20:21], off
	s_waitcnt vmcnt(0)
	v_cvt_i16_f16_e32 v17, v1
.LBB47_2074:
	s_mov_b64 s[2:3], 0
.LBB47_2075:
	s_andn2_b64 vcc, exec, s[2:3]
	s_cbranch_vccnz .LBB47_2095
; %bb.2076:
	s_cmp_lt_i32 s21, 2
	s_cbranch_scc1 .LBB47_2080
; %bb.2077:
	s_cmp_lt_i32 s21, 3
	s_cbranch_scc1 .LBB47_2081
; %bb.2078:
	s_cmp_gt_i32 s21, 3
	s_cbranch_scc0 .LBB47_2082
; %bb.2079:
	global_load_dwordx2 v[17:18], v[20:21], off
	s_mov_b64 s[2:3], 0
	s_branch .LBB47_2083
.LBB47_2080:
	s_mov_b64 s[2:3], -1
                                        ; implicit-def: $vgpr17
	s_branch .LBB47_2089
.LBB47_2081:
	s_mov_b64 s[2:3], -1
                                        ; implicit-def: $vgpr17
	s_branch .LBB47_2086
.LBB47_2082:
	s_mov_b64 s[2:3], -1
                                        ; implicit-def: $vgpr17
.LBB47_2083:
	s_andn2_b64 vcc, exec, s[2:3]
	s_cbranch_vccnz .LBB47_2085
; %bb.2084:
	global_load_dword v17, v[20:21], off
.LBB47_2085:
	s_mov_b64 s[2:3], 0
.LBB47_2086:
	s_andn2_b64 vcc, exec, s[2:3]
	s_cbranch_vccnz .LBB47_2088
; %bb.2087:
	global_load_ushort v17, v[20:21], off
.LBB47_2088:
	s_mov_b64 s[2:3], 0
.LBB47_2089:
	s_andn2_b64 vcc, exec, s[2:3]
	s_cbranch_vccnz .LBB47_2095
; %bb.2090:
	s_cmp_gt_i32 s21, 0
	s_cbranch_scc0 .LBB47_2092
; %bb.2091:
	global_load_ubyte v17, v[20:21], off
	s_mov_b64 s[2:3], 0
	s_branch .LBB47_2093
.LBB47_2092:
	s_mov_b64 s[2:3], -1
                                        ; implicit-def: $vgpr17
.LBB47_2093:
	s_andn2_b64 vcc, exec, s[2:3]
	s_cbranch_vccnz .LBB47_2095
; %bb.2094:
	global_load_ubyte v17, v[20:21], off
.LBB47_2095:
	s_mov_b64 s[16:17], -1
.LBB47_2096:
	s_andn2_b64 vcc, exec, s[16:17]
	s_cbranch_vccnz .LBB47_3036
; %bb.2097:
	v_mov_b32_e32 v1, s11
	v_add_co_u32_e32 v20, vcc, s10, v16
	s_cmp_lt_i32 s22, 11
	v_addc_co_u32_e32 v21, vcc, 0, v1, vcc
	s_cbranch_scc1 .LBB47_2104
; %bb.2098:
	s_and_b32 s23, 0xffff, s22
	s_cmp_gt_i32 s23, 25
	s_mov_b64 s[6:7], 0
	s_cbranch_scc0 .LBB47_2105
; %bb.2099:
	s_cmp_gt_i32 s23, 28
	s_cbranch_scc0 .LBB47_2106
; %bb.2100:
	s_cmp_gt_i32 s23, 43
	;; [unrolled: 3-line block ×3, first 2 shown]
	s_cbranch_scc0 .LBB47_2109
; %bb.2102:
	s_cmp_eq_u32 s23, 46
	s_mov_b64 s[18:19], 0
	s_cbranch_scc0 .LBB47_2110
; %bb.2103:
	global_load_dword v1, v[20:21], off
	s_mov_b64 s[2:3], 0
	s_mov_b64 s[16:17], -1
	s_waitcnt vmcnt(0)
	v_lshlrev_b32_e32 v1, 16, v1
	v_cvt_i32_f32_e32 v15, v1
	s_branch .LBB47_2111
.LBB47_2104:
	s_mov_b64 s[2:3], -1
	s_mov_b64 s[16:17], 0
                                        ; implicit-def: $vgpr15
	s_branch .LBB47_2173
.LBB47_2105:
	s_mov_b64 s[18:19], -1
	s_mov_b64 s[16:17], 0
	s_mov_b64 s[2:3], 0
                                        ; implicit-def: $vgpr15
	s_branch .LBB47_2138
.LBB47_2106:
	s_mov_b64 s[18:19], -1
	s_mov_b64 s[16:17], 0
	s_mov_b64 s[2:3], 0
                                        ; implicit-def: $vgpr15
	s_branch .LBB47_2121
.LBB47_2107:
	s_mov_b64 s[18:19], -1
	s_mov_b64 s[16:17], 0
	s_mov_b64 s[2:3], 0
                                        ; implicit-def: $vgpr15
	s_branch .LBB47_2116
.LBB47_2108:
	s_trap 2
	s_or_b64 s[4:5], s[4:5], exec
	s_cbranch_execz .LBB47_2045
	s_branch .LBB47_2046
.LBB47_2109:
	s_mov_b64 s[18:19], -1
	s_mov_b64 s[16:17], 0
	s_mov_b64 s[2:3], 0
                                        ; implicit-def: $vgpr15
	s_branch .LBB47_2111
.LBB47_2110:
	s_mov_b64 s[2:3], -1
                                        ; implicit-def: $vgpr15
	s_mov_b64 s[16:17], 0
.LBB47_2111:
	s_and_b64 vcc, exec, s[18:19]
	s_cbranch_vccz .LBB47_2115
; %bb.2112:
	s_cmp_eq_u32 s23, 44
	s_cbranch_scc0 .LBB47_2114
; %bb.2113:
	global_load_ubyte v1, v[20:21], off
	s_mov_b64 s[2:3], 0
	s_mov_b64 s[16:17], -1
	s_waitcnt vmcnt(0)
	v_lshlrev_b32_e32 v3, 23, v1
	v_cvt_i32_f32_e32 v3, v3
	v_cmp_ne_u32_e32 vcc, 0, v1
	v_cndmask_b32_e32 v15, 0, v3, vcc
	s_branch .LBB47_2115
.LBB47_2114:
	s_mov_b64 s[2:3], -1
                                        ; implicit-def: $vgpr15
.LBB47_2115:
	s_mov_b64 s[18:19], 0
.LBB47_2116:
	s_and_b64 vcc, exec, s[18:19]
	s_cbranch_vccz .LBB47_2120
; %bb.2117:
	s_cmp_eq_u32 s23, 29
	s_cbranch_scc0 .LBB47_2119
; %bb.2118:
	global_load_dwordx2 v[15:16], v[20:21], off
	s_mov_b64 s[2:3], 0
	s_mov_b64 s[16:17], -1
	s_branch .LBB47_2120
.LBB47_2119:
	s_mov_b64 s[2:3], -1
                                        ; implicit-def: $vgpr15
.LBB47_2120:
	s_mov_b64 s[18:19], 0
.LBB47_2121:
	s_and_b64 vcc, exec, s[18:19]
	s_cbranch_vccz .LBB47_2137
; %bb.2122:
	s_cmp_lt_i32 s23, 27
	s_cbranch_scc1 .LBB47_2125
; %bb.2123:
	s_cmp_gt_i32 s23, 27
	s_cbranch_scc0 .LBB47_2126
; %bb.2124:
	global_load_dword v15, v[20:21], off
	s_mov_b64 s[16:17], 0
	s_branch .LBB47_2127
.LBB47_2125:
	s_mov_b64 s[16:17], -1
                                        ; implicit-def: $vgpr15
	s_branch .LBB47_2130
.LBB47_2126:
	s_mov_b64 s[16:17], -1
                                        ; implicit-def: $vgpr15
.LBB47_2127:
	s_andn2_b64 vcc, exec, s[16:17]
	s_cbranch_vccnz .LBB47_2129
; %bb.2128:
	global_load_ushort v15, v[20:21], off
.LBB47_2129:
	s_mov_b64 s[16:17], 0
.LBB47_2130:
	s_andn2_b64 vcc, exec, s[16:17]
	s_cbranch_vccnz .LBB47_2136
; %bb.2131:
	global_load_ubyte v1, v[20:21], off
	s_movk_i32 s16, 0x7f
	s_mov_b64 s[18:19], 0
	s_waitcnt vmcnt(0)
	v_cmp_lt_i16_e32 vcc, s16, v1
	s_and_saveexec_b64 s[16:17], vcc
	s_xor_b64 s[16:17], exec, s[16:17]
	s_cbranch_execz .LBB47_2148
; %bb.2132:
	s_movk_i32 s18, 0x80
	v_cmp_ne_u16_e32 vcc, s18, v1
	s_and_b64 s[18:19], vcc, exec
	s_andn2_saveexec_b64 s[16:17], s[16:17]
	s_cbranch_execnz .LBB47_2149
.LBB47_2133:
	s_or_b64 exec, exec, s[16:17]
	v_mov_b32_e32 v15, 0
	s_and_saveexec_b64 s[16:17], s[18:19]
	s_cbranch_execz .LBB47_2135
.LBB47_2134:
	v_lshlrev_b32_e32 v3, 24, v1
	v_and_b32_e32 v1, 0xffff, v1
	v_and_b32_e32 v5, 7, v1
	v_ffbh_u32_e32 v11, v5
	v_min_u32_e32 v11, 32, v11
	v_subrev_u32_e32 v13, 28, v11
	v_bfe_u32 v8, v1, 3, 4
	v_lshlrev_b32_e32 v1, v13, v1
	v_sub_u32_e32 v11, 29, v11
	v_and_b32_e32 v1, 7, v1
	v_cmp_eq_u32_e32 vcc, 0, v8
	v_cndmask_b32_e32 v8, v8, v11, vcc
	v_cndmask_b32_e32 v1, v5, v1, vcc
	v_mov_b32_e32 v5, 0x3b800000
	v_lshlrev_b32_e32 v1, 20, v1
	v_and_b32_e32 v3, 0x80000000, v3
	v_lshl_add_u32 v5, v8, 23, v5
	v_or3_b32 v1, v3, v5, v1
	v_cvt_i32_f32_e32 v15, v1
.LBB47_2135:
	s_or_b64 exec, exec, s[16:17]
.LBB47_2136:
	s_mov_b64 s[16:17], -1
.LBB47_2137:
	s_mov_b64 s[18:19], 0
.LBB47_2138:
	s_and_b64 vcc, exec, s[18:19]
	s_cbranch_vccz .LBB47_2169
; %bb.2139:
	s_cmp_gt_i32 s23, 22
	s_cbranch_scc0 .LBB47_2147
; %bb.2140:
	s_cmp_lt_i32 s23, 24
	s_cbranch_scc1 .LBB47_2150
; %bb.2141:
	s_cmp_gt_i32 s23, 24
	s_cbranch_scc0 .LBB47_2151
; %bb.2142:
	global_load_ubyte v1, v[20:21], off
	s_movk_i32 s6, 0x7f
	s_mov_b64 s[16:17], 0
	s_waitcnt vmcnt(0)
	v_cmp_lt_i16_e32 vcc, s6, v1
	s_and_saveexec_b64 s[6:7], vcc
	s_xor_b64 s[6:7], exec, s[6:7]
	s_cbranch_execz .LBB47_2163
; %bb.2143:
	s_movk_i32 s16, 0x80
	v_cmp_ne_u16_e32 vcc, s16, v1
	s_and_b64 s[16:17], vcc, exec
	s_andn2_saveexec_b64 s[6:7], s[6:7]
	s_cbranch_execnz .LBB47_2164
.LBB47_2144:
	s_or_b64 exec, exec, s[6:7]
	v_mov_b32_e32 v15, 0
	s_and_saveexec_b64 s[6:7], s[16:17]
	s_cbranch_execz .LBB47_2146
.LBB47_2145:
	v_lshlrev_b32_e32 v3, 24, v1
	v_and_b32_e32 v1, 0xffff, v1
	v_and_b32_e32 v5, 3, v1
	v_ffbh_u32_e32 v11, v5
	v_min_u32_e32 v11, 32, v11
	v_subrev_u32_e32 v13, 29, v11
	v_bfe_u32 v8, v1, 2, 5
	v_lshlrev_b32_e32 v1, v13, v1
	v_sub_u32_e32 v11, 30, v11
	v_and_b32_e32 v1, 3, v1
	v_cmp_eq_u32_e32 vcc, 0, v8
	v_cndmask_b32_e32 v8, v8, v11, vcc
	v_cndmask_b32_e32 v1, v5, v1, vcc
	v_mov_b32_e32 v5, 0x37800000
	v_lshlrev_b32_e32 v1, 21, v1
	v_and_b32_e32 v3, 0x80000000, v3
	v_lshl_add_u32 v5, v8, 23, v5
	v_or3_b32 v1, v3, v5, v1
	v_cvt_i32_f32_e32 v15, v1
.LBB47_2146:
	s_or_b64 exec, exec, s[6:7]
	s_mov_b64 s[6:7], 0
	s_branch .LBB47_2152
.LBB47_2147:
	s_mov_b64 s[6:7], -1
                                        ; implicit-def: $vgpr15
	s_branch .LBB47_2158
.LBB47_2148:
	s_andn2_saveexec_b64 s[16:17], s[16:17]
	s_cbranch_execz .LBB47_2133
.LBB47_2149:
	v_cmp_ne_u16_e32 vcc, 0, v1
	s_andn2_b64 s[18:19], s[18:19], exec
	s_and_b64 s[24:25], vcc, exec
	s_or_b64 s[18:19], s[18:19], s[24:25]
	s_or_b64 exec, exec, s[16:17]
	v_mov_b32_e32 v15, 0
	s_and_saveexec_b64 s[16:17], s[18:19]
	s_cbranch_execnz .LBB47_2134
	s_branch .LBB47_2135
.LBB47_2150:
	s_mov_b64 s[6:7], -1
                                        ; implicit-def: $vgpr15
	s_branch .LBB47_2155
.LBB47_2151:
	s_mov_b64 s[6:7], -1
                                        ; implicit-def: $vgpr15
.LBB47_2152:
	s_and_b64 vcc, exec, s[6:7]
	s_cbranch_vccz .LBB47_2154
; %bb.2153:
	global_load_ubyte v1, v[20:21], off
	s_mov_b32 s6, 0x7f800000
	s_waitcnt vmcnt(0)
	v_lshlrev_b32_e32 v1, 24, v1
	v_and_b32_e32 v3, 0x7f000000, v1
	v_ffbh_u32_e32 v5, v3
	v_min_u32_e32 v5, 32, v5
	v_sub_u32_e64 v5, v5, 4 clamp
	v_lshlrev_b32_e32 v11, v5, v3
	v_lshlrev_b32_e32 v5, 23, v5
	v_lshrrev_b32_e32 v11, 4, v11
	v_add_u32_e32 v8, 0x1000000, v3
	v_sub_u32_e32 v5, v11, v5
	v_ashrrev_i32_e32 v8, 8, v8
	v_add_u32_e32 v5, 0x3c000000, v5
	v_and_or_b32 v5, v8, s6, v5
	v_cmp_ne_u32_e32 vcc, 0, v3
	v_cndmask_b32_e32 v3, 0, v5, vcc
	s_brev_b32 s6, 1
	v_and_or_b32 v1, v1, s6, v3
	v_cvt_i32_f32_e32 v15, v1
.LBB47_2154:
	s_mov_b64 s[6:7], 0
.LBB47_2155:
	s_andn2_b64 vcc, exec, s[6:7]
	s_cbranch_vccnz .LBB47_2157
; %bb.2156:
	global_load_ubyte v1, v[20:21], off
	s_movk_i32 s6, 0x7f00
	s_brev_b32 s7, 16
	s_waitcnt vmcnt(0)
	v_lshlrev_b16_e32 v3, 8, v1
	v_lshlrev_b32_e32 v1, 25, v1
	v_lshrrev_b32_e32 v5, 4, v1
	v_and_or_b32 v8, v3, s6, 0.5
	v_or_b32_e32 v5, 0x70000000, v5
	v_add_f32_e32 v8, -0.5, v8
	v_mul_f32_e32 v5, 0x7800000, v5
	v_cmp_gt_u32_e32 vcc, s7, v1
	v_bfe_i32 v3, v3, 0, 16
	v_cndmask_b32_e32 v1, v5, v8, vcc
	s_brev_b32 s6, 1
	v_and_or_b32 v1, v3, s6, v1
	v_cvt_i32_f32_e32 v15, v1
.LBB47_2157:
	s_mov_b64 s[6:7], 0
	s_mov_b64 s[16:17], -1
.LBB47_2158:
	s_andn2_b64 vcc, exec, s[6:7]
	s_mov_b64 s[6:7], 0
	s_cbranch_vccnz .LBB47_2169
; %bb.2159:
	s_cmp_gt_i32 s23, 14
	s_cbranch_scc0 .LBB47_2162
; %bb.2160:
	s_cmp_eq_u32 s23, 15
	s_cbranch_scc0 .LBB47_2165
; %bb.2161:
	global_load_ushort v1, v[20:21], off
	s_mov_b64 s[2:3], 0
	s_mov_b64 s[16:17], -1
	s_waitcnt vmcnt(0)
	v_lshlrev_b32_e32 v1, 16, v1
	v_cvt_i32_f32_e32 v15, v1
	s_branch .LBB47_2166
.LBB47_2162:
	s_mov_b64 s[18:19], -1
                                        ; implicit-def: $vgpr15
	s_branch .LBB47_2167
.LBB47_2163:
	s_andn2_saveexec_b64 s[6:7], s[6:7]
	s_cbranch_execz .LBB47_2144
.LBB47_2164:
	v_cmp_ne_u16_e32 vcc, 0, v1
	s_andn2_b64 s[16:17], s[16:17], exec
	s_and_b64 s[18:19], vcc, exec
	s_or_b64 s[16:17], s[16:17], s[18:19]
	s_or_b64 exec, exec, s[6:7]
	v_mov_b32_e32 v15, 0
	s_and_saveexec_b64 s[6:7], s[16:17]
	s_cbranch_execnz .LBB47_2145
	s_branch .LBB47_2146
.LBB47_2165:
	s_mov_b64 s[2:3], -1
                                        ; implicit-def: $vgpr15
.LBB47_2166:
	s_mov_b64 s[18:19], 0
.LBB47_2167:
	s_and_b64 vcc, exec, s[18:19]
	s_cbranch_vccz .LBB47_2169
; %bb.2168:
	s_cmp_lg_u32 s23, 11
	s_mov_b64 s[6:7], -1
	s_cselect_b64 s[2:3], -1, 0
.LBB47_2169:
	s_and_b64 vcc, exec, s[2:3]
	s_cbranch_vccnz .LBB47_2234
; %bb.2170:
	s_andn2_b64 vcc, exec, s[6:7]
	s_cbranch_vccnz .LBB47_2172
.LBB47_2171:
	global_load_ubyte v1, v[20:21], off
	s_mov_b64 s[16:17], -1
	s_waitcnt vmcnt(0)
	v_cmp_ne_u16_e32 vcc, 0, v1
	v_cndmask_b32_e64 v15, 0, 1, vcc
.LBB47_2172:
	s_mov_b64 s[2:3], 0
.LBB47_2173:
	s_and_b64 vcc, exec, s[2:3]
	s_cbranch_vccz .LBB47_2222
; %bb.2174:
	s_and_b32 s6, 0xffff, s22
	s_cmp_lt_i32 s6, 5
	s_cbranch_scc1 .LBB47_2179
; %bb.2175:
	s_cmp_lt_i32 s6, 8
	s_cbranch_scc1 .LBB47_2180
; %bb.2176:
	;; [unrolled: 3-line block ×3, first 2 shown]
	s_cmp_gt_i32 s6, 9
	s_cbranch_scc0 .LBB47_2182
; %bb.2178:
	global_load_dwordx2 v[15:16], v[20:21], off
	s_mov_b64 s[2:3], 0
	s_waitcnt vmcnt(0)
	v_cvt_i32_f64_e32 v15, v[15:16]
	s_branch .LBB47_2183
.LBB47_2179:
	s_mov_b64 s[2:3], -1
                                        ; implicit-def: $vgpr15
	s_branch .LBB47_2201
.LBB47_2180:
	s_mov_b64 s[2:3], -1
                                        ; implicit-def: $vgpr15
	s_branch .LBB47_2189
.LBB47_2181:
	s_mov_b64 s[2:3], -1
                                        ; implicit-def: $vgpr15
	s_branch .LBB47_2186
.LBB47_2182:
	s_mov_b64 s[2:3], -1
                                        ; implicit-def: $vgpr15
.LBB47_2183:
	s_andn2_b64 vcc, exec, s[2:3]
	s_cbranch_vccnz .LBB47_2185
; %bb.2184:
	global_load_dword v1, v[20:21], off
	s_waitcnt vmcnt(0)
	v_cvt_i32_f32_e32 v15, v1
.LBB47_2185:
	s_mov_b64 s[2:3], 0
.LBB47_2186:
	s_andn2_b64 vcc, exec, s[2:3]
	s_cbranch_vccnz .LBB47_2188
; %bb.2187:
	global_load_dword v1, v[20:21], off
	s_waitcnt vmcnt(0)
	v_cvt_i16_f16_e32 v15, v1
.LBB47_2188:
	s_mov_b64 s[2:3], 0
.LBB47_2189:
	s_andn2_b64 vcc, exec, s[2:3]
	s_cbranch_vccnz .LBB47_2200
; %bb.2190:
	s_cmp_lt_i32 s6, 6
	s_cbranch_scc1 .LBB47_2193
; %bb.2191:
	s_cmp_gt_i32 s6, 6
	s_cbranch_scc0 .LBB47_2194
; %bb.2192:
	global_load_dwordx2 v[15:16], v[20:21], off
	s_mov_b64 s[2:3], 0
	s_waitcnt vmcnt(0)
	v_cvt_i32_f64_e32 v15, v[15:16]
	s_branch .LBB47_2195
.LBB47_2193:
	s_mov_b64 s[2:3], -1
                                        ; implicit-def: $vgpr15
	s_branch .LBB47_2198
.LBB47_2194:
	s_mov_b64 s[2:3], -1
                                        ; implicit-def: $vgpr15
.LBB47_2195:
	s_andn2_b64 vcc, exec, s[2:3]
	s_cbranch_vccnz .LBB47_2197
; %bb.2196:
	global_load_dword v1, v[20:21], off
	s_waitcnt vmcnt(0)
	v_cvt_i32_f32_e32 v15, v1
.LBB47_2197:
	s_mov_b64 s[2:3], 0
.LBB47_2198:
	s_andn2_b64 vcc, exec, s[2:3]
	s_cbranch_vccnz .LBB47_2200
; %bb.2199:
	global_load_ushort v1, v[20:21], off
	s_waitcnt vmcnt(0)
	v_cvt_i16_f16_e32 v15, v1
.LBB47_2200:
	s_mov_b64 s[2:3], 0
.LBB47_2201:
	s_andn2_b64 vcc, exec, s[2:3]
	s_cbranch_vccnz .LBB47_2221
; %bb.2202:
	s_cmp_lt_i32 s6, 2
	s_cbranch_scc1 .LBB47_2206
; %bb.2203:
	s_cmp_lt_i32 s6, 3
	s_cbranch_scc1 .LBB47_2207
; %bb.2204:
	s_cmp_gt_i32 s6, 3
	s_cbranch_scc0 .LBB47_2208
; %bb.2205:
	global_load_dwordx2 v[15:16], v[20:21], off
	s_mov_b64 s[2:3], 0
	s_branch .LBB47_2209
.LBB47_2206:
	s_mov_b64 s[2:3], -1
                                        ; implicit-def: $vgpr15
	s_branch .LBB47_2215
.LBB47_2207:
	s_mov_b64 s[2:3], -1
                                        ; implicit-def: $vgpr15
	s_branch .LBB47_2212
.LBB47_2208:
	s_mov_b64 s[2:3], -1
                                        ; implicit-def: $vgpr15
.LBB47_2209:
	s_andn2_b64 vcc, exec, s[2:3]
	s_cbranch_vccnz .LBB47_2211
; %bb.2210:
	global_load_dword v15, v[20:21], off
.LBB47_2211:
	s_mov_b64 s[2:3], 0
.LBB47_2212:
	s_andn2_b64 vcc, exec, s[2:3]
	s_cbranch_vccnz .LBB47_2214
; %bb.2213:
	global_load_ushort v15, v[20:21], off
.LBB47_2214:
	s_mov_b64 s[2:3], 0
.LBB47_2215:
	s_andn2_b64 vcc, exec, s[2:3]
	s_cbranch_vccnz .LBB47_2221
; %bb.2216:
	s_cmp_gt_i32 s6, 0
	s_cbranch_scc0 .LBB47_2218
; %bb.2217:
	global_load_ubyte v15, v[20:21], off
	s_mov_b64 s[2:3], 0
	s_branch .LBB47_2219
.LBB47_2218:
	s_mov_b64 s[2:3], -1
                                        ; implicit-def: $vgpr15
.LBB47_2219:
	s_andn2_b64 vcc, exec, s[2:3]
	s_cbranch_vccnz .LBB47_2221
; %bb.2220:
	global_load_ubyte v15, v[20:21], off
.LBB47_2221:
	s_mov_b64 s[16:17], -1
.LBB47_2222:
	s_andn2_b64 vcc, exec, s[16:17]
	s_cbranch_vccnz .LBB47_3036
; %bb.2223:
	v_mov_b32_e32 v1, s1
	v_add_co_u32_e32 v20, vcc, s0, v19
	s_cmp_lt_i32 s21, 11
	v_addc_co_u32_e32 v21, vcc, 0, v1, vcc
	s_cbranch_scc1 .LBB47_2230
; %bb.2224:
	s_cmp_gt_i32 s21, 25
	s_mov_b64 s[6:7], 0
	s_cbranch_scc0 .LBB47_2231
; %bb.2225:
	s_cmp_gt_i32 s21, 28
	s_cbranch_scc0 .LBB47_2232
; %bb.2226:
	s_cmp_gt_i32 s21, 43
	;; [unrolled: 3-line block ×3, first 2 shown]
	s_cbranch_scc0 .LBB47_2235
; %bb.2228:
	s_cmp_eq_u32 s21, 46
	s_mov_b64 s[18:19], 0
	s_cbranch_scc0 .LBB47_2238
; %bb.2229:
	global_load_dword v1, v[20:21], off
	s_mov_b64 s[2:3], 0
	s_mov_b64 s[16:17], -1
	s_waitcnt vmcnt(0)
	v_lshlrev_b32_e32 v1, 16, v1
	v_cvt_i32_f32_e32 v18, v1
	s_branch .LBB47_2239
.LBB47_2230:
	s_mov_b64 s[2:3], -1
	s_mov_b64 s[16:17], 0
                                        ; implicit-def: $vgpr18
	s_branch .LBB47_2301
.LBB47_2231:
	s_mov_b64 s[18:19], -1
	s_mov_b64 s[16:17], 0
	s_mov_b64 s[2:3], 0
                                        ; implicit-def: $vgpr18
	s_branch .LBB47_2266
.LBB47_2232:
	s_mov_b64 s[18:19], -1
	s_mov_b64 s[16:17], 0
	s_mov_b64 s[2:3], 0
                                        ; implicit-def: $vgpr18
	s_branch .LBB47_2249
.LBB47_2233:
	s_mov_b64 s[18:19], -1
	s_mov_b64 s[16:17], 0
	s_mov_b64 s[2:3], 0
                                        ; implicit-def: $vgpr18
	s_branch .LBB47_2244
.LBB47_2234:
	s_trap 2
	s_or_b64 s[4:5], s[4:5], exec
	s_cbranch_execz .LBB47_2171
	s_branch .LBB47_2172
.LBB47_2235:
	s_mov_b64 s[18:19], -1
	s_mov_b64 s[16:17], 0
	s_mov_b64 s[2:3], 0
                                        ; implicit-def: $vgpr18
	s_branch .LBB47_2239
.LBB47_2236:
	s_andn2_saveexec_b64 s[62:63], s[62:63]
	s_cbranch_execz .LBB47_1095
.LBB47_2237:
	s_mov_b32 s67, 0x42800000
	v_add_f32_e64 v4, |v3|, s67
	v_and_b32_e32 v4, 0xff, v4
	v_cmp_ne_u32_e32 vcc, 0, v4
	s_andn2_b64 s[60:61], s[60:61], exec
	s_and_b64 s[74:75], vcc, exec
	s_or_b64 s[60:61], s[60:61], s[74:75]
	s_or_b64 exec, exec, s[62:63]
	v_mov_b32_e32 v5, 0
	s_and_saveexec_b64 s[62:63], s[60:61]
	s_cbranch_execnz .LBB47_1096
	s_branch .LBB47_1097
.LBB47_2238:
	s_mov_b64 s[2:3], -1
                                        ; implicit-def: $vgpr18
	s_mov_b64 s[16:17], 0
.LBB47_2239:
	s_and_b64 vcc, exec, s[18:19]
	s_cbranch_vccz .LBB47_2243
; %bb.2240:
	s_cmp_eq_u32 s21, 44
	s_cbranch_scc0 .LBB47_2242
; %bb.2241:
	global_load_ubyte v1, v[20:21], off
	s_mov_b64 s[2:3], 0
	s_mov_b64 s[16:17], -1
	s_waitcnt vmcnt(0)
	v_lshlrev_b32_e32 v3, 23, v1
	v_cvt_i32_f32_e32 v3, v3
	v_cmp_ne_u32_e32 vcc, 0, v1
	v_cndmask_b32_e32 v18, 0, v3, vcc
	s_branch .LBB47_2243
.LBB47_2242:
	s_mov_b64 s[2:3], -1
                                        ; implicit-def: $vgpr18
.LBB47_2243:
	s_mov_b64 s[18:19], 0
.LBB47_2244:
	s_and_b64 vcc, exec, s[18:19]
	s_cbranch_vccz .LBB47_2248
; %bb.2245:
	s_cmp_eq_u32 s21, 29
	s_cbranch_scc0 .LBB47_2247
; %bb.2246:
	global_load_dwordx2 v[18:19], v[20:21], off
	s_mov_b64 s[2:3], 0
	s_mov_b64 s[16:17], -1
	s_branch .LBB47_2248
.LBB47_2247:
	s_mov_b64 s[2:3], -1
                                        ; implicit-def: $vgpr18
.LBB47_2248:
	s_mov_b64 s[18:19], 0
.LBB47_2249:
	s_and_b64 vcc, exec, s[18:19]
	s_cbranch_vccz .LBB47_2265
; %bb.2250:
	s_cmp_lt_i32 s21, 27
	s_cbranch_scc1 .LBB47_2253
; %bb.2251:
	s_cmp_gt_i32 s21, 27
	s_cbranch_scc0 .LBB47_2254
; %bb.2252:
	global_load_dword v18, v[20:21], off
	s_mov_b64 s[16:17], 0
	s_branch .LBB47_2255
.LBB47_2253:
	s_mov_b64 s[16:17], -1
                                        ; implicit-def: $vgpr18
	s_branch .LBB47_2258
.LBB47_2254:
	s_mov_b64 s[16:17], -1
                                        ; implicit-def: $vgpr18
.LBB47_2255:
	s_andn2_b64 vcc, exec, s[16:17]
	s_cbranch_vccnz .LBB47_2257
; %bb.2256:
	global_load_ushort v18, v[20:21], off
.LBB47_2257:
	s_mov_b64 s[16:17], 0
.LBB47_2258:
	s_andn2_b64 vcc, exec, s[16:17]
	s_cbranch_vccnz .LBB47_2264
; %bb.2259:
	global_load_ubyte v1, v[20:21], off
	s_movk_i32 s16, 0x7f
	s_mov_b64 s[18:19], 0
	s_waitcnt vmcnt(0)
	v_cmp_lt_i16_e32 vcc, s16, v1
	s_and_saveexec_b64 s[16:17], vcc
	s_xor_b64 s[16:17], exec, s[16:17]
	s_cbranch_execz .LBB47_2276
; %bb.2260:
	s_movk_i32 s18, 0x80
	v_cmp_ne_u16_e32 vcc, s18, v1
	s_and_b64 s[18:19], vcc, exec
	s_andn2_saveexec_b64 s[16:17], s[16:17]
	s_cbranch_execnz .LBB47_2277
.LBB47_2261:
	s_or_b64 exec, exec, s[16:17]
	v_mov_b32_e32 v18, 0
	s_and_saveexec_b64 s[16:17], s[18:19]
	s_cbranch_execz .LBB47_2263
.LBB47_2262:
	v_lshlrev_b32_e32 v3, 24, v1
	v_and_b32_e32 v1, 0xffff, v1
	v_and_b32_e32 v5, 7, v1
	v_ffbh_u32_e32 v11, v5
	v_min_u32_e32 v11, 32, v11
	v_subrev_u32_e32 v13, 28, v11
	v_bfe_u32 v8, v1, 3, 4
	v_lshlrev_b32_e32 v1, v13, v1
	v_sub_u32_e32 v11, 29, v11
	v_and_b32_e32 v1, 7, v1
	v_cmp_eq_u32_e32 vcc, 0, v8
	v_cndmask_b32_e32 v8, v8, v11, vcc
	v_cndmask_b32_e32 v1, v5, v1, vcc
	v_mov_b32_e32 v5, 0x3b800000
	v_lshlrev_b32_e32 v1, 20, v1
	v_and_b32_e32 v3, 0x80000000, v3
	v_lshl_add_u32 v5, v8, 23, v5
	v_or3_b32 v1, v3, v5, v1
	v_cvt_i32_f32_e32 v18, v1
.LBB47_2263:
	s_or_b64 exec, exec, s[16:17]
.LBB47_2264:
	s_mov_b64 s[16:17], -1
.LBB47_2265:
	s_mov_b64 s[18:19], 0
.LBB47_2266:
	s_and_b64 vcc, exec, s[18:19]
	s_cbranch_vccz .LBB47_2297
; %bb.2267:
	s_cmp_gt_i32 s21, 22
	s_cbranch_scc0 .LBB47_2275
; %bb.2268:
	s_cmp_lt_i32 s21, 24
	s_cbranch_scc1 .LBB47_2278
; %bb.2269:
	s_cmp_gt_i32 s21, 24
	s_cbranch_scc0 .LBB47_2279
; %bb.2270:
	global_load_ubyte v1, v[20:21], off
	s_movk_i32 s6, 0x7f
	s_mov_b64 s[16:17], 0
	s_waitcnt vmcnt(0)
	v_cmp_lt_i16_e32 vcc, s6, v1
	s_and_saveexec_b64 s[6:7], vcc
	s_xor_b64 s[6:7], exec, s[6:7]
	s_cbranch_execz .LBB47_2291
; %bb.2271:
	s_movk_i32 s16, 0x80
	v_cmp_ne_u16_e32 vcc, s16, v1
	s_and_b64 s[16:17], vcc, exec
	s_andn2_saveexec_b64 s[6:7], s[6:7]
	s_cbranch_execnz .LBB47_2292
.LBB47_2272:
	s_or_b64 exec, exec, s[6:7]
	v_mov_b32_e32 v18, 0
	s_and_saveexec_b64 s[6:7], s[16:17]
	s_cbranch_execz .LBB47_2274
.LBB47_2273:
	v_lshlrev_b32_e32 v3, 24, v1
	v_and_b32_e32 v1, 0xffff, v1
	v_and_b32_e32 v5, 3, v1
	v_ffbh_u32_e32 v11, v5
	v_min_u32_e32 v11, 32, v11
	v_subrev_u32_e32 v13, 29, v11
	v_bfe_u32 v8, v1, 2, 5
	v_lshlrev_b32_e32 v1, v13, v1
	v_sub_u32_e32 v11, 30, v11
	v_and_b32_e32 v1, 3, v1
	v_cmp_eq_u32_e32 vcc, 0, v8
	v_cndmask_b32_e32 v8, v8, v11, vcc
	v_cndmask_b32_e32 v1, v5, v1, vcc
	v_mov_b32_e32 v5, 0x37800000
	v_lshlrev_b32_e32 v1, 21, v1
	v_and_b32_e32 v3, 0x80000000, v3
	v_lshl_add_u32 v5, v8, 23, v5
	v_or3_b32 v1, v3, v5, v1
	v_cvt_i32_f32_e32 v18, v1
.LBB47_2274:
	s_or_b64 exec, exec, s[6:7]
	s_mov_b64 s[6:7], 0
	s_branch .LBB47_2280
.LBB47_2275:
	s_mov_b64 s[6:7], -1
                                        ; implicit-def: $vgpr18
	s_branch .LBB47_2286
.LBB47_2276:
	s_andn2_saveexec_b64 s[16:17], s[16:17]
	s_cbranch_execz .LBB47_2261
.LBB47_2277:
	v_cmp_ne_u16_e32 vcc, 0, v1
	s_andn2_b64 s[18:19], s[18:19], exec
	s_and_b64 s[24:25], vcc, exec
	s_or_b64 s[18:19], s[18:19], s[24:25]
	s_or_b64 exec, exec, s[16:17]
	v_mov_b32_e32 v18, 0
	s_and_saveexec_b64 s[16:17], s[18:19]
	s_cbranch_execnz .LBB47_2262
	s_branch .LBB47_2263
.LBB47_2278:
	s_mov_b64 s[6:7], -1
                                        ; implicit-def: $vgpr18
	s_branch .LBB47_2283
.LBB47_2279:
	s_mov_b64 s[6:7], -1
                                        ; implicit-def: $vgpr18
.LBB47_2280:
	s_and_b64 vcc, exec, s[6:7]
	s_cbranch_vccz .LBB47_2282
; %bb.2281:
	global_load_ubyte v1, v[20:21], off
	s_mov_b32 s6, 0x7f800000
	s_waitcnt vmcnt(0)
	v_lshlrev_b32_e32 v1, 24, v1
	v_and_b32_e32 v3, 0x7f000000, v1
	v_ffbh_u32_e32 v5, v3
	v_min_u32_e32 v5, 32, v5
	v_sub_u32_e64 v5, v5, 4 clamp
	v_lshlrev_b32_e32 v11, v5, v3
	v_lshlrev_b32_e32 v5, 23, v5
	v_lshrrev_b32_e32 v11, 4, v11
	v_add_u32_e32 v8, 0x1000000, v3
	v_sub_u32_e32 v5, v11, v5
	v_ashrrev_i32_e32 v8, 8, v8
	v_add_u32_e32 v5, 0x3c000000, v5
	v_and_or_b32 v5, v8, s6, v5
	v_cmp_ne_u32_e32 vcc, 0, v3
	v_cndmask_b32_e32 v3, 0, v5, vcc
	s_brev_b32 s6, 1
	v_and_or_b32 v1, v1, s6, v3
	v_cvt_i32_f32_e32 v18, v1
.LBB47_2282:
	s_mov_b64 s[6:7], 0
.LBB47_2283:
	s_andn2_b64 vcc, exec, s[6:7]
	s_cbranch_vccnz .LBB47_2285
; %bb.2284:
	global_load_ubyte v1, v[20:21], off
	s_movk_i32 s6, 0x7f00
	s_brev_b32 s7, 16
	s_waitcnt vmcnt(0)
	v_lshlrev_b16_e32 v3, 8, v1
	v_lshlrev_b32_e32 v1, 25, v1
	v_lshrrev_b32_e32 v5, 4, v1
	v_and_or_b32 v8, v3, s6, 0.5
	v_or_b32_e32 v5, 0x70000000, v5
	v_add_f32_e32 v8, -0.5, v8
	v_mul_f32_e32 v5, 0x7800000, v5
	v_cmp_gt_u32_e32 vcc, s7, v1
	v_bfe_i32 v3, v3, 0, 16
	v_cndmask_b32_e32 v1, v5, v8, vcc
	s_brev_b32 s6, 1
	v_and_or_b32 v1, v3, s6, v1
	v_cvt_i32_f32_e32 v18, v1
.LBB47_2285:
	s_mov_b64 s[6:7], 0
	s_mov_b64 s[16:17], -1
.LBB47_2286:
	s_andn2_b64 vcc, exec, s[6:7]
	s_mov_b64 s[6:7], 0
	s_cbranch_vccnz .LBB47_2297
; %bb.2287:
	s_cmp_gt_i32 s21, 14
	s_cbranch_scc0 .LBB47_2290
; %bb.2288:
	s_cmp_eq_u32 s21, 15
	s_cbranch_scc0 .LBB47_2293
; %bb.2289:
	global_load_ushort v1, v[20:21], off
	s_mov_b64 s[2:3], 0
	s_mov_b64 s[16:17], -1
	s_waitcnt vmcnt(0)
	v_lshlrev_b32_e32 v1, 16, v1
	v_cvt_i32_f32_e32 v18, v1
	s_branch .LBB47_2294
.LBB47_2290:
	s_mov_b64 s[18:19], -1
                                        ; implicit-def: $vgpr18
	s_branch .LBB47_2295
.LBB47_2291:
	s_andn2_saveexec_b64 s[6:7], s[6:7]
	s_cbranch_execz .LBB47_2272
.LBB47_2292:
	v_cmp_ne_u16_e32 vcc, 0, v1
	s_andn2_b64 s[16:17], s[16:17], exec
	s_and_b64 s[18:19], vcc, exec
	s_or_b64 s[16:17], s[16:17], s[18:19]
	s_or_b64 exec, exec, s[6:7]
	v_mov_b32_e32 v18, 0
	s_and_saveexec_b64 s[6:7], s[16:17]
	s_cbranch_execnz .LBB47_2273
	s_branch .LBB47_2274
.LBB47_2293:
	s_mov_b64 s[2:3], -1
                                        ; implicit-def: $vgpr18
.LBB47_2294:
	s_mov_b64 s[18:19], 0
.LBB47_2295:
	s_and_b64 vcc, exec, s[18:19]
	s_cbranch_vccz .LBB47_2297
; %bb.2296:
	s_cmp_lg_u32 s21, 11
	s_mov_b64 s[6:7], -1
	s_cselect_b64 s[2:3], -1, 0
.LBB47_2297:
	s_and_b64 vcc, exec, s[2:3]
	s_cbranch_vccnz .LBB47_2362
; %bb.2298:
	s_andn2_b64 vcc, exec, s[6:7]
	s_cbranch_vccnz .LBB47_2300
.LBB47_2299:
	global_load_ubyte v1, v[20:21], off
	s_mov_b64 s[16:17], -1
	s_waitcnt vmcnt(0)
	v_cmp_ne_u16_e32 vcc, 0, v1
	v_cndmask_b32_e64 v18, 0, 1, vcc
.LBB47_2300:
	s_mov_b64 s[2:3], 0
.LBB47_2301:
	s_and_b64 vcc, exec, s[2:3]
	s_cbranch_vccz .LBB47_2350
; %bb.2302:
	s_cmp_lt_i32 s21, 5
	s_cbranch_scc1 .LBB47_2307
; %bb.2303:
	s_cmp_lt_i32 s21, 8
	s_cbranch_scc1 .LBB47_2308
	;; [unrolled: 3-line block ×3, first 2 shown]
; %bb.2305:
	s_cmp_gt_i32 s21, 9
	s_cbranch_scc0 .LBB47_2310
; %bb.2306:
	global_load_dwordx2 v[18:19], v[20:21], off
	s_mov_b64 s[2:3], 0
	s_waitcnt vmcnt(0)
	v_cvt_i32_f64_e32 v18, v[18:19]
	s_branch .LBB47_2311
.LBB47_2307:
	s_mov_b64 s[2:3], -1
                                        ; implicit-def: $vgpr18
	s_branch .LBB47_2329
.LBB47_2308:
	s_mov_b64 s[2:3], -1
                                        ; implicit-def: $vgpr18
	s_branch .LBB47_2317
.LBB47_2309:
	s_mov_b64 s[2:3], -1
                                        ; implicit-def: $vgpr18
	s_branch .LBB47_2314
.LBB47_2310:
	s_mov_b64 s[2:3], -1
                                        ; implicit-def: $vgpr18
.LBB47_2311:
	s_andn2_b64 vcc, exec, s[2:3]
	s_cbranch_vccnz .LBB47_2313
; %bb.2312:
	global_load_dword v1, v[20:21], off
	s_waitcnt vmcnt(0)
	v_cvt_i32_f32_e32 v18, v1
.LBB47_2313:
	s_mov_b64 s[2:3], 0
.LBB47_2314:
	s_andn2_b64 vcc, exec, s[2:3]
	s_cbranch_vccnz .LBB47_2316
; %bb.2315:
	global_load_dword v1, v[20:21], off
	s_waitcnt vmcnt(0)
	v_cvt_i16_f16_e32 v18, v1
.LBB47_2316:
	s_mov_b64 s[2:3], 0
.LBB47_2317:
	s_andn2_b64 vcc, exec, s[2:3]
	s_cbranch_vccnz .LBB47_2328
; %bb.2318:
	s_cmp_lt_i32 s21, 6
	s_cbranch_scc1 .LBB47_2321
; %bb.2319:
	s_cmp_gt_i32 s21, 6
	s_cbranch_scc0 .LBB47_2322
; %bb.2320:
	global_load_dwordx2 v[18:19], v[20:21], off
	s_mov_b64 s[2:3], 0
	s_waitcnt vmcnt(0)
	v_cvt_i32_f64_e32 v18, v[18:19]
	s_branch .LBB47_2323
.LBB47_2321:
	s_mov_b64 s[2:3], -1
                                        ; implicit-def: $vgpr18
	s_branch .LBB47_2326
.LBB47_2322:
	s_mov_b64 s[2:3], -1
                                        ; implicit-def: $vgpr18
.LBB47_2323:
	s_andn2_b64 vcc, exec, s[2:3]
	s_cbranch_vccnz .LBB47_2325
; %bb.2324:
	global_load_dword v1, v[20:21], off
	s_waitcnt vmcnt(0)
	v_cvt_i32_f32_e32 v18, v1
.LBB47_2325:
	s_mov_b64 s[2:3], 0
.LBB47_2326:
	s_andn2_b64 vcc, exec, s[2:3]
	s_cbranch_vccnz .LBB47_2328
; %bb.2327:
	global_load_ushort v1, v[20:21], off
	s_waitcnt vmcnt(0)
	v_cvt_i16_f16_e32 v18, v1
.LBB47_2328:
	s_mov_b64 s[2:3], 0
.LBB47_2329:
	s_andn2_b64 vcc, exec, s[2:3]
	s_cbranch_vccnz .LBB47_2349
; %bb.2330:
	s_cmp_lt_i32 s21, 2
	s_cbranch_scc1 .LBB47_2334
; %bb.2331:
	s_cmp_lt_i32 s21, 3
	s_cbranch_scc1 .LBB47_2335
; %bb.2332:
	s_cmp_gt_i32 s21, 3
	s_cbranch_scc0 .LBB47_2336
; %bb.2333:
	global_load_dwordx2 v[18:19], v[20:21], off
	s_mov_b64 s[2:3], 0
	s_branch .LBB47_2337
.LBB47_2334:
	s_mov_b64 s[2:3], -1
                                        ; implicit-def: $vgpr18
	s_branch .LBB47_2343
.LBB47_2335:
	s_mov_b64 s[2:3], -1
                                        ; implicit-def: $vgpr18
	s_branch .LBB47_2340
.LBB47_2336:
	s_mov_b64 s[2:3], -1
                                        ; implicit-def: $vgpr18
.LBB47_2337:
	s_andn2_b64 vcc, exec, s[2:3]
	s_cbranch_vccnz .LBB47_2339
; %bb.2338:
	global_load_dword v18, v[20:21], off
.LBB47_2339:
	s_mov_b64 s[2:3], 0
.LBB47_2340:
	s_andn2_b64 vcc, exec, s[2:3]
	s_cbranch_vccnz .LBB47_2342
; %bb.2341:
	global_load_ushort v18, v[20:21], off
.LBB47_2342:
	s_mov_b64 s[2:3], 0
.LBB47_2343:
	s_andn2_b64 vcc, exec, s[2:3]
	s_cbranch_vccnz .LBB47_2349
; %bb.2344:
	s_cmp_gt_i32 s21, 0
	s_cbranch_scc0 .LBB47_2346
; %bb.2345:
	global_load_ubyte v18, v[20:21], off
	s_mov_b64 s[2:3], 0
	s_branch .LBB47_2347
.LBB47_2346:
	s_mov_b64 s[2:3], -1
                                        ; implicit-def: $vgpr18
.LBB47_2347:
	s_andn2_b64 vcc, exec, s[2:3]
	s_cbranch_vccnz .LBB47_2349
; %bb.2348:
	global_load_ubyte v18, v[20:21], off
.LBB47_2349:
	s_mov_b64 s[16:17], -1
.LBB47_2350:
	s_andn2_b64 vcc, exec, s[16:17]
	s_cbranch_vccnz .LBB47_3036
; %bb.2351:
	v_mov_b32_e32 v1, s11
	s_waitcnt vmcnt(0)
	v_add_co_u32_e32 v19, vcc, s10, v14
	s_cmp_lt_i32 s22, 11
	v_addc_co_u32_e32 v20, vcc, 0, v1, vcc
	s_cbranch_scc1 .LBB47_2358
; %bb.2352:
	s_and_b32 s18, 0xffff, s22
	s_cmp_gt_i32 s18, 25
	s_mov_b64 s[6:7], 0
	s_cbranch_scc0 .LBB47_2359
; %bb.2353:
	s_cmp_gt_i32 s18, 28
	s_cbranch_scc0 .LBB47_2360
; %bb.2354:
	s_cmp_gt_i32 s18, 43
	;; [unrolled: 3-line block ×3, first 2 shown]
	s_cbranch_scc0 .LBB47_2363
; %bb.2356:
	s_cmp_eq_u32 s18, 46
	s_mov_b64 s[16:17], 0
	s_cbranch_scc0 .LBB47_2364
; %bb.2357:
	global_load_dword v1, v[19:20], off
	s_mov_b64 s[2:3], 0
	s_mov_b64 s[10:11], -1
	s_waitcnt vmcnt(0)
	v_lshlrev_b32_e32 v1, 16, v1
	v_cvt_i32_f32_e32 v13, v1
	s_branch .LBB47_2365
.LBB47_2358:
	s_mov_b64 s[2:3], -1
	s_mov_b64 s[10:11], 0
                                        ; implicit-def: $vgpr13
	s_branch .LBB47_2427
.LBB47_2359:
	s_mov_b64 s[16:17], -1
	s_mov_b64 s[10:11], 0
	s_mov_b64 s[2:3], 0
                                        ; implicit-def: $vgpr13
	s_branch .LBB47_2392
.LBB47_2360:
	s_mov_b64 s[16:17], -1
	s_mov_b64 s[10:11], 0
	s_mov_b64 s[2:3], 0
                                        ; implicit-def: $vgpr13
	s_branch .LBB47_2375
.LBB47_2361:
	s_mov_b64 s[16:17], -1
	s_mov_b64 s[10:11], 0
	s_mov_b64 s[2:3], 0
                                        ; implicit-def: $vgpr13
	s_branch .LBB47_2370
.LBB47_2362:
	s_trap 2
	s_or_b64 s[4:5], s[4:5], exec
	s_cbranch_execz .LBB47_2299
	s_branch .LBB47_2300
.LBB47_2363:
	s_mov_b64 s[16:17], -1
	s_mov_b64 s[10:11], 0
	s_mov_b64 s[2:3], 0
                                        ; implicit-def: $vgpr13
	s_branch .LBB47_2365
.LBB47_2364:
	s_mov_b64 s[2:3], -1
                                        ; implicit-def: $vgpr13
	s_mov_b64 s[10:11], 0
.LBB47_2365:
	s_and_b64 vcc, exec, s[16:17]
	s_cbranch_vccz .LBB47_2369
; %bb.2366:
	s_cmp_eq_u32 s18, 44
	s_cbranch_scc0 .LBB47_2368
; %bb.2367:
	global_load_ubyte v1, v[19:20], off
	s_mov_b64 s[2:3], 0
	s_mov_b64 s[10:11], -1
	s_waitcnt vmcnt(0)
	v_lshlrev_b32_e32 v3, 23, v1
	v_cvt_i32_f32_e32 v3, v3
	v_cmp_ne_u32_e32 vcc, 0, v1
	v_cndmask_b32_e32 v13, 0, v3, vcc
	s_branch .LBB47_2369
.LBB47_2368:
	s_mov_b64 s[2:3], -1
                                        ; implicit-def: $vgpr13
.LBB47_2369:
	s_mov_b64 s[16:17], 0
.LBB47_2370:
	s_and_b64 vcc, exec, s[16:17]
	s_cbranch_vccz .LBB47_2374
; %bb.2371:
	s_cmp_eq_u32 s18, 29
	s_cbranch_scc0 .LBB47_2373
; %bb.2372:
	global_load_dwordx2 v[13:14], v[19:20], off
	s_mov_b64 s[2:3], 0
	s_mov_b64 s[10:11], -1
	s_branch .LBB47_2374
.LBB47_2373:
	s_mov_b64 s[2:3], -1
                                        ; implicit-def: $vgpr13
.LBB47_2374:
	s_mov_b64 s[16:17], 0
.LBB47_2375:
	s_and_b64 vcc, exec, s[16:17]
	s_cbranch_vccz .LBB47_2391
; %bb.2376:
	s_cmp_lt_i32 s18, 27
	s_cbranch_scc1 .LBB47_2379
; %bb.2377:
	s_cmp_gt_i32 s18, 27
	s_cbranch_scc0 .LBB47_2380
; %bb.2378:
	global_load_dword v13, v[19:20], off
	s_mov_b64 s[10:11], 0
	s_branch .LBB47_2381
.LBB47_2379:
	s_mov_b64 s[10:11], -1
                                        ; implicit-def: $vgpr13
	s_branch .LBB47_2384
.LBB47_2380:
	s_mov_b64 s[10:11], -1
                                        ; implicit-def: $vgpr13
.LBB47_2381:
	s_andn2_b64 vcc, exec, s[10:11]
	s_cbranch_vccnz .LBB47_2383
; %bb.2382:
	global_load_ushort v13, v[19:20], off
.LBB47_2383:
	s_mov_b64 s[10:11], 0
.LBB47_2384:
	s_andn2_b64 vcc, exec, s[10:11]
	s_cbranch_vccnz .LBB47_2390
; %bb.2385:
	global_load_ubyte v1, v[19:20], off
	s_movk_i32 s10, 0x7f
	s_mov_b64 s[16:17], 0
	s_waitcnt vmcnt(0)
	v_cmp_lt_i16_e32 vcc, s10, v1
	s_and_saveexec_b64 s[10:11], vcc
	s_xor_b64 s[10:11], exec, s[10:11]
	s_cbranch_execz .LBB47_2402
; %bb.2386:
	s_movk_i32 s16, 0x80
	v_cmp_ne_u16_e32 vcc, s16, v1
	s_and_b64 s[16:17], vcc, exec
	s_andn2_saveexec_b64 s[10:11], s[10:11]
	s_cbranch_execnz .LBB47_2403
.LBB47_2387:
	s_or_b64 exec, exec, s[10:11]
	v_mov_b32_e32 v13, 0
	s_and_saveexec_b64 s[10:11], s[16:17]
	s_cbranch_execz .LBB47_2389
.LBB47_2388:
	v_lshlrev_b32_e32 v3, 24, v1
	v_and_b32_e32 v1, 0xffff, v1
	v_and_b32_e32 v5, 7, v1
	v_ffbh_u32_e32 v11, v5
	v_min_u32_e32 v11, 32, v11
	v_subrev_u32_e32 v13, 28, v11
	v_bfe_u32 v8, v1, 3, 4
	v_lshlrev_b32_e32 v1, v13, v1
	v_sub_u32_e32 v11, 29, v11
	v_and_b32_e32 v1, 7, v1
	v_cmp_eq_u32_e32 vcc, 0, v8
	v_cndmask_b32_e32 v8, v8, v11, vcc
	v_cndmask_b32_e32 v1, v5, v1, vcc
	v_mov_b32_e32 v5, 0x3b800000
	v_lshlrev_b32_e32 v1, 20, v1
	v_and_b32_e32 v3, 0x80000000, v3
	v_lshl_add_u32 v5, v8, 23, v5
	v_or3_b32 v1, v3, v5, v1
	v_cvt_i32_f32_e32 v13, v1
.LBB47_2389:
	s_or_b64 exec, exec, s[10:11]
.LBB47_2390:
	s_mov_b64 s[10:11], -1
.LBB47_2391:
	s_mov_b64 s[16:17], 0
.LBB47_2392:
	s_and_b64 vcc, exec, s[16:17]
	s_cbranch_vccz .LBB47_2423
; %bb.2393:
	s_cmp_gt_i32 s18, 22
	s_cbranch_scc0 .LBB47_2401
; %bb.2394:
	s_cmp_lt_i32 s18, 24
	s_cbranch_scc1 .LBB47_2404
; %bb.2395:
	s_cmp_gt_i32 s18, 24
	s_cbranch_scc0 .LBB47_2405
; %bb.2396:
	global_load_ubyte v1, v[19:20], off
	s_movk_i32 s6, 0x7f
	s_mov_b64 s[10:11], 0
	s_waitcnt vmcnt(0)
	v_cmp_lt_i16_e32 vcc, s6, v1
	s_and_saveexec_b64 s[6:7], vcc
	s_xor_b64 s[6:7], exec, s[6:7]
	s_cbranch_execz .LBB47_2417
; %bb.2397:
	s_movk_i32 s10, 0x80
	v_cmp_ne_u16_e32 vcc, s10, v1
	s_and_b64 s[10:11], vcc, exec
	s_andn2_saveexec_b64 s[6:7], s[6:7]
	s_cbranch_execnz .LBB47_2418
.LBB47_2398:
	s_or_b64 exec, exec, s[6:7]
	v_mov_b32_e32 v13, 0
	s_and_saveexec_b64 s[6:7], s[10:11]
	s_cbranch_execz .LBB47_2400
.LBB47_2399:
	v_lshlrev_b32_e32 v3, 24, v1
	v_and_b32_e32 v1, 0xffff, v1
	v_and_b32_e32 v5, 3, v1
	v_ffbh_u32_e32 v11, v5
	v_min_u32_e32 v11, 32, v11
	v_subrev_u32_e32 v13, 29, v11
	v_bfe_u32 v8, v1, 2, 5
	v_lshlrev_b32_e32 v1, v13, v1
	v_sub_u32_e32 v11, 30, v11
	v_and_b32_e32 v1, 3, v1
	v_cmp_eq_u32_e32 vcc, 0, v8
	v_cndmask_b32_e32 v8, v8, v11, vcc
	v_cndmask_b32_e32 v1, v5, v1, vcc
	v_mov_b32_e32 v5, 0x37800000
	v_lshlrev_b32_e32 v1, 21, v1
	v_and_b32_e32 v3, 0x80000000, v3
	v_lshl_add_u32 v5, v8, 23, v5
	v_or3_b32 v1, v3, v5, v1
	v_cvt_i32_f32_e32 v13, v1
.LBB47_2400:
	s_or_b64 exec, exec, s[6:7]
	s_mov_b64 s[6:7], 0
	s_branch .LBB47_2406
.LBB47_2401:
	s_mov_b64 s[6:7], -1
                                        ; implicit-def: $vgpr13
	s_branch .LBB47_2412
.LBB47_2402:
	s_andn2_saveexec_b64 s[10:11], s[10:11]
	s_cbranch_execz .LBB47_2387
.LBB47_2403:
	v_cmp_ne_u16_e32 vcc, 0, v1
	s_andn2_b64 s[16:17], s[16:17], exec
	s_and_b64 s[24:25], vcc, exec
	s_or_b64 s[16:17], s[16:17], s[24:25]
	s_or_b64 exec, exec, s[10:11]
	v_mov_b32_e32 v13, 0
	s_and_saveexec_b64 s[10:11], s[16:17]
	s_cbranch_execnz .LBB47_2388
	s_branch .LBB47_2389
.LBB47_2404:
	s_mov_b64 s[6:7], -1
                                        ; implicit-def: $vgpr13
	s_branch .LBB47_2409
.LBB47_2405:
	s_mov_b64 s[6:7], -1
                                        ; implicit-def: $vgpr13
.LBB47_2406:
	s_and_b64 vcc, exec, s[6:7]
	s_cbranch_vccz .LBB47_2408
; %bb.2407:
	global_load_ubyte v1, v[19:20], off
	s_mov_b32 s6, 0x7f800000
	s_waitcnt vmcnt(0)
	v_lshlrev_b32_e32 v1, 24, v1
	v_and_b32_e32 v3, 0x7f000000, v1
	v_ffbh_u32_e32 v5, v3
	v_min_u32_e32 v5, 32, v5
	v_sub_u32_e64 v5, v5, 4 clamp
	v_lshlrev_b32_e32 v11, v5, v3
	v_lshlrev_b32_e32 v5, 23, v5
	v_lshrrev_b32_e32 v11, 4, v11
	v_add_u32_e32 v8, 0x1000000, v3
	v_sub_u32_e32 v5, v11, v5
	v_ashrrev_i32_e32 v8, 8, v8
	v_add_u32_e32 v5, 0x3c000000, v5
	v_and_or_b32 v5, v8, s6, v5
	v_cmp_ne_u32_e32 vcc, 0, v3
	v_cndmask_b32_e32 v3, 0, v5, vcc
	s_brev_b32 s6, 1
	v_and_or_b32 v1, v1, s6, v3
	v_cvt_i32_f32_e32 v13, v1
.LBB47_2408:
	s_mov_b64 s[6:7], 0
.LBB47_2409:
	s_andn2_b64 vcc, exec, s[6:7]
	s_cbranch_vccnz .LBB47_2411
; %bb.2410:
	global_load_ubyte v1, v[19:20], off
	s_movk_i32 s6, 0x7f00
	s_brev_b32 s7, 16
	s_waitcnt vmcnt(0)
	v_lshlrev_b16_e32 v3, 8, v1
	v_lshlrev_b32_e32 v1, 25, v1
	v_lshrrev_b32_e32 v5, 4, v1
	v_and_or_b32 v8, v3, s6, 0.5
	v_or_b32_e32 v5, 0x70000000, v5
	v_add_f32_e32 v8, -0.5, v8
	v_mul_f32_e32 v5, 0x7800000, v5
	v_cmp_gt_u32_e32 vcc, s7, v1
	v_bfe_i32 v3, v3, 0, 16
	v_cndmask_b32_e32 v1, v5, v8, vcc
	s_brev_b32 s6, 1
	v_and_or_b32 v1, v3, s6, v1
	v_cvt_i32_f32_e32 v13, v1
.LBB47_2411:
	s_mov_b64 s[6:7], 0
	s_mov_b64 s[10:11], -1
.LBB47_2412:
	s_andn2_b64 vcc, exec, s[6:7]
	s_mov_b64 s[6:7], 0
	s_cbranch_vccnz .LBB47_2423
; %bb.2413:
	s_cmp_gt_i32 s18, 14
	s_cbranch_scc0 .LBB47_2416
; %bb.2414:
	s_cmp_eq_u32 s18, 15
	s_cbranch_scc0 .LBB47_2419
; %bb.2415:
	global_load_ushort v1, v[19:20], off
	s_mov_b64 s[2:3], 0
	s_mov_b64 s[10:11], -1
	s_waitcnt vmcnt(0)
	v_lshlrev_b32_e32 v1, 16, v1
	v_cvt_i32_f32_e32 v13, v1
	s_branch .LBB47_2420
.LBB47_2416:
	s_mov_b64 s[16:17], -1
                                        ; implicit-def: $vgpr13
	s_branch .LBB47_2421
.LBB47_2417:
	s_andn2_saveexec_b64 s[6:7], s[6:7]
	s_cbranch_execz .LBB47_2398
.LBB47_2418:
	v_cmp_ne_u16_e32 vcc, 0, v1
	s_andn2_b64 s[10:11], s[10:11], exec
	s_and_b64 s[16:17], vcc, exec
	s_or_b64 s[10:11], s[10:11], s[16:17]
	s_or_b64 exec, exec, s[6:7]
	v_mov_b32_e32 v13, 0
	s_and_saveexec_b64 s[6:7], s[10:11]
	s_cbranch_execnz .LBB47_2399
	s_branch .LBB47_2400
.LBB47_2419:
	s_mov_b64 s[2:3], -1
                                        ; implicit-def: $vgpr13
.LBB47_2420:
	s_mov_b64 s[16:17], 0
.LBB47_2421:
	s_and_b64 vcc, exec, s[16:17]
	s_cbranch_vccz .LBB47_2423
; %bb.2422:
	s_cmp_lg_u32 s18, 11
	s_mov_b64 s[6:7], -1
	s_cselect_b64 s[2:3], -1, 0
.LBB47_2423:
	s_and_b64 vcc, exec, s[2:3]
	s_cbranch_vccnz .LBB47_2488
; %bb.2424:
	s_andn2_b64 vcc, exec, s[6:7]
	s_cbranch_vccnz .LBB47_2426
.LBB47_2425:
	global_load_ubyte v1, v[19:20], off
	s_mov_b64 s[10:11], -1
	s_waitcnt vmcnt(0)
	v_cmp_ne_u16_e32 vcc, 0, v1
	v_cndmask_b32_e64 v13, 0, 1, vcc
.LBB47_2426:
	s_mov_b64 s[2:3], 0
.LBB47_2427:
	s_and_b64 vcc, exec, s[2:3]
	s_cbranch_vccz .LBB47_2476
; %bb.2428:
	s_and_b32 s6, 0xffff, s22
	s_cmp_lt_i32 s6, 5
	s_cbranch_scc1 .LBB47_2433
; %bb.2429:
	s_cmp_lt_i32 s6, 8
	s_cbranch_scc1 .LBB47_2434
; %bb.2430:
	;; [unrolled: 3-line block ×3, first 2 shown]
	s_cmp_gt_i32 s6, 9
	s_cbranch_scc0 .LBB47_2436
; %bb.2432:
	global_load_dwordx2 v[13:14], v[19:20], off
	s_mov_b64 s[2:3], 0
	s_waitcnt vmcnt(0)
	v_cvt_i32_f64_e32 v13, v[13:14]
	s_branch .LBB47_2437
.LBB47_2433:
	s_mov_b64 s[2:3], -1
                                        ; implicit-def: $vgpr13
	s_branch .LBB47_2455
.LBB47_2434:
	s_mov_b64 s[2:3], -1
                                        ; implicit-def: $vgpr13
	s_branch .LBB47_2443
.LBB47_2435:
	s_mov_b64 s[2:3], -1
                                        ; implicit-def: $vgpr13
	s_branch .LBB47_2440
.LBB47_2436:
	s_mov_b64 s[2:3], -1
                                        ; implicit-def: $vgpr13
.LBB47_2437:
	s_andn2_b64 vcc, exec, s[2:3]
	s_cbranch_vccnz .LBB47_2439
; %bb.2438:
	global_load_dword v1, v[19:20], off
	s_waitcnt vmcnt(0)
	v_cvt_i32_f32_e32 v13, v1
.LBB47_2439:
	s_mov_b64 s[2:3], 0
.LBB47_2440:
	s_andn2_b64 vcc, exec, s[2:3]
	s_cbranch_vccnz .LBB47_2442
; %bb.2441:
	global_load_dword v1, v[19:20], off
	s_waitcnt vmcnt(0)
	v_cvt_i16_f16_e32 v13, v1
.LBB47_2442:
	s_mov_b64 s[2:3], 0
.LBB47_2443:
	s_andn2_b64 vcc, exec, s[2:3]
	s_cbranch_vccnz .LBB47_2454
; %bb.2444:
	s_cmp_lt_i32 s6, 6
	s_cbranch_scc1 .LBB47_2447
; %bb.2445:
	s_cmp_gt_i32 s6, 6
	s_cbranch_scc0 .LBB47_2448
; %bb.2446:
	global_load_dwordx2 v[13:14], v[19:20], off
	s_mov_b64 s[2:3], 0
	s_waitcnt vmcnt(0)
	v_cvt_i32_f64_e32 v13, v[13:14]
	s_branch .LBB47_2449
.LBB47_2447:
	s_mov_b64 s[2:3], -1
                                        ; implicit-def: $vgpr13
	s_branch .LBB47_2452
.LBB47_2448:
	s_mov_b64 s[2:3], -1
                                        ; implicit-def: $vgpr13
.LBB47_2449:
	s_andn2_b64 vcc, exec, s[2:3]
	s_cbranch_vccnz .LBB47_2451
; %bb.2450:
	global_load_dword v1, v[19:20], off
	s_waitcnt vmcnt(0)
	v_cvt_i32_f32_e32 v13, v1
.LBB47_2451:
	s_mov_b64 s[2:3], 0
.LBB47_2452:
	s_andn2_b64 vcc, exec, s[2:3]
	s_cbranch_vccnz .LBB47_2454
; %bb.2453:
	global_load_ushort v1, v[19:20], off
	s_waitcnt vmcnt(0)
	v_cvt_i16_f16_e32 v13, v1
.LBB47_2454:
	s_mov_b64 s[2:3], 0
.LBB47_2455:
	s_andn2_b64 vcc, exec, s[2:3]
	s_cbranch_vccnz .LBB47_2475
; %bb.2456:
	s_cmp_lt_i32 s6, 2
	s_cbranch_scc1 .LBB47_2460
; %bb.2457:
	s_cmp_lt_i32 s6, 3
	s_cbranch_scc1 .LBB47_2461
; %bb.2458:
	s_cmp_gt_i32 s6, 3
	s_cbranch_scc0 .LBB47_2462
; %bb.2459:
	global_load_dwordx2 v[13:14], v[19:20], off
	s_mov_b64 s[2:3], 0
	s_branch .LBB47_2463
.LBB47_2460:
	s_mov_b64 s[2:3], -1
                                        ; implicit-def: $vgpr13
	s_branch .LBB47_2469
.LBB47_2461:
	s_mov_b64 s[2:3], -1
                                        ; implicit-def: $vgpr13
	s_branch .LBB47_2466
.LBB47_2462:
	s_mov_b64 s[2:3], -1
                                        ; implicit-def: $vgpr13
.LBB47_2463:
	s_andn2_b64 vcc, exec, s[2:3]
	s_cbranch_vccnz .LBB47_2465
; %bb.2464:
	global_load_dword v13, v[19:20], off
.LBB47_2465:
	s_mov_b64 s[2:3], 0
.LBB47_2466:
	s_andn2_b64 vcc, exec, s[2:3]
	s_cbranch_vccnz .LBB47_2468
; %bb.2467:
	global_load_ushort v13, v[19:20], off
.LBB47_2468:
	s_mov_b64 s[2:3], 0
.LBB47_2469:
	s_andn2_b64 vcc, exec, s[2:3]
	s_cbranch_vccnz .LBB47_2475
; %bb.2470:
	s_cmp_gt_i32 s6, 0
	s_cbranch_scc0 .LBB47_2472
; %bb.2471:
	global_load_ubyte v13, v[19:20], off
	s_mov_b64 s[2:3], 0
	s_branch .LBB47_2473
.LBB47_2472:
	s_mov_b64 s[2:3], -1
                                        ; implicit-def: $vgpr13
.LBB47_2473:
	s_andn2_b64 vcc, exec, s[2:3]
	s_cbranch_vccnz .LBB47_2475
; %bb.2474:
	global_load_ubyte v13, v[19:20], off
.LBB47_2475:
	s_mov_b64 s[10:11], -1
.LBB47_2476:
	s_andn2_b64 vcc, exec, s[10:11]
	s_cbranch_vccnz .LBB47_3036
; %bb.2477:
	v_mov_b32_e32 v1, s1
	v_add_co_u32_e32 v19, vcc, s0, v9
	s_cmp_lt_i32 s21, 11
	v_addc_co_u32_e32 v20, vcc, 0, v1, vcc
	s_cbranch_scc1 .LBB47_2484
; %bb.2478:
	s_cmp_gt_i32 s21, 25
	s_mov_b64 s[2:3], 0
	s_cbranch_scc0 .LBB47_2485
; %bb.2479:
	s_cmp_gt_i32 s21, 28
	s_cbranch_scc0 .LBB47_2486
; %bb.2480:
	s_cmp_gt_i32 s21, 43
	;; [unrolled: 3-line block ×3, first 2 shown]
	s_cbranch_scc0 .LBB47_2489
; %bb.2482:
	s_cmp_eq_u32 s21, 46
	s_mov_b64 s[10:11], 0
	s_cbranch_scc0 .LBB47_2490
; %bb.2483:
	global_load_dword v1, v[19:20], off
	s_mov_b64 s[0:1], 0
	s_mov_b64 s[6:7], -1
	s_waitcnt vmcnt(0)
	v_lshlrev_b32_e32 v1, 16, v1
	v_cvt_i32_f32_e32 v8, v1
	s_branch .LBB47_2491
.LBB47_2484:
	s_mov_b64 s[0:1], -1
	s_mov_b64 s[6:7], 0
                                        ; implicit-def: $vgpr8
	s_branch .LBB47_2553
.LBB47_2485:
	s_mov_b64 s[10:11], -1
	s_mov_b64 s[6:7], 0
	s_mov_b64 s[0:1], 0
                                        ; implicit-def: $vgpr8
	s_branch .LBB47_2518
.LBB47_2486:
	s_mov_b64 s[10:11], -1
	s_mov_b64 s[6:7], 0
	s_mov_b64 s[0:1], 0
                                        ; implicit-def: $vgpr8
	s_branch .LBB47_2501
.LBB47_2487:
	s_mov_b64 s[10:11], -1
	s_mov_b64 s[6:7], 0
	s_mov_b64 s[0:1], 0
                                        ; implicit-def: $vgpr8
	s_branch .LBB47_2496
.LBB47_2488:
	s_trap 2
	s_or_b64 s[4:5], s[4:5], exec
	s_cbranch_execz .LBB47_2425
	s_branch .LBB47_2426
.LBB47_2489:
	s_mov_b64 s[10:11], -1
	s_mov_b64 s[6:7], 0
	s_mov_b64 s[0:1], 0
                                        ; implicit-def: $vgpr8
	s_branch .LBB47_2491
.LBB47_2490:
	s_mov_b64 s[0:1], -1
                                        ; implicit-def: $vgpr8
	s_mov_b64 s[6:7], 0
.LBB47_2491:
	s_and_b64 vcc, exec, s[10:11]
	s_cbranch_vccz .LBB47_2495
; %bb.2492:
	s_cmp_eq_u32 s21, 44
	s_cbranch_scc0 .LBB47_2494
; %bb.2493:
	global_load_ubyte v1, v[19:20], off
	s_mov_b64 s[0:1], 0
	s_mov_b64 s[6:7], -1
	s_waitcnt vmcnt(0)
	v_lshlrev_b32_e32 v3, 23, v1
	v_cvt_i32_f32_e32 v3, v3
	v_cmp_ne_u32_e32 vcc, 0, v1
	v_cndmask_b32_e32 v8, 0, v3, vcc
	s_branch .LBB47_2495
.LBB47_2494:
	s_mov_b64 s[0:1], -1
                                        ; implicit-def: $vgpr8
.LBB47_2495:
	s_mov_b64 s[10:11], 0
.LBB47_2496:
	s_and_b64 vcc, exec, s[10:11]
	s_cbranch_vccz .LBB47_2500
; %bb.2497:
	s_cmp_eq_u32 s21, 29
	s_cbranch_scc0 .LBB47_2499
; %bb.2498:
	global_load_dwordx2 v[8:9], v[19:20], off
	s_mov_b64 s[0:1], 0
	s_mov_b64 s[6:7], -1
	s_branch .LBB47_2500
.LBB47_2499:
	s_mov_b64 s[0:1], -1
                                        ; implicit-def: $vgpr8
.LBB47_2500:
	s_mov_b64 s[10:11], 0
.LBB47_2501:
	s_and_b64 vcc, exec, s[10:11]
	s_cbranch_vccz .LBB47_2517
; %bb.2502:
	s_cmp_lt_i32 s21, 27
	s_cbranch_scc1 .LBB47_2505
; %bb.2503:
	s_cmp_gt_i32 s21, 27
	s_cbranch_scc0 .LBB47_2506
; %bb.2504:
	global_load_dword v8, v[19:20], off
	s_mov_b64 s[6:7], 0
	s_branch .LBB47_2507
.LBB47_2505:
	s_mov_b64 s[6:7], -1
                                        ; implicit-def: $vgpr8
	s_branch .LBB47_2510
.LBB47_2506:
	s_mov_b64 s[6:7], -1
                                        ; implicit-def: $vgpr8
.LBB47_2507:
	s_andn2_b64 vcc, exec, s[6:7]
	s_cbranch_vccnz .LBB47_2509
; %bb.2508:
	global_load_ushort v8, v[19:20], off
.LBB47_2509:
	s_mov_b64 s[6:7], 0
.LBB47_2510:
	s_andn2_b64 vcc, exec, s[6:7]
	s_cbranch_vccnz .LBB47_2516
; %bb.2511:
	global_load_ubyte v1, v[19:20], off
	s_movk_i32 s6, 0x7f
	s_mov_b64 s[10:11], 0
	s_waitcnt vmcnt(0)
	v_cmp_lt_i16_e32 vcc, s6, v1
	s_and_saveexec_b64 s[6:7], vcc
	s_xor_b64 s[6:7], exec, s[6:7]
	s_cbranch_execz .LBB47_2528
; %bb.2512:
	s_movk_i32 s10, 0x80
	v_cmp_ne_u16_e32 vcc, s10, v1
	s_and_b64 s[10:11], vcc, exec
	s_andn2_saveexec_b64 s[6:7], s[6:7]
	s_cbranch_execnz .LBB47_2529
.LBB47_2513:
	s_or_b64 exec, exec, s[6:7]
	v_mov_b32_e32 v8, 0
	s_and_saveexec_b64 s[6:7], s[10:11]
	s_cbranch_execz .LBB47_2515
.LBB47_2514:
	v_lshlrev_b32_e32 v3, 24, v1
	v_and_b32_e32 v1, 0xffff, v1
	v_and_b32_e32 v5, 7, v1
	v_ffbh_u32_e32 v9, v5
	v_min_u32_e32 v9, 32, v9
	v_subrev_u32_e32 v11, 28, v9
	v_bfe_u32 v8, v1, 3, 4
	v_lshlrev_b32_e32 v1, v11, v1
	v_sub_u32_e32 v9, 29, v9
	v_and_b32_e32 v1, 7, v1
	v_cmp_eq_u32_e32 vcc, 0, v8
	v_cndmask_b32_e32 v8, v8, v9, vcc
	v_cndmask_b32_e32 v1, v5, v1, vcc
	v_mov_b32_e32 v5, 0x3b800000
	v_lshlrev_b32_e32 v1, 20, v1
	v_and_b32_e32 v3, 0x80000000, v3
	v_lshl_add_u32 v5, v8, 23, v5
	v_or3_b32 v1, v3, v5, v1
	v_cvt_i32_f32_e32 v8, v1
.LBB47_2515:
	s_or_b64 exec, exec, s[6:7]
.LBB47_2516:
	s_mov_b64 s[6:7], -1
.LBB47_2517:
	s_mov_b64 s[10:11], 0
.LBB47_2518:
	s_and_b64 vcc, exec, s[10:11]
	s_cbranch_vccz .LBB47_2549
; %bb.2519:
	s_cmp_gt_i32 s21, 22
	s_cbranch_scc0 .LBB47_2527
; %bb.2520:
	s_cmp_lt_i32 s21, 24
	s_cbranch_scc1 .LBB47_2530
; %bb.2521:
	s_cmp_gt_i32 s21, 24
	s_cbranch_scc0 .LBB47_2531
; %bb.2522:
	global_load_ubyte v1, v[19:20], off
	s_movk_i32 s2, 0x7f
	s_mov_b64 s[6:7], 0
	s_waitcnt vmcnt(0)
	v_cmp_lt_i16_e32 vcc, s2, v1
	s_and_saveexec_b64 s[2:3], vcc
	s_xor_b64 s[2:3], exec, s[2:3]
	s_cbranch_execz .LBB47_2543
; %bb.2523:
	s_movk_i32 s6, 0x80
	v_cmp_ne_u16_e32 vcc, s6, v1
	s_and_b64 s[6:7], vcc, exec
	s_andn2_saveexec_b64 s[2:3], s[2:3]
	s_cbranch_execnz .LBB47_2544
.LBB47_2524:
	s_or_b64 exec, exec, s[2:3]
	v_mov_b32_e32 v8, 0
	s_and_saveexec_b64 s[2:3], s[6:7]
	s_cbranch_execz .LBB47_2526
.LBB47_2525:
	v_lshlrev_b32_e32 v3, 24, v1
	v_and_b32_e32 v1, 0xffff, v1
	v_and_b32_e32 v5, 3, v1
	v_ffbh_u32_e32 v9, v5
	v_min_u32_e32 v9, 32, v9
	v_subrev_u32_e32 v11, 29, v9
	v_bfe_u32 v8, v1, 2, 5
	v_lshlrev_b32_e32 v1, v11, v1
	v_sub_u32_e32 v9, 30, v9
	v_and_b32_e32 v1, 3, v1
	v_cmp_eq_u32_e32 vcc, 0, v8
	v_cndmask_b32_e32 v8, v8, v9, vcc
	v_cndmask_b32_e32 v1, v5, v1, vcc
	v_mov_b32_e32 v5, 0x37800000
	v_lshlrev_b32_e32 v1, 21, v1
	v_and_b32_e32 v3, 0x80000000, v3
	v_lshl_add_u32 v5, v8, 23, v5
	v_or3_b32 v1, v3, v5, v1
	v_cvt_i32_f32_e32 v8, v1
.LBB47_2526:
	s_or_b64 exec, exec, s[2:3]
	s_mov_b64 s[2:3], 0
	s_branch .LBB47_2532
.LBB47_2527:
	s_mov_b64 s[2:3], -1
                                        ; implicit-def: $vgpr8
	s_branch .LBB47_2538
.LBB47_2528:
	s_andn2_saveexec_b64 s[6:7], s[6:7]
	s_cbranch_execz .LBB47_2513
.LBB47_2529:
	v_cmp_ne_u16_e32 vcc, 0, v1
	s_andn2_b64 s[10:11], s[10:11], exec
	s_and_b64 s[16:17], vcc, exec
	s_or_b64 s[10:11], s[10:11], s[16:17]
	s_or_b64 exec, exec, s[6:7]
	v_mov_b32_e32 v8, 0
	s_and_saveexec_b64 s[6:7], s[10:11]
	s_cbranch_execnz .LBB47_2514
	s_branch .LBB47_2515
.LBB47_2530:
	s_mov_b64 s[2:3], -1
                                        ; implicit-def: $vgpr8
	s_branch .LBB47_2535
.LBB47_2531:
	s_mov_b64 s[2:3], -1
                                        ; implicit-def: $vgpr8
.LBB47_2532:
	s_and_b64 vcc, exec, s[2:3]
	s_cbranch_vccz .LBB47_2534
; %bb.2533:
	global_load_ubyte v1, v[19:20], off
	s_mov_b32 s2, 0x7f800000
	s_waitcnt vmcnt(0)
	v_lshlrev_b32_e32 v1, 24, v1
	v_and_b32_e32 v3, 0x7f000000, v1
	v_ffbh_u32_e32 v5, v3
	v_min_u32_e32 v5, 32, v5
	v_sub_u32_e64 v5, v5, 4 clamp
	v_lshlrev_b32_e32 v9, v5, v3
	v_lshlrev_b32_e32 v5, 23, v5
	v_lshrrev_b32_e32 v9, 4, v9
	v_add_u32_e32 v8, 0x1000000, v3
	v_sub_u32_e32 v5, v9, v5
	v_ashrrev_i32_e32 v8, 8, v8
	v_add_u32_e32 v5, 0x3c000000, v5
	v_and_or_b32 v5, v8, s2, v5
	v_cmp_ne_u32_e32 vcc, 0, v3
	v_cndmask_b32_e32 v3, 0, v5, vcc
	s_brev_b32 s2, 1
	v_and_or_b32 v1, v1, s2, v3
	v_cvt_i32_f32_e32 v8, v1
.LBB47_2534:
	s_mov_b64 s[2:3], 0
.LBB47_2535:
	s_andn2_b64 vcc, exec, s[2:3]
	s_cbranch_vccnz .LBB47_2537
; %bb.2536:
	global_load_ubyte v1, v[19:20], off
	s_movk_i32 s2, 0x7f00
	s_brev_b32 s3, 16
	s_waitcnt vmcnt(0)
	v_lshlrev_b16_e32 v3, 8, v1
	v_lshlrev_b32_e32 v1, 25, v1
	v_lshrrev_b32_e32 v5, 4, v1
	v_and_or_b32 v8, v3, s2, 0.5
	v_or_b32_e32 v5, 0x70000000, v5
	v_add_f32_e32 v8, -0.5, v8
	v_mul_f32_e32 v5, 0x7800000, v5
	v_cmp_gt_u32_e32 vcc, s3, v1
	v_bfe_i32 v3, v3, 0, 16
	v_cndmask_b32_e32 v1, v5, v8, vcc
	s_brev_b32 s2, 1
	v_and_or_b32 v1, v3, s2, v1
	v_cvt_i32_f32_e32 v8, v1
.LBB47_2537:
	s_mov_b64 s[2:3], 0
	s_mov_b64 s[6:7], -1
.LBB47_2538:
	s_andn2_b64 vcc, exec, s[2:3]
	s_mov_b64 s[2:3], 0
	s_cbranch_vccnz .LBB47_2549
; %bb.2539:
	s_cmp_gt_i32 s21, 14
	s_cbranch_scc0 .LBB47_2542
; %bb.2540:
	s_cmp_eq_u32 s21, 15
	s_cbranch_scc0 .LBB47_2545
; %bb.2541:
	global_load_ushort v1, v[19:20], off
	s_mov_b64 s[0:1], 0
	s_mov_b64 s[6:7], -1
	s_waitcnt vmcnt(0)
	v_lshlrev_b32_e32 v1, 16, v1
	v_cvt_i32_f32_e32 v8, v1
	s_branch .LBB47_2546
.LBB47_2542:
	s_mov_b64 s[10:11], -1
                                        ; implicit-def: $vgpr8
	s_branch .LBB47_2547
.LBB47_2543:
	s_andn2_saveexec_b64 s[2:3], s[2:3]
	s_cbranch_execz .LBB47_2524
.LBB47_2544:
	v_cmp_ne_u16_e32 vcc, 0, v1
	s_andn2_b64 s[6:7], s[6:7], exec
	s_and_b64 s[10:11], vcc, exec
	s_or_b64 s[6:7], s[6:7], s[10:11]
	s_or_b64 exec, exec, s[2:3]
	v_mov_b32_e32 v8, 0
	s_and_saveexec_b64 s[2:3], s[6:7]
	s_cbranch_execnz .LBB47_2525
	s_branch .LBB47_2526
.LBB47_2545:
	s_mov_b64 s[0:1], -1
                                        ; implicit-def: $vgpr8
.LBB47_2546:
	s_mov_b64 s[10:11], 0
.LBB47_2547:
	s_and_b64 vcc, exec, s[10:11]
	s_cbranch_vccz .LBB47_2549
; %bb.2548:
	s_cmp_lg_u32 s21, 11
	s_mov_b64 s[2:3], -1
	s_cselect_b64 s[0:1], -1, 0
.LBB47_2549:
	s_and_b64 vcc, exec, s[0:1]
	s_cbranch_vccnz .LBB47_3082
; %bb.2550:
	s_andn2_b64 vcc, exec, s[2:3]
	s_cbranch_vccnz .LBB47_2552
.LBB47_2551:
	global_load_ubyte v1, v[19:20], off
	s_mov_b64 s[6:7], -1
	s_waitcnt vmcnt(0)
	v_cmp_ne_u16_e32 vcc, 0, v1
	v_cndmask_b32_e64 v8, 0, 1, vcc
.LBB47_2552:
	s_mov_b64 s[0:1], 0
.LBB47_2553:
	s_and_b64 vcc, exec, s[0:1]
	s_cbranch_vccz .LBB47_2602
; %bb.2554:
	s_cmp_lt_i32 s21, 5
	s_cbranch_scc1 .LBB47_2559
; %bb.2555:
	s_cmp_lt_i32 s21, 8
	s_cbranch_scc1 .LBB47_2560
	;; [unrolled: 3-line block ×3, first 2 shown]
; %bb.2557:
	s_cmp_gt_i32 s21, 9
	s_cbranch_scc0 .LBB47_2562
; %bb.2558:
	global_load_dwordx2 v[8:9], v[19:20], off
	s_mov_b64 s[0:1], 0
	s_waitcnt vmcnt(0)
	v_cvt_i32_f64_e32 v8, v[8:9]
	s_branch .LBB47_2563
.LBB47_2559:
	s_mov_b64 s[0:1], -1
                                        ; implicit-def: $vgpr8
	s_branch .LBB47_2581
.LBB47_2560:
	s_mov_b64 s[0:1], -1
                                        ; implicit-def: $vgpr8
	s_branch .LBB47_2569
.LBB47_2561:
	s_mov_b64 s[0:1], -1
                                        ; implicit-def: $vgpr8
	s_branch .LBB47_2566
.LBB47_2562:
	s_mov_b64 s[0:1], -1
                                        ; implicit-def: $vgpr8
.LBB47_2563:
	s_andn2_b64 vcc, exec, s[0:1]
	s_cbranch_vccnz .LBB47_2565
; %bb.2564:
	global_load_dword v1, v[19:20], off
	s_waitcnt vmcnt(0)
	v_cvt_i32_f32_e32 v8, v1
.LBB47_2565:
	s_mov_b64 s[0:1], 0
.LBB47_2566:
	s_andn2_b64 vcc, exec, s[0:1]
	s_cbranch_vccnz .LBB47_2568
; %bb.2567:
	global_load_dword v1, v[19:20], off
	s_waitcnt vmcnt(0)
	v_cvt_i16_f16_e32 v8, v1
.LBB47_2568:
	s_mov_b64 s[0:1], 0
.LBB47_2569:
	s_andn2_b64 vcc, exec, s[0:1]
	s_cbranch_vccnz .LBB47_2580
; %bb.2570:
	s_cmp_lt_i32 s21, 6
	s_cbranch_scc1 .LBB47_2573
; %bb.2571:
	s_cmp_gt_i32 s21, 6
	s_cbranch_scc0 .LBB47_2574
; %bb.2572:
	global_load_dwordx2 v[8:9], v[19:20], off
	s_mov_b64 s[0:1], 0
	s_waitcnt vmcnt(0)
	v_cvt_i32_f64_e32 v8, v[8:9]
	s_branch .LBB47_2575
.LBB47_2573:
	s_mov_b64 s[0:1], -1
                                        ; implicit-def: $vgpr8
	s_branch .LBB47_2578
.LBB47_2574:
	s_mov_b64 s[0:1], -1
                                        ; implicit-def: $vgpr8
.LBB47_2575:
	s_andn2_b64 vcc, exec, s[0:1]
	s_cbranch_vccnz .LBB47_2577
; %bb.2576:
	global_load_dword v1, v[19:20], off
	s_waitcnt vmcnt(0)
	v_cvt_i32_f32_e32 v8, v1
.LBB47_2577:
	s_mov_b64 s[0:1], 0
.LBB47_2578:
	s_andn2_b64 vcc, exec, s[0:1]
	s_cbranch_vccnz .LBB47_2580
; %bb.2579:
	global_load_ushort v1, v[19:20], off
	s_waitcnt vmcnt(0)
	v_cvt_i16_f16_e32 v8, v1
.LBB47_2580:
	s_mov_b64 s[0:1], 0
.LBB47_2581:
	s_andn2_b64 vcc, exec, s[0:1]
	s_cbranch_vccnz .LBB47_2601
; %bb.2582:
	s_cmp_lt_i32 s21, 2
	s_cbranch_scc1 .LBB47_2586
; %bb.2583:
	s_cmp_lt_i32 s21, 3
	s_cbranch_scc1 .LBB47_2587
; %bb.2584:
	s_cmp_gt_i32 s21, 3
	s_cbranch_scc0 .LBB47_2588
; %bb.2585:
	global_load_dwordx2 v[8:9], v[19:20], off
	s_mov_b64 s[0:1], 0
	s_branch .LBB47_2589
.LBB47_2586:
	s_mov_b64 s[0:1], -1
                                        ; implicit-def: $vgpr8
	s_branch .LBB47_2595
.LBB47_2587:
	s_mov_b64 s[0:1], -1
                                        ; implicit-def: $vgpr8
	s_branch .LBB47_2592
.LBB47_2588:
	s_mov_b64 s[0:1], -1
                                        ; implicit-def: $vgpr8
.LBB47_2589:
	s_andn2_b64 vcc, exec, s[0:1]
	s_cbranch_vccnz .LBB47_2591
; %bb.2590:
	global_load_dword v8, v[19:20], off
.LBB47_2591:
	s_mov_b64 s[0:1], 0
.LBB47_2592:
	s_andn2_b64 vcc, exec, s[0:1]
	s_cbranch_vccnz .LBB47_2594
; %bb.2593:
	global_load_ushort v8, v[19:20], off
.LBB47_2594:
	s_mov_b64 s[0:1], 0
.LBB47_2595:
	s_andn2_b64 vcc, exec, s[0:1]
	s_cbranch_vccnz .LBB47_2601
; %bb.2596:
	s_cmp_gt_i32 s21, 0
	s_cbranch_scc0 .LBB47_2598
; %bb.2597:
	global_load_ubyte v8, v[19:20], off
	s_mov_b64 s[0:1], 0
	s_branch .LBB47_2599
.LBB47_2598:
	s_mov_b64 s[0:1], -1
                                        ; implicit-def: $vgpr8
.LBB47_2599:
	s_andn2_b64 vcc, exec, s[0:1]
	s_cbranch_vccnz .LBB47_2601
; %bb.2600:
	global_load_ubyte v8, v[19:20], off
.LBB47_2601:
	s_mov_b64 s[6:7], -1
.LBB47_2602:
	s_andn2_b64 vcc, exec, s[6:7]
	s_cbranch_vccnz .LBB47_3036
; %bb.2603:
	v_mov_b32_e32 v3, 8
	v_lshlrev_b32_e32 v1, v12, v7
	v_cmp_lt_u16_sdwa vcc, v12, v3 src0_sel:BYTE_0 src1_sel:DWORD
	s_bfe_u32 s18, s20, 0x80008
	v_cndmask_b32_e32 v1, 0, v1, vcc
	v_mov_b32_e32 v3, s9
	v_add_co_u32_e32 v5, vcc, s8, v6
	s_cmp_lt_i32 s18, 11
	v_addc_co_u32_e32 v6, vcc, 0, v3, vcc
	s_cbranch_scc1 .LBB47_2681
; %bb.2604:
	s_and_b32 s19, 0xffff, s18
	s_mov_b64 s[10:11], -1
	s_mov_b64 s[2:3], 0
	s_cmp_gt_i32 s19, 25
	s_mov_b64 s[6:7], 0
	s_mov_b64 s[0:1], 0
	s_cbranch_scc0 .LBB47_2637
; %bb.2605:
	s_cmp_gt_i32 s19, 28
	s_cbranch_scc0 .LBB47_2620
; %bb.2606:
	s_cmp_gt_i32 s19, 43
	;; [unrolled: 3-line block ×3, first 2 shown]
	s_cbranch_scc0 .LBB47_2610
; %bb.2608:
	s_mov_b64 s[0:1], -1
	s_mov_b64 s[10:11], 0
	s_cmp_eq_u32 s19, 46
	s_cbranch_scc0 .LBB47_2610
; %bb.2609:
	v_bfe_i32 v3, v1, 0, 8
	v_cvt_f32_i32_sdwa v3, sext(v3) dst_sel:DWORD dst_unused:UNUSED_PAD src0_sel:WORD_0
	s_movk_i32 s6, 0x7fff
	s_mov_b64 s[0:1], 0
	v_bfe_u32 v7, v3, 16, 1
	v_add3_u32 v3, v3, v7, s6
	v_lshrrev_b32_e32 v3, 16, v3
	global_store_dword v[5:6], v3, off
	s_mov_b64 s[6:7], -1
.LBB47_2610:
	s_and_b64 vcc, exec, s[10:11]
	s_cbranch_vccz .LBB47_2615
; %bb.2611:
	s_cmp_eq_u32 s19, 44
	s_mov_b64 s[0:1], -1
	s_cbranch_scc0 .LBB47_2615
; %bb.2612:
	v_bfe_i32 v3, v1, 0, 8
	v_cvt_f32_i32_sdwa v3, sext(v3) dst_sel:DWORD dst_unused:UNUSED_PAD src0_sel:WORD_0
	s_movk_i32 s0, 0xff
	s_waitcnt vmcnt(0)
	v_mov_b32_e32 v9, 0xff
	v_bfe_u32 v7, v3, 23, 8
	v_cmp_ne_u32_e32 vcc, s0, v7
	s_and_saveexec_b64 s[6:7], vcc
; %bb.2613:
	s_mov_b32 s0, 0x3fffff
	v_lshrrev_b32_e32 v9, 23, v3
	v_and_b32_e32 v11, 0x400000, v3
	v_and_or_b32 v3, v3, s0, v7
	v_cmp_ne_u32_e32 vcc, 0, v11
	v_cmp_ne_u32_e64 s[0:1], 0, v3
	s_and_b64 s[0:1], vcc, s[0:1]
	v_cndmask_b32_e64 v3, 0, 1, s[0:1]
	v_add_u32_e32 v9, v9, v3
; %bb.2614:
	s_or_b64 exec, exec, s[6:7]
	s_mov_b64 s[0:1], 0
	s_mov_b64 s[6:7], -1
	global_store_byte v[5:6], v9, off
.LBB47_2615:
	s_mov_b64 s[10:11], 0
.LBB47_2616:
	s_and_b64 vcc, exec, s[10:11]
	s_cbranch_vccz .LBB47_2619
; %bb.2617:
	s_cmp_eq_u32 s19, 29
	s_mov_b64 s[0:1], -1
	s_cbranch_scc0 .LBB47_2619
; %bb.2618:
	v_bfe_i32 v11, v1, 0, 8
	v_ashrrev_i32_e32 v12, 31, v11
	global_store_dwordx2 v[5:6], v[11:12], off
	s_mov_b64 s[0:1], 0
	s_mov_b64 s[6:7], -1
.LBB47_2619:
	s_mov_b64 s[10:11], 0
.LBB47_2620:
	s_and_b64 vcc, exec, s[10:11]
	s_cbranch_vccz .LBB47_2636
; %bb.2621:
	s_cmp_lt_i32 s19, 27
	s_mov_b64 s[6:7], -1
	s_cbranch_scc1 .LBB47_2627
; %bb.2622:
	s_cmp_gt_i32 s19, 27
	s_cbranch_scc0 .LBB47_2624
; %bb.2623:
	v_bfe_i32 v3, v1, 0, 8
	s_mov_b64 s[6:7], 0
	global_store_dword v[5:6], v3, off
.LBB47_2624:
	s_andn2_b64 vcc, exec, s[6:7]
	s_cbranch_vccnz .LBB47_2626
; %bb.2625:
	v_bfe_i32 v3, v1, 0, 8
	global_store_short v[5:6], v3, off
.LBB47_2626:
	s_mov_b64 s[6:7], 0
.LBB47_2627:
	s_andn2_b64 vcc, exec, s[6:7]
	s_cbranch_vccnz .LBB47_2635
; %bb.2628:
	v_bfe_i32 v3, v1, 0, 8
	v_cvt_f32_i32_sdwa v3, sext(v3) dst_sel:DWORD dst_unused:UNUSED_PAD src0_sel:WORD_0
	s_mov_b32 s6, 0x43800000
	s_waitcnt vmcnt(0)
	v_mov_b32_e32 v9, 0x80
	v_and_b32_e32 v7, 0x7fffffff, v3
	v_cmp_gt_u32_e32 vcc, s6, v7
	s_and_saveexec_b64 s[6:7], vcc
	s_cbranch_execz .LBB47_2634
; %bb.2629:
	s_mov_b32 s10, 0x3bffffff
	v_cmp_lt_u32_e32 vcc, s10, v7
	s_mov_b64 s[10:11], 0
                                        ; implicit-def: $vgpr7
	s_and_saveexec_b64 s[16:17], vcc
	s_xor_b64 s[16:17], exec, s[16:17]
	s_cbranch_execz .LBB47_3083
; %bb.2630:
	v_bfe_u32 v7, v3, 20, 1
	s_mov_b32 s21, 0x487ffff
	v_add3_u32 v7, v3, v7, s21
	s_mov_b64 s[10:11], exec
	v_lshrrev_b32_e32 v7, 20, v7
	s_andn2_saveexec_b64 s[16:17], s[16:17]
	s_cbranch_execnz .LBB47_3084
.LBB47_2631:
	s_or_b64 exec, exec, s[16:17]
	v_mov_b32_e32 v9, 0
	s_and_saveexec_b64 s[16:17], s[10:11]
.LBB47_2632:
	v_lshrrev_b32_e32 v3, 24, v3
	s_movk_i32 s10, 0x80
	v_and_or_b32 v9, v3, s10, v7
.LBB47_2633:
	s_or_b64 exec, exec, s[16:17]
.LBB47_2634:
	s_or_b64 exec, exec, s[6:7]
	global_store_byte v[5:6], v9, off
.LBB47_2635:
	s_mov_b64 s[6:7], -1
.LBB47_2636:
	s_mov_b64 s[10:11], 0
.LBB47_2637:
	s_and_b64 vcc, exec, s[10:11]
	s_cbranch_vccz .LBB47_2677
; %bb.2638:
	s_cmp_gt_i32 s19, 22
	s_mov_b64 s[2:3], -1
	s_cbranch_scc0 .LBB47_2670
; %bb.2639:
	s_cmp_lt_i32 s19, 24
	s_cbranch_scc1 .LBB47_2659
; %bb.2640:
	s_cmp_gt_i32 s19, 24
	s_cbranch_scc0 .LBB47_2648
; %bb.2641:
	v_bfe_i32 v3, v1, 0, 8
	v_cvt_f32_i32_sdwa v3, sext(v3) dst_sel:DWORD dst_unused:UNUSED_PAD src0_sel:WORD_0
	s_mov_b32 s2, 0x47800000
	s_waitcnt vmcnt(0)
	v_mov_b32_e32 v9, 0x80
	v_and_b32_e32 v7, 0x7fffffff, v3
	v_cmp_gt_u32_e32 vcc, s2, v7
	s_and_saveexec_b64 s[2:3], vcc
	s_cbranch_execz .LBB47_2647
; %bb.2642:
	s_mov_b32 s6, 0x37ffffff
	v_cmp_lt_u32_e32 vcc, s6, v7
	s_mov_b64 s[6:7], 0
                                        ; implicit-def: $vgpr7
	s_and_saveexec_b64 s[10:11], vcc
	s_xor_b64 s[10:11], exec, s[10:11]
	s_cbranch_execz .LBB47_3086
; %bb.2643:
	v_bfe_u32 v7, v3, 21, 1
	s_mov_b32 s16, 0x88fffff
	v_add3_u32 v7, v3, v7, s16
	s_mov_b64 s[6:7], exec
	v_lshrrev_b32_e32 v7, 21, v7
	s_andn2_saveexec_b64 s[10:11], s[10:11]
	s_cbranch_execnz .LBB47_3087
.LBB47_2644:
	s_or_b64 exec, exec, s[10:11]
	v_mov_b32_e32 v9, 0
	s_and_saveexec_b64 s[10:11], s[6:7]
.LBB47_2645:
	v_lshrrev_b32_e32 v3, 24, v3
	s_movk_i32 s6, 0x80
	v_and_or_b32 v9, v3, s6, v7
.LBB47_2646:
	s_or_b64 exec, exec, s[10:11]
.LBB47_2647:
	s_or_b64 exec, exec, s[2:3]
	s_mov_b64 s[2:3], 0
	global_store_byte v[5:6], v9, off
.LBB47_2648:
	s_and_b64 vcc, exec, s[2:3]
	s_cbranch_vccz .LBB47_2658
; %bb.2649:
	v_bfe_i32 v3, v1, 0, 8
	v_cvt_f32_i32_sdwa v3, sext(v3) dst_sel:DWORD dst_unused:UNUSED_PAD src0_sel:WORD_0
	s_mov_b32 s2, 0x43f00000
                                        ; implicit-def: $vgpr7
	s_waitcnt vmcnt(0)
	v_and_b32_e32 v9, 0x7fffffff, v3
	v_cmp_gt_u32_e32 vcc, s2, v9
	s_and_saveexec_b64 s[2:3], vcc
	s_xor_b64 s[2:3], exec, s[2:3]
	s_cbranch_execz .LBB47_2655
; %bb.2650:
	s_mov_b32 s6, 0x3c7fffff
	v_cmp_lt_u32_e32 vcc, s6, v9
                                        ; implicit-def: $vgpr7
	s_and_saveexec_b64 s[6:7], vcc
	s_xor_b64 s[6:7], exec, s[6:7]
; %bb.2651:
	v_bfe_u32 v7, v3, 20, 1
	s_mov_b32 s10, 0x407ffff
	v_add3_u32 v7, v3, v7, s10
	v_lshrrev_b32_e32 v9, 20, v7
	v_and_b32_e32 v7, 0xff00000, v7
	s_mov_b32 s10, 0x7f00000
	v_mov_b32_e32 v11, 0x7e
	v_cmp_ne_u32_e32 vcc, s10, v7
	v_cndmask_b32_e32 v7, v11, v9, vcc
; %bb.2652:
	s_andn2_saveexec_b64 s[6:7], s[6:7]
; %bb.2653:
	s_mov_b32 s10, 0x46800000
	v_add_f32_e64 v7, |v3|, s10
; %bb.2654:
	s_or_b64 exec, exec, s[6:7]
                                        ; implicit-def: $vgpr9
.LBB47_2655:
	s_andn2_saveexec_b64 s[2:3], s[2:3]
; %bb.2656:
	s_mov_b32 s6, 0x7f800000
	v_mov_b32_e32 v7, 0x7e
	v_mov_b32_e32 v11, 0x7f
	v_cmp_lt_u32_e32 vcc, s6, v9
	v_cndmask_b32_e32 v7, v7, v11, vcc
; %bb.2657:
	s_or_b64 exec, exec, s[2:3]
	v_lshrrev_b32_e32 v3, 24, v3
	s_movk_i32 s2, 0x80
	v_and_or_b32 v3, v3, s2, v7
	global_store_byte v[5:6], v3, off
.LBB47_2658:
	s_mov_b64 s[2:3], 0
.LBB47_2659:
	s_andn2_b64 vcc, exec, s[2:3]
	s_cbranch_vccnz .LBB47_2669
; %bb.2660:
	v_bfe_i32 v3, v1, 0, 8
	v_cvt_f32_i32_sdwa v3, sext(v3) dst_sel:DWORD dst_unused:UNUSED_PAD src0_sel:WORD_0
	s_mov_b32 s2, 0x47800000
                                        ; implicit-def: $vgpr7
	s_waitcnt vmcnt(0)
	v_and_b32_e32 v9, 0x7fffffff, v3
	v_cmp_gt_u32_e32 vcc, s2, v9
	s_and_saveexec_b64 s[2:3], vcc
	s_xor_b64 s[2:3], exec, s[2:3]
	s_cbranch_execz .LBB47_2666
; %bb.2661:
	s_mov_b32 s6, 0x387fffff
	v_cmp_lt_u32_e32 vcc, s6, v9
                                        ; implicit-def: $vgpr7
	s_and_saveexec_b64 s[6:7], vcc
	s_xor_b64 s[6:7], exec, s[6:7]
; %bb.2662:
	v_bfe_u32 v7, v3, 21, 1
	s_mov_b32 s10, 0x80fffff
	v_add3_u32 v7, v3, v7, s10
	v_lshrrev_b32_e32 v7, 21, v7
; %bb.2663:
	s_andn2_saveexec_b64 s[6:7], s[6:7]
; %bb.2664:
	s_mov_b32 s10, 0x43000000
	v_add_f32_e64 v7, |v3|, s10
; %bb.2665:
	s_or_b64 exec, exec, s[6:7]
                                        ; implicit-def: $vgpr9
.LBB47_2666:
	s_andn2_saveexec_b64 s[2:3], s[2:3]
; %bb.2667:
	s_mov_b32 s6, 0x7f800000
	v_mov_b32_e32 v7, 0x7c
	v_mov_b32_e32 v11, 0x7f
	v_cmp_lt_u32_e32 vcc, s6, v9
	v_cndmask_b32_e32 v7, v7, v11, vcc
; %bb.2668:
	s_or_b64 exec, exec, s[2:3]
	v_lshrrev_b32_e32 v3, 24, v3
	s_movk_i32 s2, 0x80
	v_and_or_b32 v3, v3, s2, v7
	global_store_byte v[5:6], v3, off
.LBB47_2669:
	s_mov_b64 s[2:3], 0
	s_mov_b64 s[6:7], -1
.LBB47_2670:
	s_andn2_b64 vcc, exec, s[2:3]
	s_mov_b64 s[2:3], 0
	s_cbranch_vccnz .LBB47_2677
; %bb.2671:
	s_cmp_gt_i32 s19, 14
	s_mov_b64 s[10:11], -1
	s_cbranch_scc0 .LBB47_2675
; %bb.2672:
	s_cmp_eq_u32 s19, 15
	s_mov_b64 s[0:1], -1
	s_cbranch_scc0 .LBB47_2674
; %bb.2673:
	v_bfe_i32 v3, v1, 0, 8
	v_cvt_f32_i32_sdwa v3, sext(v3) dst_sel:DWORD dst_unused:UNUSED_PAD src0_sel:WORD_0
	s_movk_i32 s2, 0x7fff
	s_mov_b64 s[0:1], 0
	s_mov_b64 s[6:7], -1
	v_bfe_u32 v7, v3, 16, 1
	v_add3_u32 v3, v3, v7, s2
	global_store_short_d16_hi v[5:6], v3, off
.LBB47_2674:
	s_mov_b64 s[10:11], 0
.LBB47_2675:
	s_mov_b64 s[2:3], 0
	s_and_b64 vcc, exec, s[10:11]
	s_cbranch_vccz .LBB47_2677
; %bb.2676:
	s_cmp_lg_u32 s19, 11
	s_mov_b64 s[2:3], -1
	s_cselect_b64 s[0:1], -1, 0
.LBB47_2677:
	s_and_b64 vcc, exec, s[0:1]
	s_cbranch_vccnz .LBB47_3085
; %bb.2678:
	s_andn2_b64 vcc, exec, s[2:3]
	s_cbranch_vccnz .LBB47_2680
.LBB47_2679:
	v_mov_b32_e32 v3, 0
	v_cmp_ne_u16_sdwa s[0:1], v1, v3 src0_sel:BYTE_0 src1_sel:DWORD
	v_cndmask_b32_e64 v3, 0, 1, s[0:1]
	s_mov_b64 s[6:7], -1
	global_store_byte v[5:6], v3, off
.LBB47_2680:
	s_mov_b64 s[0:1], 0
	s_branch .LBB47_2682
.LBB47_2681:
	s_mov_b64 s[0:1], -1
	s_mov_b64 s[6:7], 0
.LBB47_2682:
	s_and_b64 vcc, exec, s[0:1]
	s_cbranch_vccz .LBB47_2721
; %bb.2683:
	s_and_b32 s2, 0xffff, s18
	s_cmp_lt_i32 s2, 5
	s_mov_b64 s[0:1], -1
	s_cbranch_scc1 .LBB47_2704
; %bb.2684:
	s_cmp_lt_i32 s2, 8
	s_cbranch_scc1 .LBB47_2694
; %bb.2685:
	s_cmp_lt_i32 s2, 9
	s_cbranch_scc1 .LBB47_2691
; %bb.2686:
	s_cmp_gt_i32 s2, 9
	s_cbranch_scc0 .LBB47_2688
; %bb.2687:
	v_bfe_i32 v3, v1, 0, 8
	v_bfe_i32 v3, v3, 0, 16
	v_cvt_f64_i32_e32 v[19:20], v3
	v_mov_b32_e32 v21, 0
	v_mov_b32_e32 v22, v21
	s_mov_b64 s[0:1], 0
	global_store_dwordx4 v[5:6], v[19:22], off
.LBB47_2688:
	s_andn2_b64 vcc, exec, s[0:1]
	s_cbranch_vccnz .LBB47_2690
; %bb.2689:
	v_bfe_i32 v3, v1, 0, 8
	v_cvt_f32_i32_sdwa v11, sext(v3) dst_sel:DWORD dst_unused:UNUSED_PAD src0_sel:WORD_0
	v_mov_b32_e32 v12, 0
	global_store_dwordx2 v[5:6], v[11:12], off
.LBB47_2690:
	s_mov_b64 s[0:1], 0
.LBB47_2691:
	s_andn2_b64 vcc, exec, s[0:1]
	s_cbranch_vccnz .LBB47_2693
; %bb.2692:
	v_cvt_f16_i16_sdwa v3, sext(v1) dst_sel:DWORD dst_unused:UNUSED_PAD src0_sel:BYTE_0
	global_store_dword v[5:6], v3, off
.LBB47_2693:
	s_mov_b64 s[0:1], 0
.LBB47_2694:
	s_andn2_b64 vcc, exec, s[0:1]
	s_cbranch_vccnz .LBB47_2703
; %bb.2695:
	s_cmp_lt_i32 s2, 6
	s_mov_b64 s[0:1], -1
	s_cbranch_scc1 .LBB47_2701
; %bb.2696:
	s_cmp_gt_i32 s2, 6
	s_cbranch_scc0 .LBB47_2698
; %bb.2697:
	v_bfe_i32 v3, v1, 0, 8
	v_bfe_i32 v3, v3, 0, 16
	v_cvt_f64_i32_e32 v[11:12], v3
	s_mov_b64 s[0:1], 0
	global_store_dwordx2 v[5:6], v[11:12], off
.LBB47_2698:
	s_andn2_b64 vcc, exec, s[0:1]
	s_cbranch_vccnz .LBB47_2700
; %bb.2699:
	v_bfe_i32 v3, v1, 0, 8
	v_cvt_f32_i32_sdwa v3, sext(v3) dst_sel:DWORD dst_unused:UNUSED_PAD src0_sel:WORD_0
	global_store_dword v[5:6], v3, off
.LBB47_2700:
	s_mov_b64 s[0:1], 0
.LBB47_2701:
	s_andn2_b64 vcc, exec, s[0:1]
	s_cbranch_vccnz .LBB47_2703
; %bb.2702:
	v_cvt_f16_i16_sdwa v3, sext(v1) dst_sel:DWORD dst_unused:UNUSED_PAD src0_sel:BYTE_0
	global_store_short v[5:6], v3, off
.LBB47_2703:
	s_mov_b64 s[0:1], 0
.LBB47_2704:
	s_andn2_b64 vcc, exec, s[0:1]
	s_cbranch_vccnz .LBB47_2720
; %bb.2705:
	s_cmp_lt_i32 s2, 2
	s_mov_b64 s[0:1], -1
	s_cbranch_scc1 .LBB47_2715
; %bb.2706:
	s_cmp_lt_i32 s2, 3
	s_cbranch_scc1 .LBB47_2712
; %bb.2707:
	s_cmp_gt_i32 s2, 3
	s_cbranch_scc0 .LBB47_2709
; %bb.2708:
	v_bfe_i32 v11, v1, 0, 8
	v_ashrrev_i32_e32 v12, 31, v11
	global_store_dwordx2 v[5:6], v[11:12], off
	s_mov_b64 s[0:1], 0
.LBB47_2709:
	s_andn2_b64 vcc, exec, s[0:1]
	s_cbranch_vccnz .LBB47_2711
; %bb.2710:
	v_bfe_i32 v3, v1, 0, 8
	global_store_dword v[5:6], v3, off
.LBB47_2711:
	s_mov_b64 s[0:1], 0
.LBB47_2712:
	s_andn2_b64 vcc, exec, s[0:1]
	s_cbranch_vccnz .LBB47_2714
; %bb.2713:
	v_bfe_i32 v3, v1, 0, 8
	global_store_short v[5:6], v3, off
.LBB47_2714:
	s_mov_b64 s[0:1], 0
.LBB47_2715:
	s_andn2_b64 vcc, exec, s[0:1]
	s_cbranch_vccnz .LBB47_2720
; %bb.2716:
	s_cmp_gt_i32 s2, 0
	s_mov_b64 s[0:1], -1
	s_cbranch_scc0 .LBB47_2718
; %bb.2717:
	global_store_byte v[5:6], v1, off
	s_mov_b64 s[0:1], 0
.LBB47_2718:
	s_andn2_b64 vcc, exec, s[0:1]
	s_cbranch_vccnz .LBB47_2720
; %bb.2719:
	global_store_byte v[5:6], v1, off
.LBB47_2720:
	s_mov_b64 s[6:7], -1
.LBB47_2721:
	s_andn2_b64 vcc, exec, s[6:7]
	s_cbranch_vccnz .LBB47_3036
; %bb.2722:
	v_mov_b32_e32 v3, 8
	s_lshr_b32 s0, s20, 8
	v_lshlrev_b32_e32 v1, v17, v10
	v_cmp_lt_u16_sdwa vcc, v17, v3 src0_sel:BYTE_0 src1_sel:DWORD
	s_and_b32 s18, s0, 0xff
	v_cndmask_b32_e32 v1, 0, v1, vcc
	v_mov_b32_e32 v5, s9
	v_add_co_u32_e32 v3, vcc, s8, v4
	s_cmp_lt_i32 s18, 11
	v_addc_co_u32_e32 v4, vcc, 0, v5, vcc
	s_cbranch_scc1 .LBB47_2800
; %bb.2723:
	s_and_b32 s19, 0xffff, s18
	s_mov_b64 s[10:11], -1
	s_mov_b64 s[2:3], 0
	s_cmp_gt_i32 s19, 25
	s_mov_b64 s[6:7], 0
	s_mov_b64 s[0:1], 0
	s_cbranch_scc0 .LBB47_2756
; %bb.2724:
	s_cmp_gt_i32 s19, 28
	s_cbranch_scc0 .LBB47_2739
; %bb.2725:
	s_cmp_gt_i32 s19, 43
	;; [unrolled: 3-line block ×3, first 2 shown]
	s_cbranch_scc0 .LBB47_2729
; %bb.2727:
	s_mov_b64 s[0:1], -1
	s_mov_b64 s[10:11], 0
	s_cmp_eq_u32 s19, 46
	s_cbranch_scc0 .LBB47_2729
; %bb.2728:
	v_bfe_i32 v5, v1, 0, 8
	v_cvt_f32_i32_sdwa v5, sext(v5) dst_sel:DWORD dst_unused:UNUSED_PAD src0_sel:WORD_0
	s_movk_i32 s6, 0x7fff
	s_mov_b64 s[0:1], 0
	v_bfe_u32 v6, v5, 16, 1
	v_add3_u32 v5, v5, v6, s6
	v_lshrrev_b32_e32 v5, 16, v5
	global_store_dword v[3:4], v5, off
	s_mov_b64 s[6:7], -1
.LBB47_2729:
	s_and_b64 vcc, exec, s[10:11]
	s_cbranch_vccz .LBB47_2734
; %bb.2730:
	s_cmp_eq_u32 s19, 44
	s_mov_b64 s[0:1], -1
	s_cbranch_scc0 .LBB47_2734
; %bb.2731:
	v_bfe_i32 v5, v1, 0, 8
	v_cvt_f32_i32_sdwa v5, sext(v5) dst_sel:DWORD dst_unused:UNUSED_PAD src0_sel:WORD_0
	s_movk_i32 s0, 0xff
	v_mov_b32_e32 v7, 0xff
	v_bfe_u32 v6, v5, 23, 8
	v_cmp_ne_u32_e32 vcc, s0, v6
	s_and_saveexec_b64 s[6:7], vcc
	s_cbranch_execz .LBB47_2733
; %bb.2732:
	s_mov_b32 s0, 0x3fffff
	v_lshrrev_b32_e32 v7, 23, v5
	s_waitcnt vmcnt(0)
	v_and_b32_e32 v9, 0x400000, v5
	v_and_or_b32 v5, v5, s0, v6
	v_cmp_ne_u32_e32 vcc, 0, v9
	v_cmp_ne_u32_e64 s[0:1], 0, v5
	s_and_b64 s[0:1], vcc, s[0:1]
	v_cndmask_b32_e64 v5, 0, 1, s[0:1]
	v_add_u32_e32 v7, v7, v5
.LBB47_2733:
	s_or_b64 exec, exec, s[6:7]
	s_mov_b64 s[0:1], 0
	s_mov_b64 s[6:7], -1
	global_store_byte v[3:4], v7, off
.LBB47_2734:
	s_mov_b64 s[10:11], 0
.LBB47_2735:
	s_and_b64 vcc, exec, s[10:11]
	s_cbranch_vccz .LBB47_2738
; %bb.2736:
	s_cmp_eq_u32 s19, 29
	s_mov_b64 s[0:1], -1
	s_cbranch_scc0 .LBB47_2738
; %bb.2737:
	v_bfe_i32 v5, v1, 0, 8
	v_ashrrev_i32_e32 v6, 31, v5
	global_store_dwordx2 v[3:4], v[5:6], off
	s_mov_b64 s[0:1], 0
	s_mov_b64 s[6:7], -1
.LBB47_2738:
	s_mov_b64 s[10:11], 0
.LBB47_2739:
	s_and_b64 vcc, exec, s[10:11]
	s_cbranch_vccz .LBB47_2755
; %bb.2740:
	s_cmp_lt_i32 s19, 27
	s_mov_b64 s[6:7], -1
	s_cbranch_scc1 .LBB47_2746
; %bb.2741:
	s_cmp_gt_i32 s19, 27
	s_cbranch_scc0 .LBB47_2743
; %bb.2742:
	v_bfe_i32 v5, v1, 0, 8
	s_mov_b64 s[6:7], 0
	global_store_dword v[3:4], v5, off
.LBB47_2743:
	s_andn2_b64 vcc, exec, s[6:7]
	s_cbranch_vccnz .LBB47_2745
; %bb.2744:
	v_bfe_i32 v5, v1, 0, 8
	global_store_short v[3:4], v5, off
.LBB47_2745:
	s_mov_b64 s[6:7], 0
.LBB47_2746:
	s_andn2_b64 vcc, exec, s[6:7]
	s_cbranch_vccnz .LBB47_2754
; %bb.2747:
	v_bfe_i32 v5, v1, 0, 8
	v_cvt_f32_i32_sdwa v5, sext(v5) dst_sel:DWORD dst_unused:UNUSED_PAD src0_sel:WORD_0
	s_mov_b32 s6, 0x43800000
	v_mov_b32_e32 v7, 0x80
	v_and_b32_e32 v6, 0x7fffffff, v5
	v_cmp_gt_u32_e32 vcc, s6, v6
	s_and_saveexec_b64 s[6:7], vcc
	s_cbranch_execz .LBB47_2753
; %bb.2748:
	s_mov_b32 s10, 0x3bffffff
	v_cmp_lt_u32_e32 vcc, s10, v6
	s_mov_b64 s[10:11], 0
                                        ; implicit-def: $vgpr6
	s_and_saveexec_b64 s[16:17], vcc
	s_xor_b64 s[16:17], exec, s[16:17]
	s_cbranch_execz .LBB47_3088
; %bb.2749:
	v_bfe_u32 v6, v5, 20, 1
	s_mov_b32 s20, 0x487ffff
	v_add3_u32 v6, v5, v6, s20
	s_mov_b64 s[10:11], exec
	v_lshrrev_b32_e32 v6, 20, v6
	s_andn2_saveexec_b64 s[16:17], s[16:17]
	s_cbranch_execnz .LBB47_3089
.LBB47_2750:
	s_or_b64 exec, exec, s[16:17]
	v_mov_b32_e32 v7, 0
	s_and_saveexec_b64 s[16:17], s[10:11]
.LBB47_2751:
	v_lshrrev_b32_e32 v5, 24, v5
	s_movk_i32 s10, 0x80
	v_and_or_b32 v7, v5, s10, v6
.LBB47_2752:
	s_or_b64 exec, exec, s[16:17]
.LBB47_2753:
	s_or_b64 exec, exec, s[6:7]
	global_store_byte v[3:4], v7, off
.LBB47_2754:
	s_mov_b64 s[6:7], -1
.LBB47_2755:
	s_mov_b64 s[10:11], 0
.LBB47_2756:
	s_and_b64 vcc, exec, s[10:11]
	s_cbranch_vccz .LBB47_2796
; %bb.2757:
	s_cmp_gt_i32 s19, 22
	s_mov_b64 s[2:3], -1
	s_cbranch_scc0 .LBB47_2789
; %bb.2758:
	s_cmp_lt_i32 s19, 24
	s_cbranch_scc1 .LBB47_2778
; %bb.2759:
	s_cmp_gt_i32 s19, 24
	s_cbranch_scc0 .LBB47_2767
; %bb.2760:
	v_bfe_i32 v5, v1, 0, 8
	v_cvt_f32_i32_sdwa v5, sext(v5) dst_sel:DWORD dst_unused:UNUSED_PAD src0_sel:WORD_0
	s_mov_b32 s2, 0x47800000
	v_mov_b32_e32 v7, 0x80
	v_and_b32_e32 v6, 0x7fffffff, v5
	v_cmp_gt_u32_e32 vcc, s2, v6
	s_and_saveexec_b64 s[2:3], vcc
	s_cbranch_execz .LBB47_2766
; %bb.2761:
	s_mov_b32 s6, 0x37ffffff
	v_cmp_lt_u32_e32 vcc, s6, v6
	s_mov_b64 s[6:7], 0
                                        ; implicit-def: $vgpr6
	s_and_saveexec_b64 s[10:11], vcc
	s_xor_b64 s[10:11], exec, s[10:11]
	s_cbranch_execz .LBB47_3091
; %bb.2762:
	v_bfe_u32 v6, v5, 21, 1
	s_mov_b32 s16, 0x88fffff
	v_add3_u32 v6, v5, v6, s16
	s_mov_b64 s[6:7], exec
	v_lshrrev_b32_e32 v6, 21, v6
	s_andn2_saveexec_b64 s[10:11], s[10:11]
	s_cbranch_execnz .LBB47_3092
.LBB47_2763:
	s_or_b64 exec, exec, s[10:11]
	v_mov_b32_e32 v7, 0
	s_and_saveexec_b64 s[10:11], s[6:7]
.LBB47_2764:
	v_lshrrev_b32_e32 v5, 24, v5
	s_movk_i32 s6, 0x80
	v_and_or_b32 v7, v5, s6, v6
.LBB47_2765:
	s_or_b64 exec, exec, s[10:11]
.LBB47_2766:
	s_or_b64 exec, exec, s[2:3]
	s_mov_b64 s[2:3], 0
	global_store_byte v[3:4], v7, off
.LBB47_2767:
	s_and_b64 vcc, exec, s[2:3]
	s_cbranch_vccz .LBB47_2777
; %bb.2768:
	v_bfe_i32 v5, v1, 0, 8
	v_cvt_f32_i32_sdwa v5, sext(v5) dst_sel:DWORD dst_unused:UNUSED_PAD src0_sel:WORD_0
	s_mov_b32 s2, 0x43f00000
                                        ; implicit-def: $vgpr6
	v_and_b32_e32 v7, 0x7fffffff, v5
	v_cmp_gt_u32_e32 vcc, s2, v7
	s_and_saveexec_b64 s[2:3], vcc
	s_xor_b64 s[2:3], exec, s[2:3]
	s_cbranch_execz .LBB47_2774
; %bb.2769:
	s_mov_b32 s6, 0x3c7fffff
	v_cmp_lt_u32_e32 vcc, s6, v7
                                        ; implicit-def: $vgpr6
	s_and_saveexec_b64 s[6:7], vcc
	s_xor_b64 s[6:7], exec, s[6:7]
	s_cbranch_execz .LBB47_2771
; %bb.2770:
	v_bfe_u32 v6, v5, 20, 1
	s_mov_b32 s10, 0x407ffff
	v_add3_u32 v6, v5, v6, s10
	v_lshrrev_b32_e32 v7, 20, v6
	v_and_b32_e32 v6, 0xff00000, v6
	s_mov_b32 s10, 0x7f00000
	s_waitcnt vmcnt(0)
	v_mov_b32_e32 v9, 0x7e
	v_cmp_ne_u32_e32 vcc, s10, v6
	v_cndmask_b32_e32 v6, v9, v7, vcc
.LBB47_2771:
	s_andn2_saveexec_b64 s[6:7], s[6:7]
; %bb.2772:
	s_mov_b32 s10, 0x46800000
	v_add_f32_e64 v6, |v5|, s10
; %bb.2773:
	s_or_b64 exec, exec, s[6:7]
                                        ; implicit-def: $vgpr7
.LBB47_2774:
	s_andn2_saveexec_b64 s[2:3], s[2:3]
	s_cbranch_execz .LBB47_2776
; %bb.2775:
	s_mov_b32 s6, 0x7f800000
	v_mov_b32_e32 v6, 0x7e
	s_waitcnt vmcnt(0)
	v_mov_b32_e32 v9, 0x7f
	v_cmp_lt_u32_e32 vcc, s6, v7
	v_cndmask_b32_e32 v6, v6, v9, vcc
.LBB47_2776:
	s_or_b64 exec, exec, s[2:3]
	v_lshrrev_b32_e32 v5, 24, v5
	s_movk_i32 s2, 0x80
	v_and_or_b32 v5, v5, s2, v6
	global_store_byte v[3:4], v5, off
.LBB47_2777:
	s_mov_b64 s[2:3], 0
.LBB47_2778:
	s_andn2_b64 vcc, exec, s[2:3]
	s_cbranch_vccnz .LBB47_2788
; %bb.2779:
	v_bfe_i32 v5, v1, 0, 8
	v_cvt_f32_i32_sdwa v5, sext(v5) dst_sel:DWORD dst_unused:UNUSED_PAD src0_sel:WORD_0
	s_mov_b32 s2, 0x47800000
                                        ; implicit-def: $vgpr6
	v_and_b32_e32 v7, 0x7fffffff, v5
	v_cmp_gt_u32_e32 vcc, s2, v7
	s_and_saveexec_b64 s[2:3], vcc
	s_xor_b64 s[2:3], exec, s[2:3]
	s_cbranch_execz .LBB47_2785
; %bb.2780:
	s_mov_b32 s6, 0x387fffff
	v_cmp_lt_u32_e32 vcc, s6, v7
                                        ; implicit-def: $vgpr6
	s_and_saveexec_b64 s[6:7], vcc
	s_xor_b64 s[6:7], exec, s[6:7]
; %bb.2781:
	v_bfe_u32 v6, v5, 21, 1
	s_mov_b32 s10, 0x80fffff
	v_add3_u32 v6, v5, v6, s10
	v_lshrrev_b32_e32 v6, 21, v6
; %bb.2782:
	s_andn2_saveexec_b64 s[6:7], s[6:7]
; %bb.2783:
	s_mov_b32 s10, 0x43000000
	v_add_f32_e64 v6, |v5|, s10
; %bb.2784:
	s_or_b64 exec, exec, s[6:7]
                                        ; implicit-def: $vgpr7
.LBB47_2785:
	s_andn2_saveexec_b64 s[2:3], s[2:3]
	s_cbranch_execz .LBB47_2787
; %bb.2786:
	s_mov_b32 s6, 0x7f800000
	v_mov_b32_e32 v6, 0x7c
	s_waitcnt vmcnt(0)
	v_mov_b32_e32 v9, 0x7f
	v_cmp_lt_u32_e32 vcc, s6, v7
	v_cndmask_b32_e32 v6, v6, v9, vcc
.LBB47_2787:
	s_or_b64 exec, exec, s[2:3]
	v_lshrrev_b32_e32 v5, 24, v5
	s_movk_i32 s2, 0x80
	v_and_or_b32 v5, v5, s2, v6
	global_store_byte v[3:4], v5, off
.LBB47_2788:
	s_mov_b64 s[2:3], 0
	s_mov_b64 s[6:7], -1
.LBB47_2789:
	s_andn2_b64 vcc, exec, s[2:3]
	s_mov_b64 s[2:3], 0
	s_cbranch_vccnz .LBB47_2796
; %bb.2790:
	s_cmp_gt_i32 s19, 14
	s_mov_b64 s[10:11], -1
	s_cbranch_scc0 .LBB47_2794
; %bb.2791:
	s_cmp_eq_u32 s19, 15
	s_mov_b64 s[0:1], -1
	s_cbranch_scc0 .LBB47_2793
; %bb.2792:
	v_bfe_i32 v5, v1, 0, 8
	v_cvt_f32_i32_sdwa v5, sext(v5) dst_sel:DWORD dst_unused:UNUSED_PAD src0_sel:WORD_0
	s_movk_i32 s2, 0x7fff
	s_mov_b64 s[0:1], 0
	s_mov_b64 s[6:7], -1
	v_bfe_u32 v6, v5, 16, 1
	v_add3_u32 v5, v5, v6, s2
	global_store_short_d16_hi v[3:4], v5, off
.LBB47_2793:
	s_mov_b64 s[10:11], 0
.LBB47_2794:
	s_mov_b64 s[2:3], 0
	s_and_b64 vcc, exec, s[10:11]
	s_cbranch_vccz .LBB47_2796
; %bb.2795:
	s_cmp_lg_u32 s19, 11
	s_mov_b64 s[2:3], -1
	s_cselect_b64 s[0:1], -1, 0
.LBB47_2796:
	s_and_b64 vcc, exec, s[0:1]
	s_cbranch_vccnz .LBB47_3090
; %bb.2797:
	s_andn2_b64 vcc, exec, s[2:3]
	s_cbranch_vccnz .LBB47_2799
.LBB47_2798:
	v_mov_b32_e32 v5, 0
	v_cmp_ne_u16_sdwa s[0:1], v1, v5 src0_sel:BYTE_0 src1_sel:DWORD
	v_cndmask_b32_e64 v5, 0, 1, s[0:1]
	s_mov_b64 s[6:7], -1
	global_store_byte v[3:4], v5, off
.LBB47_2799:
	s_mov_b64 s[0:1], 0
	s_branch .LBB47_2801
.LBB47_2800:
	s_mov_b64 s[0:1], -1
	s_mov_b64 s[6:7], 0
.LBB47_2801:
	s_and_b64 vcc, exec, s[0:1]
	s_cbranch_vccz .LBB47_2840
; %bb.2802:
	s_and_b32 s2, 0xffff, s18
	s_cmp_lt_i32 s2, 5
	s_mov_b64 s[0:1], -1
	s_cbranch_scc1 .LBB47_2823
; %bb.2803:
	s_cmp_lt_i32 s2, 8
	s_cbranch_scc1 .LBB47_2813
; %bb.2804:
	s_cmp_lt_i32 s2, 9
	s_cbranch_scc1 .LBB47_2810
; %bb.2805:
	s_cmp_gt_i32 s2, 9
	s_cbranch_scc0 .LBB47_2807
; %bb.2806:
	v_bfe_i32 v5, v1, 0, 8
	v_bfe_i32 v5, v5, 0, 16
	s_waitcnt vmcnt(0)
	v_cvt_f64_i32_e32 v[9:10], v5
	v_mov_b32_e32 v11, 0
	v_mov_b32_e32 v12, v11
	s_mov_b64 s[0:1], 0
	global_store_dwordx4 v[3:4], v[9:12], off
.LBB47_2807:
	s_andn2_b64 vcc, exec, s[0:1]
	s_cbranch_vccnz .LBB47_2809
; %bb.2808:
	v_bfe_i32 v5, v1, 0, 8
	v_cvt_f32_i32_sdwa v5, sext(v5) dst_sel:DWORD dst_unused:UNUSED_PAD src0_sel:WORD_0
	v_mov_b32_e32 v6, 0
	global_store_dwordx2 v[3:4], v[5:6], off
.LBB47_2809:
	s_mov_b64 s[0:1], 0
.LBB47_2810:
	s_andn2_b64 vcc, exec, s[0:1]
	s_cbranch_vccnz .LBB47_2812
; %bb.2811:
	v_cvt_f16_i16_sdwa v5, sext(v1) dst_sel:DWORD dst_unused:UNUSED_PAD src0_sel:BYTE_0
	global_store_dword v[3:4], v5, off
.LBB47_2812:
	s_mov_b64 s[0:1], 0
.LBB47_2813:
	s_andn2_b64 vcc, exec, s[0:1]
	s_cbranch_vccnz .LBB47_2822
; %bb.2814:
	s_cmp_lt_i32 s2, 6
	s_mov_b64 s[0:1], -1
	s_cbranch_scc1 .LBB47_2820
; %bb.2815:
	s_cmp_gt_i32 s2, 6
	s_cbranch_scc0 .LBB47_2817
; %bb.2816:
	v_bfe_i32 v5, v1, 0, 8
	v_bfe_i32 v5, v5, 0, 16
	v_cvt_f64_i32_e32 v[5:6], v5
	s_mov_b64 s[0:1], 0
	global_store_dwordx2 v[3:4], v[5:6], off
.LBB47_2817:
	s_andn2_b64 vcc, exec, s[0:1]
	s_cbranch_vccnz .LBB47_2819
; %bb.2818:
	v_bfe_i32 v5, v1, 0, 8
	v_cvt_f32_i32_sdwa v5, sext(v5) dst_sel:DWORD dst_unused:UNUSED_PAD src0_sel:WORD_0
	global_store_dword v[3:4], v5, off
.LBB47_2819:
	s_mov_b64 s[0:1], 0
.LBB47_2820:
	s_andn2_b64 vcc, exec, s[0:1]
	s_cbranch_vccnz .LBB47_2822
; %bb.2821:
	v_cvt_f16_i16_sdwa v5, sext(v1) dst_sel:DWORD dst_unused:UNUSED_PAD src0_sel:BYTE_0
	global_store_short v[3:4], v5, off
.LBB47_2822:
	s_mov_b64 s[0:1], 0
.LBB47_2823:
	s_andn2_b64 vcc, exec, s[0:1]
	s_cbranch_vccnz .LBB47_2839
; %bb.2824:
	s_cmp_lt_i32 s2, 2
	s_mov_b64 s[0:1], -1
	s_cbranch_scc1 .LBB47_2834
; %bb.2825:
	s_cmp_lt_i32 s2, 3
	s_cbranch_scc1 .LBB47_2831
; %bb.2826:
	s_cmp_gt_i32 s2, 3
	s_cbranch_scc0 .LBB47_2828
; %bb.2827:
	v_bfe_i32 v5, v1, 0, 8
	v_ashrrev_i32_e32 v6, 31, v5
	global_store_dwordx2 v[3:4], v[5:6], off
	s_mov_b64 s[0:1], 0
.LBB47_2828:
	s_andn2_b64 vcc, exec, s[0:1]
	s_cbranch_vccnz .LBB47_2830
; %bb.2829:
	v_bfe_i32 v5, v1, 0, 8
	global_store_dword v[3:4], v5, off
.LBB47_2830:
	s_mov_b64 s[0:1], 0
.LBB47_2831:
	s_andn2_b64 vcc, exec, s[0:1]
	s_cbranch_vccnz .LBB47_2833
; %bb.2832:
	v_bfe_i32 v5, v1, 0, 8
	global_store_short v[3:4], v5, off
.LBB47_2833:
	s_mov_b64 s[0:1], 0
.LBB47_2834:
	s_andn2_b64 vcc, exec, s[0:1]
	s_cbranch_vccnz .LBB47_2839
; %bb.2835:
	s_cmp_gt_i32 s2, 0
	s_mov_b64 s[0:1], -1
	s_cbranch_scc0 .LBB47_2837
; %bb.2836:
	global_store_byte v[3:4], v1, off
	s_mov_b64 s[0:1], 0
.LBB47_2837:
	s_andn2_b64 vcc, exec, s[0:1]
	s_cbranch_vccnz .LBB47_2839
; %bb.2838:
	global_store_byte v[3:4], v1, off
.LBB47_2839:
	s_mov_b64 s[6:7], -1
.LBB47_2840:
	s_andn2_b64 vcc, exec, s[6:7]
	s_cbranch_vccnz .LBB47_3036
; %bb.2841:
	v_mov_b32_e32 v3, 8
	v_lshlrev_b32_e32 v1, v18, v15
	v_cmp_lt_u16_sdwa vcc, v18, v3 src0_sel:BYTE_0 src1_sel:DWORD
	v_cndmask_b32_e32 v3, 0, v1, vcc
	v_mov_b32_e32 v4, s9
	v_add_co_u32_e32 v1, vcc, s8, v2
	s_cmp_lt_i32 s18, 11
	v_addc_co_u32_e32 v2, vcc, 0, v4, vcc
	s_cbranch_scc1 .LBB47_2919
; %bb.2842:
	s_and_b32 s19, 0xffff, s18
	s_mov_b64 s[10:11], -1
	s_mov_b64 s[2:3], 0
	s_cmp_gt_i32 s19, 25
	s_mov_b64 s[6:7], 0
	s_mov_b64 s[0:1], 0
	s_cbranch_scc0 .LBB47_2875
; %bb.2843:
	s_cmp_gt_i32 s19, 28
	s_cbranch_scc0 .LBB47_2858
; %bb.2844:
	s_cmp_gt_i32 s19, 43
	;; [unrolled: 3-line block ×3, first 2 shown]
	s_cbranch_scc0 .LBB47_2848
; %bb.2846:
	s_mov_b64 s[0:1], -1
	s_mov_b64 s[10:11], 0
	s_cmp_eq_u32 s19, 46
	s_cbranch_scc0 .LBB47_2848
; %bb.2847:
	v_bfe_i32 v4, v3, 0, 8
	v_cvt_f32_i32_sdwa v4, sext(v4) dst_sel:DWORD dst_unused:UNUSED_PAD src0_sel:WORD_0
	s_movk_i32 s6, 0x7fff
	s_mov_b64 s[0:1], 0
	v_bfe_u32 v5, v4, 16, 1
	v_add3_u32 v4, v4, v5, s6
	v_lshrrev_b32_e32 v4, 16, v4
	global_store_dword v[1:2], v4, off
	s_mov_b64 s[6:7], -1
.LBB47_2848:
	s_and_b64 vcc, exec, s[10:11]
	s_cbranch_vccz .LBB47_2853
; %bb.2849:
	s_cmp_eq_u32 s19, 44
	s_mov_b64 s[0:1], -1
	s_cbranch_scc0 .LBB47_2853
; %bb.2850:
	v_bfe_i32 v4, v3, 0, 8
	v_cvt_f32_i32_sdwa v4, sext(v4) dst_sel:DWORD dst_unused:UNUSED_PAD src0_sel:WORD_0
	s_movk_i32 s0, 0xff
	v_mov_b32_e32 v6, 0xff
	v_bfe_u32 v5, v4, 23, 8
	v_cmp_ne_u32_e32 vcc, s0, v5
	s_and_saveexec_b64 s[6:7], vcc
; %bb.2851:
	s_mov_b32 s0, 0x3fffff
	v_lshrrev_b32_e32 v6, 23, v4
	v_and_b32_e32 v7, 0x400000, v4
	v_and_or_b32 v4, v4, s0, v5
	v_cmp_ne_u32_e32 vcc, 0, v7
	v_cmp_ne_u32_e64 s[0:1], 0, v4
	s_and_b64 s[0:1], vcc, s[0:1]
	v_cndmask_b32_e64 v4, 0, 1, s[0:1]
	v_add_u32_e32 v6, v6, v4
; %bb.2852:
	s_or_b64 exec, exec, s[6:7]
	s_mov_b64 s[0:1], 0
	s_mov_b64 s[6:7], -1
	global_store_byte v[1:2], v6, off
.LBB47_2853:
	s_mov_b64 s[10:11], 0
.LBB47_2854:
	s_and_b64 vcc, exec, s[10:11]
	s_cbranch_vccz .LBB47_2857
; %bb.2855:
	s_cmp_eq_u32 s19, 29
	s_mov_b64 s[0:1], -1
	s_cbranch_scc0 .LBB47_2857
; %bb.2856:
	v_bfe_i32 v4, v3, 0, 8
	v_ashrrev_i32_e32 v5, 31, v4
	global_store_dwordx2 v[1:2], v[4:5], off
	s_mov_b64 s[0:1], 0
	s_mov_b64 s[6:7], -1
.LBB47_2857:
	s_mov_b64 s[10:11], 0
.LBB47_2858:
	s_and_b64 vcc, exec, s[10:11]
	s_cbranch_vccz .LBB47_2874
; %bb.2859:
	s_cmp_lt_i32 s19, 27
	s_mov_b64 s[6:7], -1
	s_cbranch_scc1 .LBB47_2865
; %bb.2860:
	s_cmp_gt_i32 s19, 27
	s_cbranch_scc0 .LBB47_2862
; %bb.2861:
	v_bfe_i32 v4, v3, 0, 8
	s_mov_b64 s[6:7], 0
	global_store_dword v[1:2], v4, off
.LBB47_2862:
	s_andn2_b64 vcc, exec, s[6:7]
	s_cbranch_vccnz .LBB47_2864
; %bb.2863:
	v_bfe_i32 v4, v3, 0, 8
	global_store_short v[1:2], v4, off
.LBB47_2864:
	s_mov_b64 s[6:7], 0
.LBB47_2865:
	s_andn2_b64 vcc, exec, s[6:7]
	s_cbranch_vccnz .LBB47_2873
; %bb.2866:
	v_bfe_i32 v4, v3, 0, 8
	v_cvt_f32_i32_sdwa v4, sext(v4) dst_sel:DWORD dst_unused:UNUSED_PAD src0_sel:WORD_0
	s_mov_b32 s6, 0x43800000
	v_mov_b32_e32 v6, 0x80
	v_and_b32_e32 v5, 0x7fffffff, v4
	v_cmp_gt_u32_e32 vcc, s6, v5
	s_and_saveexec_b64 s[6:7], vcc
	s_cbranch_execz .LBB47_2872
; %bb.2867:
	s_mov_b32 s10, 0x3bffffff
	v_cmp_lt_u32_e32 vcc, s10, v5
	s_mov_b64 s[10:11], 0
                                        ; implicit-def: $vgpr5
	s_and_saveexec_b64 s[16:17], vcc
	s_xor_b64 s[16:17], exec, s[16:17]
	s_cbranch_execz .LBB47_3093
; %bb.2868:
	v_bfe_u32 v5, v4, 20, 1
	s_mov_b32 s20, 0x487ffff
	v_add3_u32 v5, v4, v5, s20
	s_mov_b64 s[10:11], exec
	v_lshrrev_b32_e32 v5, 20, v5
	s_andn2_saveexec_b64 s[16:17], s[16:17]
	s_cbranch_execnz .LBB47_3094
.LBB47_2869:
	s_or_b64 exec, exec, s[16:17]
	v_mov_b32_e32 v6, 0
	s_and_saveexec_b64 s[16:17], s[10:11]
.LBB47_2870:
	v_lshrrev_b32_e32 v4, 24, v4
	s_movk_i32 s10, 0x80
	v_and_or_b32 v6, v4, s10, v5
.LBB47_2871:
	s_or_b64 exec, exec, s[16:17]
.LBB47_2872:
	s_or_b64 exec, exec, s[6:7]
	global_store_byte v[1:2], v6, off
.LBB47_2873:
	s_mov_b64 s[6:7], -1
.LBB47_2874:
	s_mov_b64 s[10:11], 0
.LBB47_2875:
	s_and_b64 vcc, exec, s[10:11]
	s_cbranch_vccz .LBB47_2915
; %bb.2876:
	s_cmp_gt_i32 s19, 22
	s_mov_b64 s[2:3], -1
	s_cbranch_scc0 .LBB47_2908
; %bb.2877:
	s_cmp_lt_i32 s19, 24
	s_cbranch_scc1 .LBB47_2897
; %bb.2878:
	s_cmp_gt_i32 s19, 24
	s_cbranch_scc0 .LBB47_2886
; %bb.2879:
	v_bfe_i32 v4, v3, 0, 8
	v_cvt_f32_i32_sdwa v4, sext(v4) dst_sel:DWORD dst_unused:UNUSED_PAD src0_sel:WORD_0
	s_mov_b32 s2, 0x47800000
	v_mov_b32_e32 v6, 0x80
	v_and_b32_e32 v5, 0x7fffffff, v4
	v_cmp_gt_u32_e32 vcc, s2, v5
	s_and_saveexec_b64 s[2:3], vcc
	s_cbranch_execz .LBB47_2885
; %bb.2880:
	s_mov_b32 s6, 0x37ffffff
	v_cmp_lt_u32_e32 vcc, s6, v5
	s_mov_b64 s[6:7], 0
                                        ; implicit-def: $vgpr5
	s_and_saveexec_b64 s[10:11], vcc
	s_xor_b64 s[10:11], exec, s[10:11]
	s_cbranch_execz .LBB47_3096
; %bb.2881:
	v_bfe_u32 v5, v4, 21, 1
	s_mov_b32 s16, 0x88fffff
	v_add3_u32 v5, v4, v5, s16
	s_mov_b64 s[6:7], exec
	v_lshrrev_b32_e32 v5, 21, v5
	s_andn2_saveexec_b64 s[10:11], s[10:11]
	s_cbranch_execnz .LBB47_3097
.LBB47_2882:
	s_or_b64 exec, exec, s[10:11]
	v_mov_b32_e32 v6, 0
	s_and_saveexec_b64 s[10:11], s[6:7]
.LBB47_2883:
	v_lshrrev_b32_e32 v4, 24, v4
	s_movk_i32 s6, 0x80
	v_and_or_b32 v6, v4, s6, v5
.LBB47_2884:
	s_or_b64 exec, exec, s[10:11]
.LBB47_2885:
	s_or_b64 exec, exec, s[2:3]
	s_mov_b64 s[2:3], 0
	global_store_byte v[1:2], v6, off
.LBB47_2886:
	s_and_b64 vcc, exec, s[2:3]
	s_cbranch_vccz .LBB47_2896
; %bb.2887:
	v_bfe_i32 v4, v3, 0, 8
	v_cvt_f32_i32_sdwa v4, sext(v4) dst_sel:DWORD dst_unused:UNUSED_PAD src0_sel:WORD_0
	s_mov_b32 s2, 0x43f00000
                                        ; implicit-def: $vgpr5
	v_and_b32_e32 v6, 0x7fffffff, v4
	v_cmp_gt_u32_e32 vcc, s2, v6
	s_and_saveexec_b64 s[2:3], vcc
	s_xor_b64 s[2:3], exec, s[2:3]
	s_cbranch_execz .LBB47_2893
; %bb.2888:
	s_mov_b32 s6, 0x3c7fffff
	v_cmp_lt_u32_e32 vcc, s6, v6
                                        ; implicit-def: $vgpr5
	s_and_saveexec_b64 s[6:7], vcc
	s_xor_b64 s[6:7], exec, s[6:7]
; %bb.2889:
	v_bfe_u32 v5, v4, 20, 1
	s_mov_b32 s10, 0x407ffff
	v_add3_u32 v5, v4, v5, s10
	v_lshrrev_b32_e32 v6, 20, v5
	v_and_b32_e32 v5, 0xff00000, v5
	s_mov_b32 s10, 0x7f00000
	v_mov_b32_e32 v7, 0x7e
	v_cmp_ne_u32_e32 vcc, s10, v5
	v_cndmask_b32_e32 v5, v7, v6, vcc
; %bb.2890:
	s_andn2_saveexec_b64 s[6:7], s[6:7]
; %bb.2891:
	s_mov_b32 s10, 0x46800000
	v_add_f32_e64 v5, |v4|, s10
; %bb.2892:
	s_or_b64 exec, exec, s[6:7]
                                        ; implicit-def: $vgpr6
.LBB47_2893:
	s_andn2_saveexec_b64 s[2:3], s[2:3]
; %bb.2894:
	s_mov_b32 s6, 0x7f800000
	v_mov_b32_e32 v5, 0x7e
	v_mov_b32_e32 v7, 0x7f
	v_cmp_lt_u32_e32 vcc, s6, v6
	v_cndmask_b32_e32 v5, v5, v7, vcc
; %bb.2895:
	s_or_b64 exec, exec, s[2:3]
	v_lshrrev_b32_e32 v4, 24, v4
	s_movk_i32 s2, 0x80
	v_and_or_b32 v4, v4, s2, v5
	global_store_byte v[1:2], v4, off
.LBB47_2896:
	s_mov_b64 s[2:3], 0
.LBB47_2897:
	s_andn2_b64 vcc, exec, s[2:3]
	s_cbranch_vccnz .LBB47_2907
; %bb.2898:
	v_bfe_i32 v4, v3, 0, 8
	v_cvt_f32_i32_sdwa v4, sext(v4) dst_sel:DWORD dst_unused:UNUSED_PAD src0_sel:WORD_0
	s_mov_b32 s2, 0x47800000
                                        ; implicit-def: $vgpr5
	v_and_b32_e32 v6, 0x7fffffff, v4
	v_cmp_gt_u32_e32 vcc, s2, v6
	s_and_saveexec_b64 s[2:3], vcc
	s_xor_b64 s[2:3], exec, s[2:3]
	s_cbranch_execz .LBB47_2904
; %bb.2899:
	s_mov_b32 s6, 0x387fffff
	v_cmp_lt_u32_e32 vcc, s6, v6
                                        ; implicit-def: $vgpr5
	s_and_saveexec_b64 s[6:7], vcc
	s_xor_b64 s[6:7], exec, s[6:7]
; %bb.2900:
	v_bfe_u32 v5, v4, 21, 1
	s_mov_b32 s10, 0x80fffff
	v_add3_u32 v5, v4, v5, s10
	v_lshrrev_b32_e32 v5, 21, v5
; %bb.2901:
	s_andn2_saveexec_b64 s[6:7], s[6:7]
; %bb.2902:
	s_mov_b32 s10, 0x43000000
	v_add_f32_e64 v5, |v4|, s10
; %bb.2903:
	s_or_b64 exec, exec, s[6:7]
                                        ; implicit-def: $vgpr6
.LBB47_2904:
	s_andn2_saveexec_b64 s[2:3], s[2:3]
; %bb.2905:
	s_mov_b32 s6, 0x7f800000
	v_mov_b32_e32 v5, 0x7c
	v_mov_b32_e32 v7, 0x7f
	v_cmp_lt_u32_e32 vcc, s6, v6
	v_cndmask_b32_e32 v5, v5, v7, vcc
; %bb.2906:
	s_or_b64 exec, exec, s[2:3]
	v_lshrrev_b32_e32 v4, 24, v4
	s_movk_i32 s2, 0x80
	v_and_or_b32 v4, v4, s2, v5
	global_store_byte v[1:2], v4, off
.LBB47_2907:
	s_mov_b64 s[2:3], 0
	s_mov_b64 s[6:7], -1
.LBB47_2908:
	s_andn2_b64 vcc, exec, s[2:3]
	s_mov_b64 s[2:3], 0
	s_cbranch_vccnz .LBB47_2915
; %bb.2909:
	s_cmp_gt_i32 s19, 14
	s_mov_b64 s[10:11], -1
	s_cbranch_scc0 .LBB47_2913
; %bb.2910:
	s_cmp_eq_u32 s19, 15
	s_mov_b64 s[0:1], -1
	s_cbranch_scc0 .LBB47_2912
; %bb.2911:
	v_bfe_i32 v4, v3, 0, 8
	v_cvt_f32_i32_sdwa v4, sext(v4) dst_sel:DWORD dst_unused:UNUSED_PAD src0_sel:WORD_0
	s_movk_i32 s2, 0x7fff
	s_mov_b64 s[0:1], 0
	s_mov_b64 s[6:7], -1
	v_bfe_u32 v5, v4, 16, 1
	v_add3_u32 v4, v4, v5, s2
	global_store_short_d16_hi v[1:2], v4, off
.LBB47_2912:
	s_mov_b64 s[10:11], 0
.LBB47_2913:
	s_mov_b64 s[2:3], 0
	s_and_b64 vcc, exec, s[10:11]
	s_cbranch_vccz .LBB47_2915
; %bb.2914:
	s_cmp_lg_u32 s19, 11
	s_mov_b64 s[2:3], -1
	s_cselect_b64 s[0:1], -1, 0
.LBB47_2915:
	s_and_b64 vcc, exec, s[0:1]
	s_cbranch_vccnz .LBB47_3095
; %bb.2916:
	s_andn2_b64 vcc, exec, s[2:3]
	s_cbranch_vccnz .LBB47_2918
.LBB47_2917:
	v_mov_b32_e32 v4, 0
	v_cmp_ne_u16_sdwa s[0:1], v3, v4 src0_sel:BYTE_0 src1_sel:DWORD
	v_cndmask_b32_e64 v4, 0, 1, s[0:1]
	s_mov_b64 s[6:7], -1
	global_store_byte v[1:2], v4, off
.LBB47_2918:
	s_mov_b64 s[0:1], 0
	s_branch .LBB47_2920
.LBB47_2919:
	s_mov_b64 s[0:1], -1
	s_mov_b64 s[6:7], 0
.LBB47_2920:
	s_and_b64 vcc, exec, s[0:1]
	s_cbranch_vccz .LBB47_2959
; %bb.2921:
	s_and_b32 s2, 0xffff, s18
	s_cmp_lt_i32 s2, 5
	s_mov_b64 s[0:1], -1
	s_cbranch_scc1 .LBB47_2942
; %bb.2922:
	s_cmp_lt_i32 s2, 8
	s_cbranch_scc1 .LBB47_2932
; %bb.2923:
	s_cmp_lt_i32 s2, 9
	s_cbranch_scc1 .LBB47_2929
; %bb.2924:
	s_cmp_gt_i32 s2, 9
	s_cbranch_scc0 .LBB47_2926
; %bb.2925:
	v_bfe_i32 v4, v3, 0, 8
	v_bfe_i32 v4, v4, 0, 16
	v_cvt_f64_i32_e32 v[4:5], v4
	v_mov_b32_e32 v6, 0
	v_mov_b32_e32 v7, v6
	s_mov_b64 s[0:1], 0
	global_store_dwordx4 v[1:2], v[4:7], off
.LBB47_2926:
	s_andn2_b64 vcc, exec, s[0:1]
	s_cbranch_vccnz .LBB47_2928
; %bb.2927:
	v_bfe_i32 v4, v3, 0, 8
	v_cvt_f32_i32_sdwa v4, sext(v4) dst_sel:DWORD dst_unused:UNUSED_PAD src0_sel:WORD_0
	v_mov_b32_e32 v5, 0
	global_store_dwordx2 v[1:2], v[4:5], off
.LBB47_2928:
	s_mov_b64 s[0:1], 0
.LBB47_2929:
	s_andn2_b64 vcc, exec, s[0:1]
	s_cbranch_vccnz .LBB47_2931
; %bb.2930:
	v_cvt_f16_i16_sdwa v4, sext(v3) dst_sel:DWORD dst_unused:UNUSED_PAD src0_sel:BYTE_0
	global_store_dword v[1:2], v4, off
.LBB47_2931:
	s_mov_b64 s[0:1], 0
.LBB47_2932:
	s_andn2_b64 vcc, exec, s[0:1]
	s_cbranch_vccnz .LBB47_2941
; %bb.2933:
	s_cmp_lt_i32 s2, 6
	s_mov_b64 s[0:1], -1
	s_cbranch_scc1 .LBB47_2939
; %bb.2934:
	s_cmp_gt_i32 s2, 6
	s_cbranch_scc0 .LBB47_2936
; %bb.2935:
	v_bfe_i32 v4, v3, 0, 8
	v_bfe_i32 v4, v4, 0, 16
	v_cvt_f64_i32_e32 v[4:5], v4
	s_mov_b64 s[0:1], 0
	global_store_dwordx2 v[1:2], v[4:5], off
.LBB47_2936:
	s_andn2_b64 vcc, exec, s[0:1]
	s_cbranch_vccnz .LBB47_2938
; %bb.2937:
	v_bfe_i32 v4, v3, 0, 8
	v_cvt_f32_i32_sdwa v4, sext(v4) dst_sel:DWORD dst_unused:UNUSED_PAD src0_sel:WORD_0
	global_store_dword v[1:2], v4, off
.LBB47_2938:
	s_mov_b64 s[0:1], 0
.LBB47_2939:
	s_andn2_b64 vcc, exec, s[0:1]
	s_cbranch_vccnz .LBB47_2941
; %bb.2940:
	v_cvt_f16_i16_sdwa v4, sext(v3) dst_sel:DWORD dst_unused:UNUSED_PAD src0_sel:BYTE_0
	global_store_short v[1:2], v4, off
.LBB47_2941:
	s_mov_b64 s[0:1], 0
.LBB47_2942:
	s_andn2_b64 vcc, exec, s[0:1]
	s_cbranch_vccnz .LBB47_2958
; %bb.2943:
	s_cmp_lt_i32 s2, 2
	s_mov_b64 s[0:1], -1
	s_cbranch_scc1 .LBB47_2953
; %bb.2944:
	s_cmp_lt_i32 s2, 3
	s_cbranch_scc1 .LBB47_2950
; %bb.2945:
	s_cmp_gt_i32 s2, 3
	s_cbranch_scc0 .LBB47_2947
; %bb.2946:
	v_bfe_i32 v4, v3, 0, 8
	v_ashrrev_i32_e32 v5, 31, v4
	global_store_dwordx2 v[1:2], v[4:5], off
	s_mov_b64 s[0:1], 0
.LBB47_2947:
	s_andn2_b64 vcc, exec, s[0:1]
	s_cbranch_vccnz .LBB47_2949
; %bb.2948:
	v_bfe_i32 v4, v3, 0, 8
	global_store_dword v[1:2], v4, off
.LBB47_2949:
	s_mov_b64 s[0:1], 0
.LBB47_2950:
	s_andn2_b64 vcc, exec, s[0:1]
	s_cbranch_vccnz .LBB47_2952
; %bb.2951:
	v_bfe_i32 v4, v3, 0, 8
	global_store_short v[1:2], v4, off
.LBB47_2952:
	s_mov_b64 s[0:1], 0
.LBB47_2953:
	s_andn2_b64 vcc, exec, s[0:1]
	s_cbranch_vccnz .LBB47_2958
; %bb.2954:
	s_cmp_gt_i32 s2, 0
	s_mov_b64 s[0:1], -1
	s_cbranch_scc0 .LBB47_2956
; %bb.2955:
	global_store_byte v[1:2], v3, off
	s_mov_b64 s[0:1], 0
.LBB47_2956:
	s_andn2_b64 vcc, exec, s[0:1]
	s_cbranch_vccnz .LBB47_2958
; %bb.2957:
	global_store_byte v[1:2], v3, off
.LBB47_2958:
	s_mov_b64 s[6:7], -1
.LBB47_2959:
	s_andn2_b64 vcc, exec, s[6:7]
	s_cbranch_vccnz .LBB47_3036
; %bb.2960:
	v_mov_b32_e32 v2, 8
	s_waitcnt vmcnt(0)
	v_lshlrev_b32_e32 v1, v8, v13
	v_cmp_lt_u16_sdwa vcc, v8, v2 src0_sel:BYTE_0 src1_sel:DWORD
	v_cndmask_b32_e32 v2, 0, v1, vcc
	v_mov_b32_e32 v1, s9
	v_add_co_u32_e32 v0, vcc, s8, v0
	s_cmp_lt_i32 s18, 11
	v_addc_co_u32_e32 v1, vcc, 0, v1, vcc
	s_cbranch_scc1 .LBB47_3081
; %bb.2961:
	s_and_b32 s16, 0xffff, s18
	s_mov_b64 s[6:7], -1
	s_mov_b64 s[2:3], 0
	s_cmp_gt_i32 s16, 25
	s_mov_b64 s[0:1], 0
	s_cbranch_scc0 .LBB47_2994
; %bb.2962:
	s_cmp_gt_i32 s16, 28
	s_cbranch_scc0 .LBB47_2978
; %bb.2963:
	s_cmp_gt_i32 s16, 43
	;; [unrolled: 3-line block ×3, first 2 shown]
	s_cbranch_scc0 .LBB47_2968
; %bb.2965:
	s_cmp_eq_u32 s16, 46
	s_mov_b64 s[0:1], -1
	s_cbranch_scc0 .LBB47_2967
; %bb.2966:
	v_bfe_i32 v3, v2, 0, 8
	v_cvt_f32_i32_sdwa v3, sext(v3) dst_sel:DWORD dst_unused:UNUSED_PAD src0_sel:WORD_0
	s_movk_i32 s0, 0x7fff
	v_bfe_u32 v4, v3, 16, 1
	v_add3_u32 v3, v3, v4, s0
	v_lshrrev_b32_e32 v3, 16, v3
	global_store_dword v[0:1], v3, off
	s_mov_b64 s[0:1], 0
.LBB47_2967:
	s_mov_b64 s[6:7], 0
.LBB47_2968:
	s_and_b64 vcc, exec, s[6:7]
	s_cbranch_vccz .LBB47_2973
; %bb.2969:
	s_cmp_eq_u32 s16, 44
	s_mov_b64 s[0:1], -1
	s_cbranch_scc0 .LBB47_2973
; %bb.2970:
	v_bfe_i32 v3, v2, 0, 8
	v_cvt_f32_i32_sdwa v3, sext(v3) dst_sel:DWORD dst_unused:UNUSED_PAD src0_sel:WORD_0
	s_movk_i32 s0, 0xff
	v_mov_b32_e32 v5, 0xff
	v_bfe_u32 v4, v3, 23, 8
	v_cmp_ne_u32_e32 vcc, s0, v4
	s_and_saveexec_b64 s[6:7], vcc
; %bb.2971:
	s_mov_b32 s0, 0x3fffff
	v_lshrrev_b32_e32 v5, 23, v3
	v_and_b32_e32 v6, 0x400000, v3
	v_and_or_b32 v3, v3, s0, v4
	v_cmp_ne_u32_e32 vcc, 0, v6
	v_cmp_ne_u32_e64 s[0:1], 0, v3
	s_and_b64 s[0:1], vcc, s[0:1]
	v_cndmask_b32_e64 v3, 0, 1, s[0:1]
	v_add_u32_e32 v5, v5, v3
; %bb.2972:
	s_or_b64 exec, exec, s[6:7]
	s_mov_b64 s[0:1], 0
	global_store_byte v[0:1], v5, off
.LBB47_2973:
	s_mov_b64 s[6:7], 0
.LBB47_2974:
	s_and_b64 vcc, exec, s[6:7]
	s_cbranch_vccz .LBB47_2977
; %bb.2975:
	s_cmp_eq_u32 s16, 29
	s_mov_b64 s[0:1], -1
	s_cbranch_scc0 .LBB47_2977
; %bb.2976:
	v_bfe_i32 v3, v2, 0, 8
	v_ashrrev_i32_e32 v4, 31, v3
	global_store_dwordx2 v[0:1], v[3:4], off
	s_mov_b64 s[0:1], 0
.LBB47_2977:
	s_mov_b64 s[6:7], 0
.LBB47_2978:
	s_and_b64 vcc, exec, s[6:7]
	s_cbranch_vccz .LBB47_2993
; %bb.2979:
	s_cmp_lt_i32 s16, 27
	s_mov_b64 s[6:7], -1
	s_cbranch_scc1 .LBB47_2985
; %bb.2980:
	s_cmp_gt_i32 s16, 27
	s_cbranch_scc0 .LBB47_2982
; %bb.2981:
	v_bfe_i32 v3, v2, 0, 8
	global_store_dword v[0:1], v3, off
	s_mov_b64 s[6:7], 0
.LBB47_2982:
	s_andn2_b64 vcc, exec, s[6:7]
	s_cbranch_vccnz .LBB47_2984
; %bb.2983:
	v_bfe_i32 v3, v2, 0, 8
	global_store_short v[0:1], v3, off
.LBB47_2984:
	s_mov_b64 s[6:7], 0
.LBB47_2985:
	s_andn2_b64 vcc, exec, s[6:7]
	s_cbranch_vccnz .LBB47_2993
; %bb.2986:
	v_bfe_i32 v3, v2, 0, 8
	v_cvt_f32_i32_sdwa v3, sext(v3) dst_sel:DWORD dst_unused:UNUSED_PAD src0_sel:WORD_0
	s_mov_b32 s6, 0x43800000
	v_mov_b32_e32 v5, 0x80
	v_and_b32_e32 v4, 0x7fffffff, v3
	v_cmp_gt_u32_e32 vcc, s6, v4
	s_and_saveexec_b64 s[6:7], vcc
	s_cbranch_execz .LBB47_2992
; %bb.2987:
	s_mov_b32 s8, 0x3bffffff
	v_cmp_lt_u32_e32 vcc, s8, v4
	s_mov_b64 s[8:9], 0
                                        ; implicit-def: $vgpr4
	s_and_saveexec_b64 s[10:11], vcc
	s_xor_b64 s[10:11], exec, s[10:11]
	s_cbranch_execz .LBB47_3098
; %bb.2988:
	v_bfe_u32 v4, v3, 20, 1
	s_mov_b32 s17, 0x487ffff
	v_add3_u32 v4, v3, v4, s17
	s_mov_b64 s[8:9], exec
	v_lshrrev_b32_e32 v4, 20, v4
	s_andn2_saveexec_b64 s[10:11], s[10:11]
	s_cbranch_execnz .LBB47_3099
.LBB47_2989:
	s_or_b64 exec, exec, s[10:11]
	v_mov_b32_e32 v5, 0
	s_and_saveexec_b64 s[10:11], s[8:9]
.LBB47_2990:
	v_lshrrev_b32_e32 v3, 24, v3
	s_movk_i32 s8, 0x80
	v_and_or_b32 v5, v3, s8, v4
.LBB47_2991:
	s_or_b64 exec, exec, s[10:11]
.LBB47_2992:
	s_or_b64 exec, exec, s[6:7]
	global_store_byte v[0:1], v5, off
.LBB47_2993:
	s_mov_b64 s[6:7], 0
.LBB47_2994:
	s_and_b64 vcc, exec, s[6:7]
	s_cbranch_vccz .LBB47_3034
; %bb.2995:
	s_cmp_gt_i32 s16, 22
	s_mov_b64 s[2:3], -1
	s_cbranch_scc0 .LBB47_3027
; %bb.2996:
	s_cmp_lt_i32 s16, 24
	s_cbranch_scc1 .LBB47_3016
; %bb.2997:
	s_cmp_gt_i32 s16, 24
	s_cbranch_scc0 .LBB47_3005
; %bb.2998:
	v_bfe_i32 v3, v2, 0, 8
	v_cvt_f32_i32_sdwa v3, sext(v3) dst_sel:DWORD dst_unused:UNUSED_PAD src0_sel:WORD_0
	s_mov_b32 s2, 0x47800000
	v_mov_b32_e32 v5, 0x80
	v_and_b32_e32 v4, 0x7fffffff, v3
	v_cmp_gt_u32_e32 vcc, s2, v4
	s_and_saveexec_b64 s[2:3], vcc
	s_cbranch_execz .LBB47_3004
; %bb.2999:
	s_mov_b32 s6, 0x37ffffff
	v_cmp_lt_u32_e32 vcc, s6, v4
	s_mov_b64 s[6:7], 0
                                        ; implicit-def: $vgpr4
	s_and_saveexec_b64 s[8:9], vcc
	s_xor_b64 s[8:9], exec, s[8:9]
	s_cbranch_execz .LBB47_3101
; %bb.3000:
	v_bfe_u32 v4, v3, 21, 1
	s_mov_b32 s10, 0x88fffff
	v_add3_u32 v4, v3, v4, s10
	s_mov_b64 s[6:7], exec
	v_lshrrev_b32_e32 v4, 21, v4
	s_andn2_saveexec_b64 s[8:9], s[8:9]
	s_cbranch_execnz .LBB47_3102
.LBB47_3001:
	s_or_b64 exec, exec, s[8:9]
	v_mov_b32_e32 v5, 0
	s_and_saveexec_b64 s[8:9], s[6:7]
.LBB47_3002:
	v_lshrrev_b32_e32 v3, 24, v3
	s_movk_i32 s6, 0x80
	v_and_or_b32 v5, v3, s6, v4
.LBB47_3003:
	s_or_b64 exec, exec, s[8:9]
.LBB47_3004:
	s_or_b64 exec, exec, s[2:3]
	s_mov_b64 s[2:3], 0
	global_store_byte v[0:1], v5, off
.LBB47_3005:
	s_and_b64 vcc, exec, s[2:3]
	s_cbranch_vccz .LBB47_3015
; %bb.3006:
	v_bfe_i32 v3, v2, 0, 8
	v_cvt_f32_i32_sdwa v3, sext(v3) dst_sel:DWORD dst_unused:UNUSED_PAD src0_sel:WORD_0
	s_mov_b32 s2, 0x43f00000
                                        ; implicit-def: $vgpr4
	v_and_b32_e32 v5, 0x7fffffff, v3
	v_cmp_gt_u32_e32 vcc, s2, v5
	s_and_saveexec_b64 s[2:3], vcc
	s_xor_b64 s[2:3], exec, s[2:3]
	s_cbranch_execz .LBB47_3012
; %bb.3007:
	s_mov_b32 s6, 0x3c7fffff
	v_cmp_lt_u32_e32 vcc, s6, v5
                                        ; implicit-def: $vgpr4
	s_and_saveexec_b64 s[6:7], vcc
	s_xor_b64 s[6:7], exec, s[6:7]
; %bb.3008:
	v_bfe_u32 v4, v3, 20, 1
	s_mov_b32 s8, 0x407ffff
	v_add3_u32 v4, v3, v4, s8
	v_lshrrev_b32_e32 v5, 20, v4
	v_and_b32_e32 v4, 0xff00000, v4
	s_mov_b32 s8, 0x7f00000
	v_mov_b32_e32 v6, 0x7e
	v_cmp_ne_u32_e32 vcc, s8, v4
	v_cndmask_b32_e32 v4, v6, v5, vcc
; %bb.3009:
	s_andn2_saveexec_b64 s[6:7], s[6:7]
; %bb.3010:
	s_mov_b32 s8, 0x46800000
	v_add_f32_e64 v4, |v3|, s8
; %bb.3011:
	s_or_b64 exec, exec, s[6:7]
                                        ; implicit-def: $vgpr5
.LBB47_3012:
	s_andn2_saveexec_b64 s[2:3], s[2:3]
; %bb.3013:
	s_mov_b32 s6, 0x7f800000
	v_mov_b32_e32 v4, 0x7e
	v_mov_b32_e32 v6, 0x7f
	v_cmp_lt_u32_e32 vcc, s6, v5
	v_cndmask_b32_e32 v4, v4, v6, vcc
; %bb.3014:
	s_or_b64 exec, exec, s[2:3]
	v_lshrrev_b32_e32 v3, 24, v3
	s_movk_i32 s2, 0x80
	v_and_or_b32 v3, v3, s2, v4
	global_store_byte v[0:1], v3, off
.LBB47_3015:
	s_mov_b64 s[2:3], 0
.LBB47_3016:
	s_andn2_b64 vcc, exec, s[2:3]
	s_cbranch_vccnz .LBB47_3026
; %bb.3017:
	v_bfe_i32 v3, v2, 0, 8
	v_cvt_f32_i32_sdwa v3, sext(v3) dst_sel:DWORD dst_unused:UNUSED_PAD src0_sel:WORD_0
	s_mov_b32 s2, 0x47800000
                                        ; implicit-def: $vgpr4
	v_and_b32_e32 v5, 0x7fffffff, v3
	v_cmp_gt_u32_e32 vcc, s2, v5
	s_and_saveexec_b64 s[2:3], vcc
	s_xor_b64 s[2:3], exec, s[2:3]
	s_cbranch_execz .LBB47_3023
; %bb.3018:
	s_mov_b32 s6, 0x387fffff
	v_cmp_lt_u32_e32 vcc, s6, v5
                                        ; implicit-def: $vgpr4
	s_and_saveexec_b64 s[6:7], vcc
	s_xor_b64 s[6:7], exec, s[6:7]
; %bb.3019:
	v_bfe_u32 v4, v3, 21, 1
	s_mov_b32 s8, 0x80fffff
	v_add3_u32 v4, v3, v4, s8
	v_lshrrev_b32_e32 v4, 21, v4
; %bb.3020:
	s_andn2_saveexec_b64 s[6:7], s[6:7]
; %bb.3021:
	s_mov_b32 s8, 0x43000000
	v_add_f32_e64 v4, |v3|, s8
; %bb.3022:
	s_or_b64 exec, exec, s[6:7]
                                        ; implicit-def: $vgpr5
.LBB47_3023:
	s_andn2_saveexec_b64 s[2:3], s[2:3]
; %bb.3024:
	s_mov_b32 s6, 0x7f800000
	v_mov_b32_e32 v4, 0x7c
	v_mov_b32_e32 v6, 0x7f
	v_cmp_lt_u32_e32 vcc, s6, v5
	v_cndmask_b32_e32 v4, v4, v6, vcc
; %bb.3025:
	s_or_b64 exec, exec, s[2:3]
	v_lshrrev_b32_e32 v3, 24, v3
	s_movk_i32 s2, 0x80
	v_and_or_b32 v3, v3, s2, v4
	global_store_byte v[0:1], v3, off
.LBB47_3026:
	s_mov_b64 s[2:3], 0
.LBB47_3027:
	s_andn2_b64 vcc, exec, s[2:3]
	s_mov_b64 s[2:3], 0
	s_cbranch_vccnz .LBB47_3034
; %bb.3028:
	s_cmp_gt_i32 s16, 14
	s_mov_b64 s[6:7], -1
	s_cbranch_scc0 .LBB47_3032
; %bb.3029:
	s_cmp_eq_u32 s16, 15
	s_mov_b64 s[0:1], -1
	s_cbranch_scc0 .LBB47_3031
; %bb.3030:
	v_bfe_i32 v3, v2, 0, 8
	v_cvt_f32_i32_sdwa v3, sext(v3) dst_sel:DWORD dst_unused:UNUSED_PAD src0_sel:WORD_0
	s_movk_i32 s0, 0x7fff
	v_bfe_u32 v4, v3, 16, 1
	v_add3_u32 v3, v3, v4, s0
	global_store_short_d16_hi v[0:1], v3, off
	s_mov_b64 s[0:1], 0
.LBB47_3031:
	s_mov_b64 s[6:7], 0
.LBB47_3032:
	s_and_b64 vcc, exec, s[6:7]
	s_cbranch_vccz .LBB47_3034
; %bb.3033:
	s_cmp_lg_u32 s16, 11
	s_mov_b64 s[2:3], -1
	s_cselect_b64 s[0:1], -1, 0
.LBB47_3034:
	s_and_b64 vcc, exec, s[0:1]
	s_cbranch_vccnz .LBB47_3100
.LBB47_3035:
	s_mov_b64 s[0:1], 0
	s_branch .LBB47_3037
.LBB47_3036:
	s_mov_b64 s[0:1], 0
	s_mov_b64 s[2:3], 0
                                        ; implicit-def: $vgpr0_vgpr1
                                        ; implicit-def: $sgpr18
                                        ; implicit-def: $vgpr2
.LBB47_3037:
	s_and_b64 s[6:7], s[2:3], exec
	s_andn2_b64 s[2:3], s[12:13], exec
	s_and_b64 s[4:5], s[4:5], exec
	s_and_b64 s[0:1], s[0:1], exec
	s_or_b64 s[12:13], s[2:3], s[4:5]
.LBB47_3038:
	s_or_b64 exec, exec, s[14:15]
	s_and_saveexec_b64 s[2:3], s[12:13]
	s_cbranch_execz .LBB47_3041
; %bb.3039:
	; divergent unreachable
	s_or_b64 exec, exec, s[2:3]
	s_and_saveexec_b64 s[2:3], s[6:7]
	s_xor_b64 s[2:3], exec, s[2:3]
	s_cbranch_execnz .LBB47_3042
.LBB47_3040:
	s_or_b64 exec, exec, s[2:3]
	s_and_saveexec_b64 s[2:3], s[0:1]
	s_cbranch_execnz .LBB47_3043
	s_branch .LBB47_3080
.LBB47_3041:
	s_or_b64 exec, exec, s[2:3]
	s_and_saveexec_b64 s[2:3], s[6:7]
	s_xor_b64 s[2:3], exec, s[2:3]
	s_cbranch_execz .LBB47_3040
.LBB47_3042:
	v_mov_b32_e32 v3, 0
	s_waitcnt vmcnt(0)
	v_cmp_ne_u16_sdwa s[4:5], v2, v3 src0_sel:BYTE_0 src1_sel:DWORD
	v_cndmask_b32_e64 v3, 0, 1, s[4:5]
	global_store_byte v[0:1], v3, off
	s_or_b64 exec, exec, s[2:3]
	s_and_saveexec_b64 s[2:3], s[0:1]
	s_cbranch_execz .LBB47_3080
.LBB47_3043:
	s_sext_i32_i16 s2, s18
	s_cmp_lt_i32 s2, 5
	s_mov_b64 s[0:1], -1
	s_cbranch_scc1 .LBB47_3064
; %bb.3044:
	s_cmp_lt_i32 s2, 8
	s_cbranch_scc1 .LBB47_3054
; %bb.3045:
	s_cmp_lt_i32 s2, 9
	s_cbranch_scc1 .LBB47_3051
; %bb.3046:
	s_cmp_gt_i32 s2, 9
	s_cbranch_scc0 .LBB47_3048
; %bb.3047:
	s_waitcnt vmcnt(0)
	v_bfe_i32 v3, v2, 0, 8
	v_bfe_i32 v3, v3, 0, 16
	v_cvt_f64_i32_e32 v[3:4], v3
	v_mov_b32_e32 v5, 0
	v_mov_b32_e32 v6, v5
	s_mov_b64 s[0:1], 0
	global_store_dwordx4 v[0:1], v[3:6], off
.LBB47_3048:
	s_andn2_b64 vcc, exec, s[0:1]
	s_cbranch_vccnz .LBB47_3050
; %bb.3049:
	s_waitcnt vmcnt(0)
	v_bfe_i32 v3, v2, 0, 8
	v_cvt_f32_i32_sdwa v3, sext(v3) dst_sel:DWORD dst_unused:UNUSED_PAD src0_sel:WORD_0
	v_mov_b32_e32 v4, 0
	global_store_dwordx2 v[0:1], v[3:4], off
.LBB47_3050:
	s_mov_b64 s[0:1], 0
.LBB47_3051:
	s_andn2_b64 vcc, exec, s[0:1]
	s_cbranch_vccnz .LBB47_3053
; %bb.3052:
	s_waitcnt vmcnt(0)
	v_cvt_f16_i16_sdwa v3, sext(v2) dst_sel:DWORD dst_unused:UNUSED_PAD src0_sel:BYTE_0
	global_store_dword v[0:1], v3, off
.LBB47_3053:
	s_mov_b64 s[0:1], 0
.LBB47_3054:
	s_andn2_b64 vcc, exec, s[0:1]
	s_cbranch_vccnz .LBB47_3063
; %bb.3055:
	s_sext_i32_i16 s2, s18
	s_cmp_lt_i32 s2, 6
	s_mov_b64 s[0:1], -1
	s_cbranch_scc1 .LBB47_3061
; %bb.3056:
	s_cmp_gt_i32 s2, 6
	s_cbranch_scc0 .LBB47_3058
; %bb.3057:
	s_waitcnt vmcnt(0)
	v_bfe_i32 v3, v2, 0, 8
	v_bfe_i32 v3, v3, 0, 16
	v_cvt_f64_i32_e32 v[3:4], v3
	s_mov_b64 s[0:1], 0
	global_store_dwordx2 v[0:1], v[3:4], off
.LBB47_3058:
	s_andn2_b64 vcc, exec, s[0:1]
	s_cbranch_vccnz .LBB47_3060
; %bb.3059:
	s_waitcnt vmcnt(0)
	v_bfe_i32 v3, v2, 0, 8
	v_cvt_f32_i32_sdwa v3, sext(v3) dst_sel:DWORD dst_unused:UNUSED_PAD src0_sel:WORD_0
	global_store_dword v[0:1], v3, off
.LBB47_3060:
	s_mov_b64 s[0:1], 0
.LBB47_3061:
	s_andn2_b64 vcc, exec, s[0:1]
	s_cbranch_vccnz .LBB47_3063
; %bb.3062:
	s_waitcnt vmcnt(0)
	v_cvt_f16_i16_sdwa v3, sext(v2) dst_sel:DWORD dst_unused:UNUSED_PAD src0_sel:BYTE_0
	global_store_short v[0:1], v3, off
.LBB47_3063:
	s_mov_b64 s[0:1], 0
.LBB47_3064:
	s_andn2_b64 vcc, exec, s[0:1]
	s_cbranch_vccnz .LBB47_3080
; %bb.3065:
	s_sext_i32_i16 s2, s18
	s_cmp_lt_i32 s2, 2
	s_mov_b64 s[0:1], -1
	s_cbranch_scc1 .LBB47_3075
; %bb.3066:
	s_cmp_lt_i32 s2, 3
	s_cbranch_scc1 .LBB47_3072
; %bb.3067:
	s_cmp_gt_i32 s2, 3
	s_cbranch_scc0 .LBB47_3069
; %bb.3068:
	s_waitcnt vmcnt(0)
	v_bfe_i32 v3, v2, 0, 8
	v_ashrrev_i32_e32 v4, 31, v3
	global_store_dwordx2 v[0:1], v[3:4], off
	s_mov_b64 s[0:1], 0
.LBB47_3069:
	s_andn2_b64 vcc, exec, s[0:1]
	s_cbranch_vccnz .LBB47_3071
; %bb.3070:
	s_waitcnt vmcnt(0)
	v_bfe_i32 v3, v2, 0, 8
	global_store_dword v[0:1], v3, off
.LBB47_3071:
	s_mov_b64 s[0:1], 0
.LBB47_3072:
	s_andn2_b64 vcc, exec, s[0:1]
	s_cbranch_vccnz .LBB47_3074
; %bb.3073:
	s_waitcnt vmcnt(0)
	v_bfe_i32 v3, v2, 0, 8
	global_store_short v[0:1], v3, off
.LBB47_3074:
	s_mov_b64 s[0:1], 0
.LBB47_3075:
	s_andn2_b64 vcc, exec, s[0:1]
	s_cbranch_vccnz .LBB47_3080
; %bb.3076:
	s_sext_i32_i16 s0, s18
	s_cmp_gt_i32 s0, 0
	s_mov_b64 s[0:1], -1
	s_cbranch_scc0 .LBB47_3078
; %bb.3077:
	s_waitcnt vmcnt(0)
	global_store_byte v[0:1], v2, off
	s_mov_b64 s[0:1], 0
.LBB47_3078:
	s_andn2_b64 vcc, exec, s[0:1]
	s_cbranch_vccnz .LBB47_3080
; %bb.3079:
	s_waitcnt vmcnt(0)
	global_store_byte v[0:1], v2, off
	s_endpgm
.LBB47_3080:
	s_endpgm
.LBB47_3081:
	s_mov_b64 s[2:3], 0
	s_mov_b64 s[0:1], -1
	s_branch .LBB47_3037
.LBB47_3082:
	s_trap 2
	s_or_b64 s[4:5], s[4:5], exec
	s_cbranch_execz .LBB47_2551
	s_branch .LBB47_2552
.LBB47_3083:
	s_andn2_saveexec_b64 s[16:17], s[16:17]
	s_cbranch_execz .LBB47_2631
.LBB47_3084:
	s_mov_b32 s21, 0x46000000
	v_add_f32_e64 v7, |v3|, s21
	v_and_b32_e32 v7, 0xff, v7
	v_cmp_ne_u32_e32 vcc, 0, v7
	s_andn2_b64 s[10:11], s[10:11], exec
	s_and_b64 s[22:23], vcc, exec
	s_or_b64 s[10:11], s[10:11], s[22:23]
	s_or_b64 exec, exec, s[16:17]
	v_mov_b32_e32 v9, 0
	s_and_saveexec_b64 s[16:17], s[10:11]
	s_cbranch_execnz .LBB47_2632
	s_branch .LBB47_2633
.LBB47_3085:
	s_trap 2
	s_or_b64 s[4:5], s[4:5], exec
	s_cbranch_execz .LBB47_2679
	s_branch .LBB47_2680
.LBB47_3086:
	s_andn2_saveexec_b64 s[10:11], s[10:11]
	s_cbranch_execz .LBB47_2644
.LBB47_3087:
	s_mov_b32 s16, 0x42800000
	v_add_f32_e64 v7, |v3|, s16
	v_and_b32_e32 v7, 0xff, v7
	v_cmp_ne_u32_e32 vcc, 0, v7
	s_andn2_b64 s[6:7], s[6:7], exec
	s_and_b64 s[16:17], vcc, exec
	s_or_b64 s[6:7], s[6:7], s[16:17]
	s_or_b64 exec, exec, s[10:11]
	v_mov_b32_e32 v9, 0
	s_and_saveexec_b64 s[10:11], s[6:7]
	s_cbranch_execnz .LBB47_2645
	s_branch .LBB47_2646
.LBB47_3088:
	s_andn2_saveexec_b64 s[16:17], s[16:17]
	s_cbranch_execz .LBB47_2750
.LBB47_3089:
	s_mov_b32 s20, 0x46000000
	v_add_f32_e64 v6, |v5|, s20
	v_and_b32_e32 v6, 0xff, v6
	v_cmp_ne_u32_e32 vcc, 0, v6
	s_andn2_b64 s[10:11], s[10:11], exec
	s_and_b64 s[20:21], vcc, exec
	s_or_b64 s[10:11], s[10:11], s[20:21]
	s_or_b64 exec, exec, s[16:17]
	v_mov_b32_e32 v7, 0
	s_and_saveexec_b64 s[16:17], s[10:11]
	s_cbranch_execnz .LBB47_2751
	s_branch .LBB47_2752
.LBB47_3090:
	s_trap 2
	s_or_b64 s[4:5], s[4:5], exec
	s_cbranch_execz .LBB47_2798
	s_branch .LBB47_2799
.LBB47_3091:
	s_andn2_saveexec_b64 s[10:11], s[10:11]
	s_cbranch_execz .LBB47_2763
.LBB47_3092:
	s_mov_b32 s16, 0x42800000
	v_add_f32_e64 v6, |v5|, s16
	v_and_b32_e32 v6, 0xff, v6
	v_cmp_ne_u32_e32 vcc, 0, v6
	s_andn2_b64 s[6:7], s[6:7], exec
	s_and_b64 s[16:17], vcc, exec
	s_or_b64 s[6:7], s[6:7], s[16:17]
	s_or_b64 exec, exec, s[10:11]
	v_mov_b32_e32 v7, 0
	s_and_saveexec_b64 s[10:11], s[6:7]
	s_cbranch_execnz .LBB47_2764
	s_branch .LBB47_2765
.LBB47_3093:
	s_andn2_saveexec_b64 s[16:17], s[16:17]
	s_cbranch_execz .LBB47_2869
.LBB47_3094:
	s_mov_b32 s20, 0x46000000
	v_add_f32_e64 v5, |v4|, s20
	v_and_b32_e32 v5, 0xff, v5
	v_cmp_ne_u32_e32 vcc, 0, v5
	s_andn2_b64 s[10:11], s[10:11], exec
	s_and_b64 s[20:21], vcc, exec
	s_or_b64 s[10:11], s[10:11], s[20:21]
	s_or_b64 exec, exec, s[16:17]
	v_mov_b32_e32 v6, 0
	s_and_saveexec_b64 s[16:17], s[10:11]
	s_cbranch_execnz .LBB47_2870
	s_branch .LBB47_2871
.LBB47_3095:
	s_trap 2
	s_or_b64 s[4:5], s[4:5], exec
	s_cbranch_execz .LBB47_2917
	s_branch .LBB47_2918
.LBB47_3096:
	s_andn2_saveexec_b64 s[10:11], s[10:11]
	s_cbranch_execz .LBB47_2882
.LBB47_3097:
	s_mov_b32 s16, 0x42800000
	v_add_f32_e64 v5, |v4|, s16
	v_and_b32_e32 v5, 0xff, v5
	v_cmp_ne_u32_e32 vcc, 0, v5
	s_andn2_b64 s[6:7], s[6:7], exec
	s_and_b64 s[16:17], vcc, exec
	s_or_b64 s[6:7], s[6:7], s[16:17]
	s_or_b64 exec, exec, s[10:11]
	v_mov_b32_e32 v6, 0
	s_and_saveexec_b64 s[10:11], s[6:7]
	s_cbranch_execnz .LBB47_2883
	s_branch .LBB47_2884
.LBB47_3098:
	s_andn2_saveexec_b64 s[10:11], s[10:11]
	s_cbranch_execz .LBB47_2989
.LBB47_3099:
	s_mov_b32 s17, 0x46000000
	v_add_f32_e64 v4, |v3|, s17
	v_and_b32_e32 v4, 0xff, v4
	v_cmp_ne_u32_e32 vcc, 0, v4
	s_andn2_b64 s[8:9], s[8:9], exec
	s_and_b64 s[20:21], vcc, exec
	s_or_b64 s[8:9], s[8:9], s[20:21]
	s_or_b64 exec, exec, s[10:11]
	v_mov_b32_e32 v5, 0
	s_and_saveexec_b64 s[10:11], s[8:9]
	s_cbranch_execnz .LBB47_2990
	s_branch .LBB47_2991
.LBB47_3100:
	s_mov_b64 s[2:3], 0
	s_or_b64 s[4:5], s[4:5], exec
	s_trap 2
	s_branch .LBB47_3035
.LBB47_3101:
	s_andn2_saveexec_b64 s[8:9], s[8:9]
	s_cbranch_execz .LBB47_3001
.LBB47_3102:
	s_mov_b32 s10, 0x42800000
	v_add_f32_e64 v4, |v3|, s10
	v_and_b32_e32 v4, 0xff, v4
	v_cmp_ne_u32_e32 vcc, 0, v4
	s_andn2_b64 s[6:7], s[6:7], exec
	s_and_b64 s[10:11], vcc, exec
	s_or_b64 s[6:7], s[6:7], s[10:11]
	s_or_b64 exec, exec, s[8:9]
	v_mov_b32_e32 v5, 0
	s_and_saveexec_b64 s[8:9], s[6:7]
	s_cbranch_execnz .LBB47_3002
	s_branch .LBB47_3003
	.section	.rodata,"a",@progbits
	.p2align	6, 0x0
	.amdhsa_kernel _ZN2at6native32elementwise_kernel_manual_unrollILi128ELi4EZNS0_15gpu_kernel_implINS0_13BinaryFunctorIaaaZZZNS0_18lshift_kernel_cudaERNS_18TensorIteratorBaseEENKUlvE_clEvENKUlvE0_clEvEUlaaE_EEEEvS5_RKT_EUlibE0_EEviT1_
		.amdhsa_group_segment_fixed_size 0
		.amdhsa_private_segment_fixed_size 0
		.amdhsa_kernarg_size 432
		.amdhsa_user_sgpr_count 6
		.amdhsa_user_sgpr_private_segment_buffer 1
		.amdhsa_user_sgpr_dispatch_ptr 0
		.amdhsa_user_sgpr_queue_ptr 0
		.amdhsa_user_sgpr_kernarg_segment_ptr 1
		.amdhsa_user_sgpr_dispatch_id 0
		.amdhsa_user_sgpr_flat_scratch_init 0
		.amdhsa_user_sgpr_private_segment_size 0
		.amdhsa_uses_dynamic_stack 0
		.amdhsa_system_sgpr_private_segment_wavefront_offset 0
		.amdhsa_system_sgpr_workgroup_id_x 1
		.amdhsa_system_sgpr_workgroup_id_y 0
		.amdhsa_system_sgpr_workgroup_id_z 0
		.amdhsa_system_sgpr_workgroup_info 0
		.amdhsa_system_vgpr_workitem_id 0
		.amdhsa_next_free_vgpr 23
		.amdhsa_next_free_sgpr 80
		.amdhsa_reserve_vcc 1
		.amdhsa_reserve_flat_scratch 0
		.amdhsa_float_round_mode_32 0
		.amdhsa_float_round_mode_16_64 0
		.amdhsa_float_denorm_mode_32 3
		.amdhsa_float_denorm_mode_16_64 3
		.amdhsa_dx10_clamp 1
		.amdhsa_ieee_mode 1
		.amdhsa_fp16_overflow 0
		.amdhsa_exception_fp_ieee_invalid_op 0
		.amdhsa_exception_fp_denorm_src 0
		.amdhsa_exception_fp_ieee_div_zero 0
		.amdhsa_exception_fp_ieee_overflow 0
		.amdhsa_exception_fp_ieee_underflow 0
		.amdhsa_exception_fp_ieee_inexact 0
		.amdhsa_exception_int_div_zero 0
	.end_amdhsa_kernel
	.section	.text._ZN2at6native32elementwise_kernel_manual_unrollILi128ELi4EZNS0_15gpu_kernel_implINS0_13BinaryFunctorIaaaZZZNS0_18lshift_kernel_cudaERNS_18TensorIteratorBaseEENKUlvE_clEvENKUlvE0_clEvEUlaaE_EEEEvS5_RKT_EUlibE0_EEviT1_,"axG",@progbits,_ZN2at6native32elementwise_kernel_manual_unrollILi128ELi4EZNS0_15gpu_kernel_implINS0_13BinaryFunctorIaaaZZZNS0_18lshift_kernel_cudaERNS_18TensorIteratorBaseEENKUlvE_clEvENKUlvE0_clEvEUlaaE_EEEEvS5_RKT_EUlibE0_EEviT1_,comdat
.Lfunc_end47:
	.size	_ZN2at6native32elementwise_kernel_manual_unrollILi128ELi4EZNS0_15gpu_kernel_implINS0_13BinaryFunctorIaaaZZZNS0_18lshift_kernel_cudaERNS_18TensorIteratorBaseEENKUlvE_clEvENKUlvE0_clEvEUlaaE_EEEEvS5_RKT_EUlibE0_EEviT1_, .Lfunc_end47-_ZN2at6native32elementwise_kernel_manual_unrollILi128ELi4EZNS0_15gpu_kernel_implINS0_13BinaryFunctorIaaaZZZNS0_18lshift_kernel_cudaERNS_18TensorIteratorBaseEENKUlvE_clEvENKUlvE0_clEvEUlaaE_EEEEvS5_RKT_EUlibE0_EEviT1_
                                        ; -- End function
	.set _ZN2at6native32elementwise_kernel_manual_unrollILi128ELi4EZNS0_15gpu_kernel_implINS0_13BinaryFunctorIaaaZZZNS0_18lshift_kernel_cudaERNS_18TensorIteratorBaseEENKUlvE_clEvENKUlvE0_clEvEUlaaE_EEEEvS5_RKT_EUlibE0_EEviT1_.num_vgpr, 23
	.set _ZN2at6native32elementwise_kernel_manual_unrollILi128ELi4EZNS0_15gpu_kernel_implINS0_13BinaryFunctorIaaaZZZNS0_18lshift_kernel_cudaERNS_18TensorIteratorBaseEENKUlvE_clEvENKUlvE0_clEvEUlaaE_EEEEvS5_RKT_EUlibE0_EEviT1_.num_agpr, 0
	.set _ZN2at6native32elementwise_kernel_manual_unrollILi128ELi4EZNS0_15gpu_kernel_implINS0_13BinaryFunctorIaaaZZZNS0_18lshift_kernel_cudaERNS_18TensorIteratorBaseEENKUlvE_clEvENKUlvE0_clEvEUlaaE_EEEEvS5_RKT_EUlibE0_EEviT1_.numbered_sgpr, 80
	.set _ZN2at6native32elementwise_kernel_manual_unrollILi128ELi4EZNS0_15gpu_kernel_implINS0_13BinaryFunctorIaaaZZZNS0_18lshift_kernel_cudaERNS_18TensorIteratorBaseEENKUlvE_clEvENKUlvE0_clEvEUlaaE_EEEEvS5_RKT_EUlibE0_EEviT1_.num_named_barrier, 0
	.set _ZN2at6native32elementwise_kernel_manual_unrollILi128ELi4EZNS0_15gpu_kernel_implINS0_13BinaryFunctorIaaaZZZNS0_18lshift_kernel_cudaERNS_18TensorIteratorBaseEENKUlvE_clEvENKUlvE0_clEvEUlaaE_EEEEvS5_RKT_EUlibE0_EEviT1_.private_seg_size, 0
	.set _ZN2at6native32elementwise_kernel_manual_unrollILi128ELi4EZNS0_15gpu_kernel_implINS0_13BinaryFunctorIaaaZZZNS0_18lshift_kernel_cudaERNS_18TensorIteratorBaseEENKUlvE_clEvENKUlvE0_clEvEUlaaE_EEEEvS5_RKT_EUlibE0_EEviT1_.uses_vcc, 1
	.set _ZN2at6native32elementwise_kernel_manual_unrollILi128ELi4EZNS0_15gpu_kernel_implINS0_13BinaryFunctorIaaaZZZNS0_18lshift_kernel_cudaERNS_18TensorIteratorBaseEENKUlvE_clEvENKUlvE0_clEvEUlaaE_EEEEvS5_RKT_EUlibE0_EEviT1_.uses_flat_scratch, 0
	.set _ZN2at6native32elementwise_kernel_manual_unrollILi128ELi4EZNS0_15gpu_kernel_implINS0_13BinaryFunctorIaaaZZZNS0_18lshift_kernel_cudaERNS_18TensorIteratorBaseEENKUlvE_clEvENKUlvE0_clEvEUlaaE_EEEEvS5_RKT_EUlibE0_EEviT1_.has_dyn_sized_stack, 0
	.set _ZN2at6native32elementwise_kernel_manual_unrollILi128ELi4EZNS0_15gpu_kernel_implINS0_13BinaryFunctorIaaaZZZNS0_18lshift_kernel_cudaERNS_18TensorIteratorBaseEENKUlvE_clEvENKUlvE0_clEvEUlaaE_EEEEvS5_RKT_EUlibE0_EEviT1_.has_recursion, 0
	.set _ZN2at6native32elementwise_kernel_manual_unrollILi128ELi4EZNS0_15gpu_kernel_implINS0_13BinaryFunctorIaaaZZZNS0_18lshift_kernel_cudaERNS_18TensorIteratorBaseEENKUlvE_clEvENKUlvE0_clEvEUlaaE_EEEEvS5_RKT_EUlibE0_EEviT1_.has_indirect_call, 0
	.section	.AMDGPU.csdata,"",@progbits
; Kernel info:
; codeLenInByte = 49400
; TotalNumSgprs: 84
; NumVgprs: 23
; ScratchSize: 0
; MemoryBound: 1
; FloatMode: 240
; IeeeMode: 1
; LDSByteSize: 0 bytes/workgroup (compile time only)
; SGPRBlocks: 10
; VGPRBlocks: 5
; NumSGPRsForWavesPerEU: 84
; NumVGPRsForWavesPerEU: 23
; Occupancy: 9
; WaveLimiterHint : 1
; COMPUTE_PGM_RSRC2:SCRATCH_EN: 0
; COMPUTE_PGM_RSRC2:USER_SGPR: 6
; COMPUTE_PGM_RSRC2:TRAP_HANDLER: 0
; COMPUTE_PGM_RSRC2:TGID_X_EN: 1
; COMPUTE_PGM_RSRC2:TGID_Y_EN: 0
; COMPUTE_PGM_RSRC2:TGID_Z_EN: 0
; COMPUTE_PGM_RSRC2:TIDIG_COMP_CNT: 0
	.section	.text._ZN2at6native29vectorized_elementwise_kernelILi16ENS0_13AUnaryFunctorIiiiZZZNS0_18lshift_kernel_cudaERNS_18TensorIteratorBaseEENKUlvE_clEvENKUlvE1_clEvEUliiE_EESt5arrayIPcLm2EEEEviT0_T1_,"axG",@progbits,_ZN2at6native29vectorized_elementwise_kernelILi16ENS0_13AUnaryFunctorIiiiZZZNS0_18lshift_kernel_cudaERNS_18TensorIteratorBaseEENKUlvE_clEvENKUlvE1_clEvEUliiE_EESt5arrayIPcLm2EEEEviT0_T1_,comdat
	.globl	_ZN2at6native29vectorized_elementwise_kernelILi16ENS0_13AUnaryFunctorIiiiZZZNS0_18lshift_kernel_cudaERNS_18TensorIteratorBaseEENKUlvE_clEvENKUlvE1_clEvEUliiE_EESt5arrayIPcLm2EEEEviT0_T1_ ; -- Begin function _ZN2at6native29vectorized_elementwise_kernelILi16ENS0_13AUnaryFunctorIiiiZZZNS0_18lshift_kernel_cudaERNS_18TensorIteratorBaseEENKUlvE_clEvENKUlvE1_clEvEUliiE_EESt5arrayIPcLm2EEEEviT0_T1_
	.p2align	8
	.type	_ZN2at6native29vectorized_elementwise_kernelILi16ENS0_13AUnaryFunctorIiiiZZZNS0_18lshift_kernel_cudaERNS_18TensorIteratorBaseEENKUlvE_clEvENKUlvE1_clEvEUliiE_EESt5arrayIPcLm2EEEEviT0_T1_,@function
_ZN2at6native29vectorized_elementwise_kernelILi16ENS0_13AUnaryFunctorIiiiZZZNS0_18lshift_kernel_cudaERNS_18TensorIteratorBaseEENKUlvE_clEvENKUlvE1_clEvEUliiE_EESt5arrayIPcLm2EEEEviT0_T1_: ; @_ZN2at6native29vectorized_elementwise_kernelILi16ENS0_13AUnaryFunctorIiiiZZZNS0_18lshift_kernel_cudaERNS_18TensorIteratorBaseEENKUlvE_clEvENKUlvE1_clEvEUliiE_EESt5arrayIPcLm2EEEEviT0_T1_
; %bb.0:
	s_load_dword s0, s[4:5], 0x0
	s_load_dword s15, s[4:5], 0x8
	s_load_dwordx4 s[8:11], s[4:5], 0x10
	s_lshl_b32 s4, s6, 10
	s_waitcnt lgkmcnt(0)
	s_sub_i32 s14, s0, s4
	s_cmpk_gt_i32 s14, 0x3ff
	s_mov_b64 s[0:1], -1
	s_cbranch_scc0 .LBB48_2
; %bb.1:
	s_ashr_i32 s5, s4, 31
	s_lshl_b64 s[0:1], s[4:5], 2
	s_add_u32 s2, s10, s0
	s_addc_u32 s3, s11, s1
	v_lshlrev_b32_e32 v5, 4, v0
	global_load_dwordx4 v[1:4], v5, s[2:3]
	s_add_u32 s0, s8, s0
	s_addc_u32 s1, s9, s1
	s_waitcnt vmcnt(0)
	v_lshlrev_b32_e64 v6, v1, s15
	v_cmp_gt_u32_e32 vcc, 32, v1
	v_lshlrev_b32_e64 v7, v2, s15
	v_cndmask_b32_e32 v1, 0, v6, vcc
	v_cmp_gt_u32_e32 vcc, 32, v2
	v_lshlrev_b32_e64 v8, v3, s15
	v_cndmask_b32_e32 v2, 0, v7, vcc
	v_cmp_gt_u32_e32 vcc, 32, v3
	v_lshlrev_b32_e64 v9, v4, s15
	v_cndmask_b32_e32 v3, 0, v8, vcc
	v_cmp_gt_u32_e32 vcc, 32, v4
	v_cndmask_b32_e32 v4, 0, v9, vcc
	global_store_dwordx4 v5, v[1:4], s[0:1]
	s_mov_b64 s[0:1], 0
.LBB48_2:
	s_andn2_b64 vcc, exec, s[0:1]
	s_cbranch_vccnz .LBB48_16
; %bb.3:
	v_cmp_gt_i32_e32 vcc, s14, v0
	v_or_b32_e32 v6, 0x100, v0
	v_mov_b32_e32 v8, 0
	v_or_b32_e32 v1, s4, v0
	v_mov_b32_e32 v3, 0
	v_mov_b32_e32 v2, 0
	;; [unrolled: 1-line block ×3, first 2 shown]
	s_and_saveexec_b64 s[2:3], vcc
	s_cbranch_execz .LBB48_11
; %bb.4:
	v_mov_b32_e32 v2, 0
	v_lshlrev_b64 v[3:4], 2, v[1:2]
	v_mov_b32_e32 v5, s11
	v_add_co_u32_e64 v3, s[0:1], s10, v3
	v_addc_co_u32_e64 v4, s[0:1], v5, v4, s[0:1]
	global_load_dword v7, v[3:4], off
	v_cmp_gt_u32_e64 s[0:1], s14, v6
	v_mov_b32_e32 v3, v2
	v_mov_b32_e32 v8, v2
	s_and_saveexec_b64 s[6:7], s[0:1]
	s_cbranch_execz .LBB48_10
; %bb.5:
	v_add_u32_e32 v2, s4, v0
	v_mov_b32_e32 v3, 0
	v_lshlrev_b64 v[4:5], 2, v[2:3]
	v_mov_b32_e32 v2, s11
	v_add_co_u32_e64 v4, s[0:1], s10, v4
	v_addc_co_u32_e64 v5, s[0:1], v2, v5, s[0:1]
	global_load_dword v2, v[4:5], off offset:1024
	v_or_b32_e32 v8, 0x200, v0
	v_cmp_gt_u32_e64 s[0:1], s14, v8
	v_mov_b32_e32 v8, v3
	s_and_saveexec_b64 s[10:11], s[0:1]
	s_cbranch_execz .LBB48_9
; %bb.6:
	global_load_dword v3, v[4:5], off offset:2048
	v_or_b32_e32 v8, 0x300, v0
	v_cmp_gt_u32_e64 s[0:1], s14, v8
	v_mov_b32_e32 v8, 0
	s_and_saveexec_b64 s[12:13], s[0:1]
	s_cbranch_execz .LBB48_8
; %bb.7:
	global_load_dword v8, v[4:5], off offset:3072
.LBB48_8:
	s_or_b64 exec, exec, s[12:13]
.LBB48_9:
	s_or_b64 exec, exec, s[10:11]
.LBB48_10:
	s_or_b64 exec, exec, s[6:7]
.LBB48_11:
	s_or_b64 exec, exec, s[2:3]
	s_waitcnt vmcnt(0)
	v_cmp_gt_u32_e64 s[0:1], 32, v7
	v_lshlrev_b32_e64 v4, v7, s15
	s_and_b64 s[0:1], vcc, s[0:1]
	v_cndmask_b32_e64 v7, 0, v4, s[0:1]
	v_cmp_gt_i32_e64 s[0:1], s14, v6
	v_cmp_gt_u32_e64 s[2:3], 32, v2
	v_lshlrev_b32_e64 v4, v2, s15
	s_and_b64 s[0:1], s[0:1], s[2:3]
	v_or_b32_e32 v2, 0x200, v0
	v_cndmask_b32_e64 v5, 0, v4, s[0:1]
	v_cmp_gt_i32_e64 s[0:1], s14, v2
	v_cmp_gt_u32_e64 s[2:3], 32, v3
	v_lshlrev_b32_e64 v2, v3, s15
	s_and_b64 s[0:1], s[0:1], s[2:3]
	v_cndmask_b32_e64 v4, 0, v2, s[0:1]
	v_or_b32_e32 v2, 0x300, v0
	v_cmp_gt_i32_e64 s[0:1], s14, v2
	v_cmp_gt_u32_e64 s[2:3], 32, v8
	v_lshlrev_b32_e64 v2, v8, s15
	s_and_b64 s[0:1], s[0:1], s[2:3]
	v_cndmask_b32_e64 v3, 0, v2, s[0:1]
	s_and_saveexec_b64 s[0:1], vcc
	s_cbranch_execnz .LBB48_17
; %bb.12:
	s_or_b64 exec, exec, s[0:1]
	v_cmp_gt_i32_e32 vcc, s14, v0
	s_and_saveexec_b64 s[0:1], vcc
	s_cbranch_execnz .LBB48_18
.LBB48_13:
	s_or_b64 exec, exec, s[0:1]
	v_cmp_gt_i32_e32 vcc, s14, v0
	s_and_saveexec_b64 s[0:1], vcc
	s_cbranch_execnz .LBB48_19
.LBB48_14:
	s_or_b64 exec, exec, s[0:1]
	v_cmp_gt_i32_e32 vcc, s14, v0
	s_and_saveexec_b64 s[0:1], vcc
	s_cbranch_execz .LBB48_16
.LBB48_15:
	v_add_u32_e32 v0, s4, v0
	v_mov_b32_e32 v1, 0
	v_lshlrev_b64 v[0:1], 2, v[0:1]
	v_mov_b32_e32 v2, s9
	v_add_co_u32_e32 v0, vcc, s8, v0
	v_addc_co_u32_e32 v1, vcc, v2, v1, vcc
	global_store_dword v[0:1], v3, off
.LBB48_16:
	s_endpgm
.LBB48_17:
	v_mov_b32_e32 v2, 0
	v_lshlrev_b64 v[0:1], 2, v[1:2]
	v_mov_b32_e32 v2, s9
	v_add_co_u32_e32 v0, vcc, s8, v0
	v_addc_co_u32_e32 v1, vcc, v2, v1, vcc
	global_store_dword v[0:1], v7, off
	v_mov_b32_e32 v0, v6
	s_or_b64 exec, exec, s[0:1]
	v_cmp_gt_i32_e32 vcc, s14, v0
	s_and_saveexec_b64 s[0:1], vcc
	s_cbranch_execz .LBB48_13
.LBB48_18:
	v_add_u32_e32 v1, s4, v0
	v_mov_b32_e32 v2, 0
	v_lshlrev_b64 v[1:2], 2, v[1:2]
	v_mov_b32_e32 v6, s9
	v_add_co_u32_e32 v1, vcc, s8, v1
	v_addc_co_u32_e32 v2, vcc, v6, v2, vcc
	v_add_u32_e32 v0, 0x100, v0
	global_store_dword v[1:2], v5, off
	s_or_b64 exec, exec, s[0:1]
	v_cmp_gt_i32_e32 vcc, s14, v0
	s_and_saveexec_b64 s[0:1], vcc
	s_cbranch_execz .LBB48_14
.LBB48_19:
	v_add_u32_e32 v1, s4, v0
	v_mov_b32_e32 v2, 0
	v_lshlrev_b64 v[1:2], 2, v[1:2]
	v_mov_b32_e32 v5, s9
	v_add_co_u32_e32 v1, vcc, s8, v1
	v_addc_co_u32_e32 v2, vcc, v5, v2, vcc
	v_add_u32_e32 v0, 0x100, v0
	global_store_dword v[1:2], v4, off
	s_or_b64 exec, exec, s[0:1]
	v_cmp_gt_i32_e32 vcc, s14, v0
	s_and_saveexec_b64 s[0:1], vcc
	s_cbranch_execnz .LBB48_15
	s_branch .LBB48_16
	.section	.rodata,"a",@progbits
	.p2align	6, 0x0
	.amdhsa_kernel _ZN2at6native29vectorized_elementwise_kernelILi16ENS0_13AUnaryFunctorIiiiZZZNS0_18lshift_kernel_cudaERNS_18TensorIteratorBaseEENKUlvE_clEvENKUlvE1_clEvEUliiE_EESt5arrayIPcLm2EEEEviT0_T1_
		.amdhsa_group_segment_fixed_size 0
		.amdhsa_private_segment_fixed_size 0
		.amdhsa_kernarg_size 32
		.amdhsa_user_sgpr_count 6
		.amdhsa_user_sgpr_private_segment_buffer 1
		.amdhsa_user_sgpr_dispatch_ptr 0
		.amdhsa_user_sgpr_queue_ptr 0
		.amdhsa_user_sgpr_kernarg_segment_ptr 1
		.amdhsa_user_sgpr_dispatch_id 0
		.amdhsa_user_sgpr_flat_scratch_init 0
		.amdhsa_user_sgpr_private_segment_size 0
		.amdhsa_uses_dynamic_stack 0
		.amdhsa_system_sgpr_private_segment_wavefront_offset 0
		.amdhsa_system_sgpr_workgroup_id_x 1
		.amdhsa_system_sgpr_workgroup_id_y 0
		.amdhsa_system_sgpr_workgroup_id_z 0
		.amdhsa_system_sgpr_workgroup_info 0
		.amdhsa_system_vgpr_workitem_id 0
		.amdhsa_next_free_vgpr 10
		.amdhsa_next_free_sgpr 16
		.amdhsa_reserve_vcc 1
		.amdhsa_reserve_flat_scratch 0
		.amdhsa_float_round_mode_32 0
		.amdhsa_float_round_mode_16_64 0
		.amdhsa_float_denorm_mode_32 3
		.amdhsa_float_denorm_mode_16_64 3
		.amdhsa_dx10_clamp 1
		.amdhsa_ieee_mode 1
		.amdhsa_fp16_overflow 0
		.amdhsa_exception_fp_ieee_invalid_op 0
		.amdhsa_exception_fp_denorm_src 0
		.amdhsa_exception_fp_ieee_div_zero 0
		.amdhsa_exception_fp_ieee_overflow 0
		.amdhsa_exception_fp_ieee_underflow 0
		.amdhsa_exception_fp_ieee_inexact 0
		.amdhsa_exception_int_div_zero 0
	.end_amdhsa_kernel
	.section	.text._ZN2at6native29vectorized_elementwise_kernelILi16ENS0_13AUnaryFunctorIiiiZZZNS0_18lshift_kernel_cudaERNS_18TensorIteratorBaseEENKUlvE_clEvENKUlvE1_clEvEUliiE_EESt5arrayIPcLm2EEEEviT0_T1_,"axG",@progbits,_ZN2at6native29vectorized_elementwise_kernelILi16ENS0_13AUnaryFunctorIiiiZZZNS0_18lshift_kernel_cudaERNS_18TensorIteratorBaseEENKUlvE_clEvENKUlvE1_clEvEUliiE_EESt5arrayIPcLm2EEEEviT0_T1_,comdat
.Lfunc_end48:
	.size	_ZN2at6native29vectorized_elementwise_kernelILi16ENS0_13AUnaryFunctorIiiiZZZNS0_18lshift_kernel_cudaERNS_18TensorIteratorBaseEENKUlvE_clEvENKUlvE1_clEvEUliiE_EESt5arrayIPcLm2EEEEviT0_T1_, .Lfunc_end48-_ZN2at6native29vectorized_elementwise_kernelILi16ENS0_13AUnaryFunctorIiiiZZZNS0_18lshift_kernel_cudaERNS_18TensorIteratorBaseEENKUlvE_clEvENKUlvE1_clEvEUliiE_EESt5arrayIPcLm2EEEEviT0_T1_
                                        ; -- End function
	.set _ZN2at6native29vectorized_elementwise_kernelILi16ENS0_13AUnaryFunctorIiiiZZZNS0_18lshift_kernel_cudaERNS_18TensorIteratorBaseEENKUlvE_clEvENKUlvE1_clEvEUliiE_EESt5arrayIPcLm2EEEEviT0_T1_.num_vgpr, 10
	.set _ZN2at6native29vectorized_elementwise_kernelILi16ENS0_13AUnaryFunctorIiiiZZZNS0_18lshift_kernel_cudaERNS_18TensorIteratorBaseEENKUlvE_clEvENKUlvE1_clEvEUliiE_EESt5arrayIPcLm2EEEEviT0_T1_.num_agpr, 0
	.set _ZN2at6native29vectorized_elementwise_kernelILi16ENS0_13AUnaryFunctorIiiiZZZNS0_18lshift_kernel_cudaERNS_18TensorIteratorBaseEENKUlvE_clEvENKUlvE1_clEvEUliiE_EESt5arrayIPcLm2EEEEviT0_T1_.numbered_sgpr, 16
	.set _ZN2at6native29vectorized_elementwise_kernelILi16ENS0_13AUnaryFunctorIiiiZZZNS0_18lshift_kernel_cudaERNS_18TensorIteratorBaseEENKUlvE_clEvENKUlvE1_clEvEUliiE_EESt5arrayIPcLm2EEEEviT0_T1_.num_named_barrier, 0
	.set _ZN2at6native29vectorized_elementwise_kernelILi16ENS0_13AUnaryFunctorIiiiZZZNS0_18lshift_kernel_cudaERNS_18TensorIteratorBaseEENKUlvE_clEvENKUlvE1_clEvEUliiE_EESt5arrayIPcLm2EEEEviT0_T1_.private_seg_size, 0
	.set _ZN2at6native29vectorized_elementwise_kernelILi16ENS0_13AUnaryFunctorIiiiZZZNS0_18lshift_kernel_cudaERNS_18TensorIteratorBaseEENKUlvE_clEvENKUlvE1_clEvEUliiE_EESt5arrayIPcLm2EEEEviT0_T1_.uses_vcc, 1
	.set _ZN2at6native29vectorized_elementwise_kernelILi16ENS0_13AUnaryFunctorIiiiZZZNS0_18lshift_kernel_cudaERNS_18TensorIteratorBaseEENKUlvE_clEvENKUlvE1_clEvEUliiE_EESt5arrayIPcLm2EEEEviT0_T1_.uses_flat_scratch, 0
	.set _ZN2at6native29vectorized_elementwise_kernelILi16ENS0_13AUnaryFunctorIiiiZZZNS0_18lshift_kernel_cudaERNS_18TensorIteratorBaseEENKUlvE_clEvENKUlvE1_clEvEUliiE_EESt5arrayIPcLm2EEEEviT0_T1_.has_dyn_sized_stack, 0
	.set _ZN2at6native29vectorized_elementwise_kernelILi16ENS0_13AUnaryFunctorIiiiZZZNS0_18lshift_kernel_cudaERNS_18TensorIteratorBaseEENKUlvE_clEvENKUlvE1_clEvEUliiE_EESt5arrayIPcLm2EEEEviT0_T1_.has_recursion, 0
	.set _ZN2at6native29vectorized_elementwise_kernelILi16ENS0_13AUnaryFunctorIiiiZZZNS0_18lshift_kernel_cudaERNS_18TensorIteratorBaseEENKUlvE_clEvENKUlvE1_clEvEUliiE_EESt5arrayIPcLm2EEEEviT0_T1_.has_indirect_call, 0
	.section	.AMDGPU.csdata,"",@progbits
; Kernel info:
; codeLenInByte = 836
; TotalNumSgprs: 20
; NumVgprs: 10
; ScratchSize: 0
; MemoryBound: 0
; FloatMode: 240
; IeeeMode: 1
; LDSByteSize: 0 bytes/workgroup (compile time only)
; SGPRBlocks: 2
; VGPRBlocks: 2
; NumSGPRsForWavesPerEU: 20
; NumVGPRsForWavesPerEU: 10
; Occupancy: 10
; WaveLimiterHint : 0
; COMPUTE_PGM_RSRC2:SCRATCH_EN: 0
; COMPUTE_PGM_RSRC2:USER_SGPR: 6
; COMPUTE_PGM_RSRC2:TRAP_HANDLER: 0
; COMPUTE_PGM_RSRC2:TGID_X_EN: 1
; COMPUTE_PGM_RSRC2:TGID_Y_EN: 0
; COMPUTE_PGM_RSRC2:TGID_Z_EN: 0
; COMPUTE_PGM_RSRC2:TIDIG_COMP_CNT: 0
	.section	.text._ZN2at6native29vectorized_elementwise_kernelILi8ENS0_13AUnaryFunctorIiiiZZZNS0_18lshift_kernel_cudaERNS_18TensorIteratorBaseEENKUlvE_clEvENKUlvE1_clEvEUliiE_EESt5arrayIPcLm2EEEEviT0_T1_,"axG",@progbits,_ZN2at6native29vectorized_elementwise_kernelILi8ENS0_13AUnaryFunctorIiiiZZZNS0_18lshift_kernel_cudaERNS_18TensorIteratorBaseEENKUlvE_clEvENKUlvE1_clEvEUliiE_EESt5arrayIPcLm2EEEEviT0_T1_,comdat
	.globl	_ZN2at6native29vectorized_elementwise_kernelILi8ENS0_13AUnaryFunctorIiiiZZZNS0_18lshift_kernel_cudaERNS_18TensorIteratorBaseEENKUlvE_clEvENKUlvE1_clEvEUliiE_EESt5arrayIPcLm2EEEEviT0_T1_ ; -- Begin function _ZN2at6native29vectorized_elementwise_kernelILi8ENS0_13AUnaryFunctorIiiiZZZNS0_18lshift_kernel_cudaERNS_18TensorIteratorBaseEENKUlvE_clEvENKUlvE1_clEvEUliiE_EESt5arrayIPcLm2EEEEviT0_T1_
	.p2align	8
	.type	_ZN2at6native29vectorized_elementwise_kernelILi8ENS0_13AUnaryFunctorIiiiZZZNS0_18lshift_kernel_cudaERNS_18TensorIteratorBaseEENKUlvE_clEvENKUlvE1_clEvEUliiE_EESt5arrayIPcLm2EEEEviT0_T1_,@function
_ZN2at6native29vectorized_elementwise_kernelILi8ENS0_13AUnaryFunctorIiiiZZZNS0_18lshift_kernel_cudaERNS_18TensorIteratorBaseEENKUlvE_clEvENKUlvE1_clEvEUliiE_EESt5arrayIPcLm2EEEEviT0_T1_: ; @_ZN2at6native29vectorized_elementwise_kernelILi8ENS0_13AUnaryFunctorIiiiZZZNS0_18lshift_kernel_cudaERNS_18TensorIteratorBaseEENKUlvE_clEvENKUlvE1_clEvEUliiE_EESt5arrayIPcLm2EEEEviT0_T1_
; %bb.0:
	s_load_dword s0, s[4:5], 0x0
	s_load_dword s15, s[4:5], 0x8
	s_load_dwordx4 s[8:11], s[4:5], 0x10
	s_lshl_b32 s4, s6, 10
	s_waitcnt lgkmcnt(0)
	s_sub_i32 s14, s0, s4
	s_cmpk_gt_i32 s14, 0x3ff
	s_mov_b64 s[0:1], -1
	s_cbranch_scc0 .LBB49_2
; %bb.1:
	s_ashr_i32 s5, s4, 31
	s_lshl_b64 s[0:1], s[4:5], 2
	s_add_u32 s2, s10, s0
	s_addc_u32 s3, s11, s1
	v_lshlrev_b32_e32 v5, 4, v0
	global_load_dwordx4 v[1:4], v5, s[2:3]
	s_add_u32 s0, s8, s0
	s_addc_u32 s1, s9, s1
	s_waitcnt vmcnt(0)
	v_lshlrev_b32_e64 v6, v1, s15
	v_cmp_gt_u32_e32 vcc, 32, v1
	v_lshlrev_b32_e64 v7, v2, s15
	v_cndmask_b32_e32 v1, 0, v6, vcc
	v_cmp_gt_u32_e32 vcc, 32, v2
	v_lshlrev_b32_e64 v8, v3, s15
	v_cndmask_b32_e32 v2, 0, v7, vcc
	;; [unrolled: 3-line block ×3, first 2 shown]
	v_cmp_gt_u32_e32 vcc, 32, v4
	v_cndmask_b32_e32 v4, 0, v9, vcc
	global_store_dwordx4 v5, v[1:4], s[0:1]
	s_mov_b64 s[0:1], 0
.LBB49_2:
	s_andn2_b64 vcc, exec, s[0:1]
	s_cbranch_vccnz .LBB49_16
; %bb.3:
	v_cmp_gt_i32_e32 vcc, s14, v0
	v_or_b32_e32 v6, 0x100, v0
	v_mov_b32_e32 v8, 0
	v_or_b32_e32 v1, s4, v0
	v_mov_b32_e32 v3, 0
	v_mov_b32_e32 v2, 0
	v_mov_b32_e32 v7, 0
	s_and_saveexec_b64 s[2:3], vcc
	s_cbranch_execz .LBB49_11
; %bb.4:
	v_mov_b32_e32 v2, 0
	v_lshlrev_b64 v[3:4], 2, v[1:2]
	v_mov_b32_e32 v5, s11
	v_add_co_u32_e64 v3, s[0:1], s10, v3
	v_addc_co_u32_e64 v4, s[0:1], v5, v4, s[0:1]
	global_load_dword v7, v[3:4], off
	v_cmp_gt_u32_e64 s[0:1], s14, v6
	v_mov_b32_e32 v3, v2
	v_mov_b32_e32 v8, v2
	s_and_saveexec_b64 s[6:7], s[0:1]
	s_cbranch_execz .LBB49_10
; %bb.5:
	v_add_u32_e32 v2, s4, v0
	v_mov_b32_e32 v3, 0
	v_lshlrev_b64 v[4:5], 2, v[2:3]
	v_mov_b32_e32 v2, s11
	v_add_co_u32_e64 v4, s[0:1], s10, v4
	v_addc_co_u32_e64 v5, s[0:1], v2, v5, s[0:1]
	global_load_dword v2, v[4:5], off offset:1024
	v_or_b32_e32 v8, 0x200, v0
	v_cmp_gt_u32_e64 s[0:1], s14, v8
	v_mov_b32_e32 v8, v3
	s_and_saveexec_b64 s[10:11], s[0:1]
	s_cbranch_execz .LBB49_9
; %bb.6:
	global_load_dword v3, v[4:5], off offset:2048
	v_or_b32_e32 v8, 0x300, v0
	v_cmp_gt_u32_e64 s[0:1], s14, v8
	v_mov_b32_e32 v8, 0
	s_and_saveexec_b64 s[12:13], s[0:1]
	s_cbranch_execz .LBB49_8
; %bb.7:
	global_load_dword v8, v[4:5], off offset:3072
.LBB49_8:
	s_or_b64 exec, exec, s[12:13]
.LBB49_9:
	s_or_b64 exec, exec, s[10:11]
.LBB49_10:
	s_or_b64 exec, exec, s[6:7]
.LBB49_11:
	s_or_b64 exec, exec, s[2:3]
	s_waitcnt vmcnt(0)
	v_cmp_gt_u32_e64 s[0:1], 32, v7
	v_lshlrev_b32_e64 v4, v7, s15
	s_and_b64 s[0:1], vcc, s[0:1]
	v_cndmask_b32_e64 v7, 0, v4, s[0:1]
	v_cmp_gt_i32_e64 s[0:1], s14, v6
	v_cmp_gt_u32_e64 s[2:3], 32, v2
	v_lshlrev_b32_e64 v4, v2, s15
	s_and_b64 s[0:1], s[0:1], s[2:3]
	v_or_b32_e32 v2, 0x200, v0
	v_cndmask_b32_e64 v5, 0, v4, s[0:1]
	v_cmp_gt_i32_e64 s[0:1], s14, v2
	v_cmp_gt_u32_e64 s[2:3], 32, v3
	v_lshlrev_b32_e64 v2, v3, s15
	s_and_b64 s[0:1], s[0:1], s[2:3]
	v_cndmask_b32_e64 v4, 0, v2, s[0:1]
	v_or_b32_e32 v2, 0x300, v0
	v_cmp_gt_i32_e64 s[0:1], s14, v2
	v_cmp_gt_u32_e64 s[2:3], 32, v8
	v_lshlrev_b32_e64 v2, v8, s15
	s_and_b64 s[0:1], s[0:1], s[2:3]
	v_cndmask_b32_e64 v3, 0, v2, s[0:1]
	s_and_saveexec_b64 s[0:1], vcc
	s_cbranch_execnz .LBB49_17
; %bb.12:
	s_or_b64 exec, exec, s[0:1]
	v_cmp_gt_i32_e32 vcc, s14, v0
	s_and_saveexec_b64 s[0:1], vcc
	s_cbranch_execnz .LBB49_18
.LBB49_13:
	s_or_b64 exec, exec, s[0:1]
	v_cmp_gt_i32_e32 vcc, s14, v0
	s_and_saveexec_b64 s[0:1], vcc
	s_cbranch_execnz .LBB49_19
.LBB49_14:
	s_or_b64 exec, exec, s[0:1]
	v_cmp_gt_i32_e32 vcc, s14, v0
	s_and_saveexec_b64 s[0:1], vcc
	s_cbranch_execz .LBB49_16
.LBB49_15:
	v_add_u32_e32 v0, s4, v0
	v_mov_b32_e32 v1, 0
	v_lshlrev_b64 v[0:1], 2, v[0:1]
	v_mov_b32_e32 v2, s9
	v_add_co_u32_e32 v0, vcc, s8, v0
	v_addc_co_u32_e32 v1, vcc, v2, v1, vcc
	global_store_dword v[0:1], v3, off
.LBB49_16:
	s_endpgm
.LBB49_17:
	v_mov_b32_e32 v2, 0
	v_lshlrev_b64 v[0:1], 2, v[1:2]
	v_mov_b32_e32 v2, s9
	v_add_co_u32_e32 v0, vcc, s8, v0
	v_addc_co_u32_e32 v1, vcc, v2, v1, vcc
	global_store_dword v[0:1], v7, off
	v_mov_b32_e32 v0, v6
	s_or_b64 exec, exec, s[0:1]
	v_cmp_gt_i32_e32 vcc, s14, v0
	s_and_saveexec_b64 s[0:1], vcc
	s_cbranch_execz .LBB49_13
.LBB49_18:
	v_add_u32_e32 v1, s4, v0
	v_mov_b32_e32 v2, 0
	v_lshlrev_b64 v[1:2], 2, v[1:2]
	v_mov_b32_e32 v6, s9
	v_add_co_u32_e32 v1, vcc, s8, v1
	v_addc_co_u32_e32 v2, vcc, v6, v2, vcc
	v_add_u32_e32 v0, 0x100, v0
	global_store_dword v[1:2], v5, off
	s_or_b64 exec, exec, s[0:1]
	v_cmp_gt_i32_e32 vcc, s14, v0
	s_and_saveexec_b64 s[0:1], vcc
	s_cbranch_execz .LBB49_14
.LBB49_19:
	v_add_u32_e32 v1, s4, v0
	v_mov_b32_e32 v2, 0
	v_lshlrev_b64 v[1:2], 2, v[1:2]
	v_mov_b32_e32 v5, s9
	v_add_co_u32_e32 v1, vcc, s8, v1
	v_addc_co_u32_e32 v2, vcc, v5, v2, vcc
	v_add_u32_e32 v0, 0x100, v0
	global_store_dword v[1:2], v4, off
	s_or_b64 exec, exec, s[0:1]
	v_cmp_gt_i32_e32 vcc, s14, v0
	s_and_saveexec_b64 s[0:1], vcc
	s_cbranch_execnz .LBB49_15
	s_branch .LBB49_16
	.section	.rodata,"a",@progbits
	.p2align	6, 0x0
	.amdhsa_kernel _ZN2at6native29vectorized_elementwise_kernelILi8ENS0_13AUnaryFunctorIiiiZZZNS0_18lshift_kernel_cudaERNS_18TensorIteratorBaseEENKUlvE_clEvENKUlvE1_clEvEUliiE_EESt5arrayIPcLm2EEEEviT0_T1_
		.amdhsa_group_segment_fixed_size 0
		.amdhsa_private_segment_fixed_size 0
		.amdhsa_kernarg_size 32
		.amdhsa_user_sgpr_count 6
		.amdhsa_user_sgpr_private_segment_buffer 1
		.amdhsa_user_sgpr_dispatch_ptr 0
		.amdhsa_user_sgpr_queue_ptr 0
		.amdhsa_user_sgpr_kernarg_segment_ptr 1
		.amdhsa_user_sgpr_dispatch_id 0
		.amdhsa_user_sgpr_flat_scratch_init 0
		.amdhsa_user_sgpr_private_segment_size 0
		.amdhsa_uses_dynamic_stack 0
		.amdhsa_system_sgpr_private_segment_wavefront_offset 0
		.amdhsa_system_sgpr_workgroup_id_x 1
		.amdhsa_system_sgpr_workgroup_id_y 0
		.amdhsa_system_sgpr_workgroup_id_z 0
		.amdhsa_system_sgpr_workgroup_info 0
		.amdhsa_system_vgpr_workitem_id 0
		.amdhsa_next_free_vgpr 10
		.amdhsa_next_free_sgpr 16
		.amdhsa_reserve_vcc 1
		.amdhsa_reserve_flat_scratch 0
		.amdhsa_float_round_mode_32 0
		.amdhsa_float_round_mode_16_64 0
		.amdhsa_float_denorm_mode_32 3
		.amdhsa_float_denorm_mode_16_64 3
		.amdhsa_dx10_clamp 1
		.amdhsa_ieee_mode 1
		.amdhsa_fp16_overflow 0
		.amdhsa_exception_fp_ieee_invalid_op 0
		.amdhsa_exception_fp_denorm_src 0
		.amdhsa_exception_fp_ieee_div_zero 0
		.amdhsa_exception_fp_ieee_overflow 0
		.amdhsa_exception_fp_ieee_underflow 0
		.amdhsa_exception_fp_ieee_inexact 0
		.amdhsa_exception_int_div_zero 0
	.end_amdhsa_kernel
	.section	.text._ZN2at6native29vectorized_elementwise_kernelILi8ENS0_13AUnaryFunctorIiiiZZZNS0_18lshift_kernel_cudaERNS_18TensorIteratorBaseEENKUlvE_clEvENKUlvE1_clEvEUliiE_EESt5arrayIPcLm2EEEEviT0_T1_,"axG",@progbits,_ZN2at6native29vectorized_elementwise_kernelILi8ENS0_13AUnaryFunctorIiiiZZZNS0_18lshift_kernel_cudaERNS_18TensorIteratorBaseEENKUlvE_clEvENKUlvE1_clEvEUliiE_EESt5arrayIPcLm2EEEEviT0_T1_,comdat
.Lfunc_end49:
	.size	_ZN2at6native29vectorized_elementwise_kernelILi8ENS0_13AUnaryFunctorIiiiZZZNS0_18lshift_kernel_cudaERNS_18TensorIteratorBaseEENKUlvE_clEvENKUlvE1_clEvEUliiE_EESt5arrayIPcLm2EEEEviT0_T1_, .Lfunc_end49-_ZN2at6native29vectorized_elementwise_kernelILi8ENS0_13AUnaryFunctorIiiiZZZNS0_18lshift_kernel_cudaERNS_18TensorIteratorBaseEENKUlvE_clEvENKUlvE1_clEvEUliiE_EESt5arrayIPcLm2EEEEviT0_T1_
                                        ; -- End function
	.set _ZN2at6native29vectorized_elementwise_kernelILi8ENS0_13AUnaryFunctorIiiiZZZNS0_18lshift_kernel_cudaERNS_18TensorIteratorBaseEENKUlvE_clEvENKUlvE1_clEvEUliiE_EESt5arrayIPcLm2EEEEviT0_T1_.num_vgpr, 10
	.set _ZN2at6native29vectorized_elementwise_kernelILi8ENS0_13AUnaryFunctorIiiiZZZNS0_18lshift_kernel_cudaERNS_18TensorIteratorBaseEENKUlvE_clEvENKUlvE1_clEvEUliiE_EESt5arrayIPcLm2EEEEviT0_T1_.num_agpr, 0
	.set _ZN2at6native29vectorized_elementwise_kernelILi8ENS0_13AUnaryFunctorIiiiZZZNS0_18lshift_kernel_cudaERNS_18TensorIteratorBaseEENKUlvE_clEvENKUlvE1_clEvEUliiE_EESt5arrayIPcLm2EEEEviT0_T1_.numbered_sgpr, 16
	.set _ZN2at6native29vectorized_elementwise_kernelILi8ENS0_13AUnaryFunctorIiiiZZZNS0_18lshift_kernel_cudaERNS_18TensorIteratorBaseEENKUlvE_clEvENKUlvE1_clEvEUliiE_EESt5arrayIPcLm2EEEEviT0_T1_.num_named_barrier, 0
	.set _ZN2at6native29vectorized_elementwise_kernelILi8ENS0_13AUnaryFunctorIiiiZZZNS0_18lshift_kernel_cudaERNS_18TensorIteratorBaseEENKUlvE_clEvENKUlvE1_clEvEUliiE_EESt5arrayIPcLm2EEEEviT0_T1_.private_seg_size, 0
	.set _ZN2at6native29vectorized_elementwise_kernelILi8ENS0_13AUnaryFunctorIiiiZZZNS0_18lshift_kernel_cudaERNS_18TensorIteratorBaseEENKUlvE_clEvENKUlvE1_clEvEUliiE_EESt5arrayIPcLm2EEEEviT0_T1_.uses_vcc, 1
	.set _ZN2at6native29vectorized_elementwise_kernelILi8ENS0_13AUnaryFunctorIiiiZZZNS0_18lshift_kernel_cudaERNS_18TensorIteratorBaseEENKUlvE_clEvENKUlvE1_clEvEUliiE_EESt5arrayIPcLm2EEEEviT0_T1_.uses_flat_scratch, 0
	.set _ZN2at6native29vectorized_elementwise_kernelILi8ENS0_13AUnaryFunctorIiiiZZZNS0_18lshift_kernel_cudaERNS_18TensorIteratorBaseEENKUlvE_clEvENKUlvE1_clEvEUliiE_EESt5arrayIPcLm2EEEEviT0_T1_.has_dyn_sized_stack, 0
	.set _ZN2at6native29vectorized_elementwise_kernelILi8ENS0_13AUnaryFunctorIiiiZZZNS0_18lshift_kernel_cudaERNS_18TensorIteratorBaseEENKUlvE_clEvENKUlvE1_clEvEUliiE_EESt5arrayIPcLm2EEEEviT0_T1_.has_recursion, 0
	.set _ZN2at6native29vectorized_elementwise_kernelILi8ENS0_13AUnaryFunctorIiiiZZZNS0_18lshift_kernel_cudaERNS_18TensorIteratorBaseEENKUlvE_clEvENKUlvE1_clEvEUliiE_EESt5arrayIPcLm2EEEEviT0_T1_.has_indirect_call, 0
	.section	.AMDGPU.csdata,"",@progbits
; Kernel info:
; codeLenInByte = 836
; TotalNumSgprs: 20
; NumVgprs: 10
; ScratchSize: 0
; MemoryBound: 0
; FloatMode: 240
; IeeeMode: 1
; LDSByteSize: 0 bytes/workgroup (compile time only)
; SGPRBlocks: 2
; VGPRBlocks: 2
; NumSGPRsForWavesPerEU: 20
; NumVGPRsForWavesPerEU: 10
; Occupancy: 10
; WaveLimiterHint : 0
; COMPUTE_PGM_RSRC2:SCRATCH_EN: 0
; COMPUTE_PGM_RSRC2:USER_SGPR: 6
; COMPUTE_PGM_RSRC2:TRAP_HANDLER: 0
; COMPUTE_PGM_RSRC2:TGID_X_EN: 1
; COMPUTE_PGM_RSRC2:TGID_Y_EN: 0
; COMPUTE_PGM_RSRC2:TGID_Z_EN: 0
; COMPUTE_PGM_RSRC2:TIDIG_COMP_CNT: 0
	.section	.text._ZN2at6native29vectorized_elementwise_kernelILi4ENS0_13AUnaryFunctorIiiiZZZNS0_18lshift_kernel_cudaERNS_18TensorIteratorBaseEENKUlvE_clEvENKUlvE1_clEvEUliiE_EESt5arrayIPcLm2EEEEviT0_T1_,"axG",@progbits,_ZN2at6native29vectorized_elementwise_kernelILi4ENS0_13AUnaryFunctorIiiiZZZNS0_18lshift_kernel_cudaERNS_18TensorIteratorBaseEENKUlvE_clEvENKUlvE1_clEvEUliiE_EESt5arrayIPcLm2EEEEviT0_T1_,comdat
	.globl	_ZN2at6native29vectorized_elementwise_kernelILi4ENS0_13AUnaryFunctorIiiiZZZNS0_18lshift_kernel_cudaERNS_18TensorIteratorBaseEENKUlvE_clEvENKUlvE1_clEvEUliiE_EESt5arrayIPcLm2EEEEviT0_T1_ ; -- Begin function _ZN2at6native29vectorized_elementwise_kernelILi4ENS0_13AUnaryFunctorIiiiZZZNS0_18lshift_kernel_cudaERNS_18TensorIteratorBaseEENKUlvE_clEvENKUlvE1_clEvEUliiE_EESt5arrayIPcLm2EEEEviT0_T1_
	.p2align	8
	.type	_ZN2at6native29vectorized_elementwise_kernelILi4ENS0_13AUnaryFunctorIiiiZZZNS0_18lshift_kernel_cudaERNS_18TensorIteratorBaseEENKUlvE_clEvENKUlvE1_clEvEUliiE_EESt5arrayIPcLm2EEEEviT0_T1_,@function
_ZN2at6native29vectorized_elementwise_kernelILi4ENS0_13AUnaryFunctorIiiiZZZNS0_18lshift_kernel_cudaERNS_18TensorIteratorBaseEENKUlvE_clEvENKUlvE1_clEvEUliiE_EESt5arrayIPcLm2EEEEviT0_T1_: ; @_ZN2at6native29vectorized_elementwise_kernelILi4ENS0_13AUnaryFunctorIiiiZZZNS0_18lshift_kernel_cudaERNS_18TensorIteratorBaseEENKUlvE_clEvENKUlvE1_clEvEUliiE_EESt5arrayIPcLm2EEEEviT0_T1_
; %bb.0:
	s_load_dword s0, s[4:5], 0x0
	s_load_dword s15, s[4:5], 0x8
	s_load_dwordx4 s[8:11], s[4:5], 0x10
	s_lshl_b32 s4, s6, 10
	s_waitcnt lgkmcnt(0)
	s_sub_i32 s14, s0, s4
	s_cmpk_gt_i32 s14, 0x3ff
	s_mov_b64 s[0:1], -1
	s_cbranch_scc0 .LBB50_2
; %bb.1:
	s_ashr_i32 s5, s4, 31
	s_lshl_b64 s[0:1], s[4:5], 2
	s_add_u32 s2, s10, s0
	s_addc_u32 s3, s11, s1
	v_lshlrev_b32_e32 v5, 4, v0
	global_load_dwordx4 v[1:4], v5, s[2:3]
	s_add_u32 s0, s8, s0
	s_addc_u32 s1, s9, s1
	s_waitcnt vmcnt(0)
	v_lshlrev_b32_e64 v6, v1, s15
	v_cmp_gt_u32_e32 vcc, 32, v1
	v_lshlrev_b32_e64 v7, v2, s15
	v_cndmask_b32_e32 v1, 0, v6, vcc
	v_cmp_gt_u32_e32 vcc, 32, v2
	v_lshlrev_b32_e64 v8, v3, s15
	v_cndmask_b32_e32 v2, 0, v7, vcc
	;; [unrolled: 3-line block ×3, first 2 shown]
	v_cmp_gt_u32_e32 vcc, 32, v4
	v_cndmask_b32_e32 v4, 0, v9, vcc
	global_store_dwordx4 v5, v[1:4], s[0:1]
	s_mov_b64 s[0:1], 0
.LBB50_2:
	s_andn2_b64 vcc, exec, s[0:1]
	s_cbranch_vccnz .LBB50_16
; %bb.3:
	v_cmp_gt_i32_e32 vcc, s14, v0
	v_or_b32_e32 v6, 0x100, v0
	v_mov_b32_e32 v8, 0
	v_or_b32_e32 v1, s4, v0
	v_mov_b32_e32 v3, 0
	v_mov_b32_e32 v2, 0
	;; [unrolled: 1-line block ×3, first 2 shown]
	s_and_saveexec_b64 s[2:3], vcc
	s_cbranch_execz .LBB50_11
; %bb.4:
	v_mov_b32_e32 v2, 0
	v_lshlrev_b64 v[3:4], 2, v[1:2]
	v_mov_b32_e32 v5, s11
	v_add_co_u32_e64 v3, s[0:1], s10, v3
	v_addc_co_u32_e64 v4, s[0:1], v5, v4, s[0:1]
	global_load_dword v7, v[3:4], off
	v_cmp_gt_u32_e64 s[0:1], s14, v6
	v_mov_b32_e32 v3, v2
	v_mov_b32_e32 v8, v2
	s_and_saveexec_b64 s[6:7], s[0:1]
	s_cbranch_execz .LBB50_10
; %bb.5:
	v_add_u32_e32 v2, s4, v0
	v_mov_b32_e32 v3, 0
	v_lshlrev_b64 v[4:5], 2, v[2:3]
	v_mov_b32_e32 v2, s11
	v_add_co_u32_e64 v4, s[0:1], s10, v4
	v_addc_co_u32_e64 v5, s[0:1], v2, v5, s[0:1]
	global_load_dword v2, v[4:5], off offset:1024
	v_or_b32_e32 v8, 0x200, v0
	v_cmp_gt_u32_e64 s[0:1], s14, v8
	v_mov_b32_e32 v8, v3
	s_and_saveexec_b64 s[10:11], s[0:1]
	s_cbranch_execz .LBB50_9
; %bb.6:
	global_load_dword v3, v[4:5], off offset:2048
	v_or_b32_e32 v8, 0x300, v0
	v_cmp_gt_u32_e64 s[0:1], s14, v8
	v_mov_b32_e32 v8, 0
	s_and_saveexec_b64 s[12:13], s[0:1]
	s_cbranch_execz .LBB50_8
; %bb.7:
	global_load_dword v8, v[4:5], off offset:3072
.LBB50_8:
	s_or_b64 exec, exec, s[12:13]
.LBB50_9:
	s_or_b64 exec, exec, s[10:11]
.LBB50_10:
	s_or_b64 exec, exec, s[6:7]
.LBB50_11:
	s_or_b64 exec, exec, s[2:3]
	s_waitcnt vmcnt(0)
	v_cmp_gt_u32_e64 s[0:1], 32, v7
	v_lshlrev_b32_e64 v4, v7, s15
	s_and_b64 s[0:1], vcc, s[0:1]
	v_cndmask_b32_e64 v7, 0, v4, s[0:1]
	v_cmp_gt_i32_e64 s[0:1], s14, v6
	v_cmp_gt_u32_e64 s[2:3], 32, v2
	v_lshlrev_b32_e64 v4, v2, s15
	s_and_b64 s[0:1], s[0:1], s[2:3]
	v_or_b32_e32 v2, 0x200, v0
	v_cndmask_b32_e64 v5, 0, v4, s[0:1]
	v_cmp_gt_i32_e64 s[0:1], s14, v2
	v_cmp_gt_u32_e64 s[2:3], 32, v3
	v_lshlrev_b32_e64 v2, v3, s15
	s_and_b64 s[0:1], s[0:1], s[2:3]
	v_cndmask_b32_e64 v4, 0, v2, s[0:1]
	v_or_b32_e32 v2, 0x300, v0
	v_cmp_gt_i32_e64 s[0:1], s14, v2
	v_cmp_gt_u32_e64 s[2:3], 32, v8
	v_lshlrev_b32_e64 v2, v8, s15
	s_and_b64 s[0:1], s[0:1], s[2:3]
	v_cndmask_b32_e64 v3, 0, v2, s[0:1]
	s_and_saveexec_b64 s[0:1], vcc
	s_cbranch_execnz .LBB50_17
; %bb.12:
	s_or_b64 exec, exec, s[0:1]
	v_cmp_gt_i32_e32 vcc, s14, v0
	s_and_saveexec_b64 s[0:1], vcc
	s_cbranch_execnz .LBB50_18
.LBB50_13:
	s_or_b64 exec, exec, s[0:1]
	v_cmp_gt_i32_e32 vcc, s14, v0
	s_and_saveexec_b64 s[0:1], vcc
	s_cbranch_execnz .LBB50_19
.LBB50_14:
	s_or_b64 exec, exec, s[0:1]
	v_cmp_gt_i32_e32 vcc, s14, v0
	s_and_saveexec_b64 s[0:1], vcc
	s_cbranch_execz .LBB50_16
.LBB50_15:
	v_add_u32_e32 v0, s4, v0
	v_mov_b32_e32 v1, 0
	v_lshlrev_b64 v[0:1], 2, v[0:1]
	v_mov_b32_e32 v2, s9
	v_add_co_u32_e32 v0, vcc, s8, v0
	v_addc_co_u32_e32 v1, vcc, v2, v1, vcc
	global_store_dword v[0:1], v3, off
.LBB50_16:
	s_endpgm
.LBB50_17:
	v_mov_b32_e32 v2, 0
	v_lshlrev_b64 v[0:1], 2, v[1:2]
	v_mov_b32_e32 v2, s9
	v_add_co_u32_e32 v0, vcc, s8, v0
	v_addc_co_u32_e32 v1, vcc, v2, v1, vcc
	global_store_dword v[0:1], v7, off
	v_mov_b32_e32 v0, v6
	s_or_b64 exec, exec, s[0:1]
	v_cmp_gt_i32_e32 vcc, s14, v0
	s_and_saveexec_b64 s[0:1], vcc
	s_cbranch_execz .LBB50_13
.LBB50_18:
	v_add_u32_e32 v1, s4, v0
	v_mov_b32_e32 v2, 0
	v_lshlrev_b64 v[1:2], 2, v[1:2]
	v_mov_b32_e32 v6, s9
	v_add_co_u32_e32 v1, vcc, s8, v1
	v_addc_co_u32_e32 v2, vcc, v6, v2, vcc
	v_add_u32_e32 v0, 0x100, v0
	global_store_dword v[1:2], v5, off
	s_or_b64 exec, exec, s[0:1]
	v_cmp_gt_i32_e32 vcc, s14, v0
	s_and_saveexec_b64 s[0:1], vcc
	s_cbranch_execz .LBB50_14
.LBB50_19:
	v_add_u32_e32 v1, s4, v0
	v_mov_b32_e32 v2, 0
	v_lshlrev_b64 v[1:2], 2, v[1:2]
	v_mov_b32_e32 v5, s9
	v_add_co_u32_e32 v1, vcc, s8, v1
	v_addc_co_u32_e32 v2, vcc, v5, v2, vcc
	v_add_u32_e32 v0, 0x100, v0
	global_store_dword v[1:2], v4, off
	s_or_b64 exec, exec, s[0:1]
	v_cmp_gt_i32_e32 vcc, s14, v0
	s_and_saveexec_b64 s[0:1], vcc
	s_cbranch_execnz .LBB50_15
	s_branch .LBB50_16
	.section	.rodata,"a",@progbits
	.p2align	6, 0x0
	.amdhsa_kernel _ZN2at6native29vectorized_elementwise_kernelILi4ENS0_13AUnaryFunctorIiiiZZZNS0_18lshift_kernel_cudaERNS_18TensorIteratorBaseEENKUlvE_clEvENKUlvE1_clEvEUliiE_EESt5arrayIPcLm2EEEEviT0_T1_
		.amdhsa_group_segment_fixed_size 0
		.amdhsa_private_segment_fixed_size 0
		.amdhsa_kernarg_size 32
		.amdhsa_user_sgpr_count 6
		.amdhsa_user_sgpr_private_segment_buffer 1
		.amdhsa_user_sgpr_dispatch_ptr 0
		.amdhsa_user_sgpr_queue_ptr 0
		.amdhsa_user_sgpr_kernarg_segment_ptr 1
		.amdhsa_user_sgpr_dispatch_id 0
		.amdhsa_user_sgpr_flat_scratch_init 0
		.amdhsa_user_sgpr_private_segment_size 0
		.amdhsa_uses_dynamic_stack 0
		.amdhsa_system_sgpr_private_segment_wavefront_offset 0
		.amdhsa_system_sgpr_workgroup_id_x 1
		.amdhsa_system_sgpr_workgroup_id_y 0
		.amdhsa_system_sgpr_workgroup_id_z 0
		.amdhsa_system_sgpr_workgroup_info 0
		.amdhsa_system_vgpr_workitem_id 0
		.amdhsa_next_free_vgpr 10
		.amdhsa_next_free_sgpr 16
		.amdhsa_reserve_vcc 1
		.amdhsa_reserve_flat_scratch 0
		.amdhsa_float_round_mode_32 0
		.amdhsa_float_round_mode_16_64 0
		.amdhsa_float_denorm_mode_32 3
		.amdhsa_float_denorm_mode_16_64 3
		.amdhsa_dx10_clamp 1
		.amdhsa_ieee_mode 1
		.amdhsa_fp16_overflow 0
		.amdhsa_exception_fp_ieee_invalid_op 0
		.amdhsa_exception_fp_denorm_src 0
		.amdhsa_exception_fp_ieee_div_zero 0
		.amdhsa_exception_fp_ieee_overflow 0
		.amdhsa_exception_fp_ieee_underflow 0
		.amdhsa_exception_fp_ieee_inexact 0
		.amdhsa_exception_int_div_zero 0
	.end_amdhsa_kernel
	.section	.text._ZN2at6native29vectorized_elementwise_kernelILi4ENS0_13AUnaryFunctorIiiiZZZNS0_18lshift_kernel_cudaERNS_18TensorIteratorBaseEENKUlvE_clEvENKUlvE1_clEvEUliiE_EESt5arrayIPcLm2EEEEviT0_T1_,"axG",@progbits,_ZN2at6native29vectorized_elementwise_kernelILi4ENS0_13AUnaryFunctorIiiiZZZNS0_18lshift_kernel_cudaERNS_18TensorIteratorBaseEENKUlvE_clEvENKUlvE1_clEvEUliiE_EESt5arrayIPcLm2EEEEviT0_T1_,comdat
.Lfunc_end50:
	.size	_ZN2at6native29vectorized_elementwise_kernelILi4ENS0_13AUnaryFunctorIiiiZZZNS0_18lshift_kernel_cudaERNS_18TensorIteratorBaseEENKUlvE_clEvENKUlvE1_clEvEUliiE_EESt5arrayIPcLm2EEEEviT0_T1_, .Lfunc_end50-_ZN2at6native29vectorized_elementwise_kernelILi4ENS0_13AUnaryFunctorIiiiZZZNS0_18lshift_kernel_cudaERNS_18TensorIteratorBaseEENKUlvE_clEvENKUlvE1_clEvEUliiE_EESt5arrayIPcLm2EEEEviT0_T1_
                                        ; -- End function
	.set _ZN2at6native29vectorized_elementwise_kernelILi4ENS0_13AUnaryFunctorIiiiZZZNS0_18lshift_kernel_cudaERNS_18TensorIteratorBaseEENKUlvE_clEvENKUlvE1_clEvEUliiE_EESt5arrayIPcLm2EEEEviT0_T1_.num_vgpr, 10
	.set _ZN2at6native29vectorized_elementwise_kernelILi4ENS0_13AUnaryFunctorIiiiZZZNS0_18lshift_kernel_cudaERNS_18TensorIteratorBaseEENKUlvE_clEvENKUlvE1_clEvEUliiE_EESt5arrayIPcLm2EEEEviT0_T1_.num_agpr, 0
	.set _ZN2at6native29vectorized_elementwise_kernelILi4ENS0_13AUnaryFunctorIiiiZZZNS0_18lshift_kernel_cudaERNS_18TensorIteratorBaseEENKUlvE_clEvENKUlvE1_clEvEUliiE_EESt5arrayIPcLm2EEEEviT0_T1_.numbered_sgpr, 16
	.set _ZN2at6native29vectorized_elementwise_kernelILi4ENS0_13AUnaryFunctorIiiiZZZNS0_18lshift_kernel_cudaERNS_18TensorIteratorBaseEENKUlvE_clEvENKUlvE1_clEvEUliiE_EESt5arrayIPcLm2EEEEviT0_T1_.num_named_barrier, 0
	.set _ZN2at6native29vectorized_elementwise_kernelILi4ENS0_13AUnaryFunctorIiiiZZZNS0_18lshift_kernel_cudaERNS_18TensorIteratorBaseEENKUlvE_clEvENKUlvE1_clEvEUliiE_EESt5arrayIPcLm2EEEEviT0_T1_.private_seg_size, 0
	.set _ZN2at6native29vectorized_elementwise_kernelILi4ENS0_13AUnaryFunctorIiiiZZZNS0_18lshift_kernel_cudaERNS_18TensorIteratorBaseEENKUlvE_clEvENKUlvE1_clEvEUliiE_EESt5arrayIPcLm2EEEEviT0_T1_.uses_vcc, 1
	.set _ZN2at6native29vectorized_elementwise_kernelILi4ENS0_13AUnaryFunctorIiiiZZZNS0_18lshift_kernel_cudaERNS_18TensorIteratorBaseEENKUlvE_clEvENKUlvE1_clEvEUliiE_EESt5arrayIPcLm2EEEEviT0_T1_.uses_flat_scratch, 0
	.set _ZN2at6native29vectorized_elementwise_kernelILi4ENS0_13AUnaryFunctorIiiiZZZNS0_18lshift_kernel_cudaERNS_18TensorIteratorBaseEENKUlvE_clEvENKUlvE1_clEvEUliiE_EESt5arrayIPcLm2EEEEviT0_T1_.has_dyn_sized_stack, 0
	.set _ZN2at6native29vectorized_elementwise_kernelILi4ENS0_13AUnaryFunctorIiiiZZZNS0_18lshift_kernel_cudaERNS_18TensorIteratorBaseEENKUlvE_clEvENKUlvE1_clEvEUliiE_EESt5arrayIPcLm2EEEEviT0_T1_.has_recursion, 0
	.set _ZN2at6native29vectorized_elementwise_kernelILi4ENS0_13AUnaryFunctorIiiiZZZNS0_18lshift_kernel_cudaERNS_18TensorIteratorBaseEENKUlvE_clEvENKUlvE1_clEvEUliiE_EESt5arrayIPcLm2EEEEviT0_T1_.has_indirect_call, 0
	.section	.AMDGPU.csdata,"",@progbits
; Kernel info:
; codeLenInByte = 836
; TotalNumSgprs: 20
; NumVgprs: 10
; ScratchSize: 0
; MemoryBound: 0
; FloatMode: 240
; IeeeMode: 1
; LDSByteSize: 0 bytes/workgroup (compile time only)
; SGPRBlocks: 2
; VGPRBlocks: 2
; NumSGPRsForWavesPerEU: 20
; NumVGPRsForWavesPerEU: 10
; Occupancy: 10
; WaveLimiterHint : 0
; COMPUTE_PGM_RSRC2:SCRATCH_EN: 0
; COMPUTE_PGM_RSRC2:USER_SGPR: 6
; COMPUTE_PGM_RSRC2:TRAP_HANDLER: 0
; COMPUTE_PGM_RSRC2:TGID_X_EN: 1
; COMPUTE_PGM_RSRC2:TGID_Y_EN: 0
; COMPUTE_PGM_RSRC2:TGID_Z_EN: 0
; COMPUTE_PGM_RSRC2:TIDIG_COMP_CNT: 0
	.section	.text._ZN2at6native29vectorized_elementwise_kernelILi2ENS0_13AUnaryFunctorIiiiZZZNS0_18lshift_kernel_cudaERNS_18TensorIteratorBaseEENKUlvE_clEvENKUlvE1_clEvEUliiE_EESt5arrayIPcLm2EEEEviT0_T1_,"axG",@progbits,_ZN2at6native29vectorized_elementwise_kernelILi2ENS0_13AUnaryFunctorIiiiZZZNS0_18lshift_kernel_cudaERNS_18TensorIteratorBaseEENKUlvE_clEvENKUlvE1_clEvEUliiE_EESt5arrayIPcLm2EEEEviT0_T1_,comdat
	.globl	_ZN2at6native29vectorized_elementwise_kernelILi2ENS0_13AUnaryFunctorIiiiZZZNS0_18lshift_kernel_cudaERNS_18TensorIteratorBaseEENKUlvE_clEvENKUlvE1_clEvEUliiE_EESt5arrayIPcLm2EEEEviT0_T1_ ; -- Begin function _ZN2at6native29vectorized_elementwise_kernelILi2ENS0_13AUnaryFunctorIiiiZZZNS0_18lshift_kernel_cudaERNS_18TensorIteratorBaseEENKUlvE_clEvENKUlvE1_clEvEUliiE_EESt5arrayIPcLm2EEEEviT0_T1_
	.p2align	8
	.type	_ZN2at6native29vectorized_elementwise_kernelILi2ENS0_13AUnaryFunctorIiiiZZZNS0_18lshift_kernel_cudaERNS_18TensorIteratorBaseEENKUlvE_clEvENKUlvE1_clEvEUliiE_EESt5arrayIPcLm2EEEEviT0_T1_,@function
_ZN2at6native29vectorized_elementwise_kernelILi2ENS0_13AUnaryFunctorIiiiZZZNS0_18lshift_kernel_cudaERNS_18TensorIteratorBaseEENKUlvE_clEvENKUlvE1_clEvEUliiE_EESt5arrayIPcLm2EEEEviT0_T1_: ; @_ZN2at6native29vectorized_elementwise_kernelILi2ENS0_13AUnaryFunctorIiiiZZZNS0_18lshift_kernel_cudaERNS_18TensorIteratorBaseEENKUlvE_clEvENKUlvE1_clEvEUliiE_EESt5arrayIPcLm2EEEEviT0_T1_
; %bb.0:
	s_load_dword s0, s[4:5], 0x0
	s_load_dword s15, s[4:5], 0x8
	s_load_dwordx4 s[8:11], s[4:5], 0x10
	s_lshl_b32 s4, s6, 10
	s_waitcnt lgkmcnt(0)
	s_sub_i32 s14, s0, s4
	s_cmpk_gt_i32 s14, 0x3ff
	s_mov_b64 s[0:1], -1
	s_cbranch_scc0 .LBB51_2
; %bb.1:
	s_ashr_i32 s5, s4, 31
	s_lshl_b64 s[0:1], s[4:5], 2
	s_add_u32 s2, s10, s0
	s_addc_u32 s3, s11, s1
	v_lshlrev_b32_e32 v5, 3, v0
	global_load_dwordx2 v[1:2], v5, s[2:3]
	global_load_dwordx2 v[3:4], v5, s[2:3] offset:2048
	s_add_u32 s0, s8, s0
	s_addc_u32 s1, s9, s1
	s_waitcnt vmcnt(1)
	v_lshlrev_b32_e64 v6, v1, s15
	v_cmp_gt_u32_e32 vcc, 32, v1
	v_lshlrev_b32_e64 v7, v2, s15
	v_cndmask_b32_e32 v1, 0, v6, vcc
	v_cmp_gt_u32_e32 vcc, 32, v2
	s_waitcnt vmcnt(0)
	v_lshlrev_b32_e64 v8, v3, s15
	v_cndmask_b32_e32 v2, 0, v7, vcc
	v_cmp_gt_u32_e32 vcc, 32, v3
	v_lshlrev_b32_e64 v9, v4, s15
	v_cndmask_b32_e32 v3, 0, v8, vcc
	v_cmp_gt_u32_e32 vcc, 32, v4
	v_cndmask_b32_e32 v4, 0, v9, vcc
	global_store_dwordx2 v5, v[1:2], s[0:1]
	global_store_dwordx2 v5, v[3:4], s[0:1] offset:2048
	s_mov_b64 s[0:1], 0
.LBB51_2:
	s_andn2_b64 vcc, exec, s[0:1]
	s_cbranch_vccnz .LBB51_16
; %bb.3:
	v_cmp_gt_i32_e32 vcc, s14, v0
	v_or_b32_e32 v6, 0x100, v0
	v_mov_b32_e32 v8, 0
	v_or_b32_e32 v1, s4, v0
	v_mov_b32_e32 v3, 0
	v_mov_b32_e32 v2, 0
	;; [unrolled: 1-line block ×3, first 2 shown]
	s_and_saveexec_b64 s[2:3], vcc
	s_cbranch_execz .LBB51_11
; %bb.4:
	v_mov_b32_e32 v2, 0
	v_lshlrev_b64 v[3:4], 2, v[1:2]
	v_mov_b32_e32 v5, s11
	v_add_co_u32_e64 v3, s[0:1], s10, v3
	v_addc_co_u32_e64 v4, s[0:1], v5, v4, s[0:1]
	global_load_dword v7, v[3:4], off
	v_cmp_gt_u32_e64 s[0:1], s14, v6
	v_mov_b32_e32 v3, v2
	v_mov_b32_e32 v8, v2
	s_and_saveexec_b64 s[6:7], s[0:1]
	s_cbranch_execz .LBB51_10
; %bb.5:
	v_add_u32_e32 v2, s4, v0
	v_mov_b32_e32 v3, 0
	v_lshlrev_b64 v[4:5], 2, v[2:3]
	v_mov_b32_e32 v2, s11
	v_add_co_u32_e64 v4, s[0:1], s10, v4
	v_addc_co_u32_e64 v5, s[0:1], v2, v5, s[0:1]
	global_load_dword v2, v[4:5], off offset:1024
	v_or_b32_e32 v8, 0x200, v0
	v_cmp_gt_u32_e64 s[0:1], s14, v8
	v_mov_b32_e32 v8, v3
	s_and_saveexec_b64 s[10:11], s[0:1]
	s_cbranch_execz .LBB51_9
; %bb.6:
	global_load_dword v3, v[4:5], off offset:2048
	v_or_b32_e32 v8, 0x300, v0
	v_cmp_gt_u32_e64 s[0:1], s14, v8
	v_mov_b32_e32 v8, 0
	s_and_saveexec_b64 s[12:13], s[0:1]
	s_cbranch_execz .LBB51_8
; %bb.7:
	global_load_dword v8, v[4:5], off offset:3072
.LBB51_8:
	s_or_b64 exec, exec, s[12:13]
.LBB51_9:
	s_or_b64 exec, exec, s[10:11]
.LBB51_10:
	s_or_b64 exec, exec, s[6:7]
.LBB51_11:
	s_or_b64 exec, exec, s[2:3]
	s_waitcnt vmcnt(0)
	v_cmp_gt_u32_e64 s[0:1], 32, v7
	v_lshlrev_b32_e64 v4, v7, s15
	s_and_b64 s[0:1], vcc, s[0:1]
	v_cndmask_b32_e64 v7, 0, v4, s[0:1]
	v_cmp_gt_i32_e64 s[0:1], s14, v6
	v_cmp_gt_u32_e64 s[2:3], 32, v2
	v_lshlrev_b32_e64 v4, v2, s15
	s_and_b64 s[0:1], s[0:1], s[2:3]
	v_or_b32_e32 v2, 0x200, v0
	v_cndmask_b32_e64 v5, 0, v4, s[0:1]
	v_cmp_gt_i32_e64 s[0:1], s14, v2
	v_cmp_gt_u32_e64 s[2:3], 32, v3
	v_lshlrev_b32_e64 v2, v3, s15
	s_and_b64 s[0:1], s[0:1], s[2:3]
	v_cndmask_b32_e64 v4, 0, v2, s[0:1]
	v_or_b32_e32 v2, 0x300, v0
	v_cmp_gt_i32_e64 s[0:1], s14, v2
	v_cmp_gt_u32_e64 s[2:3], 32, v8
	v_lshlrev_b32_e64 v2, v8, s15
	s_and_b64 s[0:1], s[0:1], s[2:3]
	v_cndmask_b32_e64 v3, 0, v2, s[0:1]
	s_and_saveexec_b64 s[0:1], vcc
	s_cbranch_execnz .LBB51_17
; %bb.12:
	s_or_b64 exec, exec, s[0:1]
	v_cmp_gt_i32_e32 vcc, s14, v0
	s_and_saveexec_b64 s[0:1], vcc
	s_cbranch_execnz .LBB51_18
.LBB51_13:
	s_or_b64 exec, exec, s[0:1]
	v_cmp_gt_i32_e32 vcc, s14, v0
	s_and_saveexec_b64 s[0:1], vcc
	s_cbranch_execnz .LBB51_19
.LBB51_14:
	s_or_b64 exec, exec, s[0:1]
	v_cmp_gt_i32_e32 vcc, s14, v0
	s_and_saveexec_b64 s[0:1], vcc
	s_cbranch_execz .LBB51_16
.LBB51_15:
	v_add_u32_e32 v0, s4, v0
	v_mov_b32_e32 v1, 0
	v_lshlrev_b64 v[0:1], 2, v[0:1]
	v_mov_b32_e32 v2, s9
	v_add_co_u32_e32 v0, vcc, s8, v0
	v_addc_co_u32_e32 v1, vcc, v2, v1, vcc
	global_store_dword v[0:1], v3, off
.LBB51_16:
	s_endpgm
.LBB51_17:
	v_mov_b32_e32 v2, 0
	v_lshlrev_b64 v[0:1], 2, v[1:2]
	v_mov_b32_e32 v2, s9
	v_add_co_u32_e32 v0, vcc, s8, v0
	v_addc_co_u32_e32 v1, vcc, v2, v1, vcc
	global_store_dword v[0:1], v7, off
	v_mov_b32_e32 v0, v6
	s_or_b64 exec, exec, s[0:1]
	v_cmp_gt_i32_e32 vcc, s14, v0
	s_and_saveexec_b64 s[0:1], vcc
	s_cbranch_execz .LBB51_13
.LBB51_18:
	v_add_u32_e32 v1, s4, v0
	v_mov_b32_e32 v2, 0
	v_lshlrev_b64 v[1:2], 2, v[1:2]
	v_mov_b32_e32 v6, s9
	v_add_co_u32_e32 v1, vcc, s8, v1
	v_addc_co_u32_e32 v2, vcc, v6, v2, vcc
	v_add_u32_e32 v0, 0x100, v0
	global_store_dword v[1:2], v5, off
	s_or_b64 exec, exec, s[0:1]
	v_cmp_gt_i32_e32 vcc, s14, v0
	s_and_saveexec_b64 s[0:1], vcc
	s_cbranch_execz .LBB51_14
.LBB51_19:
	v_add_u32_e32 v1, s4, v0
	v_mov_b32_e32 v2, 0
	v_lshlrev_b64 v[1:2], 2, v[1:2]
	v_mov_b32_e32 v5, s9
	v_add_co_u32_e32 v1, vcc, s8, v1
	v_addc_co_u32_e32 v2, vcc, v5, v2, vcc
	v_add_u32_e32 v0, 0x100, v0
	global_store_dword v[1:2], v4, off
	s_or_b64 exec, exec, s[0:1]
	v_cmp_gt_i32_e32 vcc, s14, v0
	s_and_saveexec_b64 s[0:1], vcc
	s_cbranch_execnz .LBB51_15
	s_branch .LBB51_16
	.section	.rodata,"a",@progbits
	.p2align	6, 0x0
	.amdhsa_kernel _ZN2at6native29vectorized_elementwise_kernelILi2ENS0_13AUnaryFunctorIiiiZZZNS0_18lshift_kernel_cudaERNS_18TensorIteratorBaseEENKUlvE_clEvENKUlvE1_clEvEUliiE_EESt5arrayIPcLm2EEEEviT0_T1_
		.amdhsa_group_segment_fixed_size 0
		.amdhsa_private_segment_fixed_size 0
		.amdhsa_kernarg_size 32
		.amdhsa_user_sgpr_count 6
		.amdhsa_user_sgpr_private_segment_buffer 1
		.amdhsa_user_sgpr_dispatch_ptr 0
		.amdhsa_user_sgpr_queue_ptr 0
		.amdhsa_user_sgpr_kernarg_segment_ptr 1
		.amdhsa_user_sgpr_dispatch_id 0
		.amdhsa_user_sgpr_flat_scratch_init 0
		.amdhsa_user_sgpr_private_segment_size 0
		.amdhsa_uses_dynamic_stack 0
		.amdhsa_system_sgpr_private_segment_wavefront_offset 0
		.amdhsa_system_sgpr_workgroup_id_x 1
		.amdhsa_system_sgpr_workgroup_id_y 0
		.amdhsa_system_sgpr_workgroup_id_z 0
		.amdhsa_system_sgpr_workgroup_info 0
		.amdhsa_system_vgpr_workitem_id 0
		.amdhsa_next_free_vgpr 10
		.amdhsa_next_free_sgpr 16
		.amdhsa_reserve_vcc 1
		.amdhsa_reserve_flat_scratch 0
		.amdhsa_float_round_mode_32 0
		.amdhsa_float_round_mode_16_64 0
		.amdhsa_float_denorm_mode_32 3
		.amdhsa_float_denorm_mode_16_64 3
		.amdhsa_dx10_clamp 1
		.amdhsa_ieee_mode 1
		.amdhsa_fp16_overflow 0
		.amdhsa_exception_fp_ieee_invalid_op 0
		.amdhsa_exception_fp_denorm_src 0
		.amdhsa_exception_fp_ieee_div_zero 0
		.amdhsa_exception_fp_ieee_overflow 0
		.amdhsa_exception_fp_ieee_underflow 0
		.amdhsa_exception_fp_ieee_inexact 0
		.amdhsa_exception_int_div_zero 0
	.end_amdhsa_kernel
	.section	.text._ZN2at6native29vectorized_elementwise_kernelILi2ENS0_13AUnaryFunctorIiiiZZZNS0_18lshift_kernel_cudaERNS_18TensorIteratorBaseEENKUlvE_clEvENKUlvE1_clEvEUliiE_EESt5arrayIPcLm2EEEEviT0_T1_,"axG",@progbits,_ZN2at6native29vectorized_elementwise_kernelILi2ENS0_13AUnaryFunctorIiiiZZZNS0_18lshift_kernel_cudaERNS_18TensorIteratorBaseEENKUlvE_clEvENKUlvE1_clEvEUliiE_EESt5arrayIPcLm2EEEEviT0_T1_,comdat
.Lfunc_end51:
	.size	_ZN2at6native29vectorized_elementwise_kernelILi2ENS0_13AUnaryFunctorIiiiZZZNS0_18lshift_kernel_cudaERNS_18TensorIteratorBaseEENKUlvE_clEvENKUlvE1_clEvEUliiE_EESt5arrayIPcLm2EEEEviT0_T1_, .Lfunc_end51-_ZN2at6native29vectorized_elementwise_kernelILi2ENS0_13AUnaryFunctorIiiiZZZNS0_18lshift_kernel_cudaERNS_18TensorIteratorBaseEENKUlvE_clEvENKUlvE1_clEvEUliiE_EESt5arrayIPcLm2EEEEviT0_T1_
                                        ; -- End function
	.set _ZN2at6native29vectorized_elementwise_kernelILi2ENS0_13AUnaryFunctorIiiiZZZNS0_18lshift_kernel_cudaERNS_18TensorIteratorBaseEENKUlvE_clEvENKUlvE1_clEvEUliiE_EESt5arrayIPcLm2EEEEviT0_T1_.num_vgpr, 10
	.set _ZN2at6native29vectorized_elementwise_kernelILi2ENS0_13AUnaryFunctorIiiiZZZNS0_18lshift_kernel_cudaERNS_18TensorIteratorBaseEENKUlvE_clEvENKUlvE1_clEvEUliiE_EESt5arrayIPcLm2EEEEviT0_T1_.num_agpr, 0
	.set _ZN2at6native29vectorized_elementwise_kernelILi2ENS0_13AUnaryFunctorIiiiZZZNS0_18lshift_kernel_cudaERNS_18TensorIteratorBaseEENKUlvE_clEvENKUlvE1_clEvEUliiE_EESt5arrayIPcLm2EEEEviT0_T1_.numbered_sgpr, 16
	.set _ZN2at6native29vectorized_elementwise_kernelILi2ENS0_13AUnaryFunctorIiiiZZZNS0_18lshift_kernel_cudaERNS_18TensorIteratorBaseEENKUlvE_clEvENKUlvE1_clEvEUliiE_EESt5arrayIPcLm2EEEEviT0_T1_.num_named_barrier, 0
	.set _ZN2at6native29vectorized_elementwise_kernelILi2ENS0_13AUnaryFunctorIiiiZZZNS0_18lshift_kernel_cudaERNS_18TensorIteratorBaseEENKUlvE_clEvENKUlvE1_clEvEUliiE_EESt5arrayIPcLm2EEEEviT0_T1_.private_seg_size, 0
	.set _ZN2at6native29vectorized_elementwise_kernelILi2ENS0_13AUnaryFunctorIiiiZZZNS0_18lshift_kernel_cudaERNS_18TensorIteratorBaseEENKUlvE_clEvENKUlvE1_clEvEUliiE_EESt5arrayIPcLm2EEEEviT0_T1_.uses_vcc, 1
	.set _ZN2at6native29vectorized_elementwise_kernelILi2ENS0_13AUnaryFunctorIiiiZZZNS0_18lshift_kernel_cudaERNS_18TensorIteratorBaseEENKUlvE_clEvENKUlvE1_clEvEUliiE_EESt5arrayIPcLm2EEEEviT0_T1_.uses_flat_scratch, 0
	.set _ZN2at6native29vectorized_elementwise_kernelILi2ENS0_13AUnaryFunctorIiiiZZZNS0_18lshift_kernel_cudaERNS_18TensorIteratorBaseEENKUlvE_clEvENKUlvE1_clEvEUliiE_EESt5arrayIPcLm2EEEEviT0_T1_.has_dyn_sized_stack, 0
	.set _ZN2at6native29vectorized_elementwise_kernelILi2ENS0_13AUnaryFunctorIiiiZZZNS0_18lshift_kernel_cudaERNS_18TensorIteratorBaseEENKUlvE_clEvENKUlvE1_clEvEUliiE_EESt5arrayIPcLm2EEEEviT0_T1_.has_recursion, 0
	.set _ZN2at6native29vectorized_elementwise_kernelILi2ENS0_13AUnaryFunctorIiiiZZZNS0_18lshift_kernel_cudaERNS_18TensorIteratorBaseEENKUlvE_clEvENKUlvE1_clEvEUliiE_EESt5arrayIPcLm2EEEEviT0_T1_.has_indirect_call, 0
	.section	.AMDGPU.csdata,"",@progbits
; Kernel info:
; codeLenInByte = 856
; TotalNumSgprs: 20
; NumVgprs: 10
; ScratchSize: 0
; MemoryBound: 0
; FloatMode: 240
; IeeeMode: 1
; LDSByteSize: 0 bytes/workgroup (compile time only)
; SGPRBlocks: 2
; VGPRBlocks: 2
; NumSGPRsForWavesPerEU: 20
; NumVGPRsForWavesPerEU: 10
; Occupancy: 10
; WaveLimiterHint : 1
; COMPUTE_PGM_RSRC2:SCRATCH_EN: 0
; COMPUTE_PGM_RSRC2:USER_SGPR: 6
; COMPUTE_PGM_RSRC2:TRAP_HANDLER: 0
; COMPUTE_PGM_RSRC2:TGID_X_EN: 1
; COMPUTE_PGM_RSRC2:TGID_Y_EN: 0
; COMPUTE_PGM_RSRC2:TGID_Z_EN: 0
; COMPUTE_PGM_RSRC2:TIDIG_COMP_CNT: 0
	.section	.text._ZN2at6native27unrolled_elementwise_kernelINS0_13AUnaryFunctorIiiiZZZNS0_18lshift_kernel_cudaERNS_18TensorIteratorBaseEENKUlvE_clEvENKUlvE1_clEvEUliiE_EESt5arrayIPcLm2EELi4E23TrivialOffsetCalculatorILi1EjESD_NS0_6memory15LoadWithoutCastENSE_16StoreWithoutCastEEEviT_T0_T2_T3_T4_T5_,"axG",@progbits,_ZN2at6native27unrolled_elementwise_kernelINS0_13AUnaryFunctorIiiiZZZNS0_18lshift_kernel_cudaERNS_18TensorIteratorBaseEENKUlvE_clEvENKUlvE1_clEvEUliiE_EESt5arrayIPcLm2EELi4E23TrivialOffsetCalculatorILi1EjESD_NS0_6memory15LoadWithoutCastENSE_16StoreWithoutCastEEEviT_T0_T2_T3_T4_T5_,comdat
	.globl	_ZN2at6native27unrolled_elementwise_kernelINS0_13AUnaryFunctorIiiiZZZNS0_18lshift_kernel_cudaERNS_18TensorIteratorBaseEENKUlvE_clEvENKUlvE1_clEvEUliiE_EESt5arrayIPcLm2EELi4E23TrivialOffsetCalculatorILi1EjESD_NS0_6memory15LoadWithoutCastENSE_16StoreWithoutCastEEEviT_T0_T2_T3_T4_T5_ ; -- Begin function _ZN2at6native27unrolled_elementwise_kernelINS0_13AUnaryFunctorIiiiZZZNS0_18lshift_kernel_cudaERNS_18TensorIteratorBaseEENKUlvE_clEvENKUlvE1_clEvEUliiE_EESt5arrayIPcLm2EELi4E23TrivialOffsetCalculatorILi1EjESD_NS0_6memory15LoadWithoutCastENSE_16StoreWithoutCastEEEviT_T0_T2_T3_T4_T5_
	.p2align	8
	.type	_ZN2at6native27unrolled_elementwise_kernelINS0_13AUnaryFunctorIiiiZZZNS0_18lshift_kernel_cudaERNS_18TensorIteratorBaseEENKUlvE_clEvENKUlvE1_clEvEUliiE_EESt5arrayIPcLm2EELi4E23TrivialOffsetCalculatorILi1EjESD_NS0_6memory15LoadWithoutCastENSE_16StoreWithoutCastEEEviT_T0_T2_T3_T4_T5_,@function
_ZN2at6native27unrolled_elementwise_kernelINS0_13AUnaryFunctorIiiiZZZNS0_18lshift_kernel_cudaERNS_18TensorIteratorBaseEENKUlvE_clEvENKUlvE1_clEvEUliiE_EESt5arrayIPcLm2EELi4E23TrivialOffsetCalculatorILi1EjESD_NS0_6memory15LoadWithoutCastENSE_16StoreWithoutCastEEEviT_T0_T2_T3_T4_T5_: ; @_ZN2at6native27unrolled_elementwise_kernelINS0_13AUnaryFunctorIiiiZZZNS0_18lshift_kernel_cudaERNS_18TensorIteratorBaseEENKUlvE_clEvENKUlvE1_clEvEUliiE_EESt5arrayIPcLm2EELi4E23TrivialOffsetCalculatorILi1EjESD_NS0_6memory15LoadWithoutCastENSE_16StoreWithoutCastEEEviT_T0_T2_T3_T4_T5_
; %bb.0:
	s_load_dword s0, s[4:5], 0x0
	s_load_dword s16, s[4:5], 0x8
	s_load_dwordx4 s[8:11], s[4:5], 0x10
	s_lshl_b32 s14, s6, 10
	v_mov_b32_e32 v4, 0
	s_waitcnt lgkmcnt(0)
	s_sub_i32 s15, s0, s14
	v_cmp_gt_i32_e32 vcc, s15, v0
	v_or_b32_e32 v5, 0x100, v0
	v_or_b32_e32 v1, s14, v0
	v_mov_b32_e32 v3, 0
	v_mov_b32_e32 v2, v4
	;; [unrolled: 1-line block ×3, first 2 shown]
	s_and_saveexec_b64 s[2:3], vcc
	s_cbranch_execz .LBB52_8
; %bb.1:
	v_mov_b32_e32 v2, 0
	v_lshlrev_b64 v[3:4], 2, v[1:2]
	v_mov_b32_e32 v6, s11
	v_add_co_u32_e64 v3, s[0:1], s10, v3
	v_addc_co_u32_e64 v4, s[0:1], v6, v4, s[0:1]
	global_load_dword v6, v[3:4], off
	v_cmp_gt_u32_e64 s[0:1], s15, v5
	v_mov_b32_e32 v3, v2
	v_mov_b32_e32 v4, v2
	s_and_saveexec_b64 s[4:5], s[0:1]
	s_cbranch_execz .LBB52_7
; %bb.2:
	v_add_u32_e32 v2, s14, v5
	v_mov_b32_e32 v3, 0
	v_lshlrev_b64 v[7:8], 2, v[2:3]
	v_mov_b32_e32 v2, s11
	v_add_co_u32_e64 v7, s[0:1], s10, v7
	v_addc_co_u32_e64 v8, s[0:1], v2, v8, s[0:1]
	global_load_dword v2, v[7:8], off
	v_or_b32_e32 v7, 0x200, v0
	v_cmp_gt_u32_e64 s[0:1], s15, v7
	v_mov_b32_e32 v4, v3
	s_and_saveexec_b64 s[6:7], s[0:1]
	s_cbranch_execz .LBB52_6
; %bb.3:
	v_add_u32_e32 v3, s14, v7
	v_mov_b32_e32 v4, 0
	v_lshlrev_b64 v[7:8], 2, v[3:4]
	v_mov_b32_e32 v3, s11
	v_add_co_u32_e64 v7, s[0:1], s10, v7
	v_addc_co_u32_e64 v8, s[0:1], v3, v8, s[0:1]
	global_load_dword v3, v[7:8], off
	v_or_b32_e32 v7, 0x300, v0
	v_cmp_gt_u32_e64 s[0:1], s15, v7
	s_and_saveexec_b64 s[12:13], s[0:1]
	s_cbranch_execz .LBB52_5
; %bb.4:
	v_add_u32_e32 v7, s14, v7
	v_mov_b32_e32 v8, 0
	v_lshlrev_b64 v[7:8], 2, v[7:8]
	v_mov_b32_e32 v4, s11
	v_add_co_u32_e64 v7, s[0:1], s10, v7
	v_addc_co_u32_e64 v8, s[0:1], v4, v8, s[0:1]
	global_load_dword v4, v[7:8], off
.LBB52_5:
	s_or_b64 exec, exec, s[12:13]
.LBB52_6:
	s_or_b64 exec, exec, s[6:7]
.LBB52_7:
	s_or_b64 exec, exec, s[4:5]
.LBB52_8:
	s_or_b64 exec, exec, s[2:3]
	s_waitcnt vmcnt(0)
	v_cmp_gt_u32_e64 s[0:1], 32, v6
	v_lshlrev_b32_e64 v7, v6, s16
	s_and_b64 s[0:1], vcc, s[0:1]
	v_cndmask_b32_e64 v8, 0, v7, s[0:1]
	v_cmp_gt_i32_e64 s[0:1], s15, v5
	v_cmp_gt_u32_e64 s[2:3], 32, v2
	v_lshlrev_b32_e64 v6, v2, s16
	s_and_b64 s[0:1], s[0:1], s[2:3]
	v_or_b32_e32 v2, 0x200, v0
	v_cndmask_b32_e64 v7, 0, v6, s[0:1]
	v_cmp_gt_i32_e64 s[0:1], s15, v2
	v_cmp_gt_u32_e64 s[2:3], 32, v3
	v_lshlrev_b32_e64 v2, v3, s16
	s_and_b64 s[0:1], s[0:1], s[2:3]
	v_cndmask_b32_e64 v6, 0, v2, s[0:1]
	v_or_b32_e32 v2, 0x300, v0
	v_cmp_gt_i32_e64 s[0:1], s15, v2
	v_cmp_gt_u32_e64 s[2:3], 32, v4
	v_lshlrev_b32_e64 v2, v4, s16
	s_and_b64 s[0:1], s[0:1], s[2:3]
	v_cndmask_b32_e64 v3, 0, v2, s[0:1]
	s_and_saveexec_b64 s[0:1], vcc
	s_cbranch_execnz .LBB52_13
; %bb.9:
	s_or_b64 exec, exec, s[0:1]
	v_cmp_gt_i32_e32 vcc, s15, v0
	s_and_saveexec_b64 s[0:1], vcc
	s_cbranch_execnz .LBB52_14
.LBB52_10:
	s_or_b64 exec, exec, s[0:1]
	v_cmp_gt_i32_e32 vcc, s15, v0
	s_and_saveexec_b64 s[0:1], vcc
	s_cbranch_execnz .LBB52_15
.LBB52_11:
	s_or_b64 exec, exec, s[0:1]
	v_cmp_gt_i32_e32 vcc, s15, v0
	s_and_saveexec_b64 s[0:1], vcc
	s_cbranch_execnz .LBB52_16
.LBB52_12:
	s_endpgm
.LBB52_13:
	v_mov_b32_e32 v2, 0
	v_lshlrev_b64 v[0:1], 2, v[1:2]
	v_mov_b32_e32 v2, s9
	v_add_co_u32_e32 v0, vcc, s8, v0
	v_addc_co_u32_e32 v1, vcc, v2, v1, vcc
	global_store_dword v[0:1], v8, off
	v_mov_b32_e32 v0, v5
	s_or_b64 exec, exec, s[0:1]
	v_cmp_gt_i32_e32 vcc, s15, v0
	s_and_saveexec_b64 s[0:1], vcc
	s_cbranch_execz .LBB52_10
.LBB52_14:
	v_add_u32_e32 v2, 0x100, v0
	v_add_u32_e32 v0, s14, v0
	v_mov_b32_e32 v1, 0
	v_lshlrev_b64 v[0:1], 2, v[0:1]
	v_mov_b32_e32 v4, s9
	v_add_co_u32_e32 v0, vcc, s8, v0
	v_addc_co_u32_e32 v1, vcc, v4, v1, vcc
	global_store_dword v[0:1], v7, off
	v_mov_b32_e32 v0, v2
	s_or_b64 exec, exec, s[0:1]
	v_cmp_gt_i32_e32 vcc, s15, v0
	s_and_saveexec_b64 s[0:1], vcc
	s_cbranch_execz .LBB52_11
.LBB52_15:
	v_add_u32_e32 v2, 0x100, v0
	v_add_u32_e32 v0, s14, v0
	v_mov_b32_e32 v1, 0
	v_lshlrev_b64 v[0:1], 2, v[0:1]
	v_mov_b32_e32 v4, s9
	v_add_co_u32_e32 v0, vcc, s8, v0
	v_addc_co_u32_e32 v1, vcc, v4, v1, vcc
	global_store_dword v[0:1], v6, off
	v_mov_b32_e32 v0, v2
	s_or_b64 exec, exec, s[0:1]
	v_cmp_gt_i32_e32 vcc, s15, v0
	s_and_saveexec_b64 s[0:1], vcc
	s_cbranch_execz .LBB52_12
.LBB52_16:
	v_add_u32_e32 v0, s14, v0
	v_mov_b32_e32 v1, 0
	v_lshlrev_b64 v[0:1], 2, v[0:1]
	v_mov_b32_e32 v2, s9
	v_add_co_u32_e32 v0, vcc, s8, v0
	v_addc_co_u32_e32 v1, vcc, v2, v1, vcc
	global_store_dword v[0:1], v3, off
	s_endpgm
	.section	.rodata,"a",@progbits
	.p2align	6, 0x0
	.amdhsa_kernel _ZN2at6native27unrolled_elementwise_kernelINS0_13AUnaryFunctorIiiiZZZNS0_18lshift_kernel_cudaERNS_18TensorIteratorBaseEENKUlvE_clEvENKUlvE1_clEvEUliiE_EESt5arrayIPcLm2EELi4E23TrivialOffsetCalculatorILi1EjESD_NS0_6memory15LoadWithoutCastENSE_16StoreWithoutCastEEEviT_T0_T2_T3_T4_T5_
		.amdhsa_group_segment_fixed_size 0
		.amdhsa_private_segment_fixed_size 0
		.amdhsa_kernarg_size 36
		.amdhsa_user_sgpr_count 6
		.amdhsa_user_sgpr_private_segment_buffer 1
		.amdhsa_user_sgpr_dispatch_ptr 0
		.amdhsa_user_sgpr_queue_ptr 0
		.amdhsa_user_sgpr_kernarg_segment_ptr 1
		.amdhsa_user_sgpr_dispatch_id 0
		.amdhsa_user_sgpr_flat_scratch_init 0
		.amdhsa_user_sgpr_private_segment_size 0
		.amdhsa_uses_dynamic_stack 0
		.amdhsa_system_sgpr_private_segment_wavefront_offset 0
		.amdhsa_system_sgpr_workgroup_id_x 1
		.amdhsa_system_sgpr_workgroup_id_y 0
		.amdhsa_system_sgpr_workgroup_id_z 0
		.amdhsa_system_sgpr_workgroup_info 0
		.amdhsa_system_vgpr_workitem_id 0
		.amdhsa_next_free_vgpr 9
		.amdhsa_next_free_sgpr 17
		.amdhsa_reserve_vcc 1
		.amdhsa_reserve_flat_scratch 0
		.amdhsa_float_round_mode_32 0
		.amdhsa_float_round_mode_16_64 0
		.amdhsa_float_denorm_mode_32 3
		.amdhsa_float_denorm_mode_16_64 3
		.amdhsa_dx10_clamp 1
		.amdhsa_ieee_mode 1
		.amdhsa_fp16_overflow 0
		.amdhsa_exception_fp_ieee_invalid_op 0
		.amdhsa_exception_fp_denorm_src 0
		.amdhsa_exception_fp_ieee_div_zero 0
		.amdhsa_exception_fp_ieee_overflow 0
		.amdhsa_exception_fp_ieee_underflow 0
		.amdhsa_exception_fp_ieee_inexact 0
		.amdhsa_exception_int_div_zero 0
	.end_amdhsa_kernel
	.section	.text._ZN2at6native27unrolled_elementwise_kernelINS0_13AUnaryFunctorIiiiZZZNS0_18lshift_kernel_cudaERNS_18TensorIteratorBaseEENKUlvE_clEvENKUlvE1_clEvEUliiE_EESt5arrayIPcLm2EELi4E23TrivialOffsetCalculatorILi1EjESD_NS0_6memory15LoadWithoutCastENSE_16StoreWithoutCastEEEviT_T0_T2_T3_T4_T5_,"axG",@progbits,_ZN2at6native27unrolled_elementwise_kernelINS0_13AUnaryFunctorIiiiZZZNS0_18lshift_kernel_cudaERNS_18TensorIteratorBaseEENKUlvE_clEvENKUlvE1_clEvEUliiE_EESt5arrayIPcLm2EELi4E23TrivialOffsetCalculatorILi1EjESD_NS0_6memory15LoadWithoutCastENSE_16StoreWithoutCastEEEviT_T0_T2_T3_T4_T5_,comdat
.Lfunc_end52:
	.size	_ZN2at6native27unrolled_elementwise_kernelINS0_13AUnaryFunctorIiiiZZZNS0_18lshift_kernel_cudaERNS_18TensorIteratorBaseEENKUlvE_clEvENKUlvE1_clEvEUliiE_EESt5arrayIPcLm2EELi4E23TrivialOffsetCalculatorILi1EjESD_NS0_6memory15LoadWithoutCastENSE_16StoreWithoutCastEEEviT_T0_T2_T3_T4_T5_, .Lfunc_end52-_ZN2at6native27unrolled_elementwise_kernelINS0_13AUnaryFunctorIiiiZZZNS0_18lshift_kernel_cudaERNS_18TensorIteratorBaseEENKUlvE_clEvENKUlvE1_clEvEUliiE_EESt5arrayIPcLm2EELi4E23TrivialOffsetCalculatorILi1EjESD_NS0_6memory15LoadWithoutCastENSE_16StoreWithoutCastEEEviT_T0_T2_T3_T4_T5_
                                        ; -- End function
	.set _ZN2at6native27unrolled_elementwise_kernelINS0_13AUnaryFunctorIiiiZZZNS0_18lshift_kernel_cudaERNS_18TensorIteratorBaseEENKUlvE_clEvENKUlvE1_clEvEUliiE_EESt5arrayIPcLm2EELi4E23TrivialOffsetCalculatorILi1EjESD_NS0_6memory15LoadWithoutCastENSE_16StoreWithoutCastEEEviT_T0_T2_T3_T4_T5_.num_vgpr, 9
	.set _ZN2at6native27unrolled_elementwise_kernelINS0_13AUnaryFunctorIiiiZZZNS0_18lshift_kernel_cudaERNS_18TensorIteratorBaseEENKUlvE_clEvENKUlvE1_clEvEUliiE_EESt5arrayIPcLm2EELi4E23TrivialOffsetCalculatorILi1EjESD_NS0_6memory15LoadWithoutCastENSE_16StoreWithoutCastEEEviT_T0_T2_T3_T4_T5_.num_agpr, 0
	.set _ZN2at6native27unrolled_elementwise_kernelINS0_13AUnaryFunctorIiiiZZZNS0_18lshift_kernel_cudaERNS_18TensorIteratorBaseEENKUlvE_clEvENKUlvE1_clEvEUliiE_EESt5arrayIPcLm2EELi4E23TrivialOffsetCalculatorILi1EjESD_NS0_6memory15LoadWithoutCastENSE_16StoreWithoutCastEEEviT_T0_T2_T3_T4_T5_.numbered_sgpr, 17
	.set _ZN2at6native27unrolled_elementwise_kernelINS0_13AUnaryFunctorIiiiZZZNS0_18lshift_kernel_cudaERNS_18TensorIteratorBaseEENKUlvE_clEvENKUlvE1_clEvEUliiE_EESt5arrayIPcLm2EELi4E23TrivialOffsetCalculatorILi1EjESD_NS0_6memory15LoadWithoutCastENSE_16StoreWithoutCastEEEviT_T0_T2_T3_T4_T5_.num_named_barrier, 0
	.set _ZN2at6native27unrolled_elementwise_kernelINS0_13AUnaryFunctorIiiiZZZNS0_18lshift_kernel_cudaERNS_18TensorIteratorBaseEENKUlvE_clEvENKUlvE1_clEvEUliiE_EESt5arrayIPcLm2EELi4E23TrivialOffsetCalculatorILi1EjESD_NS0_6memory15LoadWithoutCastENSE_16StoreWithoutCastEEEviT_T0_T2_T3_T4_T5_.private_seg_size, 0
	.set _ZN2at6native27unrolled_elementwise_kernelINS0_13AUnaryFunctorIiiiZZZNS0_18lshift_kernel_cudaERNS_18TensorIteratorBaseEENKUlvE_clEvENKUlvE1_clEvEUliiE_EESt5arrayIPcLm2EELi4E23TrivialOffsetCalculatorILi1EjESD_NS0_6memory15LoadWithoutCastENSE_16StoreWithoutCastEEEviT_T0_T2_T3_T4_T5_.uses_vcc, 1
	.set _ZN2at6native27unrolled_elementwise_kernelINS0_13AUnaryFunctorIiiiZZZNS0_18lshift_kernel_cudaERNS_18TensorIteratorBaseEENKUlvE_clEvENKUlvE1_clEvEUliiE_EESt5arrayIPcLm2EELi4E23TrivialOffsetCalculatorILi1EjESD_NS0_6memory15LoadWithoutCastENSE_16StoreWithoutCastEEEviT_T0_T2_T3_T4_T5_.uses_flat_scratch, 0
	.set _ZN2at6native27unrolled_elementwise_kernelINS0_13AUnaryFunctorIiiiZZZNS0_18lshift_kernel_cudaERNS_18TensorIteratorBaseEENKUlvE_clEvENKUlvE1_clEvEUliiE_EESt5arrayIPcLm2EELi4E23TrivialOffsetCalculatorILi1EjESD_NS0_6memory15LoadWithoutCastENSE_16StoreWithoutCastEEEviT_T0_T2_T3_T4_T5_.has_dyn_sized_stack, 0
	.set _ZN2at6native27unrolled_elementwise_kernelINS0_13AUnaryFunctorIiiiZZZNS0_18lshift_kernel_cudaERNS_18TensorIteratorBaseEENKUlvE_clEvENKUlvE1_clEvEUliiE_EESt5arrayIPcLm2EELi4E23TrivialOffsetCalculatorILi1EjESD_NS0_6memory15LoadWithoutCastENSE_16StoreWithoutCastEEEviT_T0_T2_T3_T4_T5_.has_recursion, 0
	.set _ZN2at6native27unrolled_elementwise_kernelINS0_13AUnaryFunctorIiiiZZZNS0_18lshift_kernel_cudaERNS_18TensorIteratorBaseEENKUlvE_clEvENKUlvE1_clEvEUliiE_EESt5arrayIPcLm2EELi4E23TrivialOffsetCalculatorILi1EjESD_NS0_6memory15LoadWithoutCastENSE_16StoreWithoutCastEEEviT_T0_T2_T3_T4_T5_.has_indirect_call, 0
	.section	.AMDGPU.csdata,"",@progbits
; Kernel info:
; codeLenInByte = 776
; TotalNumSgprs: 21
; NumVgprs: 9
; ScratchSize: 0
; MemoryBound: 0
; FloatMode: 240
; IeeeMode: 1
; LDSByteSize: 0 bytes/workgroup (compile time only)
; SGPRBlocks: 2
; VGPRBlocks: 2
; NumSGPRsForWavesPerEU: 21
; NumVGPRsForWavesPerEU: 9
; Occupancy: 10
; WaveLimiterHint : 0
; COMPUTE_PGM_RSRC2:SCRATCH_EN: 0
; COMPUTE_PGM_RSRC2:USER_SGPR: 6
; COMPUTE_PGM_RSRC2:TRAP_HANDLER: 0
; COMPUTE_PGM_RSRC2:TGID_X_EN: 1
; COMPUTE_PGM_RSRC2:TGID_Y_EN: 0
; COMPUTE_PGM_RSRC2:TGID_Z_EN: 0
; COMPUTE_PGM_RSRC2:TIDIG_COMP_CNT: 0
	.section	.text._ZN2at6native32elementwise_kernel_manual_unrollILi128ELi4EZNS0_22gpu_kernel_impl_nocastINS0_13AUnaryFunctorIiiiZZZNS0_18lshift_kernel_cudaERNS_18TensorIteratorBaseEENKUlvE_clEvENKUlvE1_clEvEUliiE_EEEEvS5_RKT_EUlibE_EEviT1_,"axG",@progbits,_ZN2at6native32elementwise_kernel_manual_unrollILi128ELi4EZNS0_22gpu_kernel_impl_nocastINS0_13AUnaryFunctorIiiiZZZNS0_18lshift_kernel_cudaERNS_18TensorIteratorBaseEENKUlvE_clEvENKUlvE1_clEvEUliiE_EEEEvS5_RKT_EUlibE_EEviT1_,comdat
	.globl	_ZN2at6native32elementwise_kernel_manual_unrollILi128ELi4EZNS0_22gpu_kernel_impl_nocastINS0_13AUnaryFunctorIiiiZZZNS0_18lshift_kernel_cudaERNS_18TensorIteratorBaseEENKUlvE_clEvENKUlvE1_clEvEUliiE_EEEEvS5_RKT_EUlibE_EEviT1_ ; -- Begin function _ZN2at6native32elementwise_kernel_manual_unrollILi128ELi4EZNS0_22gpu_kernel_impl_nocastINS0_13AUnaryFunctorIiiiZZZNS0_18lshift_kernel_cudaERNS_18TensorIteratorBaseEENKUlvE_clEvENKUlvE1_clEvEUliiE_EEEEvS5_RKT_EUlibE_EEviT1_
	.p2align	8
	.type	_ZN2at6native32elementwise_kernel_manual_unrollILi128ELi4EZNS0_22gpu_kernel_impl_nocastINS0_13AUnaryFunctorIiiiZZZNS0_18lshift_kernel_cudaERNS_18TensorIteratorBaseEENKUlvE_clEvENKUlvE1_clEvEUliiE_EEEEvS5_RKT_EUlibE_EEviT1_,@function
_ZN2at6native32elementwise_kernel_manual_unrollILi128ELi4EZNS0_22gpu_kernel_impl_nocastINS0_13AUnaryFunctorIiiiZZZNS0_18lshift_kernel_cudaERNS_18TensorIteratorBaseEENKUlvE_clEvENKUlvE1_clEvEUliiE_EEEEvS5_RKT_EUlibE_EEviT1_: ; @_ZN2at6native32elementwise_kernel_manual_unrollILi128ELi4EZNS0_22gpu_kernel_impl_nocastINS0_13AUnaryFunctorIiiiZZZNS0_18lshift_kernel_cudaERNS_18TensorIteratorBaseEENKUlvE_clEvENKUlvE1_clEvEUliiE_EEEEvS5_RKT_EUlibE_EEviT1_
; %bb.0:
	s_load_dword s56, s[4:5], 0x0
	s_load_dword s33, s[4:5], 0x8
	s_add_u32 s34, s4, 8
	s_addc_u32 s35, s5, 0
	v_lshl_or_b32 v7, s6, 9, v0
	v_or_b32_e32 v13, 0x180, v7
	s_waitcnt lgkmcnt(0)
	s_add_i32 s54, s33, -1
	s_cmp_gt_u32 s54, 1
	v_cmp_le_i32_e32 vcc, s56, v13
	s_cselect_b64 s[36:37], -1, 0
	s_and_saveexec_b64 s[0:1], vcc
	s_xor_b64 s[38:39], exec, s[0:1]
	s_cbranch_execz .LBB53_7
; %bb.1:
	s_load_dwordx4 s[24:27], s[34:35], 0x4
	s_load_dwordx2 s[40:41], s[34:35], 0x14
	s_load_dwordx4 s[20:23], s[34:35], 0xc4
	s_load_dwordx4 s[16:19], s[34:35], 0x148
	s_load_dword s55, s[34:35], 0x15c
	s_cmp_lg_u32 s33, 0
	s_cselect_b64 s[46:47], -1, 0
	s_add_u32 s44, s34, 0xc4
	s_addc_u32 s45, s35, 0
	s_min_u32 s57, s54, 15
	s_cmp_gt_u32 s33, 1
	s_cselect_b64 s[42:43], -1, 0
	v_cmp_gt_i32_e32 vcc, s56, v7
	s_and_saveexec_b64 s[48:49], vcc
	s_cbranch_execz .LBB53_14
; %bb.2:
	s_andn2_b64 vcc, exec, s[36:37]
	s_cbranch_vccnz .LBB53_21
; %bb.3:
	s_andn2_b64 vcc, exec, s[46:47]
	s_cbranch_vccnz .LBB53_73
; %bb.4:
	s_add_i32 s59, s57, 1
	s_cmp_eq_u32 s54, 2
	s_cbranch_scc1 .LBB53_75
; %bb.5:
	s_and_b32 s58, s59, 28
	v_mov_b32_e32 v2, 0
	s_mov_b32 s60, 0
	s_mov_b64 s[50:51], s[34:35]
	s_mov_b64 s[52:53], s[44:45]
	v_mov_b32_e32 v0, 0
	v_mov_b32_e32 v1, v7
.LBB53_6:                               ; =>This Inner Loop Header: Depth=1
	s_load_dwordx8 s[8:15], s[50:51], 0x4
	s_load_dwordx4 s[28:31], s[50:51], 0x24
	s_load_dwordx8 s[0:7], s[52:53], 0x0
	s_add_u32 s50, s50, 48
	s_addc_u32 s51, s51, 0
	s_waitcnt lgkmcnt(0)
	v_mul_hi_u32 v3, s9, v1
	s_add_i32 s60, s60, 4
	s_add_u32 s52, s52, 32
	s_addc_u32 s53, s53, 0
	v_add_u32_e32 v3, v1, v3
	v_lshrrev_b32_e32 v3, s10, v3
	v_mul_lo_u32 v4, v3, s8
	v_mul_hi_u32 v5, s12, v3
	s_cmp_lg_u32 s58, s60
	v_sub_u32_e32 v1, v1, v4
	v_add_u32_e32 v4, v3, v5
	v_mul_lo_u32 v5, v1, s0
	v_mul_lo_u32 v6, v1, s1
	v_lshrrev_b32_e32 v1, s13, v4
	v_mul_lo_u32 v4, v1, s11
	v_mul_hi_u32 v8, s15, v1
	v_sub_u32_e32 v3, v3, v4
	v_add_u32_e32 v4, v1, v8
	v_lshrrev_b32_e32 v4, s28, v4
	v_mul_hi_u32 v9, s30, v4
	v_mul_lo_u32 v10, v4, s14
	v_mul_lo_u32 v8, v3, s2
	;; [unrolled: 1-line block ×3, first 2 shown]
	v_sub_u32_e32 v10, v1, v10
	v_add_u32_e32 v1, v4, v9
	v_lshrrev_b32_e32 v1, s31, v1
	v_mul_lo_u32 v9, v1, s29
	v_mul_lo_u32 v11, v10, s4
	;; [unrolled: 1-line block ×3, first 2 shown]
	v_add3_u32 v0, v5, v0, v8
	v_sub_u32_e32 v4, v4, v9
	v_mul_lo_u32 v9, v4, s6
	v_mul_lo_u32 v4, v4, s7
	v_add3_u32 v2, v6, v2, v3
	v_add3_u32 v0, v11, v0, v9
	;; [unrolled: 1-line block ×3, first 2 shown]
	s_cbranch_scc1 .LBB53_6
	s_branch .LBB53_76
.LBB53_7:
	s_andn2_saveexec_b64 s[0:1], s[38:39]
	s_cbranch_execz .LBB53_101
.LBB53_8:
	v_cndmask_b32_e64 v0, 0, 1, s[36:37]
	v_cmp_ne_u32_e64 s[0:1], 1, v0
	s_andn2_b64 vcc, exec, s[36:37]
	s_cbranch_vccnz .LBB53_20
; %bb.9:
	s_cmp_lg_u32 s33, 0
	s_waitcnt lgkmcnt(0)
	s_mov_b32 s26, 0
	s_cbranch_scc0 .LBB53_23
; %bb.10:
	s_min_u32 s27, s54, 15
	s_add_i32 s27, s27, 1
	s_cmp_eq_u32 s54, 2
	s_cbranch_scc1 .LBB53_24
; %bb.11:
	s_and_b32 s26, s27, 28
	s_add_u32 s2, s34, 0xc4
	s_addc_u32 s3, s35, 0
	v_mov_b32_e32 v2, 0
	s_mov_b32 s28, 0
	s_mov_b64 s[24:25], s[34:35]
	v_mov_b32_e32 v0, 0
	v_mov_b32_e32 v1, v7
.LBB53_12:                              ; =>This Inner Loop Header: Depth=1
	s_load_dwordx8 s[12:19], s[24:25], 0x4
	s_load_dwordx4 s[20:23], s[24:25], 0x24
	s_load_dwordx8 s[4:11], s[2:3], 0x0
	s_add_u32 s24, s24, 48
	s_addc_u32 s25, s25, 0
	s_waitcnt lgkmcnt(0)
	v_mul_hi_u32 v3, s13, v1
	s_add_i32 s28, s28, 4
	s_add_u32 s2, s2, 32
	s_addc_u32 s3, s3, 0
	v_add_u32_e32 v3, v1, v3
	v_lshrrev_b32_e32 v3, s14, v3
	v_mul_lo_u32 v4, v3, s12
	v_mul_hi_u32 v5, s16, v3
	s_cmp_lg_u32 s26, s28
	v_sub_u32_e32 v1, v1, v4
	v_add_u32_e32 v4, v3, v5
	v_mul_lo_u32 v5, v1, s4
	v_mul_lo_u32 v6, v1, s5
	v_lshrrev_b32_e32 v1, s17, v4
	v_mul_lo_u32 v4, v1, s15
	v_mul_hi_u32 v8, s19, v1
	v_sub_u32_e32 v3, v3, v4
	v_add_u32_e32 v4, v1, v8
	v_lshrrev_b32_e32 v4, s20, v4
	v_mul_hi_u32 v9, s22, v4
	v_mul_lo_u32 v10, v4, s18
	v_mul_lo_u32 v8, v3, s6
	;; [unrolled: 1-line block ×3, first 2 shown]
	v_sub_u32_e32 v10, v1, v10
	v_add_u32_e32 v1, v4, v9
	v_lshrrev_b32_e32 v1, s23, v1
	v_mul_lo_u32 v9, v1, s21
	v_mul_lo_u32 v11, v10, s8
	;; [unrolled: 1-line block ×3, first 2 shown]
	v_add3_u32 v0, v5, v0, v8
	v_sub_u32_e32 v4, v4, v9
	v_mul_lo_u32 v9, v4, s10
	v_mul_lo_u32 v4, v4, s11
	v_add3_u32 v2, v6, v2, v3
	v_add3_u32 v0, v11, v0, v9
	;; [unrolled: 1-line block ×3, first 2 shown]
	s_cbranch_scc1 .LBB53_12
; %bb.13:
	s_and_b32 s6, s27, 3
	s_cmp_eq_u32 s6, 0
	s_cbranch_scc0 .LBB53_25
	s_branch .LBB53_27
.LBB53_14:
	s_or_b64 exec, exec, s[48:49]
	v_cmp_gt_i32_e32 vcc, s56, v7
	s_and_saveexec_b64 s[48:49], vcc
	s_cbranch_execz .LBB53_83
.LBB53_15:
	s_andn2_b64 vcc, exec, s[36:37]
	s_cbranch_vccnz .LBB53_22
; %bb.16:
	s_andn2_b64 vcc, exec, s[46:47]
	s_cbranch_vccnz .LBB53_74
; %bb.17:
	s_add_i32 s59, s57, 1
	s_cmp_eq_u32 s54, 2
	s_cbranch_scc1 .LBB53_91
; %bb.18:
	s_and_b32 s58, s59, 28
	v_mov_b32_e32 v2, 0
	s_mov_b32 s60, 0
	s_mov_b64 s[50:51], s[34:35]
	s_mov_b64 s[52:53], s[44:45]
	v_mov_b32_e32 v0, 0
	v_mov_b32_e32 v1, v7
.LBB53_19:                              ; =>This Inner Loop Header: Depth=1
	s_load_dwordx8 s[8:15], s[50:51], 0x4
	s_load_dwordx4 s[28:31], s[50:51], 0x24
	s_load_dwordx8 s[0:7], s[52:53], 0x0
	s_add_u32 s50, s50, 48
	s_addc_u32 s51, s51, 0
	s_waitcnt lgkmcnt(0)
	v_mul_hi_u32 v3, s9, v1
	s_add_i32 s60, s60, 4
	s_add_u32 s52, s52, 32
	s_addc_u32 s53, s53, 0
	v_add_u32_e32 v3, v1, v3
	v_lshrrev_b32_e32 v3, s10, v3
	v_mul_lo_u32 v4, v3, s8
	v_mul_hi_u32 v5, s12, v3
	s_cmp_eq_u32 s58, s60
	v_sub_u32_e32 v1, v1, v4
	v_add_u32_e32 v4, v3, v5
	v_mul_lo_u32 v5, v1, s0
	v_mul_lo_u32 v6, v1, s1
	v_lshrrev_b32_e32 v1, s13, v4
	v_mul_lo_u32 v4, v1, s11
	v_mul_hi_u32 v8, s15, v1
	v_sub_u32_e32 v3, v3, v4
	v_add_u32_e32 v4, v1, v8
	v_lshrrev_b32_e32 v4, s28, v4
	v_mul_hi_u32 v9, s30, v4
	v_mul_lo_u32 v10, v4, s14
	v_mul_lo_u32 v8, v3, s2
	;; [unrolled: 1-line block ×3, first 2 shown]
	v_sub_u32_e32 v10, v1, v10
	v_add_u32_e32 v1, v4, v9
	v_lshrrev_b32_e32 v1, s31, v1
	v_mul_lo_u32 v9, v1, s29
	v_mul_lo_u32 v11, v10, s4
	;; [unrolled: 1-line block ×3, first 2 shown]
	v_add3_u32 v0, v5, v0, v8
	v_sub_u32_e32 v4, v4, v9
	v_mul_lo_u32 v9, v4, s6
	v_mul_lo_u32 v4, v4, s7
	v_add3_u32 v2, v6, v2, v3
	v_add3_u32 v0, v11, v0, v9
	;; [unrolled: 1-line block ×3, first 2 shown]
	s_cbranch_scc0 .LBB53_19
	s_branch .LBB53_92
.LBB53_20:
                                        ; implicit-def: $vgpr0
                                        ; implicit-def: $vgpr2
	s_branch .LBB53_28
.LBB53_21:
                                        ; implicit-def: $vgpr0
                                        ; implicit-def: $vgpr2
	s_branch .LBB53_80
.LBB53_22:
                                        ; implicit-def: $vgpr0
                                        ; implicit-def: $vgpr2
	s_branch .LBB53_96
.LBB53_23:
	v_mov_b32_e32 v0, 0
	v_mov_b32_e32 v2, 0
	s_branch .LBB53_27
.LBB53_24:
	v_mov_b32_e32 v0, 0
	v_mov_b32_e32 v2, 0
	;; [unrolled: 1-line block ×3, first 2 shown]
	s_and_b32 s6, s27, 3
	s_cmp_eq_u32 s6, 0
	s_cbranch_scc1 .LBB53_27
.LBB53_25:
	s_lshl_b32 s2, s26, 3
	s_add_u32 s2, s34, s2
	s_addc_u32 s3, s35, 0
	s_add_u32 s2, s2, 0xc4
	s_addc_u32 s3, s3, 0
	s_mul_i32 s4, s26, 12
	s_add_u32 s4, s34, s4
	s_addc_u32 s5, s35, 0
.LBB53_26:                              ; =>This Inner Loop Header: Depth=1
	s_load_dwordx2 s[8:9], s[4:5], 0x4
	s_load_dword s7, s[4:5], 0xc
	s_load_dwordx2 s[10:11], s[2:3], 0x0
	s_add_u32 s4, s4, 12
	s_addc_u32 s5, s5, 0
	s_waitcnt lgkmcnt(0)
	v_mul_hi_u32 v4, s9, v1
	s_add_u32 s2, s2, 8
	s_addc_u32 s3, s3, 0
	s_add_i32 s6, s6, -1
	v_add_u32_e32 v4, v1, v4
	v_lshrrev_b32_e32 v4, s7, v4
	v_mul_lo_u32 v5, v4, s8
	s_cmp_lg_u32 s6, 0
	v_sub_u32_e32 v5, v1, v5
	v_mad_u64_u32 v[0:1], s[8:9], v5, s10, v[0:1]
	v_mad_u64_u32 v[2:3], s[8:9], v5, s11, v[2:3]
	v_mov_b32_e32 v1, v4
	s_cbranch_scc1 .LBB53_26
.LBB53_27:
	s_cbranch_execnz .LBB53_30
.LBB53_28:
	s_load_dwordx4 s[4:7], s[34:35], 0x4
	s_load_dwordx2 s[2:3], s[34:35], 0xc4
	s_cmp_lt_u32 s33, 2
	s_waitcnt lgkmcnt(0)
	v_mul_hi_u32 v0, s5, v7
	v_add_u32_e32 v0, v7, v0
	v_lshrrev_b32_e32 v1, s6, v0
	v_mul_lo_u32 v0, v1, s4
	v_sub_u32_e32 v2, v7, v0
	v_mul_lo_u32 v0, v2, s2
	v_mul_lo_u32 v2, v2, s3
	s_cbranch_scc1 .LBB53_30
; %bb.29:
	s_load_dwordx4 s[4:7], s[34:35], 0x10
	s_load_dwordx2 s[2:3], s[34:35], 0xcc
	s_waitcnt lgkmcnt(0)
	v_mul_hi_u32 v3, s5, v1
	v_add_u32_e32 v3, v1, v3
	v_lshrrev_b32_e32 v3, s6, v3
	v_mul_lo_u32 v3, v3, s4
	v_sub_u32_e32 v3, v1, v3
	v_mad_u64_u32 v[0:1], s[4:5], v3, s2, v[0:1]
	v_mad_u64_u32 v[2:3], s[2:3], v3, s3, v[2:3]
.LBB53_30:
	s_and_b64 vcc, exec, s[0:1]
	v_add_u32_e32 v1, 0x80, v7
	s_cbranch_vccnz .LBB53_36
; %bb.31:
	s_cmp_lg_u32 s33, 0
	s_waitcnt lgkmcnt(0)
	s_mov_b32 s26, 0
	s_cbranch_scc0 .LBB53_37
; %bb.32:
	s_min_u32 s27, s54, 15
	s_add_i32 s27, s27, 1
	s_cmp_eq_u32 s54, 2
	s_cbranch_scc1 .LBB53_38
; %bb.33:
	s_and_b32 s26, s27, 28
	s_add_u32 s2, s34, 0xc4
	s_addc_u32 s3, s35, 0
	v_mov_b32_e32 v5, 0
	s_mov_b32 s28, 0
	s_mov_b64 s[24:25], s[34:35]
	v_mov_b32_e32 v3, 0
	v_mov_b32_e32 v4, v1
.LBB53_34:                              ; =>This Inner Loop Header: Depth=1
	s_load_dwordx8 s[12:19], s[24:25], 0x4
	s_load_dwordx4 s[20:23], s[24:25], 0x24
	s_load_dwordx8 s[4:11], s[2:3], 0x0
	s_add_u32 s24, s24, 48
	s_addc_u32 s25, s25, 0
	s_waitcnt lgkmcnt(0)
	v_mul_hi_u32 v6, s13, v4
	s_add_i32 s28, s28, 4
	s_add_u32 s2, s2, 32
	s_addc_u32 s3, s3, 0
	v_add_u32_e32 v6, v4, v6
	v_lshrrev_b32_e32 v6, s14, v6
	v_mul_lo_u32 v8, v6, s12
	v_mul_hi_u32 v9, s16, v6
	s_cmp_lg_u32 s26, s28
	v_sub_u32_e32 v4, v4, v8
	v_add_u32_e32 v8, v6, v9
	v_mul_lo_u32 v9, v4, s4
	v_mul_lo_u32 v10, v4, s5
	v_lshrrev_b32_e32 v4, s17, v8
	v_mul_lo_u32 v8, v4, s15
	v_mul_hi_u32 v11, s19, v4
	v_sub_u32_e32 v6, v6, v8
	v_add_u32_e32 v8, v4, v11
	v_lshrrev_b32_e32 v8, s20, v8
	v_mul_hi_u32 v12, s22, v8
	v_mul_lo_u32 v14, v8, s18
	v_mul_lo_u32 v11, v6, s6
	;; [unrolled: 1-line block ×3, first 2 shown]
	v_sub_u32_e32 v14, v4, v14
	v_add_u32_e32 v4, v8, v12
	v_lshrrev_b32_e32 v4, s23, v4
	v_mul_lo_u32 v12, v4, s21
	v_mul_lo_u32 v15, v14, s8
	;; [unrolled: 1-line block ×3, first 2 shown]
	v_add3_u32 v3, v9, v3, v11
	v_sub_u32_e32 v8, v8, v12
	v_mul_lo_u32 v12, v8, s10
	v_mul_lo_u32 v8, v8, s11
	v_add3_u32 v5, v10, v5, v6
	v_add3_u32 v3, v15, v3, v12
	;; [unrolled: 1-line block ×3, first 2 shown]
	s_cbranch_scc1 .LBB53_34
; %bb.35:
	s_and_b32 s6, s27, 3
	s_cmp_eq_u32 s6, 0
	s_cbranch_scc0 .LBB53_39
	s_branch .LBB53_41
.LBB53_36:
                                        ; implicit-def: $vgpr3
                                        ; implicit-def: $vgpr5
	s_branch .LBB53_42
.LBB53_37:
	v_mov_b32_e32 v3, 0
	v_mov_b32_e32 v5, 0
	s_branch .LBB53_41
.LBB53_38:
	v_mov_b32_e32 v3, 0
	v_mov_b32_e32 v5, 0
	;; [unrolled: 1-line block ×3, first 2 shown]
	s_and_b32 s6, s27, 3
	s_cmp_eq_u32 s6, 0
	s_cbranch_scc1 .LBB53_41
.LBB53_39:
	s_lshl_b32 s2, s26, 3
	s_add_u32 s2, s34, s2
	s_addc_u32 s3, s35, 0
	s_add_u32 s2, s2, 0xc4
	s_addc_u32 s3, s3, 0
	s_mul_i32 s4, s26, 12
	s_add_u32 s4, s34, s4
	s_addc_u32 s5, s35, 0
.LBB53_40:                              ; =>This Inner Loop Header: Depth=1
	s_load_dwordx2 s[8:9], s[4:5], 0x4
	s_load_dword s7, s[4:5], 0xc
	s_load_dwordx2 s[10:11], s[2:3], 0x0
	s_add_u32 s4, s4, 12
	s_addc_u32 s5, s5, 0
	s_waitcnt lgkmcnt(0)
	v_mul_hi_u32 v8, s9, v4
	s_add_u32 s2, s2, 8
	s_addc_u32 s3, s3, 0
	s_add_i32 s6, s6, -1
	v_add_u32_e32 v8, v4, v8
	v_lshrrev_b32_e32 v8, s7, v8
	v_mul_lo_u32 v9, v8, s8
	s_cmp_lg_u32 s6, 0
	v_sub_u32_e32 v9, v4, v9
	v_mad_u64_u32 v[3:4], s[8:9], v9, s10, v[3:4]
	v_mad_u64_u32 v[5:6], s[8:9], v9, s11, v[5:6]
	v_mov_b32_e32 v4, v8
	s_cbranch_scc1 .LBB53_40
.LBB53_41:
	s_cbranch_execnz .LBB53_44
.LBB53_42:
	s_load_dwordx4 s[4:7], s[34:35], 0x4
	s_load_dwordx2 s[2:3], s[34:35], 0xc4
	s_cmp_lt_u32 s33, 2
	s_waitcnt lgkmcnt(0)
	v_mul_hi_u32 v3, s5, v1
	v_add_u32_e32 v3, v1, v3
	v_lshrrev_b32_e32 v4, s6, v3
	v_mul_lo_u32 v3, v4, s4
	v_sub_u32_e32 v1, v1, v3
	v_mul_lo_u32 v3, v1, s2
	v_mul_lo_u32 v5, v1, s3
	s_cbranch_scc1 .LBB53_44
; %bb.43:
	s_load_dwordx4 s[4:7], s[34:35], 0x10
	s_load_dwordx2 s[2:3], s[34:35], 0xcc
	s_waitcnt lgkmcnt(0)
	v_mul_hi_u32 v1, s5, v4
	v_add_u32_e32 v1, v4, v1
	v_lshrrev_b32_e32 v1, s6, v1
	v_mul_lo_u32 v1, v1, s4
	v_sub_u32_e32 v1, v4, v1
	v_mad_u64_u32 v[3:4], s[4:5], v1, s2, v[3:4]
	v_mad_u64_u32 v[5:6], s[2:3], v1, s3, v[5:6]
.LBB53_44:
	s_and_b64 vcc, exec, s[0:1]
	v_add_u32_e32 v1, 0x100, v7
	s_cbranch_vccnz .LBB53_50
; %bb.45:
	s_cmp_lg_u32 s33, 0
	s_waitcnt lgkmcnt(0)
	s_mov_b32 s26, 0
	s_cbranch_scc0 .LBB53_51
; %bb.46:
	s_min_u32 s27, s54, 15
	s_add_i32 s27, s27, 1
	s_cmp_eq_u32 s54, 2
	s_cbranch_scc1 .LBB53_52
; %bb.47:
	s_and_b32 s26, s27, 28
	s_add_u32 s2, s34, 0xc4
	s_addc_u32 s3, s35, 0
	v_mov_b32_e32 v8, 0
	s_mov_b32 s28, 0
	s_mov_b64 s[24:25], s[34:35]
	v_mov_b32_e32 v6, 0
	v_mov_b32_e32 v4, v1
.LBB53_48:                              ; =>This Inner Loop Header: Depth=1
	s_load_dwordx8 s[12:19], s[24:25], 0x4
	s_load_dwordx4 s[20:23], s[24:25], 0x24
	s_load_dwordx8 s[4:11], s[2:3], 0x0
	s_add_u32 s24, s24, 48
	s_addc_u32 s25, s25, 0
	s_waitcnt lgkmcnt(0)
	v_mul_hi_u32 v7, s13, v4
	s_add_i32 s28, s28, 4
	s_add_u32 s2, s2, 32
	s_addc_u32 s3, s3, 0
	v_add_u32_e32 v7, v4, v7
	v_lshrrev_b32_e32 v7, s14, v7
	v_mul_lo_u32 v9, v7, s12
	v_mul_hi_u32 v10, s16, v7
	s_cmp_lg_u32 s26, s28
	v_sub_u32_e32 v4, v4, v9
	v_add_u32_e32 v9, v7, v10
	v_mul_lo_u32 v10, v4, s4
	v_mul_lo_u32 v11, v4, s5
	v_lshrrev_b32_e32 v4, s17, v9
	v_mul_lo_u32 v9, v4, s15
	v_mul_hi_u32 v12, s19, v4
	v_sub_u32_e32 v7, v7, v9
	v_add_u32_e32 v9, v4, v12
	v_lshrrev_b32_e32 v9, s20, v9
	v_mul_hi_u32 v14, s22, v9
	v_mul_lo_u32 v15, v9, s18
	v_mul_lo_u32 v12, v7, s6
	;; [unrolled: 1-line block ×3, first 2 shown]
	v_sub_u32_e32 v15, v4, v15
	v_add_u32_e32 v4, v9, v14
	v_lshrrev_b32_e32 v4, s23, v4
	v_mul_lo_u32 v14, v4, s21
	v_mul_lo_u32 v16, v15, s8
	;; [unrolled: 1-line block ×3, first 2 shown]
	v_add3_u32 v6, v10, v6, v12
	v_sub_u32_e32 v9, v9, v14
	v_mul_lo_u32 v14, v9, s10
	v_mul_lo_u32 v9, v9, s11
	v_add3_u32 v7, v11, v8, v7
	v_add3_u32 v6, v16, v6, v14
	;; [unrolled: 1-line block ×3, first 2 shown]
	s_cbranch_scc1 .LBB53_48
; %bb.49:
	s_and_b32 s6, s27, 3
	s_cmp_eq_u32 s6, 0
	s_cbranch_scc0 .LBB53_53
	s_branch .LBB53_55
.LBB53_50:
                                        ; implicit-def: $vgpr6
                                        ; implicit-def: $vgpr8
	s_branch .LBB53_56
.LBB53_51:
	v_mov_b32_e32 v6, 0
	v_mov_b32_e32 v8, 0
	s_branch .LBB53_55
.LBB53_52:
	v_mov_b32_e32 v6, 0
	v_mov_b32_e32 v8, 0
	;; [unrolled: 1-line block ×3, first 2 shown]
	s_and_b32 s6, s27, 3
	s_cmp_eq_u32 s6, 0
	s_cbranch_scc1 .LBB53_55
.LBB53_53:
	s_lshl_b32 s2, s26, 3
	s_add_u32 s2, s34, s2
	s_addc_u32 s3, s35, 0
	s_add_u32 s2, s2, 0xc4
	s_addc_u32 s3, s3, 0
	s_mul_i32 s4, s26, 12
	s_add_u32 s4, s34, s4
	s_addc_u32 s5, s35, 0
.LBB53_54:                              ; =>This Inner Loop Header: Depth=1
	s_load_dwordx2 s[8:9], s[4:5], 0x4
	s_load_dword s7, s[4:5], 0xc
	s_load_dwordx2 s[10:11], s[2:3], 0x0
	s_add_u32 s4, s4, 12
	s_addc_u32 s5, s5, 0
	s_waitcnt lgkmcnt(0)
	v_mul_hi_u32 v7, s9, v4
	s_add_u32 s2, s2, 8
	s_addc_u32 s3, s3, 0
	s_add_i32 s6, s6, -1
	v_add_u32_e32 v7, v4, v7
	v_lshrrev_b32_e32 v10, s7, v7
	v_mul_lo_u32 v7, v10, s8
	s_cmp_lg_u32 s6, 0
	v_sub_u32_e32 v4, v4, v7
	v_mad_u64_u32 v[6:7], s[8:9], v4, s10, v[6:7]
	v_mad_u64_u32 v[8:9], s[8:9], v4, s11, v[8:9]
	v_mov_b32_e32 v4, v10
	s_cbranch_scc1 .LBB53_54
.LBB53_55:
	s_cbranch_execnz .LBB53_58
.LBB53_56:
	s_load_dwordx4 s[4:7], s[34:35], 0x4
	s_load_dwordx2 s[2:3], s[34:35], 0xc4
	s_cmp_lt_u32 s33, 2
	s_waitcnt lgkmcnt(0)
	v_mul_hi_u32 v4, s5, v1
	v_add_u32_e32 v4, v1, v4
	v_lshrrev_b32_e32 v4, s6, v4
	v_mul_lo_u32 v6, v4, s4
	v_sub_u32_e32 v1, v1, v6
	v_mul_lo_u32 v6, v1, s2
	v_mul_lo_u32 v8, v1, s3
	s_cbranch_scc1 .LBB53_58
; %bb.57:
	s_load_dwordx4 s[4:7], s[34:35], 0x10
	s_load_dwordx2 s[2:3], s[34:35], 0xcc
	s_waitcnt lgkmcnt(0)
	v_mul_hi_u32 v1, s5, v4
	v_add_u32_e32 v1, v4, v1
	v_lshrrev_b32_e32 v1, s6, v1
	v_mul_lo_u32 v1, v1, s4
	v_sub_u32_e32 v1, v4, v1
	v_mad_u64_u32 v[6:7], s[4:5], v1, s2, v[6:7]
	v_mad_u64_u32 v[8:9], s[2:3], v1, s3, v[8:9]
.LBB53_58:
	s_and_b64 vcc, exec, s[0:1]
	s_cbranch_vccnz .LBB53_64
; %bb.59:
	s_cmp_lg_u32 s33, 0
	s_waitcnt lgkmcnt(0)
	s_mov_b32 s24, 0
	s_cbranch_scc0 .LBB53_65
; %bb.60:
	s_min_u32 s25, s54, 15
	s_add_i32 s25, s25, 1
	s_cmp_eq_u32 s54, 2
	s_cbranch_scc1 .LBB53_66
; %bb.61:
	s_and_b32 s24, s25, 28
	s_add_u32 s20, s34, 0xc4
	s_addc_u32 s21, s35, 0
	v_mov_b32_e32 v11, 0
	s_mov_b32 s26, 0
	s_mov_b64 s[22:23], s[34:35]
	v_mov_b32_e32 v9, 0
	v_mov_b32_e32 v1, v13
.LBB53_62:                              ; =>This Inner Loop Header: Depth=1
	s_load_dwordx8 s[8:15], s[22:23], 0x4
	s_load_dwordx4 s[16:19], s[22:23], 0x24
	s_load_dwordx8 s[0:7], s[20:21], 0x0
	s_add_u32 s22, s22, 48
	s_addc_u32 s23, s23, 0
	s_waitcnt lgkmcnt(0)
	v_mul_hi_u32 v4, s9, v1
	s_add_i32 s26, s26, 4
	s_add_u32 s20, s20, 32
	s_addc_u32 s21, s21, 0
	v_add_u32_e32 v4, v1, v4
	v_lshrrev_b32_e32 v4, s10, v4
	v_mul_lo_u32 v7, v4, s8
	v_mul_hi_u32 v10, s12, v4
	s_cmp_lg_u32 s24, s26
	v_sub_u32_e32 v1, v1, v7
	v_add_u32_e32 v7, v4, v10
	v_mul_lo_u32 v10, v1, s0
	v_mul_lo_u32 v12, v1, s1
	v_lshrrev_b32_e32 v1, s13, v7
	v_mul_lo_u32 v7, v1, s11
	v_mul_hi_u32 v14, s15, v1
	v_sub_u32_e32 v4, v4, v7
	v_add_u32_e32 v7, v1, v14
	v_lshrrev_b32_e32 v7, s16, v7
	v_mul_hi_u32 v15, s18, v7
	v_mul_lo_u32 v16, v7, s14
	v_mul_lo_u32 v14, v4, s2
	;; [unrolled: 1-line block ×3, first 2 shown]
	v_sub_u32_e32 v16, v1, v16
	v_add_u32_e32 v1, v7, v15
	v_lshrrev_b32_e32 v1, s19, v1
	v_mul_lo_u32 v15, v1, s17
	v_mul_lo_u32 v17, v16, s4
	;; [unrolled: 1-line block ×3, first 2 shown]
	v_add3_u32 v9, v10, v9, v14
	v_sub_u32_e32 v7, v7, v15
	v_mul_lo_u32 v15, v7, s6
	v_mul_lo_u32 v7, v7, s7
	v_add3_u32 v4, v12, v11, v4
	v_add3_u32 v9, v17, v9, v15
	;; [unrolled: 1-line block ×3, first 2 shown]
	s_cbranch_scc1 .LBB53_62
; %bb.63:
	s_and_b32 s4, s25, 3
	s_cmp_eq_u32 s4, 0
	s_cbranch_scc0 .LBB53_67
	s_branch .LBB53_69
.LBB53_64:
                                        ; implicit-def: $vgpr9
                                        ; implicit-def: $vgpr11
	s_branch .LBB53_70
.LBB53_65:
	v_mov_b32_e32 v9, 0
	v_mov_b32_e32 v11, 0
	s_branch .LBB53_69
.LBB53_66:
	v_mov_b32_e32 v9, 0
	v_mov_b32_e32 v11, 0
	;; [unrolled: 1-line block ×3, first 2 shown]
	s_and_b32 s4, s25, 3
	s_cmp_eq_u32 s4, 0
	s_cbranch_scc1 .LBB53_69
.LBB53_67:
	s_lshl_b32 s0, s24, 3
	s_add_u32 s0, s34, s0
	s_addc_u32 s1, s35, 0
	s_add_u32 s0, s0, 0xc4
	s_addc_u32 s1, s1, 0
	s_mul_i32 s2, s24, 12
	s_add_u32 s2, s34, s2
	s_addc_u32 s3, s35, 0
.LBB53_68:                              ; =>This Inner Loop Header: Depth=1
	s_load_dwordx2 s[6:7], s[2:3], 0x4
	s_load_dword s5, s[2:3], 0xc
	s_load_dwordx2 s[8:9], s[0:1], 0x0
	s_add_u32 s2, s2, 12
	s_addc_u32 s3, s3, 0
	s_waitcnt lgkmcnt(0)
	v_mul_hi_u32 v4, s7, v1
	s_add_u32 s0, s0, 8
	s_addc_u32 s1, s1, 0
	s_add_i32 s4, s4, -1
	v_add_u32_e32 v4, v1, v4
	v_lshrrev_b32_e32 v4, s5, v4
	v_mul_lo_u32 v7, v4, s6
	s_cmp_lg_u32 s4, 0
	v_sub_u32_e32 v1, v1, v7
	v_mad_u64_u32 v[9:10], s[6:7], v1, s8, v[9:10]
	v_mad_u64_u32 v[11:12], s[6:7], v1, s9, v[11:12]
	v_mov_b32_e32 v1, v4
	s_cbranch_scc1 .LBB53_68
.LBB53_69:
	s_cbranch_execnz .LBB53_72
.LBB53_70:
	s_load_dwordx4 s[0:3], s[34:35], 0x4
	s_load_dwordx2 s[4:5], s[34:35], 0xc4
	s_cmp_lt_u32 s33, 2
	s_waitcnt lgkmcnt(0)
	v_mul_hi_u32 v1, s1, v13
	v_add_u32_e32 v1, v13, v1
	v_lshrrev_b32_e32 v1, s2, v1
	v_mul_lo_u32 v4, v1, s0
	v_sub_u32_e32 v4, v13, v4
	v_mul_lo_u32 v9, v4, s4
	v_mul_lo_u32 v11, v4, s5
	s_cbranch_scc1 .LBB53_72
; %bb.71:
	s_load_dwordx4 s[0:3], s[34:35], 0x10
	s_load_dwordx2 s[4:5], s[34:35], 0xcc
	s_waitcnt lgkmcnt(0)
	v_mul_hi_u32 v4, s1, v1
	v_add_u32_e32 v4, v1, v4
	v_lshrrev_b32_e32 v4, s2, v4
	v_mul_lo_u32 v4, v4, s0
	v_sub_u32_e32 v1, v1, v4
	v_mad_u64_u32 v[9:10], s[0:1], v1, s4, v[9:10]
	v_mad_u64_u32 v[11:12], s[0:1], v1, s5, v[11:12]
.LBB53_72:
	s_load_dwordx4 s[0:3], s[34:35], 0x148
	s_load_dword s4, s[34:35], 0x15c
	s_waitcnt lgkmcnt(0)
	global_load_dword v1, v2, s[2:3]
	global_load_dword v4, v5, s[2:3]
	;; [unrolled: 1-line block ×4, first 2 shown]
	s_waitcnt vmcnt(3)
	v_lshlrev_b32_e64 v2, v1, s4
	v_cmp_gt_u32_e32 vcc, 32, v1
	s_waitcnt vmcnt(2)
	v_lshlrev_b32_e64 v5, v4, s4
	v_cndmask_b32_e32 v1, 0, v2, vcc
	v_cmp_gt_u32_e32 vcc, 32, v4
	s_waitcnt vmcnt(1)
	v_lshlrev_b32_e64 v8, v7, s4
	v_cndmask_b32_e32 v2, 0, v5, vcc
	;; [unrolled: 4-line block ×3, first 2 shown]
	v_cmp_gt_u32_e32 vcc, 32, v10
	v_cndmask_b32_e32 v5, 0, v11, vcc
	global_store_dword v0, v1, s[0:1]
	global_store_dword v3, v2, s[0:1]
	;; [unrolled: 1-line block ×4, first 2 shown]
	s_endpgm
.LBB53_73:
	v_mov_b32_e32 v0, 0
	v_mov_b32_e32 v2, 0
	s_branch .LBB53_79
.LBB53_74:
	v_mov_b32_e32 v0, 0
	v_mov_b32_e32 v2, 0
	s_branch .LBB53_95
.LBB53_75:
	s_mov_b32 s58, 0
	v_mov_b32_e32 v0, 0
	v_mov_b32_e32 v2, 0
	;; [unrolled: 1-line block ×3, first 2 shown]
.LBB53_76:
	s_and_b32 s4, s59, 3
	s_cmp_eq_u32 s4, 0
	s_cbranch_scc1 .LBB53_79
; %bb.77:
	s_lshl_b32 s0, s58, 3
	s_add_u32 s0, s34, s0
	s_addc_u32 s1, s35, 0
	s_add_u32 s0, s0, 0xc4
	s_addc_u32 s1, s1, 0
	s_mul_i32 s2, s58, 12
	s_add_u32 s2, s34, s2
	s_addc_u32 s3, s35, 0
.LBB53_78:                              ; =>This Inner Loop Header: Depth=1
	s_load_dwordx2 s[6:7], s[2:3], 0x4
	s_load_dword s5, s[2:3], 0xc
	s_load_dwordx2 s[8:9], s[0:1], 0x0
	s_add_u32 s2, s2, 12
	s_addc_u32 s3, s3, 0
	s_waitcnt lgkmcnt(0)
	v_mul_hi_u32 v3, s7, v1
	s_add_u32 s0, s0, 8
	s_addc_u32 s1, s1, 0
	s_add_i32 s4, s4, -1
	v_add_u32_e32 v3, v1, v3
	v_lshrrev_b32_e32 v4, s5, v3
	v_mul_lo_u32 v3, v4, s6
	s_cmp_lg_u32 s4, 0
	v_sub_u32_e32 v3, v1, v3
	v_mad_u64_u32 v[0:1], s[6:7], v3, s8, v[0:1]
	v_mad_u64_u32 v[2:3], s[6:7], v3, s9, v[2:3]
	v_mov_b32_e32 v1, v4
	s_cbranch_scc1 .LBB53_78
.LBB53_79:
	s_cbranch_execnz .LBB53_82
.LBB53_80:
	s_waitcnt lgkmcnt(0)
	v_mul_hi_u32 v0, s25, v7
	s_andn2_b64 vcc, exec, s[42:43]
	v_add_u32_e32 v0, v7, v0
	v_lshrrev_b32_e32 v1, s26, v0
	v_mul_lo_u32 v0, v1, s24
	v_sub_u32_e32 v2, v7, v0
	v_mul_lo_u32 v0, v2, s20
	v_mul_lo_u32 v2, v2, s21
	s_cbranch_vccnz .LBB53_82
; %bb.81:
	v_mul_hi_u32 v3, s40, v1
	v_add_u32_e32 v3, v1, v3
	v_lshrrev_b32_e32 v3, s41, v3
	v_mul_lo_u32 v3, v3, s27
	v_sub_u32_e32 v3, v1, v3
	v_mad_u64_u32 v[0:1], s[0:1], v3, s22, v[0:1]
	v_mad_u64_u32 v[2:3], s[0:1], v3, s23, v[2:3]
.LBB53_82:
	s_waitcnt lgkmcnt(0)
	global_load_dword v1, v2, s[18:19]
	v_add_u32_e32 v7, 0x80, v7
	s_waitcnt vmcnt(0)
	v_lshlrev_b32_e64 v2, v1, s55
	v_cmp_gt_u32_e32 vcc, 32, v1
	v_cndmask_b32_e32 v1, 0, v2, vcc
	global_store_dword v0, v1, s[16:17]
	s_or_b64 exec, exec, s[48:49]
	v_cmp_gt_i32_e32 vcc, s56, v7
	s_and_saveexec_b64 s[48:49], vcc
	s_cbranch_execnz .LBB53_15
.LBB53_83:
	s_or_b64 exec, exec, s[48:49]
	v_cmp_gt_i32_e32 vcc, s56, v7
	s_and_saveexec_b64 s[48:49], vcc
	s_cbranch_execz .LBB53_99
.LBB53_84:
	s_andn2_b64 vcc, exec, s[36:37]
	s_cbranch_vccnz .LBB53_89
; %bb.85:
	s_andn2_b64 vcc, exec, s[46:47]
	s_cbranch_vccnz .LBB53_90
; %bb.86:
	s_add_i32 s59, s57, 1
	s_cmp_eq_u32 s54, 2
	s_cbranch_scc1 .LBB53_102
; %bb.87:
	s_and_b32 s58, s59, 28
	v_mov_b32_e32 v2, 0
	s_mov_b32 s60, 0
	s_mov_b64 s[50:51], s[34:35]
	s_mov_b64 s[52:53], s[44:45]
	v_mov_b32_e32 v0, 0
	v_mov_b32_e32 v1, v7
.LBB53_88:                              ; =>This Inner Loop Header: Depth=1
	s_load_dwordx8 s[8:15], s[50:51], 0x4
	s_load_dwordx4 s[28:31], s[50:51], 0x24
	s_load_dwordx8 s[0:7], s[52:53], 0x0
	s_add_u32 s50, s50, 48
	s_addc_u32 s51, s51, 0
	s_waitcnt lgkmcnt(0)
	v_mul_hi_u32 v3, s9, v1
	s_add_i32 s60, s60, 4
	s_add_u32 s52, s52, 32
	s_addc_u32 s53, s53, 0
	v_add_u32_e32 v3, v1, v3
	v_lshrrev_b32_e32 v3, s10, v3
	v_mul_lo_u32 v4, v3, s8
	v_mul_hi_u32 v5, s12, v3
	s_cmp_eq_u32 s58, s60
	v_sub_u32_e32 v1, v1, v4
	v_add_u32_e32 v4, v3, v5
	v_mul_lo_u32 v5, v1, s0
	v_mul_lo_u32 v6, v1, s1
	v_lshrrev_b32_e32 v1, s13, v4
	v_mul_lo_u32 v4, v1, s11
	v_mul_hi_u32 v8, s15, v1
	v_sub_u32_e32 v3, v3, v4
	v_add_u32_e32 v4, v1, v8
	v_lshrrev_b32_e32 v4, s28, v4
	v_mul_hi_u32 v9, s30, v4
	v_mul_lo_u32 v10, v4, s14
	v_mul_lo_u32 v8, v3, s2
	;; [unrolled: 1-line block ×3, first 2 shown]
	v_sub_u32_e32 v10, v1, v10
	v_add_u32_e32 v1, v4, v9
	v_lshrrev_b32_e32 v1, s31, v1
	v_mul_lo_u32 v9, v1, s29
	v_mul_lo_u32 v11, v10, s4
	;; [unrolled: 1-line block ×3, first 2 shown]
	v_add3_u32 v0, v5, v0, v8
	v_sub_u32_e32 v4, v4, v9
	v_mul_lo_u32 v9, v4, s6
	v_mul_lo_u32 v4, v4, s7
	v_add3_u32 v2, v6, v2, v3
	v_add3_u32 v0, v11, v0, v9
	v_add3_u32 v2, v10, v2, v4
	s_cbranch_scc0 .LBB53_88
	s_branch .LBB53_103
.LBB53_89:
                                        ; implicit-def: $vgpr0
                                        ; implicit-def: $vgpr2
	s_branch .LBB53_107
.LBB53_90:
	v_mov_b32_e32 v0, 0
	v_mov_b32_e32 v2, 0
	s_branch .LBB53_106
.LBB53_91:
	s_mov_b32 s58, 0
	v_mov_b32_e32 v0, 0
	v_mov_b32_e32 v2, 0
	;; [unrolled: 1-line block ×3, first 2 shown]
.LBB53_92:
	s_and_b32 s4, s59, 3
	s_cmp_eq_u32 s4, 0
	s_cbranch_scc1 .LBB53_95
; %bb.93:
	s_lshl_b32 s0, s58, 3
	s_add_u32 s0, s34, s0
	s_addc_u32 s1, s35, 0
	s_add_u32 s0, s0, 0xc4
	s_addc_u32 s1, s1, 0
	s_mul_i32 s2, s58, 12
	s_add_u32 s2, s34, s2
	s_addc_u32 s3, s35, 0
.LBB53_94:                              ; =>This Inner Loop Header: Depth=1
	s_load_dwordx2 s[6:7], s[2:3], 0x4
	s_load_dword s5, s[2:3], 0xc
	s_load_dwordx2 s[8:9], s[0:1], 0x0
	s_add_u32 s2, s2, 12
	s_addc_u32 s3, s3, 0
	s_waitcnt lgkmcnt(0)
	v_mul_hi_u32 v3, s7, v1
	s_add_u32 s0, s0, 8
	s_addc_u32 s1, s1, 0
	s_add_i32 s4, s4, -1
	v_add_u32_e32 v3, v1, v3
	v_lshrrev_b32_e32 v4, s5, v3
	v_mul_lo_u32 v3, v4, s6
	s_cmp_lg_u32 s4, 0
	v_sub_u32_e32 v3, v1, v3
	v_mad_u64_u32 v[0:1], s[6:7], v3, s8, v[0:1]
	v_mad_u64_u32 v[2:3], s[6:7], v3, s9, v[2:3]
	v_mov_b32_e32 v1, v4
	s_cbranch_scc1 .LBB53_94
.LBB53_95:
	s_cbranch_execnz .LBB53_98
.LBB53_96:
	s_waitcnt lgkmcnt(0)
	v_mul_hi_u32 v0, s25, v7
	s_andn2_b64 vcc, exec, s[42:43]
	v_add_u32_e32 v0, v7, v0
	v_lshrrev_b32_e32 v1, s26, v0
	v_mul_lo_u32 v0, v1, s24
	v_sub_u32_e32 v2, v7, v0
	v_mul_lo_u32 v0, v2, s20
	v_mul_lo_u32 v2, v2, s21
	s_cbranch_vccnz .LBB53_98
; %bb.97:
	v_mul_hi_u32 v3, s40, v1
	v_add_u32_e32 v3, v1, v3
	v_lshrrev_b32_e32 v3, s41, v3
	v_mul_lo_u32 v3, v3, s27
	v_sub_u32_e32 v3, v1, v3
	v_mad_u64_u32 v[0:1], s[0:1], v3, s22, v[0:1]
	v_mad_u64_u32 v[2:3], s[0:1], v3, s23, v[2:3]
.LBB53_98:
	s_waitcnt lgkmcnt(0)
	global_load_dword v1, v2, s[18:19]
	v_add_u32_e32 v7, 0x80, v7
	s_waitcnt vmcnt(0)
	v_lshlrev_b32_e64 v2, v1, s55
	v_cmp_gt_u32_e32 vcc, 32, v1
	v_cndmask_b32_e32 v1, 0, v2, vcc
	global_store_dword v0, v1, s[16:17]
	s_or_b64 exec, exec, s[48:49]
	v_cmp_gt_i32_e32 vcc, s56, v7
	s_and_saveexec_b64 s[48:49], vcc
	s_cbranch_execnz .LBB53_84
.LBB53_99:
	s_or_b64 exec, exec, s[48:49]
	v_cmp_gt_i32_e32 vcc, s56, v7
	s_and_saveexec_b64 s[48:49], vcc
	s_cbranch_execnz .LBB53_110
.LBB53_100:
	s_or_b64 exec, exec, s[48:49]
                                        ; implicit-def: $vgpr13
                                        ; implicit-def: $vgpr7
	s_andn2_saveexec_b64 s[0:1], s[38:39]
	s_cbranch_execnz .LBB53_8
.LBB53_101:
	s_endpgm
.LBB53_102:
	s_mov_b32 s58, 0
	v_mov_b32_e32 v0, 0
	v_mov_b32_e32 v2, 0
	;; [unrolled: 1-line block ×3, first 2 shown]
.LBB53_103:
	s_and_b32 s4, s59, 3
	s_cmp_eq_u32 s4, 0
	s_cbranch_scc1 .LBB53_106
; %bb.104:
	s_lshl_b32 s0, s58, 3
	s_add_u32 s0, s34, s0
	s_addc_u32 s1, s35, 0
	s_add_u32 s0, s0, 0xc4
	s_addc_u32 s1, s1, 0
	s_mul_i32 s2, s58, 12
	s_add_u32 s2, s34, s2
	s_addc_u32 s3, s35, 0
.LBB53_105:                             ; =>This Inner Loop Header: Depth=1
	s_load_dwordx2 s[6:7], s[2:3], 0x4
	s_load_dword s5, s[2:3], 0xc
	s_load_dwordx2 s[8:9], s[0:1], 0x0
	s_add_u32 s2, s2, 12
	s_addc_u32 s3, s3, 0
	s_waitcnt lgkmcnt(0)
	v_mul_hi_u32 v3, s7, v1
	s_add_u32 s0, s0, 8
	s_addc_u32 s1, s1, 0
	s_add_i32 s4, s4, -1
	v_add_u32_e32 v3, v1, v3
	v_lshrrev_b32_e32 v4, s5, v3
	v_mul_lo_u32 v3, v4, s6
	s_cmp_lg_u32 s4, 0
	v_sub_u32_e32 v3, v1, v3
	v_mad_u64_u32 v[0:1], s[6:7], v3, s8, v[0:1]
	v_mad_u64_u32 v[2:3], s[6:7], v3, s9, v[2:3]
	v_mov_b32_e32 v1, v4
	s_cbranch_scc1 .LBB53_105
.LBB53_106:
	s_cbranch_execnz .LBB53_109
.LBB53_107:
	s_waitcnt lgkmcnt(0)
	v_mul_hi_u32 v0, s25, v7
	s_andn2_b64 vcc, exec, s[42:43]
	v_add_u32_e32 v0, v7, v0
	v_lshrrev_b32_e32 v1, s26, v0
	v_mul_lo_u32 v0, v1, s24
	v_sub_u32_e32 v2, v7, v0
	v_mul_lo_u32 v0, v2, s20
	v_mul_lo_u32 v2, v2, s21
	s_cbranch_vccnz .LBB53_109
; %bb.108:
	v_mul_hi_u32 v3, s40, v1
	v_add_u32_e32 v3, v1, v3
	v_lshrrev_b32_e32 v3, s41, v3
	v_mul_lo_u32 v3, v3, s27
	v_sub_u32_e32 v3, v1, v3
	v_mad_u64_u32 v[0:1], s[0:1], v3, s22, v[0:1]
	v_mad_u64_u32 v[2:3], s[0:1], v3, s23, v[2:3]
.LBB53_109:
	s_waitcnt lgkmcnt(0)
	global_load_dword v1, v2, s[18:19]
	v_add_u32_e32 v7, 0x80, v7
	s_waitcnt vmcnt(0)
	v_lshlrev_b32_e64 v2, v1, s55
	v_cmp_gt_u32_e32 vcc, 32, v1
	v_cndmask_b32_e32 v1, 0, v2, vcc
	global_store_dword v0, v1, s[16:17]
	s_or_b64 exec, exec, s[48:49]
	v_cmp_gt_i32_e32 vcc, s56, v7
	s_and_saveexec_b64 s[48:49], vcc
	s_cbranch_execz .LBB53_100
.LBB53_110:
	s_andn2_b64 vcc, exec, s[36:37]
	s_cbranch_vccnz .LBB53_115
; %bb.111:
	s_andn2_b64 vcc, exec, s[46:47]
	s_cbranch_vccnz .LBB53_116
; %bb.112:
	s_add_i32 s57, s57, 1
	s_cmp_eq_u32 s54, 2
	s_cbranch_scc1 .LBB53_117
; %bb.113:
	s_and_b32 s50, s57, 28
	v_mov_b32_e32 v2, 0
	s_mov_b32 s51, 0
	s_mov_b64 s[46:47], s[34:35]
	v_mov_b32_e32 v0, 0
	v_mov_b32_e32 v1, v7
.LBB53_114:                             ; =>This Inner Loop Header: Depth=1
	s_load_dwordx8 s[8:15], s[46:47], 0x4
	s_load_dwordx4 s[28:31], s[46:47], 0x24
	s_load_dwordx8 s[0:7], s[44:45], 0x0
	s_add_u32 s46, s46, 48
	s_addc_u32 s47, s47, 0
	s_waitcnt lgkmcnt(0)
	v_mul_hi_u32 v3, s9, v1
	s_add_i32 s51, s51, 4
	s_add_u32 s44, s44, 32
	s_addc_u32 s45, s45, 0
	v_add_u32_e32 v3, v1, v3
	v_lshrrev_b32_e32 v3, s10, v3
	v_mul_lo_u32 v4, v3, s8
	v_mul_hi_u32 v5, s12, v3
	s_cmp_eq_u32 s50, s51
	v_sub_u32_e32 v1, v1, v4
	v_add_u32_e32 v4, v3, v5
	v_mul_lo_u32 v5, v1, s0
	v_mul_lo_u32 v6, v1, s1
	v_lshrrev_b32_e32 v1, s13, v4
	v_mul_lo_u32 v4, v1, s11
	v_mul_hi_u32 v8, s15, v1
	v_sub_u32_e32 v3, v3, v4
	v_add_u32_e32 v4, v1, v8
	v_lshrrev_b32_e32 v4, s28, v4
	v_mul_hi_u32 v9, s30, v4
	v_mul_lo_u32 v10, v4, s14
	v_mul_lo_u32 v8, v3, s2
	;; [unrolled: 1-line block ×3, first 2 shown]
	v_sub_u32_e32 v10, v1, v10
	v_add_u32_e32 v1, v4, v9
	v_lshrrev_b32_e32 v1, s31, v1
	v_mul_lo_u32 v9, v1, s29
	v_mul_lo_u32 v11, v10, s4
	;; [unrolled: 1-line block ×3, first 2 shown]
	v_add3_u32 v0, v5, v0, v8
	v_sub_u32_e32 v4, v4, v9
	v_mul_lo_u32 v9, v4, s6
	v_mul_lo_u32 v4, v4, s7
	v_add3_u32 v2, v6, v2, v3
	v_add3_u32 v0, v11, v0, v9
	;; [unrolled: 1-line block ×3, first 2 shown]
	s_cbranch_scc0 .LBB53_114
	s_branch .LBB53_118
.LBB53_115:
                                        ; implicit-def: $vgpr0
                                        ; implicit-def: $vgpr2
	s_branch .LBB53_122
.LBB53_116:
	v_mov_b32_e32 v0, 0
	v_mov_b32_e32 v2, 0
	s_branch .LBB53_121
.LBB53_117:
	s_mov_b32 s50, 0
	v_mov_b32_e32 v0, 0
	v_mov_b32_e32 v2, 0
	;; [unrolled: 1-line block ×3, first 2 shown]
.LBB53_118:
	s_and_b32 s4, s57, 3
	s_cmp_eq_u32 s4, 0
	s_cbranch_scc1 .LBB53_121
; %bb.119:
	s_lshl_b32 s0, s50, 3
	s_add_u32 s0, s34, s0
	s_addc_u32 s1, s35, 0
	s_add_u32 s0, s0, 0xc4
	s_addc_u32 s1, s1, 0
	s_mul_i32 s2, s50, 12
	s_add_u32 s2, s34, s2
	s_addc_u32 s3, s35, 0
.LBB53_120:                             ; =>This Inner Loop Header: Depth=1
	s_load_dwordx2 s[6:7], s[2:3], 0x4
	s_load_dword s5, s[2:3], 0xc
	s_load_dwordx2 s[8:9], s[0:1], 0x0
	s_add_u32 s2, s2, 12
	s_addc_u32 s3, s3, 0
	s_waitcnt lgkmcnt(0)
	v_mul_hi_u32 v3, s7, v1
	s_add_u32 s0, s0, 8
	s_addc_u32 s1, s1, 0
	s_add_i32 s4, s4, -1
	v_add_u32_e32 v3, v1, v3
	v_lshrrev_b32_e32 v4, s5, v3
	v_mul_lo_u32 v3, v4, s6
	s_cmp_lg_u32 s4, 0
	v_sub_u32_e32 v3, v1, v3
	v_mad_u64_u32 v[0:1], s[6:7], v3, s8, v[0:1]
	v_mad_u64_u32 v[2:3], s[6:7], v3, s9, v[2:3]
	v_mov_b32_e32 v1, v4
	s_cbranch_scc1 .LBB53_120
.LBB53_121:
	s_cbranch_execnz .LBB53_124
.LBB53_122:
	s_waitcnt lgkmcnt(0)
	v_mul_hi_u32 v0, s25, v7
	s_andn2_b64 vcc, exec, s[42:43]
	v_add_u32_e32 v0, v7, v0
	v_lshrrev_b32_e32 v1, s26, v0
	v_mul_lo_u32 v0, v1, s24
	v_sub_u32_e32 v2, v7, v0
	v_mul_lo_u32 v0, v2, s20
	v_mul_lo_u32 v2, v2, s21
	s_cbranch_vccnz .LBB53_124
; %bb.123:
	v_mul_hi_u32 v3, s40, v1
	v_add_u32_e32 v3, v1, v3
	v_lshrrev_b32_e32 v3, s41, v3
	v_mul_lo_u32 v3, v3, s27
	v_sub_u32_e32 v3, v1, v3
	v_mad_u64_u32 v[0:1], s[0:1], v3, s22, v[0:1]
	v_mad_u64_u32 v[2:3], s[0:1], v3, s23, v[2:3]
.LBB53_124:
	s_waitcnt lgkmcnt(0)
	global_load_dword v1, v2, s[18:19]
	s_waitcnt vmcnt(0)
	v_lshlrev_b32_e64 v2, v1, s55
	v_cmp_gt_u32_e32 vcc, 32, v1
	v_cndmask_b32_e32 v1, 0, v2, vcc
	global_store_dword v0, v1, s[16:17]
	s_or_b64 exec, exec, s[48:49]
                                        ; implicit-def: $vgpr13
                                        ; implicit-def: $vgpr7
	s_andn2_saveexec_b64 s[0:1], s[38:39]
	s_cbranch_execz .LBB53_101
	s_branch .LBB53_8
	.section	.rodata,"a",@progbits
	.p2align	6, 0x0
	.amdhsa_kernel _ZN2at6native32elementwise_kernel_manual_unrollILi128ELi4EZNS0_22gpu_kernel_impl_nocastINS0_13AUnaryFunctorIiiiZZZNS0_18lshift_kernel_cudaERNS_18TensorIteratorBaseEENKUlvE_clEvENKUlvE1_clEvEUliiE_EEEEvS5_RKT_EUlibE_EEviT1_
		.amdhsa_group_segment_fixed_size 0
		.amdhsa_private_segment_fixed_size 0
		.amdhsa_kernarg_size 360
		.amdhsa_user_sgpr_count 6
		.amdhsa_user_sgpr_private_segment_buffer 1
		.amdhsa_user_sgpr_dispatch_ptr 0
		.amdhsa_user_sgpr_queue_ptr 0
		.amdhsa_user_sgpr_kernarg_segment_ptr 1
		.amdhsa_user_sgpr_dispatch_id 0
		.amdhsa_user_sgpr_flat_scratch_init 0
		.amdhsa_user_sgpr_private_segment_size 0
		.amdhsa_uses_dynamic_stack 0
		.amdhsa_system_sgpr_private_segment_wavefront_offset 0
		.amdhsa_system_sgpr_workgroup_id_x 1
		.amdhsa_system_sgpr_workgroup_id_y 0
		.amdhsa_system_sgpr_workgroup_id_z 0
		.amdhsa_system_sgpr_workgroup_info 0
		.amdhsa_system_vgpr_workitem_id 0
		.amdhsa_next_free_vgpr 18
		.amdhsa_next_free_sgpr 61
		.amdhsa_reserve_vcc 1
		.amdhsa_reserve_flat_scratch 0
		.amdhsa_float_round_mode_32 0
		.amdhsa_float_round_mode_16_64 0
		.amdhsa_float_denorm_mode_32 3
		.amdhsa_float_denorm_mode_16_64 3
		.amdhsa_dx10_clamp 1
		.amdhsa_ieee_mode 1
		.amdhsa_fp16_overflow 0
		.amdhsa_exception_fp_ieee_invalid_op 0
		.amdhsa_exception_fp_denorm_src 0
		.amdhsa_exception_fp_ieee_div_zero 0
		.amdhsa_exception_fp_ieee_overflow 0
		.amdhsa_exception_fp_ieee_underflow 0
		.amdhsa_exception_fp_ieee_inexact 0
		.amdhsa_exception_int_div_zero 0
	.end_amdhsa_kernel
	.section	.text._ZN2at6native32elementwise_kernel_manual_unrollILi128ELi4EZNS0_22gpu_kernel_impl_nocastINS0_13AUnaryFunctorIiiiZZZNS0_18lshift_kernel_cudaERNS_18TensorIteratorBaseEENKUlvE_clEvENKUlvE1_clEvEUliiE_EEEEvS5_RKT_EUlibE_EEviT1_,"axG",@progbits,_ZN2at6native32elementwise_kernel_manual_unrollILi128ELi4EZNS0_22gpu_kernel_impl_nocastINS0_13AUnaryFunctorIiiiZZZNS0_18lshift_kernel_cudaERNS_18TensorIteratorBaseEENKUlvE_clEvENKUlvE1_clEvEUliiE_EEEEvS5_RKT_EUlibE_EEviT1_,comdat
.Lfunc_end53:
	.size	_ZN2at6native32elementwise_kernel_manual_unrollILi128ELi4EZNS0_22gpu_kernel_impl_nocastINS0_13AUnaryFunctorIiiiZZZNS0_18lshift_kernel_cudaERNS_18TensorIteratorBaseEENKUlvE_clEvENKUlvE1_clEvEUliiE_EEEEvS5_RKT_EUlibE_EEviT1_, .Lfunc_end53-_ZN2at6native32elementwise_kernel_manual_unrollILi128ELi4EZNS0_22gpu_kernel_impl_nocastINS0_13AUnaryFunctorIiiiZZZNS0_18lshift_kernel_cudaERNS_18TensorIteratorBaseEENKUlvE_clEvENKUlvE1_clEvEUliiE_EEEEvS5_RKT_EUlibE_EEviT1_
                                        ; -- End function
	.set _ZN2at6native32elementwise_kernel_manual_unrollILi128ELi4EZNS0_22gpu_kernel_impl_nocastINS0_13AUnaryFunctorIiiiZZZNS0_18lshift_kernel_cudaERNS_18TensorIteratorBaseEENKUlvE_clEvENKUlvE1_clEvEUliiE_EEEEvS5_RKT_EUlibE_EEviT1_.num_vgpr, 18
	.set _ZN2at6native32elementwise_kernel_manual_unrollILi128ELi4EZNS0_22gpu_kernel_impl_nocastINS0_13AUnaryFunctorIiiiZZZNS0_18lshift_kernel_cudaERNS_18TensorIteratorBaseEENKUlvE_clEvENKUlvE1_clEvEUliiE_EEEEvS5_RKT_EUlibE_EEviT1_.num_agpr, 0
	.set _ZN2at6native32elementwise_kernel_manual_unrollILi128ELi4EZNS0_22gpu_kernel_impl_nocastINS0_13AUnaryFunctorIiiiZZZNS0_18lshift_kernel_cudaERNS_18TensorIteratorBaseEENKUlvE_clEvENKUlvE1_clEvEUliiE_EEEEvS5_RKT_EUlibE_EEviT1_.numbered_sgpr, 61
	.set _ZN2at6native32elementwise_kernel_manual_unrollILi128ELi4EZNS0_22gpu_kernel_impl_nocastINS0_13AUnaryFunctorIiiiZZZNS0_18lshift_kernel_cudaERNS_18TensorIteratorBaseEENKUlvE_clEvENKUlvE1_clEvEUliiE_EEEEvS5_RKT_EUlibE_EEviT1_.num_named_barrier, 0
	.set _ZN2at6native32elementwise_kernel_manual_unrollILi128ELi4EZNS0_22gpu_kernel_impl_nocastINS0_13AUnaryFunctorIiiiZZZNS0_18lshift_kernel_cudaERNS_18TensorIteratorBaseEENKUlvE_clEvENKUlvE1_clEvEUliiE_EEEEvS5_RKT_EUlibE_EEviT1_.private_seg_size, 0
	.set _ZN2at6native32elementwise_kernel_manual_unrollILi128ELi4EZNS0_22gpu_kernel_impl_nocastINS0_13AUnaryFunctorIiiiZZZNS0_18lshift_kernel_cudaERNS_18TensorIteratorBaseEENKUlvE_clEvENKUlvE1_clEvEUliiE_EEEEvS5_RKT_EUlibE_EEviT1_.uses_vcc, 1
	.set _ZN2at6native32elementwise_kernel_manual_unrollILi128ELi4EZNS0_22gpu_kernel_impl_nocastINS0_13AUnaryFunctorIiiiZZZNS0_18lshift_kernel_cudaERNS_18TensorIteratorBaseEENKUlvE_clEvENKUlvE1_clEvEUliiE_EEEEvS5_RKT_EUlibE_EEviT1_.uses_flat_scratch, 0
	.set _ZN2at6native32elementwise_kernel_manual_unrollILi128ELi4EZNS0_22gpu_kernel_impl_nocastINS0_13AUnaryFunctorIiiiZZZNS0_18lshift_kernel_cudaERNS_18TensorIteratorBaseEENKUlvE_clEvENKUlvE1_clEvEUliiE_EEEEvS5_RKT_EUlibE_EEviT1_.has_dyn_sized_stack, 0
	.set _ZN2at6native32elementwise_kernel_manual_unrollILi128ELi4EZNS0_22gpu_kernel_impl_nocastINS0_13AUnaryFunctorIiiiZZZNS0_18lshift_kernel_cudaERNS_18TensorIteratorBaseEENKUlvE_clEvENKUlvE1_clEvEUliiE_EEEEvS5_RKT_EUlibE_EEviT1_.has_recursion, 0
	.set _ZN2at6native32elementwise_kernel_manual_unrollILi128ELi4EZNS0_22gpu_kernel_impl_nocastINS0_13AUnaryFunctorIiiiZZZNS0_18lshift_kernel_cudaERNS_18TensorIteratorBaseEENKUlvE_clEvENKUlvE1_clEvEUliiE_EEEEvS5_RKT_EUlibE_EEviT1_.has_indirect_call, 0
	.section	.AMDGPU.csdata,"",@progbits
; Kernel info:
; codeLenInByte = 5824
; TotalNumSgprs: 65
; NumVgprs: 18
; ScratchSize: 0
; MemoryBound: 0
; FloatMode: 240
; IeeeMode: 1
; LDSByteSize: 0 bytes/workgroup (compile time only)
; SGPRBlocks: 8
; VGPRBlocks: 4
; NumSGPRsForWavesPerEU: 65
; NumVGPRsForWavesPerEU: 18
; Occupancy: 10
; WaveLimiterHint : 1
; COMPUTE_PGM_RSRC2:SCRATCH_EN: 0
; COMPUTE_PGM_RSRC2:USER_SGPR: 6
; COMPUTE_PGM_RSRC2:TRAP_HANDLER: 0
; COMPUTE_PGM_RSRC2:TGID_X_EN: 1
; COMPUTE_PGM_RSRC2:TGID_Y_EN: 0
; COMPUTE_PGM_RSRC2:TGID_Z_EN: 0
; COMPUTE_PGM_RSRC2:TIDIG_COMP_CNT: 0
	.section	.text._ZN2at6native32elementwise_kernel_manual_unrollILi128ELi4EZNS0_15gpu_kernel_implINS0_13AUnaryFunctorIiiiZZZNS0_18lshift_kernel_cudaERNS_18TensorIteratorBaseEENKUlvE_clEvENKUlvE1_clEvEUliiE_EEEEvS5_RKT_EUlibE_EEviT1_,"axG",@progbits,_ZN2at6native32elementwise_kernel_manual_unrollILi128ELi4EZNS0_15gpu_kernel_implINS0_13AUnaryFunctorIiiiZZZNS0_18lshift_kernel_cudaERNS_18TensorIteratorBaseEENKUlvE_clEvENKUlvE1_clEvEUliiE_EEEEvS5_RKT_EUlibE_EEviT1_,comdat
	.globl	_ZN2at6native32elementwise_kernel_manual_unrollILi128ELi4EZNS0_15gpu_kernel_implINS0_13AUnaryFunctorIiiiZZZNS0_18lshift_kernel_cudaERNS_18TensorIteratorBaseEENKUlvE_clEvENKUlvE1_clEvEUliiE_EEEEvS5_RKT_EUlibE_EEviT1_ ; -- Begin function _ZN2at6native32elementwise_kernel_manual_unrollILi128ELi4EZNS0_15gpu_kernel_implINS0_13AUnaryFunctorIiiiZZZNS0_18lshift_kernel_cudaERNS_18TensorIteratorBaseEENKUlvE_clEvENKUlvE1_clEvEUliiE_EEEEvS5_RKT_EUlibE_EEviT1_
	.p2align	8
	.type	_ZN2at6native32elementwise_kernel_manual_unrollILi128ELi4EZNS0_15gpu_kernel_implINS0_13AUnaryFunctorIiiiZZZNS0_18lshift_kernel_cudaERNS_18TensorIteratorBaseEENKUlvE_clEvENKUlvE1_clEvEUliiE_EEEEvS5_RKT_EUlibE_EEviT1_,@function
_ZN2at6native32elementwise_kernel_manual_unrollILi128ELi4EZNS0_15gpu_kernel_implINS0_13AUnaryFunctorIiiiZZZNS0_18lshift_kernel_cudaERNS_18TensorIteratorBaseEENKUlvE_clEvENKUlvE1_clEvEUliiE_EEEEvS5_RKT_EUlibE_EEviT1_: ; @_ZN2at6native32elementwise_kernel_manual_unrollILi128ELi4EZNS0_15gpu_kernel_implINS0_13AUnaryFunctorIiiiZZZNS0_18lshift_kernel_cudaERNS_18TensorIteratorBaseEENKUlvE_clEvENKUlvE1_clEvEUliiE_EEEEvS5_RKT_EUlibE_EEviT1_
; %bb.0:
	s_load_dwordx2 s[2:3], s[4:5], 0x24
	s_load_dwordx2 s[12:13], s[4:5], 0x18
	s_load_dword s40, s[4:5], 0x0
	s_load_dwordx4 s[8:11], s[4:5], 0x8
	v_lshl_or_b32 v4, s6, 9, v0
	v_or_b32_e32 v0, 0x180, v4
	s_waitcnt lgkmcnt(0)
	s_bfe_u32 s33, s3, 0x80008
	v_cmp_le_i32_e32 vcc, s40, v0
	s_mov_b64 s[4:5], 0
	s_mov_b64 s[14:15], 0
	s_and_saveexec_b64 s[0:1], vcc
	s_xor_b64 s[6:7], exec, s[0:1]
	s_cbranch_execz .LBB54_1011
; %bb.1:
	v_cmp_gt_i32_e32 vcc, s40, v4
	s_mov_b64 s[20:21], -1
	s_mov_b64 s[22:23], 0
	s_mov_b64 s[16:17], 0
	s_and_saveexec_b64 s[18:19], vcc
	s_cbranch_execz .LBB54_248
; %bb.2:
	v_mul_lo_u32 v0, v4, s13
	v_mov_b32_e32 v1, s11
	s_and_b32 s20, 0xffff, s33
	s_cmp_lt_i32 s20, 11
	v_ashrrev_i32_e32 v2, 31, v0
	v_add_co_u32_e32 v0, vcc, s10, v0
	v_addc_co_u32_e32 v1, vcc, v1, v2, vcc
	s_cbranch_scc1 .LBB54_9
; %bb.3:
	s_cmp_gt_i32 s20, 25
	s_cbranch_scc0 .LBB54_18
; %bb.4:
	s_cmp_gt_i32 s20, 28
	s_cbranch_scc0 .LBB54_22
	;; [unrolled: 3-line block ×4, first 2 shown]
; %bb.7:
	s_cmp_eq_u32 s20, 46
	s_cbranch_scc0 .LBB54_28
; %bb.8:
	global_load_dword v2, v[0:1], off
	s_mov_b64 s[0:1], -1
	s_waitcnt vmcnt(0)
	v_lshlrev_b32_e32 v2, 16, v2
	v_cvt_i32_f32_e32 v2, v2
	s_branch .LBB54_30
.LBB54_9:
                                        ; implicit-def: $vgpr2
	s_mov_b64 s[0:1], 0
	s_cbranch_execnz .LBB54_199
.LBB54_10:
	s_andn2_b64 vcc, exec, s[0:1]
	s_cbranch_vccnz .LBB54_246
.LBB54_11:
	v_mul_lo_u32 v1, v4, s12
	s_waitcnt vmcnt(0)
	v_lshlrev_b32_e64 v0, v2, s2
	v_cmp_gt_u32_e32 vcc, 32, v2
	v_cndmask_b32_e32 v0, 0, v0, vcc
	v_ashrrev_i32_e32 v3, 31, v1
	v_mov_b32_e32 v5, s9
	s_and_b32 s26, s3, 0xff
	v_add_co_u32_e32 v2, vcc, s8, v1
	s_cmp_lt_i32 s26, 11
	v_addc_co_u32_e32 v3, vcc, v5, v3, vcc
	s_cbranch_scc1 .LBB54_19
; %bb.12:
	s_and_b32 s27, 0xffff, s26
	s_cmp_gt_i32 s27, 25
	s_cbranch_scc0 .LBB54_23
; %bb.13:
	s_cmp_gt_i32 s27, 28
	s_cbranch_scc0 .LBB54_25
; %bb.14:
	;; [unrolled: 3-line block ×4, first 2 shown]
	s_mov_b64 s[20:21], 0
	s_mov_b64 s[0:1], -1
	s_cmp_eq_u32 s27, 46
	s_mov_b64 s[14:15], 0
	s_cbranch_scc0 .LBB54_34
; %bb.17:
	v_cvt_f32_i32_e32 v1, v0
	s_movk_i32 s0, 0x7fff
	s_mov_b64 s[14:15], -1
	v_bfe_u32 v5, v1, 16, 1
	v_add3_u32 v1, v1, v5, s0
	v_lshrrev_b32_e32 v1, 16, v1
	global_store_dword v[2:3], v1, off
	s_mov_b64 s[0:1], 0
	s_branch .LBB54_34
.LBB54_18:
	s_mov_b64 s[0:1], 0
                                        ; implicit-def: $vgpr2
	s_cbranch_execnz .LBB54_166
	s_branch .LBB54_198
.LBB54_19:
	s_mov_b64 s[0:1], 0
	s_mov_b64 s[14:15], 0
	s_cbranch_execnz .LBB54_103
.LBB54_20:
	s_andn2_b64 vcc, exec, s[14:15]
	s_cbranch_vccnz .LBB54_141
.LBB54_21:
	v_add_u32_e32 v4, 0x80, v4
	s_mov_b64 s[20:21], -1
	s_branch .LBB54_247
.LBB54_22:
	s_mov_b64 s[14:15], -1
	s_mov_b64 s[0:1], 0
                                        ; implicit-def: $vgpr2
	s_branch .LBB54_149
.LBB54_23:
	s_mov_b64 s[20:21], -1
	s_mov_b64 s[0:1], 0
	s_mov_b64 s[14:15], 0
	s_branch .LBB54_61
.LBB54_24:
	s_mov_b64 s[14:15], -1
	s_mov_b64 s[0:1], 0
                                        ; implicit-def: $vgpr2
	s_branch .LBB54_144
.LBB54_25:
	s_mov_b64 s[20:21], -1
	s_mov_b64 s[0:1], 0
	s_mov_b64 s[14:15], 0
	s_branch .LBB54_44
.LBB54_26:
	s_mov_b64 s[14:15], -1
	s_branch .LBB54_29
.LBB54_27:
	s_mov_b64 s[20:21], -1
	s_mov_b64 s[0:1], 0
	s_mov_b64 s[14:15], 0
	s_branch .LBB54_40
.LBB54_28:
	s_mov_b64 s[16:17], -1
.LBB54_29:
	s_mov_b64 s[0:1], 0
                                        ; implicit-def: $vgpr2
.LBB54_30:
	s_and_b64 vcc, exec, s[14:15]
	s_cbranch_vccz .LBB54_143
; %bb.31:
	s_cmp_eq_u32 s20, 44
	s_cbranch_scc0 .LBB54_142
; %bb.32:
	global_load_ubyte v2, v[0:1], off
	s_mov_b64 s[0:1], -1
	s_mov_b64 s[16:17], 0
	s_waitcnt vmcnt(0)
	v_lshlrev_b32_e32 v3, 23, v2
	v_cvt_i32_f32_e32 v3, v3
	v_cmp_ne_u32_e32 vcc, 0, v2
	v_cndmask_b32_e32 v2, 0, v3, vcc
	s_branch .LBB54_143
.LBB54_33:
	s_mov_b64 s[20:21], -1
	s_mov_b64 s[0:1], 0
	s_mov_b64 s[14:15], 0
.LBB54_34:
	s_and_b64 vcc, exec, s[20:21]
	s_cbranch_vccz .LBB54_39
; %bb.35:
	s_cmp_eq_u32 s27, 44
	s_mov_b64 s[0:1], -1
	s_cbranch_scc0 .LBB54_39
; %bb.36:
	v_cvt_f32_i32_e32 v1, v0
	s_movk_i32 s0, 0xff
	v_mov_b32_e32 v6, 0xff
	v_bfe_u32 v5, v1, 23, 8
	v_cmp_ne_u32_e32 vcc, s0, v5
	s_and_saveexec_b64 s[14:15], vcc
; %bb.37:
	s_mov_b32 s0, 0x3fffff
	v_lshrrev_b32_e32 v6, 23, v1
	v_and_b32_e32 v7, 0x400000, v1
	v_and_or_b32 v1, v1, s0, v5
	v_cmp_ne_u32_e32 vcc, 0, v7
	v_cmp_ne_u32_e64 s[0:1], 0, v1
	s_and_b64 s[0:1], vcc, s[0:1]
	v_cndmask_b32_e64 v1, 0, 1, s[0:1]
	v_add_u32_e32 v6, v6, v1
; %bb.38:
	s_or_b64 exec, exec, s[14:15]
	s_mov_b64 s[14:15], -1
	s_mov_b64 s[0:1], 0
	global_store_byte v[2:3], v6, off
.LBB54_39:
	s_mov_b64 s[20:21], 0
.LBB54_40:
	s_and_b64 vcc, exec, s[20:21]
	s_cbranch_vccz .LBB54_43
; %bb.41:
	s_cmp_eq_u32 s27, 29
	s_mov_b64 s[0:1], -1
	s_cbranch_scc0 .LBB54_43
; %bb.42:
	v_ashrrev_i32_e32 v1, 31, v0
	global_store_dwordx2 v[2:3], v[0:1], off
	s_mov_b64 s[14:15], -1
	s_mov_b64 s[0:1], 0
.LBB54_43:
	s_mov_b64 s[20:21], 0
.LBB54_44:
	s_and_b64 vcc, exec, s[20:21]
	s_cbranch_vccz .LBB54_60
; %bb.45:
	s_cmp_lt_i32 s27, 27
	s_mov_b64 s[14:15], -1
	s_cbranch_scc1 .LBB54_51
; %bb.46:
	s_cmp_gt_i32 s27, 27
	s_cbranch_scc0 .LBB54_48
; %bb.47:
	s_mov_b64 s[14:15], 0
	global_store_dword v[2:3], v0, off
.LBB54_48:
	s_andn2_b64 vcc, exec, s[14:15]
	s_cbranch_vccnz .LBB54_50
; %bb.49:
	global_store_short v[2:3], v0, off
.LBB54_50:
	s_mov_b64 s[14:15], 0
.LBB54_51:
	s_andn2_b64 vcc, exec, s[14:15]
	s_cbranch_vccnz .LBB54_59
; %bb.52:
	v_cvt_f32_i32_e32 v1, v0
	s_mov_b32 s14, 0x43800000
	v_mov_b32_e32 v6, 0x80
	v_and_b32_e32 v5, 0x7fffffff, v1
	v_cmp_gt_u32_e32 vcc, s14, v5
	s_and_saveexec_b64 s[14:15], vcc
	s_cbranch_execz .LBB54_58
; %bb.53:
	s_mov_b32 s20, 0x3bffffff
	v_cmp_lt_u32_e32 vcc, s20, v5
	s_mov_b64 s[20:21], 0
                                        ; implicit-def: $vgpr5
	s_and_saveexec_b64 s[24:25], vcc
	s_xor_b64 s[24:25], exec, s[24:25]
	s_cbranch_execz .LBB54_275
; %bb.54:
	v_bfe_u32 v5, v1, 20, 1
	s_mov_b32 s28, 0x487ffff
	v_add3_u32 v5, v1, v5, s28
	s_mov_b64 s[20:21], exec
	v_lshrrev_b32_e32 v5, 20, v5
	s_andn2_saveexec_b64 s[24:25], s[24:25]
	s_cbranch_execnz .LBB54_276
.LBB54_55:
	s_or_b64 exec, exec, s[24:25]
	v_mov_b32_e32 v6, 0
	s_and_saveexec_b64 s[24:25], s[20:21]
.LBB54_56:
	v_lshrrev_b32_e32 v1, 24, v1
	s_movk_i32 s20, 0x80
	v_and_or_b32 v6, v1, s20, v5
.LBB54_57:
	s_or_b64 exec, exec, s[24:25]
.LBB54_58:
	s_or_b64 exec, exec, s[14:15]
	global_store_byte v[2:3], v6, off
.LBB54_59:
	s_mov_b64 s[14:15], -1
.LBB54_60:
	s_mov_b64 s[20:21], 0
.LBB54_61:
	s_and_b64 vcc, exec, s[20:21]
	s_cbranch_vccz .LBB54_102
; %bb.62:
	s_cmp_gt_i32 s27, 22
	s_mov_b64 s[20:21], -1
	s_cbranch_scc0 .LBB54_94
; %bb.63:
	s_cmp_lt_i32 s27, 24
	s_mov_b64 s[14:15], -1
	s_cbranch_scc1 .LBB54_83
; %bb.64:
	s_cmp_gt_i32 s27, 24
	s_cbranch_scc0 .LBB54_72
; %bb.65:
	v_cvt_f32_i32_e32 v1, v0
	s_mov_b32 s14, 0x47800000
	v_mov_b32_e32 v6, 0x80
	v_and_b32_e32 v5, 0x7fffffff, v1
	v_cmp_gt_u32_e32 vcc, s14, v5
	s_and_saveexec_b64 s[14:15], vcc
	s_cbranch_execz .LBB54_71
; %bb.66:
	s_mov_b32 s20, 0x37ffffff
	v_cmp_lt_u32_e32 vcc, s20, v5
	s_mov_b64 s[20:21], 0
                                        ; implicit-def: $vgpr5
	s_and_saveexec_b64 s[24:25], vcc
	s_xor_b64 s[24:25], exec, s[24:25]
	s_cbranch_execz .LBB54_279
; %bb.67:
	v_bfe_u32 v5, v1, 21, 1
	s_mov_b32 s28, 0x88fffff
	v_add3_u32 v5, v1, v5, s28
	s_mov_b64 s[20:21], exec
	v_lshrrev_b32_e32 v5, 21, v5
	s_andn2_saveexec_b64 s[24:25], s[24:25]
	s_cbranch_execnz .LBB54_280
.LBB54_68:
	s_or_b64 exec, exec, s[24:25]
	v_mov_b32_e32 v6, 0
	s_and_saveexec_b64 s[24:25], s[20:21]
.LBB54_69:
	v_lshrrev_b32_e32 v1, 24, v1
	s_movk_i32 s20, 0x80
	v_and_or_b32 v6, v1, s20, v5
.LBB54_70:
	s_or_b64 exec, exec, s[24:25]
.LBB54_71:
	s_or_b64 exec, exec, s[14:15]
	s_mov_b64 s[14:15], 0
	global_store_byte v[2:3], v6, off
.LBB54_72:
	s_and_b64 vcc, exec, s[14:15]
	s_cbranch_vccz .LBB54_82
; %bb.73:
	v_cvt_f32_i32_e32 v1, v0
	s_mov_b32 s14, 0x43f00000
                                        ; implicit-def: $vgpr5
	v_and_b32_e32 v6, 0x7fffffff, v1
	v_cmp_gt_u32_e32 vcc, s14, v6
	s_and_saveexec_b64 s[14:15], vcc
	s_xor_b64 s[14:15], exec, s[14:15]
	s_cbranch_execz .LBB54_79
; %bb.74:
	s_mov_b32 s20, 0x3c7fffff
	v_cmp_lt_u32_e32 vcc, s20, v6
                                        ; implicit-def: $vgpr5
	s_and_saveexec_b64 s[20:21], vcc
	s_xor_b64 s[20:21], exec, s[20:21]
; %bb.75:
	v_bfe_u32 v5, v1, 20, 1
	s_mov_b32 s24, 0x407ffff
	v_add3_u32 v5, v1, v5, s24
	v_lshrrev_b32_e32 v6, 20, v5
	v_and_b32_e32 v5, 0xff00000, v5
	s_mov_b32 s24, 0x7f00000
	v_mov_b32_e32 v7, 0x7e
	v_cmp_ne_u32_e32 vcc, s24, v5
	v_cndmask_b32_e32 v5, v7, v6, vcc
; %bb.76:
	s_andn2_saveexec_b64 s[20:21], s[20:21]
; %bb.77:
	s_mov_b32 s24, 0x46800000
	v_add_f32_e64 v5, |v1|, s24
; %bb.78:
	s_or_b64 exec, exec, s[20:21]
                                        ; implicit-def: $vgpr6
.LBB54_79:
	s_andn2_saveexec_b64 s[14:15], s[14:15]
; %bb.80:
	s_mov_b32 s20, 0x7f800000
	v_mov_b32_e32 v5, 0x7e
	v_mov_b32_e32 v7, 0x7f
	v_cmp_lt_u32_e32 vcc, s20, v6
	v_cndmask_b32_e32 v5, v5, v7, vcc
; %bb.81:
	s_or_b64 exec, exec, s[14:15]
	v_lshrrev_b32_e32 v1, 24, v1
	s_movk_i32 s14, 0x80
	v_and_or_b32 v1, v1, s14, v5
	global_store_byte v[2:3], v1, off
.LBB54_82:
	s_mov_b64 s[14:15], 0
.LBB54_83:
	s_andn2_b64 vcc, exec, s[14:15]
	s_cbranch_vccnz .LBB54_93
; %bb.84:
	v_cvt_f32_i32_e32 v1, v0
	s_mov_b32 s14, 0x47800000
                                        ; implicit-def: $vgpr5
	v_and_b32_e32 v6, 0x7fffffff, v1
	v_cmp_gt_u32_e32 vcc, s14, v6
	s_and_saveexec_b64 s[14:15], vcc
	s_xor_b64 s[14:15], exec, s[14:15]
	s_cbranch_execz .LBB54_90
; %bb.85:
	s_mov_b32 s20, 0x387fffff
	v_cmp_lt_u32_e32 vcc, s20, v6
                                        ; implicit-def: $vgpr5
	s_and_saveexec_b64 s[20:21], vcc
	s_xor_b64 s[20:21], exec, s[20:21]
; %bb.86:
	v_bfe_u32 v5, v1, 21, 1
	s_mov_b32 s24, 0x80fffff
	v_add3_u32 v5, v1, v5, s24
	v_lshrrev_b32_e32 v5, 21, v5
; %bb.87:
	s_andn2_saveexec_b64 s[20:21], s[20:21]
; %bb.88:
	s_mov_b32 s24, 0x43000000
	v_add_f32_e64 v5, |v1|, s24
; %bb.89:
	s_or_b64 exec, exec, s[20:21]
                                        ; implicit-def: $vgpr6
.LBB54_90:
	s_andn2_saveexec_b64 s[14:15], s[14:15]
; %bb.91:
	s_mov_b32 s20, 0x7f800000
	v_mov_b32_e32 v5, 0x7c
	v_mov_b32_e32 v7, 0x7f
	v_cmp_lt_u32_e32 vcc, s20, v6
	v_cndmask_b32_e32 v5, v5, v7, vcc
; %bb.92:
	s_or_b64 exec, exec, s[14:15]
	v_lshrrev_b32_e32 v1, 24, v1
	s_movk_i32 s14, 0x80
	v_and_or_b32 v1, v1, s14, v5
	global_store_byte v[2:3], v1, off
.LBB54_93:
	s_mov_b64 s[20:21], 0
	s_mov_b64 s[14:15], -1
.LBB54_94:
	s_andn2_b64 vcc, exec, s[20:21]
	s_cbranch_vccnz .LBB54_102
; %bb.95:
	s_cmp_gt_i32 s27, 14
	s_mov_b64 s[20:21], -1
	s_cbranch_scc0 .LBB54_99
; %bb.96:
	s_cmp_eq_u32 s27, 15
	s_mov_b64 s[0:1], -1
	s_cbranch_scc0 .LBB54_98
; %bb.97:
	v_cvt_f32_i32_e32 v1, v0
	s_movk_i32 s0, 0x7fff
	s_mov_b64 s[14:15], -1
	v_bfe_u32 v5, v1, 16, 1
	v_add3_u32 v1, v1, v5, s0
	global_store_short_d16_hi v[2:3], v1, off
	s_mov_b64 s[0:1], 0
.LBB54_98:
	s_mov_b64 s[20:21], 0
.LBB54_99:
	s_and_b64 vcc, exec, s[20:21]
	s_cbranch_vccz .LBB54_102
; %bb.100:
	s_cmp_eq_u32 s27, 11
	s_mov_b64 s[0:1], -1
	s_cbranch_scc0 .LBB54_102
; %bb.101:
	v_cmp_ne_u32_e32 vcc, 0, v0
	v_cndmask_b32_e64 v1, 0, 1, vcc
	s_mov_b64 s[14:15], -1
	s_mov_b64 s[0:1], 0
	global_store_byte v[2:3], v1, off
.LBB54_102:
	s_branch .LBB54_20
.LBB54_103:
	s_and_b32 s20, 0xffff, s26
	s_cmp_lt_i32 s20, 5
	s_mov_b64 s[14:15], -1
	s_cbranch_scc1 .LBB54_124
; %bb.104:
	s_cmp_lt_i32 s20, 8
	s_cbranch_scc1 .LBB54_114
; %bb.105:
	s_cmp_lt_i32 s20, 9
	s_cbranch_scc1 .LBB54_111
; %bb.106:
	s_cmp_gt_i32 s20, 9
	s_cbranch_scc0 .LBB54_108
; %bb.107:
	v_cvt_f64_i32_e32 v[5:6], v0
	v_mov_b32_e32 v7, 0
	v_mov_b32_e32 v8, v7
	s_mov_b64 s[14:15], 0
	global_store_dwordx4 v[2:3], v[5:8], off
.LBB54_108:
	s_andn2_b64 vcc, exec, s[14:15]
	s_cbranch_vccnz .LBB54_110
; %bb.109:
	v_cvt_f32_i32_e32 v5, v0
	v_mov_b32_e32 v6, 0
	global_store_dwordx2 v[2:3], v[5:6], off
.LBB54_110:
	s_mov_b64 s[14:15], 0
.LBB54_111:
	s_andn2_b64 vcc, exec, s[14:15]
	s_cbranch_vccnz .LBB54_113
; %bb.112:
	v_cvt_f32_i32_e32 v1, v0
	v_cvt_f16_f32_e32 v1, v1
	global_store_dword v[2:3], v1, off
.LBB54_113:
	s_mov_b64 s[14:15], 0
.LBB54_114:
	s_andn2_b64 vcc, exec, s[14:15]
	s_cbranch_vccnz .LBB54_123
; %bb.115:
	s_cmp_lt_i32 s20, 6
	s_mov_b64 s[14:15], -1
	s_cbranch_scc1 .LBB54_121
; %bb.116:
	s_cmp_gt_i32 s20, 6
	s_cbranch_scc0 .LBB54_118
; %bb.117:
	v_cvt_f64_i32_e32 v[5:6], v0
	s_mov_b64 s[14:15], 0
	global_store_dwordx2 v[2:3], v[5:6], off
.LBB54_118:
	s_andn2_b64 vcc, exec, s[14:15]
	s_cbranch_vccnz .LBB54_120
; %bb.119:
	v_cvt_f32_i32_e32 v1, v0
	global_store_dword v[2:3], v1, off
.LBB54_120:
	s_mov_b64 s[14:15], 0
.LBB54_121:
	s_andn2_b64 vcc, exec, s[14:15]
	s_cbranch_vccnz .LBB54_123
; %bb.122:
	v_cvt_f32_i32_e32 v1, v0
	v_cvt_f16_f32_e32 v1, v1
	global_store_short v[2:3], v1, off
.LBB54_123:
	s_mov_b64 s[14:15], 0
.LBB54_124:
	s_andn2_b64 vcc, exec, s[14:15]
	s_cbranch_vccnz .LBB54_140
; %bb.125:
	s_cmp_lt_i32 s20, 2
	s_mov_b64 s[14:15], -1
	s_cbranch_scc1 .LBB54_135
; %bb.126:
	s_cmp_lt_i32 s20, 3
	s_cbranch_scc1 .LBB54_132
; %bb.127:
	s_cmp_gt_i32 s20, 3
	s_cbranch_scc0 .LBB54_129
; %bb.128:
	v_ashrrev_i32_e32 v1, 31, v0
	global_store_dwordx2 v[2:3], v[0:1], off
	s_mov_b64 s[14:15], 0
.LBB54_129:
	s_andn2_b64 vcc, exec, s[14:15]
	s_cbranch_vccnz .LBB54_131
; %bb.130:
	global_store_dword v[2:3], v0, off
.LBB54_131:
	s_mov_b64 s[14:15], 0
.LBB54_132:
	s_andn2_b64 vcc, exec, s[14:15]
	s_cbranch_vccnz .LBB54_134
; %bb.133:
	global_store_short v[2:3], v0, off
.LBB54_134:
	s_mov_b64 s[14:15], 0
.LBB54_135:
	s_andn2_b64 vcc, exec, s[14:15]
	s_cbranch_vccnz .LBB54_140
; %bb.136:
	s_cmp_gt_i32 s20, 0
	s_mov_b64 s[14:15], -1
	s_cbranch_scc0 .LBB54_138
; %bb.137:
	global_store_byte v[2:3], v0, off
	s_mov_b64 s[14:15], 0
.LBB54_138:
	s_andn2_b64 vcc, exec, s[14:15]
	s_cbranch_vccnz .LBB54_140
; %bb.139:
	global_store_byte v[2:3], v0, off
.LBB54_140:
	s_branch .LBB54_21
.LBB54_141:
	s_mov_b64 s[20:21], 0
                                        ; implicit-def: $vgpr4
	s_branch .LBB54_247
.LBB54_142:
	s_mov_b64 s[16:17], -1
                                        ; implicit-def: $vgpr2
.LBB54_143:
	s_mov_b64 s[14:15], 0
.LBB54_144:
	s_and_b64 vcc, exec, s[14:15]
	s_cbranch_vccz .LBB54_148
; %bb.145:
	s_cmp_eq_u32 s20, 29
	s_cbranch_scc0 .LBB54_147
; %bb.146:
	global_load_dword v2, v[0:1], off
	s_mov_b64 s[0:1], -1
	s_mov_b64 s[16:17], 0
	s_branch .LBB54_148
.LBB54_147:
	s_mov_b64 s[16:17], -1
                                        ; implicit-def: $vgpr2
.LBB54_148:
	s_mov_b64 s[14:15], 0
.LBB54_149:
	s_and_b64 vcc, exec, s[14:15]
	s_cbranch_vccz .LBB54_165
; %bb.150:
	s_cmp_lt_i32 s20, 27
	s_cbranch_scc1 .LBB54_153
; %bb.151:
	s_cmp_gt_i32 s20, 27
	s_cbranch_scc0 .LBB54_154
; %bb.152:
	global_load_dword v2, v[0:1], off
	s_mov_b64 s[0:1], 0
	s_branch .LBB54_155
.LBB54_153:
	s_mov_b64 s[0:1], -1
                                        ; implicit-def: $vgpr2
	s_branch .LBB54_158
.LBB54_154:
	s_mov_b64 s[0:1], -1
                                        ; implicit-def: $vgpr2
.LBB54_155:
	s_andn2_b64 vcc, exec, s[0:1]
	s_cbranch_vccnz .LBB54_157
; %bb.156:
	global_load_ushort v2, v[0:1], off
.LBB54_157:
	s_mov_b64 s[0:1], 0
.LBB54_158:
	s_andn2_b64 vcc, exec, s[0:1]
	s_cbranch_vccnz .LBB54_164
; %bb.159:
	global_load_ubyte v3, v[0:1], off
	s_movk_i32 s0, 0x7f
	s_mov_b64 s[14:15], 0
	s_waitcnt vmcnt(0)
	v_cmp_lt_i16_e32 vcc, s0, v3
	s_and_saveexec_b64 s[0:1], vcc
	s_xor_b64 s[0:1], exec, s[0:1]
	s_cbranch_execz .LBB54_175
; %bb.160:
	s_movk_i32 s14, 0x80
	v_cmp_ne_u16_e32 vcc, s14, v3
	s_and_b64 s[14:15], vcc, exec
	s_andn2_saveexec_b64 s[0:1], s[0:1]
	s_cbranch_execnz .LBB54_176
.LBB54_161:
	s_or_b64 exec, exec, s[0:1]
	v_mov_b32_e32 v2, 0
	s_and_saveexec_b64 s[0:1], s[14:15]
	s_cbranch_execz .LBB54_163
.LBB54_162:
	v_lshlrev_b32_e32 v2, 24, v3
	v_and_b32_e32 v3, 0xffff, v3
	v_and_b32_e32 v5, 7, v3
	v_ffbh_u32_e32 v7, v5
	v_min_u32_e32 v7, 32, v7
	v_subrev_u32_e32 v8, 28, v7
	v_bfe_u32 v6, v3, 3, 4
	v_lshlrev_b32_e32 v3, v8, v3
	v_sub_u32_e32 v7, 29, v7
	v_and_b32_e32 v3, 7, v3
	v_cmp_eq_u32_e32 vcc, 0, v6
	v_cndmask_b32_e32 v6, v6, v7, vcc
	v_cndmask_b32_e32 v3, v5, v3, vcc
	v_mov_b32_e32 v5, 0x3b800000
	v_lshlrev_b32_e32 v3, 20, v3
	v_and_b32_e32 v2, 0x80000000, v2
	v_lshl_add_u32 v5, v6, 23, v5
	v_or3_b32 v2, v2, v5, v3
	v_cvt_i32_f32_e32 v2, v2
.LBB54_163:
	s_or_b64 exec, exec, s[0:1]
.LBB54_164:
	s_mov_b64 s[0:1], -1
.LBB54_165:
	s_branch .LBB54_198
.LBB54_166:
	s_cmp_gt_i32 s20, 22
	s_cbranch_scc0 .LBB54_174
; %bb.167:
	s_cmp_lt_i32 s20, 24
	s_cbranch_scc1 .LBB54_177
; %bb.168:
	s_cmp_gt_i32 s20, 24
	s_cbranch_scc0 .LBB54_178
; %bb.169:
	global_load_ubyte v3, v[0:1], off
	s_movk_i32 s0, 0x7f
	s_mov_b64 s[14:15], 0
	s_waitcnt vmcnt(0)
	v_cmp_lt_i16_e32 vcc, s0, v3
	s_and_saveexec_b64 s[0:1], vcc
	s_xor_b64 s[0:1], exec, s[0:1]
	s_cbranch_execz .LBB54_190
; %bb.170:
	s_movk_i32 s14, 0x80
	v_cmp_ne_u16_e32 vcc, s14, v3
	s_and_b64 s[14:15], vcc, exec
	s_andn2_saveexec_b64 s[0:1], s[0:1]
	s_cbranch_execnz .LBB54_191
.LBB54_171:
	s_or_b64 exec, exec, s[0:1]
	v_mov_b32_e32 v2, 0
	s_and_saveexec_b64 s[0:1], s[14:15]
	s_cbranch_execz .LBB54_173
.LBB54_172:
	v_lshlrev_b32_e32 v2, 24, v3
	v_and_b32_e32 v3, 0xffff, v3
	v_and_b32_e32 v5, 3, v3
	v_ffbh_u32_e32 v7, v5
	v_min_u32_e32 v7, 32, v7
	v_subrev_u32_e32 v8, 29, v7
	v_bfe_u32 v6, v3, 2, 5
	v_lshlrev_b32_e32 v3, v8, v3
	v_sub_u32_e32 v7, 30, v7
	v_and_b32_e32 v3, 3, v3
	v_cmp_eq_u32_e32 vcc, 0, v6
	v_cndmask_b32_e32 v6, v6, v7, vcc
	v_cndmask_b32_e32 v3, v5, v3, vcc
	v_mov_b32_e32 v5, 0x37800000
	v_lshlrev_b32_e32 v3, 21, v3
	v_and_b32_e32 v2, 0x80000000, v2
	v_lshl_add_u32 v5, v6, 23, v5
	v_or3_b32 v2, v2, v5, v3
	v_cvt_i32_f32_e32 v2, v2
.LBB54_173:
	s_or_b64 exec, exec, s[0:1]
	s_mov_b64 s[0:1], 0
	s_branch .LBB54_179
.LBB54_174:
	s_mov_b64 s[14:15], -1
                                        ; implicit-def: $vgpr2
	s_branch .LBB54_185
.LBB54_175:
	s_andn2_saveexec_b64 s[0:1], s[0:1]
	s_cbranch_execz .LBB54_161
.LBB54_176:
	v_cmp_ne_u16_e32 vcc, 0, v3
	s_andn2_b64 s[14:15], s[14:15], exec
	s_and_b64 s[24:25], vcc, exec
	s_or_b64 s[14:15], s[14:15], s[24:25]
	s_or_b64 exec, exec, s[0:1]
	v_mov_b32_e32 v2, 0
	s_and_saveexec_b64 s[0:1], s[14:15]
	s_cbranch_execnz .LBB54_162
	s_branch .LBB54_163
.LBB54_177:
	s_mov_b64 s[0:1], -1
                                        ; implicit-def: $vgpr2
	s_branch .LBB54_182
.LBB54_178:
	s_mov_b64 s[0:1], -1
                                        ; implicit-def: $vgpr2
.LBB54_179:
	s_and_b64 vcc, exec, s[0:1]
	s_cbranch_vccz .LBB54_181
; %bb.180:
	global_load_ubyte v2, v[0:1], off
	s_mov_b32 s0, 0x7f800000
	s_waitcnt vmcnt(0)
	v_lshlrev_b32_e32 v2, 24, v2
	v_and_b32_e32 v3, 0x7f000000, v2
	v_ffbh_u32_e32 v5, v3
	v_min_u32_e32 v5, 32, v5
	v_sub_u32_e64 v5, v5, 4 clamp
	v_lshlrev_b32_e32 v7, v5, v3
	v_lshlrev_b32_e32 v5, 23, v5
	v_lshrrev_b32_e32 v7, 4, v7
	v_add_u32_e32 v6, 0x1000000, v3
	v_sub_u32_e32 v5, v7, v5
	v_ashrrev_i32_e32 v6, 8, v6
	v_add_u32_e32 v5, 0x3c000000, v5
	v_and_or_b32 v5, v6, s0, v5
	v_cmp_ne_u32_e32 vcc, 0, v3
	v_cndmask_b32_e32 v3, 0, v5, vcc
	s_brev_b32 s0, 1
	v_and_or_b32 v2, v2, s0, v3
	v_cvt_i32_f32_e32 v2, v2
.LBB54_181:
	s_mov_b64 s[0:1], 0
.LBB54_182:
	s_andn2_b64 vcc, exec, s[0:1]
	s_cbranch_vccnz .LBB54_184
; %bb.183:
	global_load_ubyte v2, v[0:1], off
	s_movk_i32 s0, 0x7f00
	s_brev_b32 s1, 16
	s_waitcnt vmcnt(0)
	v_lshlrev_b16_e32 v3, 8, v2
	v_lshlrev_b32_e32 v2, 25, v2
	v_lshrrev_b32_e32 v5, 4, v2
	v_and_or_b32 v6, v3, s0, 0.5
	v_or_b32_e32 v5, 0x70000000, v5
	v_add_f32_e32 v6, -0.5, v6
	v_mul_f32_e32 v5, 0x7800000, v5
	v_cmp_gt_u32_e32 vcc, s1, v2
	v_bfe_i32 v3, v3, 0, 16
	v_cndmask_b32_e32 v2, v5, v6, vcc
	s_brev_b32 s0, 1
	v_and_or_b32 v2, v3, s0, v2
	v_cvt_i32_f32_e32 v2, v2
.LBB54_184:
	s_mov_b64 s[14:15], 0
	s_mov_b64 s[0:1], -1
.LBB54_185:
	s_andn2_b64 vcc, exec, s[14:15]
	s_cbranch_vccnz .LBB54_198
; %bb.186:
	s_cmp_gt_i32 s20, 14
	s_cbranch_scc0 .LBB54_189
; %bb.187:
	s_cmp_eq_u32 s20, 15
	s_cbranch_scc0 .LBB54_192
; %bb.188:
	global_load_ushort v2, v[0:1], off
	s_mov_b64 s[0:1], -1
	s_mov_b64 s[16:17], 0
	s_waitcnt vmcnt(0)
	v_lshlrev_b32_e32 v2, 16, v2
	v_cvt_i32_f32_e32 v2, v2
	s_branch .LBB54_193
.LBB54_189:
	s_mov_b64 s[14:15], -1
                                        ; implicit-def: $vgpr2
	s_branch .LBB54_194
.LBB54_190:
	s_andn2_saveexec_b64 s[0:1], s[0:1]
	s_cbranch_execz .LBB54_171
.LBB54_191:
	v_cmp_ne_u16_e32 vcc, 0, v3
	s_andn2_b64 s[14:15], s[14:15], exec
	s_and_b64 s[24:25], vcc, exec
	s_or_b64 s[14:15], s[14:15], s[24:25]
	s_or_b64 exec, exec, s[0:1]
	v_mov_b32_e32 v2, 0
	s_and_saveexec_b64 s[0:1], s[14:15]
	s_cbranch_execnz .LBB54_172
	s_branch .LBB54_173
.LBB54_192:
	s_mov_b64 s[16:17], -1
                                        ; implicit-def: $vgpr2
.LBB54_193:
	s_mov_b64 s[14:15], 0
.LBB54_194:
	s_and_b64 vcc, exec, s[14:15]
	s_cbranch_vccz .LBB54_198
; %bb.195:
	s_cmp_eq_u32 s20, 11
	s_cbranch_scc0 .LBB54_197
; %bb.196:
	global_load_ubyte v2, v[0:1], off
	s_mov_b64 s[0:1], -1
	s_mov_b64 s[16:17], 0
	s_waitcnt vmcnt(0)
	v_cmp_ne_u16_e32 vcc, 0, v2
	v_cndmask_b32_e64 v2, 0, 1, vcc
	s_branch .LBB54_198
.LBB54_197:
	s_mov_b64 s[16:17], -1
                                        ; implicit-def: $vgpr2
.LBB54_198:
	s_branch .LBB54_10
.LBB54_199:
	s_cmp_lt_i32 s20, 5
	s_cbranch_scc1 .LBB54_204
; %bb.200:
	s_cmp_lt_i32 s20, 8
	s_cbranch_scc1 .LBB54_205
; %bb.201:
	;; [unrolled: 3-line block ×3, first 2 shown]
	s_cmp_gt_i32 s20, 9
	s_cbranch_scc0 .LBB54_207
; %bb.203:
	global_load_dwordx2 v[2:3], v[0:1], off
	s_mov_b64 s[0:1], 0
	s_waitcnt vmcnt(0)
	v_cvt_i32_f64_e32 v2, v[2:3]
	s_branch .LBB54_208
.LBB54_204:
                                        ; implicit-def: $vgpr2
	s_branch .LBB54_226
.LBB54_205:
	s_mov_b64 s[0:1], -1
                                        ; implicit-def: $vgpr2
	s_branch .LBB54_214
.LBB54_206:
	s_mov_b64 s[0:1], -1
                                        ; implicit-def: $vgpr2
	s_branch .LBB54_211
.LBB54_207:
	s_mov_b64 s[0:1], -1
                                        ; implicit-def: $vgpr2
.LBB54_208:
	s_andn2_b64 vcc, exec, s[0:1]
	s_cbranch_vccnz .LBB54_210
; %bb.209:
	global_load_dword v2, v[0:1], off
	s_waitcnt vmcnt(0)
	v_cvt_i32_f32_e32 v2, v2
.LBB54_210:
	s_mov_b64 s[0:1], 0
.LBB54_211:
	s_andn2_b64 vcc, exec, s[0:1]
	s_cbranch_vccnz .LBB54_213
; %bb.212:
	global_load_dword v2, v[0:1], off
	s_waitcnt vmcnt(0)
	v_cvt_f32_f16_e32 v2, v2
	v_cvt_i32_f32_e32 v2, v2
.LBB54_213:
	s_mov_b64 s[0:1], 0
.LBB54_214:
	s_andn2_b64 vcc, exec, s[0:1]
	s_cbranch_vccnz .LBB54_225
; %bb.215:
	s_cmp_lt_i32 s20, 6
	s_cbranch_scc1 .LBB54_218
; %bb.216:
	s_cmp_gt_i32 s20, 6
	s_cbranch_scc0 .LBB54_219
; %bb.217:
	global_load_dwordx2 v[2:3], v[0:1], off
	s_mov_b64 s[0:1], 0
	s_waitcnt vmcnt(0)
	v_cvt_i32_f64_e32 v2, v[2:3]
	s_branch .LBB54_220
.LBB54_218:
	s_mov_b64 s[0:1], -1
                                        ; implicit-def: $vgpr2
	s_branch .LBB54_223
.LBB54_219:
	s_mov_b64 s[0:1], -1
                                        ; implicit-def: $vgpr2
.LBB54_220:
	s_andn2_b64 vcc, exec, s[0:1]
	s_cbranch_vccnz .LBB54_222
; %bb.221:
	global_load_dword v2, v[0:1], off
	s_waitcnt vmcnt(0)
	v_cvt_i32_f32_e32 v2, v2
.LBB54_222:
	s_mov_b64 s[0:1], 0
.LBB54_223:
	s_andn2_b64 vcc, exec, s[0:1]
	s_cbranch_vccnz .LBB54_225
; %bb.224:
	global_load_ushort v2, v[0:1], off
	s_waitcnt vmcnt(0)
	v_cvt_f32_f16_e32 v2, v2
	v_cvt_i32_f32_e32 v2, v2
.LBB54_225:
	s_cbranch_execnz .LBB54_245
.LBB54_226:
	s_cmp_lt_i32 s20, 2
	s_cbranch_scc1 .LBB54_230
; %bb.227:
	s_cmp_lt_i32 s20, 3
	s_cbranch_scc1 .LBB54_231
; %bb.228:
	s_cmp_gt_i32 s20, 3
	s_cbranch_scc0 .LBB54_232
; %bb.229:
	global_load_dword v2, v[0:1], off
	s_mov_b64 s[0:1], 0
	s_branch .LBB54_233
.LBB54_230:
	s_mov_b64 s[0:1], -1
                                        ; implicit-def: $vgpr2
	s_branch .LBB54_239
.LBB54_231:
	s_mov_b64 s[0:1], -1
                                        ; implicit-def: $vgpr2
	s_branch .LBB54_236
.LBB54_232:
	s_mov_b64 s[0:1], -1
                                        ; implicit-def: $vgpr2
.LBB54_233:
	s_andn2_b64 vcc, exec, s[0:1]
	s_cbranch_vccnz .LBB54_235
; %bb.234:
	global_load_dword v2, v[0:1], off
.LBB54_235:
	s_mov_b64 s[0:1], 0
.LBB54_236:
	s_andn2_b64 vcc, exec, s[0:1]
	s_cbranch_vccnz .LBB54_238
; %bb.237:
	global_load_sshort v2, v[0:1], off
.LBB54_238:
	s_mov_b64 s[0:1], 0
.LBB54_239:
	s_andn2_b64 vcc, exec, s[0:1]
	s_cbranch_vccnz .LBB54_245
; %bb.240:
	s_cmp_gt_i32 s20, 0
	s_cbranch_scc0 .LBB54_242
; %bb.241:
	global_load_sbyte v2, v[0:1], off
	s_mov_b64 s[0:1], 0
	s_branch .LBB54_243
.LBB54_242:
	s_mov_b64 s[0:1], -1
                                        ; implicit-def: $vgpr2
.LBB54_243:
	s_andn2_b64 vcc, exec, s[0:1]
	s_cbranch_vccnz .LBB54_245
; %bb.244:
	global_load_ubyte v2, v[0:1], off
.LBB54_245:
	s_branch .LBB54_11
.LBB54_246:
	s_mov_b64 s[0:1], 0
                                        ; implicit-def: $vgpr4
	s_mov_b64 s[20:21], 0
.LBB54_247:
	s_and_b64 s[14:15], s[0:1], exec
	s_and_b64 s[16:17], s[16:17], exec
	s_orn2_b64 s[20:21], s[20:21], exec
.LBB54_248:
	s_or_b64 exec, exec, s[18:19]
	s_mov_b64 s[24:25], 0
	s_mov_b64 s[0:1], 0
                                        ; implicit-def: $vgpr0_vgpr1
                                        ; implicit-def: $vgpr5
	s_and_saveexec_b64 s[18:19], s[20:21]
	s_cbranch_execz .LBB54_257
; %bb.249:
	v_cmp_gt_i32_e32 vcc, s40, v4
	s_mov_b64 s[0:1], -1
	s_mov_b64 s[20:21], s[16:17]
	s_mov_b64 s[22:23], s[14:15]
	s_and_saveexec_b64 s[24:25], vcc
	s_cbranch_execz .LBB54_505
; %bb.250:
	v_mul_lo_u32 v0, v4, s13
	v_mov_b32_e32 v1, s11
	s_and_b32 s26, 0xffff, s33
	s_cmp_lt_i32 s26, 11
	s_waitcnt vmcnt(0)
	v_ashrrev_i32_e32 v2, 31, v0
	v_add_co_u32_e32 v0, vcc, s10, v0
	v_addc_co_u32_e32 v1, vcc, v1, v2, vcc
	s_cbranch_scc1 .LBB54_260
; %bb.251:
	s_cmp_gt_i32 s26, 25
	s_cbranch_scc0 .LBB54_269
; %bb.252:
	s_cmp_gt_i32 s26, 28
	s_cbranch_scc0 .LBB54_271
	;; [unrolled: 3-line block ×4, first 2 shown]
; %bb.255:
	s_cmp_eq_u32 s26, 46
	s_mov_b64 s[22:23], 0
	s_cbranch_scc0 .LBB54_281
; %bb.256:
	global_load_dword v2, v[0:1], off
	s_mov_b64 s[20:21], 0
	s_waitcnt vmcnt(0)
	v_lshlrev_b32_e32 v2, 16, v2
	v_cvt_i32_f32_e32 v2, v2
	s_branch .LBB54_282
.LBB54_257:
	s_or_b64 exec, exec, s[18:19]
	s_mov_b64 s[18:19], 0
	s_and_saveexec_b64 s[20:21], s[16:17]
	s_cbranch_execnz .LBB54_843
.LBB54_258:
	s_or_b64 exec, exec, s[20:21]
	s_and_saveexec_b64 s[16:17], s[22:23]
	s_xor_b64 s[16:17], exec, s[16:17]
	s_cbranch_execz .LBB54_844
.LBB54_259:
	global_load_ubyte v2, v[0:1], off
	s_or_b64 s[0:1], s[0:1], exec
	s_waitcnt vmcnt(0)
	v_cmp_ne_u16_e32 vcc, 0, v2
	v_cndmask_b32_e64 v5, 0, 1, vcc
	s_or_b64 exec, exec, s[16:17]
	s_and_saveexec_b64 s[16:17], s[24:25]
	s_cbranch_execz .LBB54_890
	s_branch .LBB54_845
.LBB54_260:
	s_mov_b64 s[0:1], 0
                                        ; implicit-def: $vgpr2
	s_mov_b64 s[20:21], s[16:17]
	s_cbranch_execnz .LBB54_455
.LBB54_261:
	s_andn2_b64 vcc, exec, s[0:1]
	s_cbranch_vccnz .LBB54_503
.LBB54_262:
	v_mul_lo_u32 v1, v4, s12
	s_waitcnt vmcnt(0)
	v_lshlrev_b32_e64 v0, v2, s2
	v_cmp_gt_u32_e32 vcc, 32, v2
	v_cndmask_b32_e32 v0, 0, v0, vcc
	v_ashrrev_i32_e32 v3, 31, v1
	v_mov_b32_e32 v5, s9
	s_and_b32 s30, s3, 0xff
	v_add_co_u32_e32 v2, vcc, s8, v1
	s_cmp_lt_i32 s30, 11
	v_addc_co_u32_e32 v3, vcc, v5, v3, vcc
	s_cbranch_scc1 .LBB54_270
; %bb.263:
	s_and_b32 s31, 0xffff, s30
	s_cmp_gt_i32 s31, 25
	s_cbranch_scc0 .LBB54_272
; %bb.264:
	s_cmp_gt_i32 s31, 28
	s_cbranch_scc0 .LBB54_274
; %bb.265:
	;; [unrolled: 3-line block ×4, first 2 shown]
	s_mov_b64 s[26:27], 0
	s_mov_b64 s[0:1], -1
	s_cmp_eq_u32 s31, 46
	s_mov_b64 s[22:23], 0
	s_cbranch_scc0 .LBB54_286
; %bb.268:
	v_cvt_f32_i32_e32 v1, v0
	s_movk_i32 s0, 0x7fff
	s_mov_b64 s[22:23], -1
	v_bfe_u32 v5, v1, 16, 1
	v_add3_u32 v1, v1, v5, s0
	v_lshrrev_b32_e32 v1, 16, v1
	global_store_dword v[2:3], v1, off
	s_mov_b64 s[0:1], 0
	s_branch .LBB54_286
.LBB54_269:
	s_mov_b64 s[22:23], -1
	s_mov_b64 s[0:1], 0
	s_mov_b64 s[20:21], s[16:17]
                                        ; implicit-def: $vgpr2
	s_branch .LBB54_421
.LBB54_270:
	s_mov_b64 s[26:27], -1
	s_mov_b64 s[22:23], 0
	s_mov_b64 s[0:1], s[14:15]
	s_branch .LBB54_355
.LBB54_271:
	s_mov_b64 s[22:23], -1
	s_mov_b64 s[0:1], 0
	s_mov_b64 s[20:21], s[16:17]
                                        ; implicit-def: $vgpr2
	s_branch .LBB54_404
.LBB54_272:
	s_mov_b64 s[26:27], -1
	s_mov_b64 s[22:23], 0
	s_mov_b64 s[0:1], s[14:15]
	s_branch .LBB54_313
.LBB54_273:
	s_mov_b64 s[22:23], -1
	s_mov_b64 s[0:1], 0
	s_mov_b64 s[20:21], s[16:17]
                                        ; implicit-def: $vgpr2
	s_branch .LBB54_399
.LBB54_274:
	s_mov_b64 s[26:27], -1
	s_mov_b64 s[22:23], 0
	s_mov_b64 s[0:1], s[14:15]
	s_branch .LBB54_296
.LBB54_275:
	s_andn2_saveexec_b64 s[24:25], s[24:25]
	s_cbranch_execz .LBB54_55
.LBB54_276:
	s_mov_b32 s28, 0x46000000
	v_add_f32_e64 v5, |v1|, s28
	v_and_b32_e32 v5, 0xff, v5
	v_cmp_ne_u32_e32 vcc, 0, v5
	s_andn2_b64 s[20:21], s[20:21], exec
	s_and_b64 s[28:29], vcc, exec
	s_or_b64 s[20:21], s[20:21], s[28:29]
	s_or_b64 exec, exec, s[24:25]
	v_mov_b32_e32 v6, 0
	s_and_saveexec_b64 s[24:25], s[20:21]
	s_cbranch_execnz .LBB54_56
	s_branch .LBB54_57
.LBB54_277:
	s_mov_b64 s[22:23], -1
	s_mov_b64 s[0:1], 0
	s_mov_b64 s[20:21], s[16:17]
                                        ; implicit-def: $vgpr2
	s_branch .LBB54_282
.LBB54_278:
	s_mov_b64 s[26:27], -1
	s_mov_b64 s[22:23], 0
	s_mov_b64 s[0:1], s[14:15]
	s_branch .LBB54_292
.LBB54_279:
	s_andn2_saveexec_b64 s[24:25], s[24:25]
	s_cbranch_execz .LBB54_68
.LBB54_280:
	s_mov_b32 s28, 0x42800000
	v_add_f32_e64 v5, |v1|, s28
	v_and_b32_e32 v5, 0xff, v5
	v_cmp_ne_u32_e32 vcc, 0, v5
	s_andn2_b64 s[20:21], s[20:21], exec
	s_and_b64 s[28:29], vcc, exec
	s_or_b64 s[20:21], s[20:21], s[28:29]
	s_or_b64 exec, exec, s[24:25]
	v_mov_b32_e32 v6, 0
	s_and_saveexec_b64 s[24:25], s[20:21]
	s_cbranch_execnz .LBB54_69
	s_branch .LBB54_70
.LBB54_281:
	s_mov_b64 s[20:21], -1
                                        ; implicit-def: $vgpr2
	s_mov_b64 s[0:1], 0
.LBB54_282:
	s_and_b64 vcc, exec, s[22:23]
	s_cbranch_vccz .LBB54_398
; %bb.283:
	s_cmp_eq_u32 s26, 44
	s_cbranch_scc0 .LBB54_397
; %bb.284:
	global_load_ubyte v2, v[0:1], off
	s_mov_b64 s[0:1], -1
	s_mov_b64 s[20:21], 0
	s_waitcnt vmcnt(0)
	v_lshlrev_b32_e32 v3, 23, v2
	v_cvt_i32_f32_e32 v3, v3
	v_cmp_ne_u32_e32 vcc, 0, v2
	v_cndmask_b32_e32 v2, 0, v3, vcc
	s_branch .LBB54_398
.LBB54_285:
	s_mov_b64 s[26:27], -1
	s_mov_b64 s[22:23], 0
	s_mov_b64 s[0:1], s[14:15]
.LBB54_286:
	s_and_b64 vcc, exec, s[26:27]
	s_cbranch_vccz .LBB54_291
; %bb.287:
	s_cmp_eq_u32 s31, 44
	s_mov_b64 s[0:1], -1
	s_cbranch_scc0 .LBB54_291
; %bb.288:
	v_cvt_f32_i32_e32 v1, v0
	s_movk_i32 s0, 0xff
	v_mov_b32_e32 v6, 0xff
	v_bfe_u32 v5, v1, 23, 8
	v_cmp_ne_u32_e32 vcc, s0, v5
	s_and_saveexec_b64 s[22:23], vcc
; %bb.289:
	s_mov_b32 s0, 0x3fffff
	v_lshrrev_b32_e32 v6, 23, v1
	v_and_b32_e32 v7, 0x400000, v1
	v_and_or_b32 v1, v1, s0, v5
	v_cmp_ne_u32_e32 vcc, 0, v7
	v_cmp_ne_u32_e64 s[0:1], 0, v1
	s_and_b64 s[0:1], vcc, s[0:1]
	v_cndmask_b32_e64 v1, 0, 1, s[0:1]
	v_add_u32_e32 v6, v6, v1
; %bb.290:
	s_or_b64 exec, exec, s[22:23]
	s_mov_b64 s[22:23], -1
	s_mov_b64 s[0:1], 0
	global_store_byte v[2:3], v6, off
.LBB54_291:
	s_mov_b64 s[26:27], 0
.LBB54_292:
	s_and_b64 vcc, exec, s[26:27]
	s_cbranch_vccz .LBB54_295
; %bb.293:
	s_cmp_eq_u32 s31, 29
	s_mov_b64 s[0:1], -1
	s_cbranch_scc0 .LBB54_295
; %bb.294:
	v_ashrrev_i32_e32 v1, 31, v0
	global_store_dwordx2 v[2:3], v[0:1], off
	s_mov_b64 s[22:23], -1
	s_mov_b64 s[0:1], 0
.LBB54_295:
	s_mov_b64 s[26:27], 0
.LBB54_296:
	s_and_b64 vcc, exec, s[26:27]
	s_cbranch_vccz .LBB54_312
; %bb.297:
	s_cmp_lt_i32 s31, 27
	s_mov_b64 s[22:23], -1
	s_cbranch_scc1 .LBB54_303
; %bb.298:
	s_cmp_gt_i32 s31, 27
	s_cbranch_scc0 .LBB54_300
; %bb.299:
	s_mov_b64 s[22:23], 0
	global_store_dword v[2:3], v0, off
.LBB54_300:
	s_andn2_b64 vcc, exec, s[22:23]
	s_cbranch_vccnz .LBB54_302
; %bb.301:
	global_store_short v[2:3], v0, off
.LBB54_302:
	s_mov_b64 s[22:23], 0
.LBB54_303:
	s_andn2_b64 vcc, exec, s[22:23]
	s_cbranch_vccnz .LBB54_311
; %bb.304:
	v_cvt_f32_i32_e32 v1, v0
	s_mov_b32 s22, 0x43800000
	v_mov_b32_e32 v6, 0x80
	v_and_b32_e32 v5, 0x7fffffff, v1
	v_cmp_gt_u32_e32 vcc, s22, v5
	s_and_saveexec_b64 s[22:23], vcc
	s_cbranch_execz .LBB54_310
; %bb.305:
	s_mov_b32 s26, 0x3bffffff
	v_cmp_lt_u32_e32 vcc, s26, v5
	s_mov_b64 s[26:27], 0
                                        ; implicit-def: $vgpr5
	s_and_saveexec_b64 s[28:29], vcc
	s_xor_b64 s[28:29], exec, s[28:29]
	s_cbranch_execz .LBB54_518
; %bb.306:
	v_bfe_u32 v5, v1, 20, 1
	s_mov_b32 s34, 0x487ffff
	v_add3_u32 v5, v1, v5, s34
	s_mov_b64 s[26:27], exec
	v_lshrrev_b32_e32 v5, 20, v5
	s_andn2_saveexec_b64 s[28:29], s[28:29]
	s_cbranch_execnz .LBB54_519
.LBB54_307:
	s_or_b64 exec, exec, s[28:29]
	v_mov_b32_e32 v6, 0
	s_and_saveexec_b64 s[28:29], s[26:27]
.LBB54_308:
	v_lshrrev_b32_e32 v1, 24, v1
	s_movk_i32 s26, 0x80
	v_and_or_b32 v6, v1, s26, v5
.LBB54_309:
	s_or_b64 exec, exec, s[28:29]
.LBB54_310:
	s_or_b64 exec, exec, s[22:23]
	global_store_byte v[2:3], v6, off
.LBB54_311:
	s_mov_b64 s[22:23], -1
.LBB54_312:
	s_mov_b64 s[26:27], 0
.LBB54_313:
	s_and_b64 vcc, exec, s[26:27]
	s_cbranch_vccz .LBB54_354
; %bb.314:
	s_cmp_gt_i32 s31, 22
	s_mov_b64 s[26:27], -1
	s_cbranch_scc0 .LBB54_346
; %bb.315:
	s_cmp_lt_i32 s31, 24
	s_mov_b64 s[22:23], -1
	s_cbranch_scc1 .LBB54_335
; %bb.316:
	s_cmp_gt_i32 s31, 24
	s_cbranch_scc0 .LBB54_324
; %bb.317:
	v_cvt_f32_i32_e32 v1, v0
	s_mov_b32 s22, 0x47800000
	v_mov_b32_e32 v6, 0x80
	v_and_b32_e32 v5, 0x7fffffff, v1
	v_cmp_gt_u32_e32 vcc, s22, v5
	s_and_saveexec_b64 s[22:23], vcc
	s_cbranch_execz .LBB54_323
; %bb.318:
	s_mov_b32 s26, 0x37ffffff
	v_cmp_lt_u32_e32 vcc, s26, v5
	s_mov_b64 s[26:27], 0
                                        ; implicit-def: $vgpr5
	s_and_saveexec_b64 s[28:29], vcc
	s_xor_b64 s[28:29], exec, s[28:29]
	s_cbranch_execz .LBB54_521
; %bb.319:
	v_bfe_u32 v5, v1, 21, 1
	s_mov_b32 s34, 0x88fffff
	v_add3_u32 v5, v1, v5, s34
	s_mov_b64 s[26:27], exec
	v_lshrrev_b32_e32 v5, 21, v5
	s_andn2_saveexec_b64 s[28:29], s[28:29]
	s_cbranch_execnz .LBB54_522
.LBB54_320:
	s_or_b64 exec, exec, s[28:29]
	v_mov_b32_e32 v6, 0
	s_and_saveexec_b64 s[28:29], s[26:27]
.LBB54_321:
	v_lshrrev_b32_e32 v1, 24, v1
	s_movk_i32 s26, 0x80
	v_and_or_b32 v6, v1, s26, v5
.LBB54_322:
	s_or_b64 exec, exec, s[28:29]
.LBB54_323:
	s_or_b64 exec, exec, s[22:23]
	s_mov_b64 s[22:23], 0
	global_store_byte v[2:3], v6, off
.LBB54_324:
	s_and_b64 vcc, exec, s[22:23]
	s_cbranch_vccz .LBB54_334
; %bb.325:
	v_cvt_f32_i32_e32 v1, v0
	s_mov_b32 s22, 0x43f00000
                                        ; implicit-def: $vgpr5
	v_and_b32_e32 v6, 0x7fffffff, v1
	v_cmp_gt_u32_e32 vcc, s22, v6
	s_and_saveexec_b64 s[22:23], vcc
	s_xor_b64 s[22:23], exec, s[22:23]
	s_cbranch_execz .LBB54_331
; %bb.326:
	s_mov_b32 s26, 0x3c7fffff
	v_cmp_lt_u32_e32 vcc, s26, v6
                                        ; implicit-def: $vgpr5
	s_and_saveexec_b64 s[26:27], vcc
	s_xor_b64 s[26:27], exec, s[26:27]
; %bb.327:
	v_bfe_u32 v5, v1, 20, 1
	s_mov_b32 s28, 0x407ffff
	v_add3_u32 v5, v1, v5, s28
	v_lshrrev_b32_e32 v6, 20, v5
	v_and_b32_e32 v5, 0xff00000, v5
	s_mov_b32 s28, 0x7f00000
	v_mov_b32_e32 v7, 0x7e
	v_cmp_ne_u32_e32 vcc, s28, v5
	v_cndmask_b32_e32 v5, v7, v6, vcc
; %bb.328:
	s_andn2_saveexec_b64 s[26:27], s[26:27]
; %bb.329:
	s_mov_b32 s28, 0x46800000
	v_add_f32_e64 v5, |v1|, s28
; %bb.330:
	s_or_b64 exec, exec, s[26:27]
                                        ; implicit-def: $vgpr6
.LBB54_331:
	s_andn2_saveexec_b64 s[22:23], s[22:23]
; %bb.332:
	s_mov_b32 s26, 0x7f800000
	v_mov_b32_e32 v5, 0x7e
	v_mov_b32_e32 v7, 0x7f
	v_cmp_lt_u32_e32 vcc, s26, v6
	v_cndmask_b32_e32 v5, v5, v7, vcc
; %bb.333:
	s_or_b64 exec, exec, s[22:23]
	v_lshrrev_b32_e32 v1, 24, v1
	s_movk_i32 s22, 0x80
	v_and_or_b32 v1, v1, s22, v5
	global_store_byte v[2:3], v1, off
.LBB54_334:
	s_mov_b64 s[22:23], 0
.LBB54_335:
	s_andn2_b64 vcc, exec, s[22:23]
	s_cbranch_vccnz .LBB54_345
; %bb.336:
	v_cvt_f32_i32_e32 v1, v0
	s_mov_b32 s22, 0x47800000
                                        ; implicit-def: $vgpr5
	v_and_b32_e32 v6, 0x7fffffff, v1
	v_cmp_gt_u32_e32 vcc, s22, v6
	s_and_saveexec_b64 s[22:23], vcc
	s_xor_b64 s[22:23], exec, s[22:23]
	s_cbranch_execz .LBB54_342
; %bb.337:
	s_mov_b32 s26, 0x387fffff
	v_cmp_lt_u32_e32 vcc, s26, v6
                                        ; implicit-def: $vgpr5
	s_and_saveexec_b64 s[26:27], vcc
	s_xor_b64 s[26:27], exec, s[26:27]
; %bb.338:
	v_bfe_u32 v5, v1, 21, 1
	s_mov_b32 s28, 0x80fffff
	v_add3_u32 v5, v1, v5, s28
	v_lshrrev_b32_e32 v5, 21, v5
; %bb.339:
	s_andn2_saveexec_b64 s[26:27], s[26:27]
; %bb.340:
	s_mov_b32 s28, 0x43000000
	v_add_f32_e64 v5, |v1|, s28
; %bb.341:
	s_or_b64 exec, exec, s[26:27]
                                        ; implicit-def: $vgpr6
.LBB54_342:
	s_andn2_saveexec_b64 s[22:23], s[22:23]
; %bb.343:
	s_mov_b32 s26, 0x7f800000
	v_mov_b32_e32 v5, 0x7c
	v_mov_b32_e32 v7, 0x7f
	v_cmp_lt_u32_e32 vcc, s26, v6
	v_cndmask_b32_e32 v5, v5, v7, vcc
; %bb.344:
	s_or_b64 exec, exec, s[22:23]
	v_lshrrev_b32_e32 v1, 24, v1
	s_movk_i32 s22, 0x80
	v_and_or_b32 v1, v1, s22, v5
	global_store_byte v[2:3], v1, off
.LBB54_345:
	s_mov_b64 s[26:27], 0
	s_mov_b64 s[22:23], -1
.LBB54_346:
	s_andn2_b64 vcc, exec, s[26:27]
	s_cbranch_vccnz .LBB54_354
; %bb.347:
	s_cmp_gt_i32 s31, 14
	s_mov_b64 s[26:27], -1
	s_cbranch_scc0 .LBB54_351
; %bb.348:
	s_cmp_eq_u32 s31, 15
	s_mov_b64 s[0:1], -1
	s_cbranch_scc0 .LBB54_350
; %bb.349:
	v_cvt_f32_i32_e32 v1, v0
	s_movk_i32 s0, 0x7fff
	s_mov_b64 s[22:23], -1
	v_bfe_u32 v5, v1, 16, 1
	v_add3_u32 v1, v1, v5, s0
	global_store_short_d16_hi v[2:3], v1, off
	s_mov_b64 s[0:1], 0
.LBB54_350:
	s_mov_b64 s[26:27], 0
.LBB54_351:
	s_and_b64 vcc, exec, s[26:27]
	s_cbranch_vccz .LBB54_354
; %bb.352:
	s_cmp_eq_u32 s31, 11
	s_mov_b64 s[0:1], -1
	s_cbranch_scc0 .LBB54_354
; %bb.353:
	v_cmp_ne_u32_e32 vcc, 0, v0
	v_cndmask_b32_e64 v1, 0, 1, vcc
	s_mov_b64 s[22:23], -1
	s_mov_b64 s[0:1], 0
	global_store_byte v[2:3], v1, off
.LBB54_354:
	s_mov_b64 s[26:27], 0
.LBB54_355:
	s_and_b64 vcc, exec, s[26:27]
	s_cbranch_vccz .LBB54_394
; %bb.356:
	s_and_b32 s26, 0xffff, s30
	s_cmp_lt_i32 s26, 5
	s_mov_b64 s[22:23], -1
	s_cbranch_scc1 .LBB54_377
; %bb.357:
	s_cmp_lt_i32 s26, 8
	s_cbranch_scc1 .LBB54_367
; %bb.358:
	s_cmp_lt_i32 s26, 9
	s_cbranch_scc1 .LBB54_364
; %bb.359:
	s_cmp_gt_i32 s26, 9
	s_cbranch_scc0 .LBB54_361
; %bb.360:
	v_cvt_f64_i32_e32 v[5:6], v0
	v_mov_b32_e32 v7, 0
	v_mov_b32_e32 v8, v7
	s_mov_b64 s[22:23], 0
	global_store_dwordx4 v[2:3], v[5:8], off
.LBB54_361:
	s_andn2_b64 vcc, exec, s[22:23]
	s_cbranch_vccnz .LBB54_363
; %bb.362:
	v_cvt_f32_i32_e32 v5, v0
	v_mov_b32_e32 v6, 0
	global_store_dwordx2 v[2:3], v[5:6], off
.LBB54_363:
	s_mov_b64 s[22:23], 0
.LBB54_364:
	s_andn2_b64 vcc, exec, s[22:23]
	s_cbranch_vccnz .LBB54_366
; %bb.365:
	v_cvt_f32_i32_e32 v1, v0
	v_cvt_f16_f32_e32 v1, v1
	global_store_dword v[2:3], v1, off
.LBB54_366:
	s_mov_b64 s[22:23], 0
.LBB54_367:
	s_andn2_b64 vcc, exec, s[22:23]
	s_cbranch_vccnz .LBB54_376
; %bb.368:
	s_cmp_lt_i32 s26, 6
	s_mov_b64 s[22:23], -1
	s_cbranch_scc1 .LBB54_374
; %bb.369:
	s_cmp_gt_i32 s26, 6
	s_cbranch_scc0 .LBB54_371
; %bb.370:
	v_cvt_f64_i32_e32 v[5:6], v0
	s_mov_b64 s[22:23], 0
	global_store_dwordx2 v[2:3], v[5:6], off
.LBB54_371:
	s_andn2_b64 vcc, exec, s[22:23]
	s_cbranch_vccnz .LBB54_373
; %bb.372:
	v_cvt_f32_i32_e32 v1, v0
	global_store_dword v[2:3], v1, off
.LBB54_373:
	s_mov_b64 s[22:23], 0
.LBB54_374:
	s_andn2_b64 vcc, exec, s[22:23]
	s_cbranch_vccnz .LBB54_376
; %bb.375:
	v_cvt_f32_i32_e32 v1, v0
	v_cvt_f16_f32_e32 v1, v1
	global_store_short v[2:3], v1, off
.LBB54_376:
	s_mov_b64 s[22:23], 0
.LBB54_377:
	s_andn2_b64 vcc, exec, s[22:23]
	s_cbranch_vccnz .LBB54_393
; %bb.378:
	s_cmp_lt_i32 s26, 2
	s_mov_b64 s[22:23], -1
	s_cbranch_scc1 .LBB54_388
; %bb.379:
	s_cmp_lt_i32 s26, 3
	s_cbranch_scc1 .LBB54_385
; %bb.380:
	s_cmp_gt_i32 s26, 3
	s_cbranch_scc0 .LBB54_382
; %bb.381:
	v_ashrrev_i32_e32 v1, 31, v0
	s_mov_b64 s[22:23], 0
	global_store_dwordx2 v[2:3], v[0:1], off
.LBB54_382:
	s_andn2_b64 vcc, exec, s[22:23]
	s_cbranch_vccnz .LBB54_384
; %bb.383:
	global_store_dword v[2:3], v0, off
.LBB54_384:
	s_mov_b64 s[22:23], 0
.LBB54_385:
	s_andn2_b64 vcc, exec, s[22:23]
	s_cbranch_vccnz .LBB54_387
; %bb.386:
	global_store_short v[2:3], v0, off
.LBB54_387:
	s_mov_b64 s[22:23], 0
.LBB54_388:
	s_andn2_b64 vcc, exec, s[22:23]
	s_cbranch_vccnz .LBB54_393
; %bb.389:
	s_cmp_gt_i32 s26, 0
	s_mov_b64 s[22:23], -1
	s_cbranch_scc0 .LBB54_391
; %bb.390:
	s_mov_b64 s[22:23], 0
	global_store_byte v[2:3], v0, off
.LBB54_391:
	s_andn2_b64 vcc, exec, s[22:23]
	s_cbranch_vccnz .LBB54_393
; %bb.392:
	global_store_byte v[2:3], v0, off
.LBB54_393:
	s_mov_b64 s[22:23], -1
.LBB54_394:
	s_andn2_b64 vcc, exec, s[22:23]
	s_cbranch_vccnz .LBB54_396
; %bb.395:
	v_add_u32_e32 v4, 0x80, v4
	s_mov_b64 s[26:27], -1
	s_branch .LBB54_504
.LBB54_396:
	s_mov_b64 s[26:27], 0
                                        ; implicit-def: $vgpr4
	s_branch .LBB54_504
.LBB54_397:
	s_mov_b64 s[20:21], -1
                                        ; implicit-def: $vgpr2
.LBB54_398:
	s_mov_b64 s[22:23], 0
.LBB54_399:
	s_and_b64 vcc, exec, s[22:23]
	s_cbranch_vccz .LBB54_403
; %bb.400:
	s_cmp_eq_u32 s26, 29
	s_cbranch_scc0 .LBB54_402
; %bb.401:
	global_load_dword v2, v[0:1], off
	s_mov_b64 s[0:1], -1
	s_mov_b64 s[20:21], 0
	s_branch .LBB54_403
.LBB54_402:
	s_mov_b64 s[20:21], -1
                                        ; implicit-def: $vgpr2
.LBB54_403:
	s_mov_b64 s[22:23], 0
.LBB54_404:
	s_and_b64 vcc, exec, s[22:23]
	s_cbranch_vccz .LBB54_420
; %bb.405:
	s_cmp_lt_i32 s26, 27
	s_cbranch_scc1 .LBB54_408
; %bb.406:
	s_cmp_gt_i32 s26, 27
	s_cbranch_scc0 .LBB54_409
; %bb.407:
	global_load_dword v2, v[0:1], off
	s_mov_b64 s[0:1], 0
	s_branch .LBB54_410
.LBB54_408:
	s_mov_b64 s[0:1], -1
                                        ; implicit-def: $vgpr2
	s_branch .LBB54_413
.LBB54_409:
	s_mov_b64 s[0:1], -1
                                        ; implicit-def: $vgpr2
.LBB54_410:
	s_andn2_b64 vcc, exec, s[0:1]
	s_cbranch_vccnz .LBB54_412
; %bb.411:
	global_load_ushort v2, v[0:1], off
.LBB54_412:
	s_mov_b64 s[0:1], 0
.LBB54_413:
	s_andn2_b64 vcc, exec, s[0:1]
	s_cbranch_vccnz .LBB54_419
; %bb.414:
	global_load_ubyte v3, v[0:1], off
	s_movk_i32 s0, 0x7f
	s_mov_b64 s[22:23], 0
	s_waitcnt vmcnt(0)
	v_cmp_lt_i16_e32 vcc, s0, v3
	s_and_saveexec_b64 s[0:1], vcc
	s_xor_b64 s[0:1], exec, s[0:1]
	s_cbranch_execz .LBB54_431
; %bb.415:
	s_movk_i32 s22, 0x80
	v_cmp_ne_u16_e32 vcc, s22, v3
	s_and_b64 s[22:23], vcc, exec
	s_andn2_saveexec_b64 s[0:1], s[0:1]
	s_cbranch_execnz .LBB54_432
.LBB54_416:
	s_or_b64 exec, exec, s[0:1]
	v_mov_b32_e32 v2, 0
	s_and_saveexec_b64 s[0:1], s[22:23]
	s_cbranch_execz .LBB54_418
.LBB54_417:
	v_lshlrev_b32_e32 v2, 24, v3
	v_and_b32_e32 v3, 0xffff, v3
	v_and_b32_e32 v5, 7, v3
	v_ffbh_u32_e32 v7, v5
	v_min_u32_e32 v7, 32, v7
	v_subrev_u32_e32 v8, 28, v7
	v_bfe_u32 v6, v3, 3, 4
	v_lshlrev_b32_e32 v3, v8, v3
	v_sub_u32_e32 v7, 29, v7
	v_and_b32_e32 v3, 7, v3
	v_cmp_eq_u32_e32 vcc, 0, v6
	v_cndmask_b32_e32 v6, v6, v7, vcc
	v_cndmask_b32_e32 v3, v5, v3, vcc
	v_mov_b32_e32 v5, 0x3b800000
	v_lshlrev_b32_e32 v3, 20, v3
	v_and_b32_e32 v2, 0x80000000, v2
	v_lshl_add_u32 v5, v6, 23, v5
	v_or3_b32 v2, v2, v5, v3
	v_cvt_i32_f32_e32 v2, v2
.LBB54_418:
	s_or_b64 exec, exec, s[0:1]
.LBB54_419:
	s_mov_b64 s[0:1], -1
.LBB54_420:
	s_mov_b64 s[22:23], 0
.LBB54_421:
	s_and_b64 vcc, exec, s[22:23]
	s_cbranch_vccz .LBB54_454
; %bb.422:
	s_cmp_gt_i32 s26, 22
	s_cbranch_scc0 .LBB54_430
; %bb.423:
	s_cmp_lt_i32 s26, 24
	s_cbranch_scc1 .LBB54_433
; %bb.424:
	s_cmp_gt_i32 s26, 24
	s_cbranch_scc0 .LBB54_434
; %bb.425:
	global_load_ubyte v3, v[0:1], off
	s_movk_i32 s0, 0x7f
	s_mov_b64 s[22:23], 0
	s_waitcnt vmcnt(0)
	v_cmp_lt_i16_e32 vcc, s0, v3
	s_and_saveexec_b64 s[0:1], vcc
	s_xor_b64 s[0:1], exec, s[0:1]
	s_cbranch_execz .LBB54_446
; %bb.426:
	s_movk_i32 s22, 0x80
	v_cmp_ne_u16_e32 vcc, s22, v3
	s_and_b64 s[22:23], vcc, exec
	s_andn2_saveexec_b64 s[0:1], s[0:1]
	s_cbranch_execnz .LBB54_447
.LBB54_427:
	s_or_b64 exec, exec, s[0:1]
	v_mov_b32_e32 v2, 0
	s_and_saveexec_b64 s[0:1], s[22:23]
	s_cbranch_execz .LBB54_429
.LBB54_428:
	v_lshlrev_b32_e32 v2, 24, v3
	v_and_b32_e32 v3, 0xffff, v3
	v_and_b32_e32 v5, 3, v3
	v_ffbh_u32_e32 v7, v5
	v_min_u32_e32 v7, 32, v7
	v_subrev_u32_e32 v8, 29, v7
	v_bfe_u32 v6, v3, 2, 5
	v_lshlrev_b32_e32 v3, v8, v3
	v_sub_u32_e32 v7, 30, v7
	v_and_b32_e32 v3, 3, v3
	v_cmp_eq_u32_e32 vcc, 0, v6
	v_cndmask_b32_e32 v6, v6, v7, vcc
	v_cndmask_b32_e32 v3, v5, v3, vcc
	v_mov_b32_e32 v5, 0x37800000
	v_lshlrev_b32_e32 v3, 21, v3
	v_and_b32_e32 v2, 0x80000000, v2
	v_lshl_add_u32 v5, v6, 23, v5
	v_or3_b32 v2, v2, v5, v3
	v_cvt_i32_f32_e32 v2, v2
.LBB54_429:
	s_or_b64 exec, exec, s[0:1]
	s_mov_b64 s[0:1], 0
	s_branch .LBB54_435
.LBB54_430:
	s_mov_b64 s[22:23], -1
                                        ; implicit-def: $vgpr2
	s_branch .LBB54_441
.LBB54_431:
	s_andn2_saveexec_b64 s[0:1], s[0:1]
	s_cbranch_execz .LBB54_416
.LBB54_432:
	v_cmp_ne_u16_e32 vcc, 0, v3
	s_andn2_b64 s[22:23], s[22:23], exec
	s_and_b64 s[28:29], vcc, exec
	s_or_b64 s[22:23], s[22:23], s[28:29]
	s_or_b64 exec, exec, s[0:1]
	v_mov_b32_e32 v2, 0
	s_and_saveexec_b64 s[0:1], s[22:23]
	s_cbranch_execnz .LBB54_417
	s_branch .LBB54_418
.LBB54_433:
	s_mov_b64 s[0:1], -1
                                        ; implicit-def: $vgpr2
	s_branch .LBB54_438
.LBB54_434:
	s_mov_b64 s[0:1], -1
                                        ; implicit-def: $vgpr2
.LBB54_435:
	s_and_b64 vcc, exec, s[0:1]
	s_cbranch_vccz .LBB54_437
; %bb.436:
	global_load_ubyte v2, v[0:1], off
	s_mov_b32 s0, 0x7f800000
	s_waitcnt vmcnt(0)
	v_lshlrev_b32_e32 v2, 24, v2
	v_and_b32_e32 v3, 0x7f000000, v2
	v_ffbh_u32_e32 v5, v3
	v_min_u32_e32 v5, 32, v5
	v_sub_u32_e64 v5, v5, 4 clamp
	v_lshlrev_b32_e32 v7, v5, v3
	v_lshlrev_b32_e32 v5, 23, v5
	v_lshrrev_b32_e32 v7, 4, v7
	v_add_u32_e32 v6, 0x1000000, v3
	v_sub_u32_e32 v5, v7, v5
	v_ashrrev_i32_e32 v6, 8, v6
	v_add_u32_e32 v5, 0x3c000000, v5
	v_and_or_b32 v5, v6, s0, v5
	v_cmp_ne_u32_e32 vcc, 0, v3
	v_cndmask_b32_e32 v3, 0, v5, vcc
	s_brev_b32 s0, 1
	v_and_or_b32 v2, v2, s0, v3
	v_cvt_i32_f32_e32 v2, v2
.LBB54_437:
	s_mov_b64 s[0:1], 0
.LBB54_438:
	s_andn2_b64 vcc, exec, s[0:1]
	s_cbranch_vccnz .LBB54_440
; %bb.439:
	global_load_ubyte v2, v[0:1], off
	s_movk_i32 s0, 0x7f00
	s_brev_b32 s1, 16
	s_waitcnt vmcnt(0)
	v_lshlrev_b16_e32 v3, 8, v2
	v_lshlrev_b32_e32 v2, 25, v2
	v_lshrrev_b32_e32 v5, 4, v2
	v_and_or_b32 v6, v3, s0, 0.5
	v_or_b32_e32 v5, 0x70000000, v5
	v_add_f32_e32 v6, -0.5, v6
	v_mul_f32_e32 v5, 0x7800000, v5
	v_cmp_gt_u32_e32 vcc, s1, v2
	v_bfe_i32 v3, v3, 0, 16
	v_cndmask_b32_e32 v2, v5, v6, vcc
	s_brev_b32 s0, 1
	v_and_or_b32 v2, v3, s0, v2
	v_cvt_i32_f32_e32 v2, v2
.LBB54_440:
	s_mov_b64 s[22:23], 0
	s_mov_b64 s[0:1], -1
.LBB54_441:
	s_andn2_b64 vcc, exec, s[22:23]
	s_cbranch_vccnz .LBB54_454
; %bb.442:
	s_cmp_gt_i32 s26, 14
	s_cbranch_scc0 .LBB54_445
; %bb.443:
	s_cmp_eq_u32 s26, 15
	s_cbranch_scc0 .LBB54_448
; %bb.444:
	global_load_ushort v2, v[0:1], off
	s_mov_b64 s[0:1], -1
	s_mov_b64 s[20:21], 0
	s_waitcnt vmcnt(0)
	v_lshlrev_b32_e32 v2, 16, v2
	v_cvt_i32_f32_e32 v2, v2
	s_branch .LBB54_449
.LBB54_445:
	s_mov_b64 s[22:23], -1
                                        ; implicit-def: $vgpr2
	s_branch .LBB54_450
.LBB54_446:
	s_andn2_saveexec_b64 s[0:1], s[0:1]
	s_cbranch_execz .LBB54_427
.LBB54_447:
	v_cmp_ne_u16_e32 vcc, 0, v3
	s_andn2_b64 s[22:23], s[22:23], exec
	s_and_b64 s[28:29], vcc, exec
	s_or_b64 s[22:23], s[22:23], s[28:29]
	s_or_b64 exec, exec, s[0:1]
	v_mov_b32_e32 v2, 0
	s_and_saveexec_b64 s[0:1], s[22:23]
	s_cbranch_execnz .LBB54_428
	s_branch .LBB54_429
.LBB54_448:
	s_mov_b64 s[20:21], -1
                                        ; implicit-def: $vgpr2
.LBB54_449:
	s_mov_b64 s[22:23], 0
.LBB54_450:
	s_and_b64 vcc, exec, s[22:23]
	s_cbranch_vccz .LBB54_454
; %bb.451:
	s_cmp_eq_u32 s26, 11
	s_cbranch_scc0 .LBB54_453
; %bb.452:
	global_load_ubyte v2, v[0:1], off
	s_mov_b64 s[0:1], -1
	s_mov_b64 s[20:21], 0
	s_waitcnt vmcnt(0)
	v_cmp_ne_u16_e32 vcc, 0, v2
	v_cndmask_b32_e64 v2, 0, 1, vcc
	s_branch .LBB54_454
.LBB54_453:
	s_mov_b64 s[20:21], -1
                                        ; implicit-def: $vgpr2
.LBB54_454:
	s_branch .LBB54_261
.LBB54_455:
	s_cmp_lt_i32 s26, 5
	s_cbranch_scc1 .LBB54_460
; %bb.456:
	s_cmp_lt_i32 s26, 8
	s_cbranch_scc1 .LBB54_461
; %bb.457:
	;; [unrolled: 3-line block ×3, first 2 shown]
	s_cmp_gt_i32 s26, 9
	s_cbranch_scc0 .LBB54_463
; %bb.459:
	global_load_dwordx2 v[2:3], v[0:1], off
	s_mov_b64 s[0:1], 0
	s_waitcnt vmcnt(0)
	v_cvt_i32_f64_e32 v2, v[2:3]
	s_branch .LBB54_464
.LBB54_460:
	s_mov_b64 s[0:1], -1
                                        ; implicit-def: $vgpr2
	s_branch .LBB54_482
.LBB54_461:
	s_mov_b64 s[0:1], -1
                                        ; implicit-def: $vgpr2
	s_branch .LBB54_470
.LBB54_462:
	s_mov_b64 s[0:1], -1
                                        ; implicit-def: $vgpr2
	s_branch .LBB54_467
.LBB54_463:
	s_mov_b64 s[0:1], -1
                                        ; implicit-def: $vgpr2
.LBB54_464:
	s_andn2_b64 vcc, exec, s[0:1]
	s_cbranch_vccnz .LBB54_466
; %bb.465:
	global_load_dword v2, v[0:1], off
	s_waitcnt vmcnt(0)
	v_cvt_i32_f32_e32 v2, v2
.LBB54_466:
	s_mov_b64 s[0:1], 0
.LBB54_467:
	s_andn2_b64 vcc, exec, s[0:1]
	s_cbranch_vccnz .LBB54_469
; %bb.468:
	global_load_dword v2, v[0:1], off
	s_waitcnt vmcnt(0)
	v_cvt_f32_f16_e32 v2, v2
	v_cvt_i32_f32_e32 v2, v2
.LBB54_469:
	s_mov_b64 s[0:1], 0
.LBB54_470:
	s_andn2_b64 vcc, exec, s[0:1]
	s_cbranch_vccnz .LBB54_481
; %bb.471:
	s_cmp_lt_i32 s26, 6
	s_cbranch_scc1 .LBB54_474
; %bb.472:
	s_cmp_gt_i32 s26, 6
	s_cbranch_scc0 .LBB54_475
; %bb.473:
	global_load_dwordx2 v[2:3], v[0:1], off
	s_mov_b64 s[0:1], 0
	s_waitcnt vmcnt(0)
	v_cvt_i32_f64_e32 v2, v[2:3]
	s_branch .LBB54_476
.LBB54_474:
	s_mov_b64 s[0:1], -1
                                        ; implicit-def: $vgpr2
	s_branch .LBB54_479
.LBB54_475:
	s_mov_b64 s[0:1], -1
                                        ; implicit-def: $vgpr2
.LBB54_476:
	s_andn2_b64 vcc, exec, s[0:1]
	s_cbranch_vccnz .LBB54_478
; %bb.477:
	global_load_dword v2, v[0:1], off
	s_waitcnt vmcnt(0)
	v_cvt_i32_f32_e32 v2, v2
.LBB54_478:
	s_mov_b64 s[0:1], 0
.LBB54_479:
	s_andn2_b64 vcc, exec, s[0:1]
	s_cbranch_vccnz .LBB54_481
; %bb.480:
	global_load_ushort v2, v[0:1], off
	s_waitcnt vmcnt(0)
	v_cvt_f32_f16_e32 v2, v2
	v_cvt_i32_f32_e32 v2, v2
.LBB54_481:
	s_mov_b64 s[0:1], 0
.LBB54_482:
	s_andn2_b64 vcc, exec, s[0:1]
	s_cbranch_vccnz .LBB54_502
; %bb.483:
	s_cmp_lt_i32 s26, 2
	s_cbranch_scc1 .LBB54_487
; %bb.484:
	s_cmp_lt_i32 s26, 3
	s_cbranch_scc1 .LBB54_488
; %bb.485:
	s_cmp_gt_i32 s26, 3
	s_cbranch_scc0 .LBB54_489
; %bb.486:
	global_load_dword v2, v[0:1], off
	s_mov_b64 s[0:1], 0
	s_branch .LBB54_490
.LBB54_487:
	s_mov_b64 s[0:1], -1
                                        ; implicit-def: $vgpr2
	s_branch .LBB54_496
.LBB54_488:
	s_mov_b64 s[0:1], -1
                                        ; implicit-def: $vgpr2
	s_branch .LBB54_493
.LBB54_489:
	s_mov_b64 s[0:1], -1
                                        ; implicit-def: $vgpr2
.LBB54_490:
	s_andn2_b64 vcc, exec, s[0:1]
	s_cbranch_vccnz .LBB54_492
; %bb.491:
	global_load_dword v2, v[0:1], off
.LBB54_492:
	s_mov_b64 s[0:1], 0
.LBB54_493:
	s_andn2_b64 vcc, exec, s[0:1]
	s_cbranch_vccnz .LBB54_495
; %bb.494:
	global_load_sshort v2, v[0:1], off
.LBB54_495:
	s_mov_b64 s[0:1], 0
.LBB54_496:
	s_andn2_b64 vcc, exec, s[0:1]
	s_cbranch_vccnz .LBB54_502
; %bb.497:
	s_cmp_gt_i32 s26, 0
	s_cbranch_scc0 .LBB54_499
; %bb.498:
	global_load_sbyte v2, v[0:1], off
	s_mov_b64 s[0:1], 0
	s_branch .LBB54_500
.LBB54_499:
	s_mov_b64 s[0:1], -1
                                        ; implicit-def: $vgpr2
.LBB54_500:
	s_andn2_b64 vcc, exec, s[0:1]
	s_cbranch_vccnz .LBB54_502
; %bb.501:
	global_load_ubyte v2, v[0:1], off
.LBB54_502:
	s_branch .LBB54_262
.LBB54_503:
	s_mov_b64 s[26:27], 0
                                        ; implicit-def: $vgpr4
	s_mov_b64 s[0:1], s[14:15]
.LBB54_504:
	s_andn2_b64 s[22:23], s[14:15], exec
	s_and_b64 s[0:1], s[0:1], exec
	s_or_b64 s[22:23], s[22:23], s[0:1]
	s_andn2_b64 s[0:1], s[16:17], exec
	s_and_b64 s[20:21], s[20:21], exec
	s_or_b64 s[20:21], s[0:1], s[20:21]
	s_orn2_b64 s[0:1], s[26:27], exec
.LBB54_505:
	s_or_b64 exec, exec, s[24:25]
	s_mov_b64 s[26:27], 0
	s_mov_b64 s[28:29], 0
	;; [unrolled: 1-line block ×3, first 2 shown]
                                        ; implicit-def: $vgpr0_vgpr1
                                        ; implicit-def: $vgpr5
	s_and_saveexec_b64 s[24:25], s[0:1]
	s_cbranch_execz .LBB54_842
; %bb.506:
	v_cmp_gt_i32_e32 vcc, s40, v4
	s_mov_b64 s[36:37], -1
	s_mov_b64 s[0:1], s[20:21]
	s_mov_b64 s[30:31], s[22:23]
	s_and_saveexec_b64 s[26:27], vcc
	s_cbranch_execz .LBB54_760
; %bb.507:
	v_mul_lo_u32 v0, v4, s13
	v_mov_b32_e32 v1, s11
	s_and_b32 s34, 0xffff, s33
	s_cmp_lt_i32 s34, 11
	s_waitcnt vmcnt(0)
	v_ashrrev_i32_e32 v2, 31, v0
	v_add_co_u32_e32 v0, vcc, s10, v0
	v_addc_co_u32_e32 v1, vcc, v1, v2, vcc
	s_cbranch_scc1 .LBB54_514
; %bb.508:
	s_cmp_gt_i32 s34, 25
	s_cbranch_scc0 .LBB54_515
; %bb.509:
	s_cmp_gt_i32 s34, 28
	s_cbranch_scc0 .LBB54_516
; %bb.510:
	s_cmp_gt_i32 s34, 43
	s_cbranch_scc0 .LBB54_517
; %bb.511:
	s_cmp_gt_i32 s34, 45
	s_cbranch_scc0 .LBB54_520
; %bb.512:
	s_cmp_eq_u32 s34, 46
	s_mov_b64 s[30:31], 0
	s_cbranch_scc0 .LBB54_523
; %bb.513:
	global_load_dword v2, v[0:1], off
	s_mov_b64 s[0:1], -1
	s_waitcnt vmcnt(0)
	v_lshlrev_b32_e32 v2, 16, v2
	v_cvt_i32_f32_e32 v2, v2
	s_branch .LBB54_524
.LBB54_514:
	s_mov_b64 s[30:31], -1
	s_mov_b64 s[0:1], 0
                                        ; implicit-def: $vgpr2
	s_mov_b64 s[28:29], s[20:21]
	s_branch .LBB54_585
.LBB54_515:
	s_mov_b64 s[30:31], -1
	s_mov_b64 s[0:1], 0
	s_mov_b64 s[28:29], s[20:21]
                                        ; implicit-def: $vgpr2
	s_branch .LBB54_551
.LBB54_516:
	s_mov_b64 s[30:31], -1
	s_mov_b64 s[0:1], 0
	s_mov_b64 s[28:29], s[20:21]
                                        ; implicit-def: $vgpr2
	s_branch .LBB54_534
.LBB54_517:
	s_mov_b64 s[30:31], -1
	s_mov_b64 s[0:1], 0
	s_mov_b64 s[28:29], s[20:21]
                                        ; implicit-def: $vgpr2
	s_branch .LBB54_529
.LBB54_518:
	s_andn2_saveexec_b64 s[28:29], s[28:29]
	s_cbranch_execz .LBB54_307
.LBB54_519:
	s_mov_b32 s34, 0x46000000
	v_add_f32_e64 v5, |v1|, s34
	v_and_b32_e32 v5, 0xff, v5
	v_cmp_ne_u32_e32 vcc, 0, v5
	s_andn2_b64 s[26:27], s[26:27], exec
	s_and_b64 s[34:35], vcc, exec
	s_or_b64 s[26:27], s[26:27], s[34:35]
	s_or_b64 exec, exec, s[28:29]
	v_mov_b32_e32 v6, 0
	s_and_saveexec_b64 s[28:29], s[26:27]
	s_cbranch_execnz .LBB54_308
	s_branch .LBB54_309
.LBB54_520:
	s_mov_b64 s[30:31], -1
	s_mov_b64 s[0:1], 0
	s_mov_b64 s[28:29], s[20:21]
                                        ; implicit-def: $vgpr2
	s_branch .LBB54_524
.LBB54_521:
	s_andn2_saveexec_b64 s[28:29], s[28:29]
	s_cbranch_execz .LBB54_320
.LBB54_522:
	s_mov_b32 s34, 0x42800000
	v_add_f32_e64 v5, |v1|, s34
	v_and_b32_e32 v5, 0xff, v5
	v_cmp_ne_u32_e32 vcc, 0, v5
	s_andn2_b64 s[26:27], s[26:27], exec
	s_and_b64 s[34:35], vcc, exec
	s_or_b64 s[26:27], s[26:27], s[34:35]
	s_or_b64 exec, exec, s[28:29]
	v_mov_b32_e32 v6, 0
	s_and_saveexec_b64 s[28:29], s[26:27]
	s_cbranch_execnz .LBB54_321
	s_branch .LBB54_322
.LBB54_523:
	s_mov_b64 s[28:29], -1
                                        ; implicit-def: $vgpr2
	s_mov_b64 s[0:1], 0
.LBB54_524:
	s_and_b64 vcc, exec, s[30:31]
	s_cbranch_vccz .LBB54_528
; %bb.525:
	s_cmp_eq_u32 s34, 44
	s_cbranch_scc0 .LBB54_527
; %bb.526:
	global_load_ubyte v2, v[0:1], off
	s_mov_b64 s[0:1], -1
	s_mov_b64 s[28:29], 0
	s_waitcnt vmcnt(0)
	v_lshlrev_b32_e32 v3, 23, v2
	v_cvt_i32_f32_e32 v3, v3
	v_cmp_ne_u32_e32 vcc, 0, v2
	v_cndmask_b32_e32 v2, 0, v3, vcc
	s_branch .LBB54_528
.LBB54_527:
	s_mov_b64 s[28:29], -1
                                        ; implicit-def: $vgpr2
.LBB54_528:
	s_mov_b64 s[30:31], 0
.LBB54_529:
	s_and_b64 vcc, exec, s[30:31]
	s_cbranch_vccz .LBB54_533
; %bb.530:
	s_cmp_eq_u32 s34, 29
	s_cbranch_scc0 .LBB54_532
; %bb.531:
	global_load_dword v2, v[0:1], off
	s_mov_b64 s[0:1], -1
	s_mov_b64 s[28:29], 0
	s_branch .LBB54_533
.LBB54_532:
	s_mov_b64 s[28:29], -1
                                        ; implicit-def: $vgpr2
.LBB54_533:
	s_mov_b64 s[30:31], 0
.LBB54_534:
	s_and_b64 vcc, exec, s[30:31]
	s_cbranch_vccz .LBB54_550
; %bb.535:
	s_cmp_lt_i32 s34, 27
	s_cbranch_scc1 .LBB54_538
; %bb.536:
	s_cmp_gt_i32 s34, 27
	s_cbranch_scc0 .LBB54_539
; %bb.537:
	global_load_dword v2, v[0:1], off
	s_mov_b64 s[0:1], 0
	s_branch .LBB54_540
.LBB54_538:
	s_mov_b64 s[0:1], -1
                                        ; implicit-def: $vgpr2
	s_branch .LBB54_543
.LBB54_539:
	s_mov_b64 s[0:1], -1
                                        ; implicit-def: $vgpr2
.LBB54_540:
	s_andn2_b64 vcc, exec, s[0:1]
	s_cbranch_vccnz .LBB54_542
; %bb.541:
	global_load_ushort v2, v[0:1], off
.LBB54_542:
	s_mov_b64 s[0:1], 0
.LBB54_543:
	s_andn2_b64 vcc, exec, s[0:1]
	s_cbranch_vccnz .LBB54_549
; %bb.544:
	global_load_ubyte v3, v[0:1], off
	s_movk_i32 s0, 0x7f
	s_mov_b64 s[30:31], 0
	s_waitcnt vmcnt(0)
	v_cmp_lt_i16_e32 vcc, s0, v3
	s_and_saveexec_b64 s[0:1], vcc
	s_xor_b64 s[0:1], exec, s[0:1]
	s_cbranch_execz .LBB54_561
; %bb.545:
	s_movk_i32 s30, 0x80
	v_cmp_ne_u16_e32 vcc, s30, v3
	s_and_b64 s[30:31], vcc, exec
	s_andn2_saveexec_b64 s[0:1], s[0:1]
	s_cbranch_execnz .LBB54_562
.LBB54_546:
	s_or_b64 exec, exec, s[0:1]
	v_mov_b32_e32 v2, 0
	s_and_saveexec_b64 s[0:1], s[30:31]
	s_cbranch_execz .LBB54_548
.LBB54_547:
	v_lshlrev_b32_e32 v2, 24, v3
	v_and_b32_e32 v3, 0xffff, v3
	v_and_b32_e32 v5, 7, v3
	v_ffbh_u32_e32 v7, v5
	v_min_u32_e32 v7, 32, v7
	v_subrev_u32_e32 v8, 28, v7
	v_bfe_u32 v6, v3, 3, 4
	v_lshlrev_b32_e32 v3, v8, v3
	v_sub_u32_e32 v7, 29, v7
	v_and_b32_e32 v3, 7, v3
	v_cmp_eq_u32_e32 vcc, 0, v6
	v_cndmask_b32_e32 v6, v6, v7, vcc
	v_cndmask_b32_e32 v3, v5, v3, vcc
	v_mov_b32_e32 v5, 0x3b800000
	v_lshlrev_b32_e32 v3, 20, v3
	v_and_b32_e32 v2, 0x80000000, v2
	v_lshl_add_u32 v5, v6, 23, v5
	v_or3_b32 v2, v2, v5, v3
	v_cvt_i32_f32_e32 v2, v2
.LBB54_548:
	s_or_b64 exec, exec, s[0:1]
.LBB54_549:
	s_mov_b64 s[0:1], -1
.LBB54_550:
	s_mov_b64 s[30:31], 0
.LBB54_551:
	s_and_b64 vcc, exec, s[30:31]
	s_cbranch_vccz .LBB54_584
; %bb.552:
	s_cmp_gt_i32 s34, 22
	s_cbranch_scc0 .LBB54_560
; %bb.553:
	s_cmp_lt_i32 s34, 24
	s_cbranch_scc1 .LBB54_563
; %bb.554:
	s_cmp_gt_i32 s34, 24
	s_cbranch_scc0 .LBB54_564
; %bb.555:
	global_load_ubyte v3, v[0:1], off
	s_movk_i32 s0, 0x7f
	s_mov_b64 s[30:31], 0
	s_waitcnt vmcnt(0)
	v_cmp_lt_i16_e32 vcc, s0, v3
	s_and_saveexec_b64 s[0:1], vcc
	s_xor_b64 s[0:1], exec, s[0:1]
	s_cbranch_execz .LBB54_576
; %bb.556:
	s_movk_i32 s30, 0x80
	v_cmp_ne_u16_e32 vcc, s30, v3
	s_and_b64 s[30:31], vcc, exec
	s_andn2_saveexec_b64 s[0:1], s[0:1]
	s_cbranch_execnz .LBB54_577
.LBB54_557:
	s_or_b64 exec, exec, s[0:1]
	v_mov_b32_e32 v2, 0
	s_and_saveexec_b64 s[0:1], s[30:31]
	s_cbranch_execz .LBB54_559
.LBB54_558:
	v_lshlrev_b32_e32 v2, 24, v3
	v_and_b32_e32 v3, 0xffff, v3
	v_and_b32_e32 v5, 3, v3
	v_ffbh_u32_e32 v7, v5
	v_min_u32_e32 v7, 32, v7
	v_subrev_u32_e32 v8, 29, v7
	v_bfe_u32 v6, v3, 2, 5
	v_lshlrev_b32_e32 v3, v8, v3
	v_sub_u32_e32 v7, 30, v7
	v_and_b32_e32 v3, 3, v3
	v_cmp_eq_u32_e32 vcc, 0, v6
	v_cndmask_b32_e32 v6, v6, v7, vcc
	v_cndmask_b32_e32 v3, v5, v3, vcc
	v_mov_b32_e32 v5, 0x37800000
	v_lshlrev_b32_e32 v3, 21, v3
	v_and_b32_e32 v2, 0x80000000, v2
	v_lshl_add_u32 v5, v6, 23, v5
	v_or3_b32 v2, v2, v5, v3
	v_cvt_i32_f32_e32 v2, v2
.LBB54_559:
	s_or_b64 exec, exec, s[0:1]
	s_mov_b64 s[0:1], 0
	s_branch .LBB54_565
.LBB54_560:
	s_mov_b64 s[30:31], -1
                                        ; implicit-def: $vgpr2
	s_branch .LBB54_571
.LBB54_561:
	s_andn2_saveexec_b64 s[0:1], s[0:1]
	s_cbranch_execz .LBB54_546
.LBB54_562:
	v_cmp_ne_u16_e32 vcc, 0, v3
	s_andn2_b64 s[30:31], s[30:31], exec
	s_and_b64 s[36:37], vcc, exec
	s_or_b64 s[30:31], s[30:31], s[36:37]
	s_or_b64 exec, exec, s[0:1]
	v_mov_b32_e32 v2, 0
	s_and_saveexec_b64 s[0:1], s[30:31]
	s_cbranch_execnz .LBB54_547
	s_branch .LBB54_548
.LBB54_563:
	s_mov_b64 s[0:1], -1
                                        ; implicit-def: $vgpr2
	s_branch .LBB54_568
.LBB54_564:
	s_mov_b64 s[0:1], -1
                                        ; implicit-def: $vgpr2
.LBB54_565:
	s_and_b64 vcc, exec, s[0:1]
	s_cbranch_vccz .LBB54_567
; %bb.566:
	global_load_ubyte v2, v[0:1], off
	s_mov_b32 s0, 0x7f800000
	s_waitcnt vmcnt(0)
	v_lshlrev_b32_e32 v2, 24, v2
	v_and_b32_e32 v3, 0x7f000000, v2
	v_ffbh_u32_e32 v5, v3
	v_min_u32_e32 v5, 32, v5
	v_sub_u32_e64 v5, v5, 4 clamp
	v_lshlrev_b32_e32 v7, v5, v3
	v_lshlrev_b32_e32 v5, 23, v5
	v_lshrrev_b32_e32 v7, 4, v7
	v_add_u32_e32 v6, 0x1000000, v3
	v_sub_u32_e32 v5, v7, v5
	v_ashrrev_i32_e32 v6, 8, v6
	v_add_u32_e32 v5, 0x3c000000, v5
	v_and_or_b32 v5, v6, s0, v5
	v_cmp_ne_u32_e32 vcc, 0, v3
	v_cndmask_b32_e32 v3, 0, v5, vcc
	s_brev_b32 s0, 1
	v_and_or_b32 v2, v2, s0, v3
	v_cvt_i32_f32_e32 v2, v2
.LBB54_567:
	s_mov_b64 s[0:1], 0
.LBB54_568:
	s_andn2_b64 vcc, exec, s[0:1]
	s_cbranch_vccnz .LBB54_570
; %bb.569:
	global_load_ubyte v2, v[0:1], off
	s_movk_i32 s0, 0x7f00
	s_brev_b32 s1, 16
	s_waitcnt vmcnt(0)
	v_lshlrev_b16_e32 v3, 8, v2
	v_lshlrev_b32_e32 v2, 25, v2
	v_lshrrev_b32_e32 v5, 4, v2
	v_and_or_b32 v6, v3, s0, 0.5
	v_or_b32_e32 v5, 0x70000000, v5
	v_add_f32_e32 v6, -0.5, v6
	v_mul_f32_e32 v5, 0x7800000, v5
	v_cmp_gt_u32_e32 vcc, s1, v2
	v_bfe_i32 v3, v3, 0, 16
	v_cndmask_b32_e32 v2, v5, v6, vcc
	s_brev_b32 s0, 1
	v_and_or_b32 v2, v3, s0, v2
	v_cvt_i32_f32_e32 v2, v2
.LBB54_570:
	s_mov_b64 s[30:31], 0
	s_mov_b64 s[0:1], -1
.LBB54_571:
	s_andn2_b64 vcc, exec, s[30:31]
	s_cbranch_vccnz .LBB54_584
; %bb.572:
	s_cmp_gt_i32 s34, 14
	s_cbranch_scc0 .LBB54_575
; %bb.573:
	s_cmp_eq_u32 s34, 15
	s_cbranch_scc0 .LBB54_578
; %bb.574:
	global_load_ushort v2, v[0:1], off
	s_mov_b64 s[0:1], -1
	s_mov_b64 s[28:29], 0
	s_waitcnt vmcnt(0)
	v_lshlrev_b32_e32 v2, 16, v2
	v_cvt_i32_f32_e32 v2, v2
	s_branch .LBB54_579
.LBB54_575:
	s_mov_b64 s[30:31], -1
                                        ; implicit-def: $vgpr2
	s_branch .LBB54_580
.LBB54_576:
	s_andn2_saveexec_b64 s[0:1], s[0:1]
	s_cbranch_execz .LBB54_557
.LBB54_577:
	v_cmp_ne_u16_e32 vcc, 0, v3
	s_andn2_b64 s[30:31], s[30:31], exec
	s_and_b64 s[36:37], vcc, exec
	s_or_b64 s[30:31], s[30:31], s[36:37]
	s_or_b64 exec, exec, s[0:1]
	v_mov_b32_e32 v2, 0
	s_and_saveexec_b64 s[0:1], s[30:31]
	s_cbranch_execnz .LBB54_558
	s_branch .LBB54_559
.LBB54_578:
	s_mov_b64 s[28:29], -1
                                        ; implicit-def: $vgpr2
.LBB54_579:
	s_mov_b64 s[30:31], 0
.LBB54_580:
	s_and_b64 vcc, exec, s[30:31]
	s_cbranch_vccz .LBB54_584
; %bb.581:
	s_cmp_eq_u32 s34, 11
	s_cbranch_scc0 .LBB54_583
; %bb.582:
	global_load_ubyte v2, v[0:1], off
	s_mov_b64 s[0:1], -1
	s_mov_b64 s[28:29], 0
	s_waitcnt vmcnt(0)
	v_cmp_ne_u16_e32 vcc, 0, v2
	v_cndmask_b32_e64 v2, 0, 1, vcc
	s_branch .LBB54_584
.LBB54_583:
	s_mov_b64 s[28:29], -1
                                        ; implicit-def: $vgpr2
.LBB54_584:
	s_mov_b64 s[30:31], 0
.LBB54_585:
	s_and_b64 vcc, exec, s[30:31]
	s_cbranch_vccz .LBB54_634
; %bb.586:
	s_cmp_lt_i32 s34, 5
	s_cbranch_scc1 .LBB54_591
; %bb.587:
	s_cmp_lt_i32 s34, 8
	s_cbranch_scc1 .LBB54_592
; %bb.588:
	s_cmp_lt_i32 s34, 9
	s_cbranch_scc1 .LBB54_593
; %bb.589:
	s_cmp_gt_i32 s34, 9
	s_cbranch_scc0 .LBB54_594
; %bb.590:
	global_load_dwordx2 v[2:3], v[0:1], off
	s_mov_b64 s[0:1], 0
	s_waitcnt vmcnt(0)
	v_cvt_i32_f64_e32 v2, v[2:3]
	s_branch .LBB54_595
.LBB54_591:
	s_mov_b64 s[0:1], -1
                                        ; implicit-def: $vgpr2
	s_branch .LBB54_613
.LBB54_592:
	s_mov_b64 s[0:1], -1
                                        ; implicit-def: $vgpr2
	s_branch .LBB54_601
.LBB54_593:
	s_mov_b64 s[0:1], -1
                                        ; implicit-def: $vgpr2
	s_branch .LBB54_598
.LBB54_594:
	s_mov_b64 s[0:1], -1
                                        ; implicit-def: $vgpr2
.LBB54_595:
	s_andn2_b64 vcc, exec, s[0:1]
	s_cbranch_vccnz .LBB54_597
; %bb.596:
	global_load_dword v2, v[0:1], off
	s_waitcnt vmcnt(0)
	v_cvt_i32_f32_e32 v2, v2
.LBB54_597:
	s_mov_b64 s[0:1], 0
.LBB54_598:
	s_andn2_b64 vcc, exec, s[0:1]
	s_cbranch_vccnz .LBB54_600
; %bb.599:
	global_load_dword v2, v[0:1], off
	s_waitcnt vmcnt(0)
	v_cvt_f32_f16_e32 v2, v2
	v_cvt_i32_f32_e32 v2, v2
.LBB54_600:
	s_mov_b64 s[0:1], 0
.LBB54_601:
	s_andn2_b64 vcc, exec, s[0:1]
	s_cbranch_vccnz .LBB54_612
; %bb.602:
	s_cmp_lt_i32 s34, 6
	s_cbranch_scc1 .LBB54_605
; %bb.603:
	s_cmp_gt_i32 s34, 6
	s_cbranch_scc0 .LBB54_606
; %bb.604:
	global_load_dwordx2 v[2:3], v[0:1], off
	s_mov_b64 s[0:1], 0
	s_waitcnt vmcnt(0)
	v_cvt_i32_f64_e32 v2, v[2:3]
	s_branch .LBB54_607
.LBB54_605:
	s_mov_b64 s[0:1], -1
                                        ; implicit-def: $vgpr2
	s_branch .LBB54_610
.LBB54_606:
	s_mov_b64 s[0:1], -1
                                        ; implicit-def: $vgpr2
.LBB54_607:
	s_andn2_b64 vcc, exec, s[0:1]
	s_cbranch_vccnz .LBB54_609
; %bb.608:
	global_load_dword v2, v[0:1], off
	s_waitcnt vmcnt(0)
	v_cvt_i32_f32_e32 v2, v2
.LBB54_609:
	s_mov_b64 s[0:1], 0
.LBB54_610:
	s_andn2_b64 vcc, exec, s[0:1]
	s_cbranch_vccnz .LBB54_612
; %bb.611:
	global_load_ushort v2, v[0:1], off
	s_waitcnt vmcnt(0)
	v_cvt_f32_f16_e32 v2, v2
	v_cvt_i32_f32_e32 v2, v2
.LBB54_612:
	s_mov_b64 s[0:1], 0
.LBB54_613:
	s_andn2_b64 vcc, exec, s[0:1]
	s_cbranch_vccnz .LBB54_633
; %bb.614:
	s_cmp_lt_i32 s34, 2
	s_cbranch_scc1 .LBB54_618
; %bb.615:
	s_cmp_lt_i32 s34, 3
	s_cbranch_scc1 .LBB54_619
; %bb.616:
	s_cmp_gt_i32 s34, 3
	s_cbranch_scc0 .LBB54_620
; %bb.617:
	global_load_dword v2, v[0:1], off
	s_mov_b64 s[0:1], 0
	s_branch .LBB54_621
.LBB54_618:
	s_mov_b64 s[0:1], -1
                                        ; implicit-def: $vgpr2
	s_branch .LBB54_627
.LBB54_619:
	s_mov_b64 s[0:1], -1
                                        ; implicit-def: $vgpr2
	s_branch .LBB54_624
.LBB54_620:
	s_mov_b64 s[0:1], -1
                                        ; implicit-def: $vgpr2
.LBB54_621:
	s_andn2_b64 vcc, exec, s[0:1]
	s_cbranch_vccnz .LBB54_623
; %bb.622:
	global_load_dword v2, v[0:1], off
.LBB54_623:
	s_mov_b64 s[0:1], 0
.LBB54_624:
	s_andn2_b64 vcc, exec, s[0:1]
	s_cbranch_vccnz .LBB54_626
; %bb.625:
	global_load_sshort v2, v[0:1], off
.LBB54_626:
	s_mov_b64 s[0:1], 0
.LBB54_627:
	s_andn2_b64 vcc, exec, s[0:1]
	s_cbranch_vccnz .LBB54_633
; %bb.628:
	s_cmp_gt_i32 s34, 0
	s_cbranch_scc0 .LBB54_630
; %bb.629:
	global_load_sbyte v2, v[0:1], off
	s_mov_b64 s[0:1], 0
	s_branch .LBB54_631
.LBB54_630:
	s_mov_b64 s[0:1], -1
                                        ; implicit-def: $vgpr2
.LBB54_631:
	s_andn2_b64 vcc, exec, s[0:1]
	s_cbranch_vccnz .LBB54_633
; %bb.632:
	global_load_ubyte v2, v[0:1], off
.LBB54_633:
	s_mov_b64 s[0:1], -1
.LBB54_634:
	s_andn2_b64 vcc, exec, s[0:1]
	s_cbranch_vccnz .LBB54_642
; %bb.635:
	v_mul_lo_u32 v1, v4, s12
	s_waitcnt vmcnt(0)
	v_lshlrev_b32_e64 v0, v2, s2
	v_cmp_gt_u32_e32 vcc, 32, v2
	v_cndmask_b32_e32 v0, 0, v0, vcc
	v_ashrrev_i32_e32 v3, 31, v1
	v_mov_b32_e32 v5, s9
	s_and_b32 s38, s3, 0xff
	v_add_co_u32_e32 v2, vcc, s8, v1
	s_cmp_lt_i32 s38, 11
	v_addc_co_u32_e32 v3, vcc, v5, v3, vcc
	s_cbranch_scc1 .LBB54_643
; %bb.636:
	s_and_b32 s39, 0xffff, s38
	s_cmp_gt_i32 s39, 25
	s_cbranch_scc0 .LBB54_644
; %bb.637:
	s_cmp_gt_i32 s39, 28
	s_cbranch_scc0 .LBB54_645
; %bb.638:
	;; [unrolled: 3-line block ×4, first 2 shown]
	s_mov_b64 s[34:35], 0
	s_mov_b64 s[0:1], -1
	s_cmp_eq_u32 s39, 46
	s_mov_b64 s[30:31], 0
	s_cbranch_scc0 .LBB54_648
; %bb.641:
	v_cvt_f32_i32_e32 v1, v0
	s_movk_i32 s0, 0x7fff
	s_mov_b64 s[30:31], -1
	v_bfe_u32 v5, v1, 16, 1
	v_add3_u32 v1, v1, v5, s0
	v_lshrrev_b32_e32 v1, 16, v1
	global_store_dword v[2:3], v1, off
	s_mov_b64 s[0:1], 0
	s_branch .LBB54_648
.LBB54_642:
	s_mov_b64 s[34:35], 0
                                        ; implicit-def: $vgpr4
	s_mov_b64 s[0:1], s[22:23]
	s_branch .LBB54_759
.LBB54_643:
	s_mov_b64 s[34:35], -1
	s_mov_b64 s[30:31], 0
	s_mov_b64 s[0:1], s[22:23]
	s_branch .LBB54_717
.LBB54_644:
	s_mov_b64 s[34:35], -1
	s_mov_b64 s[30:31], 0
	s_mov_b64 s[0:1], s[22:23]
	s_branch .LBB54_675
.LBB54_645:
	s_mov_b64 s[34:35], -1
	s_mov_b64 s[30:31], 0
	s_mov_b64 s[0:1], s[22:23]
	s_branch .LBB54_658
.LBB54_646:
	s_mov_b64 s[34:35], -1
	s_mov_b64 s[30:31], 0
	s_mov_b64 s[0:1], s[22:23]
	s_branch .LBB54_654
.LBB54_647:
	s_mov_b64 s[34:35], -1
	s_mov_b64 s[30:31], 0
	s_mov_b64 s[0:1], s[22:23]
.LBB54_648:
	s_and_b64 vcc, exec, s[34:35]
	s_cbranch_vccz .LBB54_653
; %bb.649:
	s_cmp_eq_u32 s39, 44
	s_mov_b64 s[0:1], -1
	s_cbranch_scc0 .LBB54_653
; %bb.650:
	v_cvt_f32_i32_e32 v1, v0
	s_movk_i32 s0, 0xff
	v_mov_b32_e32 v6, 0xff
	v_bfe_u32 v5, v1, 23, 8
	v_cmp_ne_u32_e32 vcc, s0, v5
	s_and_saveexec_b64 s[30:31], vcc
; %bb.651:
	s_mov_b32 s0, 0x3fffff
	v_lshrrev_b32_e32 v6, 23, v1
	v_and_b32_e32 v7, 0x400000, v1
	v_and_or_b32 v1, v1, s0, v5
	v_cmp_ne_u32_e32 vcc, 0, v7
	v_cmp_ne_u32_e64 s[0:1], 0, v1
	s_and_b64 s[0:1], vcc, s[0:1]
	v_cndmask_b32_e64 v1, 0, 1, s[0:1]
	v_add_u32_e32 v6, v6, v1
; %bb.652:
	s_or_b64 exec, exec, s[30:31]
	s_mov_b64 s[30:31], -1
	s_mov_b64 s[0:1], 0
	global_store_byte v[2:3], v6, off
.LBB54_653:
	s_mov_b64 s[34:35], 0
.LBB54_654:
	s_and_b64 vcc, exec, s[34:35]
	s_cbranch_vccz .LBB54_657
; %bb.655:
	s_cmp_eq_u32 s39, 29
	s_mov_b64 s[0:1], -1
	s_cbranch_scc0 .LBB54_657
; %bb.656:
	v_ashrrev_i32_e32 v1, 31, v0
	global_store_dwordx2 v[2:3], v[0:1], off
	s_mov_b64 s[30:31], -1
	s_mov_b64 s[0:1], 0
.LBB54_657:
	s_mov_b64 s[34:35], 0
.LBB54_658:
	s_and_b64 vcc, exec, s[34:35]
	s_cbranch_vccz .LBB54_674
; %bb.659:
	s_cmp_lt_i32 s39, 27
	s_mov_b64 s[30:31], -1
	s_cbranch_scc1 .LBB54_665
; %bb.660:
	s_cmp_gt_i32 s39, 27
	s_cbranch_scc0 .LBB54_662
; %bb.661:
	s_mov_b64 s[30:31], 0
	global_store_dword v[2:3], v0, off
.LBB54_662:
	s_andn2_b64 vcc, exec, s[30:31]
	s_cbranch_vccnz .LBB54_664
; %bb.663:
	global_store_short v[2:3], v0, off
.LBB54_664:
	s_mov_b64 s[30:31], 0
.LBB54_665:
	s_andn2_b64 vcc, exec, s[30:31]
	s_cbranch_vccnz .LBB54_673
; %bb.666:
	v_cvt_f32_i32_e32 v1, v0
	s_mov_b32 s30, 0x43800000
	v_mov_b32_e32 v6, 0x80
	v_and_b32_e32 v5, 0x7fffffff, v1
	v_cmp_gt_u32_e32 vcc, s30, v5
	s_and_saveexec_b64 s[30:31], vcc
	s_cbranch_execz .LBB54_672
; %bb.667:
	s_mov_b32 s34, 0x3bffffff
	v_cmp_lt_u32_e32 vcc, s34, v5
	s_mov_b64 s[34:35], 0
                                        ; implicit-def: $vgpr5
	s_and_saveexec_b64 s[36:37], vcc
	s_xor_b64 s[36:37], exec, s[36:37]
	s_cbranch_execz .LBB54_773
; %bb.668:
	v_bfe_u32 v5, v1, 20, 1
	s_mov_b32 s41, 0x487ffff
	v_add3_u32 v5, v1, v5, s41
	s_mov_b64 s[34:35], exec
	v_lshrrev_b32_e32 v5, 20, v5
	s_andn2_saveexec_b64 s[36:37], s[36:37]
	s_cbranch_execnz .LBB54_774
.LBB54_669:
	s_or_b64 exec, exec, s[36:37]
	v_mov_b32_e32 v6, 0
	s_and_saveexec_b64 s[36:37], s[34:35]
.LBB54_670:
	v_lshrrev_b32_e32 v1, 24, v1
	s_movk_i32 s34, 0x80
	v_and_or_b32 v6, v1, s34, v5
.LBB54_671:
	s_or_b64 exec, exec, s[36:37]
.LBB54_672:
	s_or_b64 exec, exec, s[30:31]
	global_store_byte v[2:3], v6, off
.LBB54_673:
	s_mov_b64 s[30:31], -1
.LBB54_674:
	s_mov_b64 s[34:35], 0
.LBB54_675:
	s_and_b64 vcc, exec, s[34:35]
	s_cbranch_vccz .LBB54_716
; %bb.676:
	s_cmp_gt_i32 s39, 22
	s_mov_b64 s[34:35], -1
	s_cbranch_scc0 .LBB54_708
; %bb.677:
	s_cmp_lt_i32 s39, 24
	s_mov_b64 s[30:31], -1
	s_cbranch_scc1 .LBB54_697
; %bb.678:
	s_cmp_gt_i32 s39, 24
	s_cbranch_scc0 .LBB54_686
; %bb.679:
	v_cvt_f32_i32_e32 v1, v0
	s_mov_b32 s30, 0x47800000
	v_mov_b32_e32 v6, 0x80
	v_and_b32_e32 v5, 0x7fffffff, v1
	v_cmp_gt_u32_e32 vcc, s30, v5
	s_and_saveexec_b64 s[30:31], vcc
	s_cbranch_execz .LBB54_685
; %bb.680:
	s_mov_b32 s34, 0x37ffffff
	v_cmp_lt_u32_e32 vcc, s34, v5
	s_mov_b64 s[34:35], 0
                                        ; implicit-def: $vgpr5
	s_and_saveexec_b64 s[36:37], vcc
	s_xor_b64 s[36:37], exec, s[36:37]
	s_cbranch_execz .LBB54_776
; %bb.681:
	v_bfe_u32 v5, v1, 21, 1
	s_mov_b32 s41, 0x88fffff
	v_add3_u32 v5, v1, v5, s41
	s_mov_b64 s[34:35], exec
	v_lshrrev_b32_e32 v5, 21, v5
	s_andn2_saveexec_b64 s[36:37], s[36:37]
	s_cbranch_execnz .LBB54_777
.LBB54_682:
	s_or_b64 exec, exec, s[36:37]
	v_mov_b32_e32 v6, 0
	s_and_saveexec_b64 s[36:37], s[34:35]
.LBB54_683:
	v_lshrrev_b32_e32 v1, 24, v1
	s_movk_i32 s34, 0x80
	v_and_or_b32 v6, v1, s34, v5
.LBB54_684:
	s_or_b64 exec, exec, s[36:37]
.LBB54_685:
	s_or_b64 exec, exec, s[30:31]
	s_mov_b64 s[30:31], 0
	global_store_byte v[2:3], v6, off
.LBB54_686:
	s_and_b64 vcc, exec, s[30:31]
	s_cbranch_vccz .LBB54_696
; %bb.687:
	v_cvt_f32_i32_e32 v1, v0
	s_mov_b32 s30, 0x43f00000
                                        ; implicit-def: $vgpr5
	v_and_b32_e32 v6, 0x7fffffff, v1
	v_cmp_gt_u32_e32 vcc, s30, v6
	s_and_saveexec_b64 s[30:31], vcc
	s_xor_b64 s[30:31], exec, s[30:31]
	s_cbranch_execz .LBB54_693
; %bb.688:
	s_mov_b32 s34, 0x3c7fffff
	v_cmp_lt_u32_e32 vcc, s34, v6
                                        ; implicit-def: $vgpr5
	s_and_saveexec_b64 s[34:35], vcc
	s_xor_b64 s[34:35], exec, s[34:35]
; %bb.689:
	v_bfe_u32 v5, v1, 20, 1
	s_mov_b32 s36, 0x407ffff
	v_add3_u32 v5, v1, v5, s36
	v_lshrrev_b32_e32 v6, 20, v5
	v_and_b32_e32 v5, 0xff00000, v5
	s_mov_b32 s36, 0x7f00000
	v_mov_b32_e32 v7, 0x7e
	v_cmp_ne_u32_e32 vcc, s36, v5
	v_cndmask_b32_e32 v5, v7, v6, vcc
; %bb.690:
	s_andn2_saveexec_b64 s[34:35], s[34:35]
; %bb.691:
	s_mov_b32 s36, 0x46800000
	v_add_f32_e64 v5, |v1|, s36
; %bb.692:
	s_or_b64 exec, exec, s[34:35]
                                        ; implicit-def: $vgpr6
.LBB54_693:
	s_andn2_saveexec_b64 s[30:31], s[30:31]
; %bb.694:
	s_mov_b32 s34, 0x7f800000
	v_mov_b32_e32 v5, 0x7e
	v_mov_b32_e32 v7, 0x7f
	v_cmp_lt_u32_e32 vcc, s34, v6
	v_cndmask_b32_e32 v5, v5, v7, vcc
; %bb.695:
	s_or_b64 exec, exec, s[30:31]
	v_lshrrev_b32_e32 v1, 24, v1
	s_movk_i32 s30, 0x80
	v_and_or_b32 v1, v1, s30, v5
	global_store_byte v[2:3], v1, off
.LBB54_696:
	s_mov_b64 s[30:31], 0
.LBB54_697:
	s_andn2_b64 vcc, exec, s[30:31]
	s_cbranch_vccnz .LBB54_707
; %bb.698:
	v_cvt_f32_i32_e32 v1, v0
	s_mov_b32 s30, 0x47800000
                                        ; implicit-def: $vgpr5
	v_and_b32_e32 v6, 0x7fffffff, v1
	v_cmp_gt_u32_e32 vcc, s30, v6
	s_and_saveexec_b64 s[30:31], vcc
	s_xor_b64 s[30:31], exec, s[30:31]
	s_cbranch_execz .LBB54_704
; %bb.699:
	s_mov_b32 s34, 0x387fffff
	v_cmp_lt_u32_e32 vcc, s34, v6
                                        ; implicit-def: $vgpr5
	s_and_saveexec_b64 s[34:35], vcc
	s_xor_b64 s[34:35], exec, s[34:35]
; %bb.700:
	v_bfe_u32 v5, v1, 21, 1
	s_mov_b32 s36, 0x80fffff
	v_add3_u32 v5, v1, v5, s36
	v_lshrrev_b32_e32 v5, 21, v5
; %bb.701:
	s_andn2_saveexec_b64 s[34:35], s[34:35]
; %bb.702:
	s_mov_b32 s36, 0x43000000
	v_add_f32_e64 v5, |v1|, s36
; %bb.703:
	s_or_b64 exec, exec, s[34:35]
                                        ; implicit-def: $vgpr6
.LBB54_704:
	s_andn2_saveexec_b64 s[30:31], s[30:31]
; %bb.705:
	s_mov_b32 s34, 0x7f800000
	v_mov_b32_e32 v5, 0x7c
	v_mov_b32_e32 v7, 0x7f
	v_cmp_lt_u32_e32 vcc, s34, v6
	v_cndmask_b32_e32 v5, v5, v7, vcc
; %bb.706:
	s_or_b64 exec, exec, s[30:31]
	v_lshrrev_b32_e32 v1, 24, v1
	s_movk_i32 s30, 0x80
	v_and_or_b32 v1, v1, s30, v5
	global_store_byte v[2:3], v1, off
.LBB54_707:
	s_mov_b64 s[34:35], 0
	s_mov_b64 s[30:31], -1
.LBB54_708:
	s_andn2_b64 vcc, exec, s[34:35]
	s_cbranch_vccnz .LBB54_716
; %bb.709:
	s_cmp_gt_i32 s39, 14
	s_mov_b64 s[34:35], -1
	s_cbranch_scc0 .LBB54_713
; %bb.710:
	s_cmp_eq_u32 s39, 15
	s_mov_b64 s[0:1], -1
	s_cbranch_scc0 .LBB54_712
; %bb.711:
	v_cvt_f32_i32_e32 v1, v0
	s_movk_i32 s0, 0x7fff
	s_mov_b64 s[30:31], -1
	v_bfe_u32 v5, v1, 16, 1
	v_add3_u32 v1, v1, v5, s0
	global_store_short_d16_hi v[2:3], v1, off
	s_mov_b64 s[0:1], 0
.LBB54_712:
	s_mov_b64 s[34:35], 0
.LBB54_713:
	s_and_b64 vcc, exec, s[34:35]
	s_cbranch_vccz .LBB54_716
; %bb.714:
	s_cmp_eq_u32 s39, 11
	s_mov_b64 s[0:1], -1
	s_cbranch_scc0 .LBB54_716
; %bb.715:
	v_cmp_ne_u32_e32 vcc, 0, v0
	v_cndmask_b32_e64 v1, 0, 1, vcc
	s_mov_b64 s[30:31], -1
	s_mov_b64 s[0:1], 0
	global_store_byte v[2:3], v1, off
.LBB54_716:
	s_mov_b64 s[34:35], 0
.LBB54_717:
	s_and_b64 vcc, exec, s[34:35]
	s_cbranch_vccz .LBB54_756
; %bb.718:
	s_and_b32 s34, 0xffff, s38
	s_cmp_lt_i32 s34, 5
	s_mov_b64 s[30:31], -1
	s_cbranch_scc1 .LBB54_739
; %bb.719:
	s_cmp_lt_i32 s34, 8
	s_cbranch_scc1 .LBB54_729
; %bb.720:
	s_cmp_lt_i32 s34, 9
	s_cbranch_scc1 .LBB54_726
; %bb.721:
	s_cmp_gt_i32 s34, 9
	s_cbranch_scc0 .LBB54_723
; %bb.722:
	v_cvt_f64_i32_e32 v[5:6], v0
	v_mov_b32_e32 v7, 0
	v_mov_b32_e32 v8, v7
	s_mov_b64 s[30:31], 0
	global_store_dwordx4 v[2:3], v[5:8], off
.LBB54_723:
	s_andn2_b64 vcc, exec, s[30:31]
	s_cbranch_vccnz .LBB54_725
; %bb.724:
	v_cvt_f32_i32_e32 v5, v0
	v_mov_b32_e32 v6, 0
	global_store_dwordx2 v[2:3], v[5:6], off
.LBB54_725:
	s_mov_b64 s[30:31], 0
.LBB54_726:
	s_andn2_b64 vcc, exec, s[30:31]
	s_cbranch_vccnz .LBB54_728
; %bb.727:
	v_cvt_f32_i32_e32 v1, v0
	v_cvt_f16_f32_e32 v1, v1
	global_store_dword v[2:3], v1, off
.LBB54_728:
	s_mov_b64 s[30:31], 0
.LBB54_729:
	s_andn2_b64 vcc, exec, s[30:31]
	s_cbranch_vccnz .LBB54_738
; %bb.730:
	s_cmp_lt_i32 s34, 6
	s_mov_b64 s[30:31], -1
	s_cbranch_scc1 .LBB54_736
; %bb.731:
	s_cmp_gt_i32 s34, 6
	s_cbranch_scc0 .LBB54_733
; %bb.732:
	v_cvt_f64_i32_e32 v[5:6], v0
	s_mov_b64 s[30:31], 0
	global_store_dwordx2 v[2:3], v[5:6], off
.LBB54_733:
	s_andn2_b64 vcc, exec, s[30:31]
	s_cbranch_vccnz .LBB54_735
; %bb.734:
	v_cvt_f32_i32_e32 v1, v0
	global_store_dword v[2:3], v1, off
.LBB54_735:
	s_mov_b64 s[30:31], 0
.LBB54_736:
	s_andn2_b64 vcc, exec, s[30:31]
	s_cbranch_vccnz .LBB54_738
; %bb.737:
	v_cvt_f32_i32_e32 v1, v0
	v_cvt_f16_f32_e32 v1, v1
	global_store_short v[2:3], v1, off
.LBB54_738:
	s_mov_b64 s[30:31], 0
.LBB54_739:
	s_andn2_b64 vcc, exec, s[30:31]
	s_cbranch_vccnz .LBB54_755
; %bb.740:
	s_cmp_lt_i32 s34, 2
	s_mov_b64 s[30:31], -1
	s_cbranch_scc1 .LBB54_750
; %bb.741:
	s_cmp_lt_i32 s34, 3
	s_cbranch_scc1 .LBB54_747
; %bb.742:
	s_cmp_gt_i32 s34, 3
	s_cbranch_scc0 .LBB54_744
; %bb.743:
	v_ashrrev_i32_e32 v1, 31, v0
	s_mov_b64 s[30:31], 0
	global_store_dwordx2 v[2:3], v[0:1], off
.LBB54_744:
	s_andn2_b64 vcc, exec, s[30:31]
	s_cbranch_vccnz .LBB54_746
; %bb.745:
	global_store_dword v[2:3], v0, off
.LBB54_746:
	s_mov_b64 s[30:31], 0
.LBB54_747:
	s_andn2_b64 vcc, exec, s[30:31]
	s_cbranch_vccnz .LBB54_749
; %bb.748:
	global_store_short v[2:3], v0, off
.LBB54_749:
	s_mov_b64 s[30:31], 0
.LBB54_750:
	s_andn2_b64 vcc, exec, s[30:31]
	s_cbranch_vccnz .LBB54_755
; %bb.751:
	s_cmp_gt_i32 s34, 0
	s_mov_b64 s[30:31], -1
	s_cbranch_scc0 .LBB54_753
; %bb.752:
	s_mov_b64 s[30:31], 0
	global_store_byte v[2:3], v0, off
.LBB54_753:
	s_andn2_b64 vcc, exec, s[30:31]
	s_cbranch_vccnz .LBB54_755
; %bb.754:
	global_store_byte v[2:3], v0, off
.LBB54_755:
	s_mov_b64 s[30:31], -1
.LBB54_756:
	s_andn2_b64 vcc, exec, s[30:31]
	s_cbranch_vccnz .LBB54_758
; %bb.757:
	v_add_u32_e32 v4, 0x80, v4
	s_mov_b64 s[34:35], -1
	s_branch .LBB54_759
.LBB54_758:
	s_mov_b64 s[34:35], 0
                                        ; implicit-def: $vgpr4
.LBB54_759:
	s_andn2_b64 s[30:31], s[22:23], exec
	s_and_b64 s[0:1], s[0:1], exec
	s_or_b64 s[30:31], s[30:31], s[0:1]
	s_andn2_b64 s[0:1], s[20:21], exec
	s_and_b64 s[28:29], s[28:29], exec
	s_or_b64 s[0:1], s[0:1], s[28:29]
	s_orn2_b64 s[36:37], s[34:35], exec
.LBB54_760:
	s_or_b64 exec, exec, s[26:27]
	s_mov_b64 s[34:35], 0
	s_mov_b64 s[28:29], 0
	;; [unrolled: 1-line block ×3, first 2 shown]
                                        ; implicit-def: $vgpr0_vgpr1
                                        ; implicit-def: $vgpr5
	s_and_saveexec_b64 s[26:27], s[36:37]
	s_cbranch_execz .LBB54_841
; %bb.761:
	v_cmp_gt_i32_e32 vcc, s40, v4
	s_mov_b64 s[36:37], 0
	s_mov_b64 s[40:41], s[0:1]
	;; [unrolled: 1-line block ×3, first 2 shown]
                                        ; implicit-def: $vgpr0_vgpr1
                                        ; implicit-def: $vgpr5
	s_and_saveexec_b64 s[28:29], vcc
	s_cbranch_execz .LBB54_840
; %bb.762:
	v_mul_lo_u32 v0, v4, s13
	v_mov_b32_e32 v1, s11
	s_and_b32 s42, 0xffff, s33
	s_cmp_lt_i32 s42, 11
	s_waitcnt vmcnt(0)
	v_ashrrev_i32_e32 v2, 31, v0
	v_add_co_u32_e32 v0, vcc, s10, v0
	v_addc_co_u32_e32 v1, vcc, v1, v2, vcc
	s_cbranch_scc1 .LBB54_769
; %bb.763:
	s_cmp_gt_i32 s42, 25
	s_cbranch_scc0 .LBB54_770
; %bb.764:
	s_cmp_gt_i32 s42, 28
	s_cbranch_scc0 .LBB54_771
	;; [unrolled: 3-line block ×4, first 2 shown]
; %bb.767:
	s_cmp_eq_u32 s42, 46
	s_mov_b64 s[40:41], 0
	s_cbranch_scc0 .LBB54_778
; %bb.768:
	global_load_dword v2, v[0:1], off
	s_mov_b64 s[38:39], -1
	s_waitcnt vmcnt(0)
	v_lshlrev_b32_e32 v2, 16, v2
	v_cvt_i32_f32_e32 v5, v2
	s_branch .LBB54_780
.LBB54_769:
	s_mov_b64 s[40:41], -1
                                        ; implicit-def: $vgpr5
	s_mov_b64 s[34:35], s[0:1]
	s_branch .LBB54_839
.LBB54_770:
	s_mov_b64 s[40:41], -1
	s_mov_b64 s[34:35], s[0:1]
                                        ; implicit-def: $vgpr5
	s_branch .LBB54_807
.LBB54_771:
	s_mov_b64 s[40:41], -1
	s_mov_b64 s[34:35], s[0:1]
                                        ; implicit-def: $vgpr5
	s_branch .LBB54_790
.LBB54_772:
	s_mov_b64 s[40:41], -1
	s_mov_b64 s[34:35], s[0:1]
                                        ; implicit-def: $vgpr5
	s_branch .LBB54_785
.LBB54_773:
	s_andn2_saveexec_b64 s[36:37], s[36:37]
	s_cbranch_execz .LBB54_669
.LBB54_774:
	s_mov_b32 s41, 0x46000000
	v_add_f32_e64 v5, |v1|, s41
	v_and_b32_e32 v5, 0xff, v5
	v_cmp_ne_u32_e32 vcc, 0, v5
	s_andn2_b64 s[34:35], s[34:35], exec
	s_and_b64 s[42:43], vcc, exec
	s_or_b64 s[34:35], s[34:35], s[42:43]
	s_or_b64 exec, exec, s[36:37]
	v_mov_b32_e32 v6, 0
	s_and_saveexec_b64 s[36:37], s[34:35]
	s_cbranch_execnz .LBB54_670
	s_branch .LBB54_671
.LBB54_775:
	s_mov_b64 s[40:41], -1
	s_mov_b64 s[34:35], s[0:1]
	s_branch .LBB54_779
.LBB54_776:
	s_andn2_saveexec_b64 s[36:37], s[36:37]
	s_cbranch_execz .LBB54_682
.LBB54_777:
	s_mov_b32 s41, 0x42800000
	v_add_f32_e64 v5, |v1|, s41
	v_and_b32_e32 v5, 0xff, v5
	v_cmp_ne_u32_e32 vcc, 0, v5
	s_andn2_b64 s[34:35], s[34:35], exec
	s_and_b64 s[42:43], vcc, exec
	s_or_b64 s[34:35], s[34:35], s[42:43]
	s_or_b64 exec, exec, s[36:37]
	v_mov_b32_e32 v6, 0
	s_and_saveexec_b64 s[36:37], s[34:35]
	s_cbranch_execnz .LBB54_683
	s_branch .LBB54_684
.LBB54_778:
	s_mov_b64 s[34:35], -1
.LBB54_779:
                                        ; implicit-def: $vgpr5
.LBB54_780:
	s_and_b64 vcc, exec, s[40:41]
	s_cbranch_vccz .LBB54_784
; %bb.781:
	s_cmp_eq_u32 s42, 44
	s_cbranch_scc0 .LBB54_783
; %bb.782:
	global_load_ubyte v2, v[0:1], off
	s_mov_b64 s[34:35], 0
	s_mov_b64 s[38:39], -1
	s_waitcnt vmcnt(0)
	v_lshlrev_b32_e32 v3, 23, v2
	v_cvt_i32_f32_e32 v3, v3
	v_cmp_ne_u32_e32 vcc, 0, v2
	v_cndmask_b32_e32 v5, 0, v3, vcc
	s_branch .LBB54_784
.LBB54_783:
	s_mov_b64 s[34:35], -1
                                        ; implicit-def: $vgpr5
.LBB54_784:
	s_mov_b64 s[40:41], 0
.LBB54_785:
	s_and_b64 vcc, exec, s[40:41]
	s_cbranch_vccz .LBB54_789
; %bb.786:
	s_cmp_eq_u32 s42, 29
	s_cbranch_scc0 .LBB54_788
; %bb.787:
	global_load_dword v5, v[0:1], off
	s_mov_b64 s[34:35], 0
	s_mov_b64 s[38:39], -1
	s_branch .LBB54_789
.LBB54_788:
	s_mov_b64 s[34:35], -1
                                        ; implicit-def: $vgpr5
.LBB54_789:
	s_mov_b64 s[40:41], 0
.LBB54_790:
	s_and_b64 vcc, exec, s[40:41]
	s_cbranch_vccz .LBB54_806
; %bb.791:
	s_cmp_lt_i32 s42, 27
	s_cbranch_scc1 .LBB54_794
; %bb.792:
	s_cmp_gt_i32 s42, 27
	s_cbranch_scc0 .LBB54_795
; %bb.793:
	global_load_dword v5, v[0:1], off
	s_mov_b64 s[38:39], 0
	s_branch .LBB54_796
.LBB54_794:
	s_mov_b64 s[38:39], -1
                                        ; implicit-def: $vgpr5
	s_branch .LBB54_799
.LBB54_795:
	s_mov_b64 s[38:39], -1
                                        ; implicit-def: $vgpr5
.LBB54_796:
	s_andn2_b64 vcc, exec, s[38:39]
	s_cbranch_vccnz .LBB54_798
; %bb.797:
	global_load_ushort v5, v[0:1], off
.LBB54_798:
	s_mov_b64 s[38:39], 0
.LBB54_799:
	s_andn2_b64 vcc, exec, s[38:39]
	s_cbranch_vccnz .LBB54_805
; %bb.800:
	global_load_ubyte v2, v[0:1], off
	s_movk_i32 s38, 0x7f
	s_mov_b64 s[40:41], 0
	s_waitcnt vmcnt(0)
	v_cmp_lt_i16_e32 vcc, s38, v2
	s_and_saveexec_b64 s[38:39], vcc
	s_xor_b64 s[38:39], exec, s[38:39]
	s_cbranch_execz .LBB54_817
; %bb.801:
	s_movk_i32 s40, 0x80
	v_cmp_ne_u16_e32 vcc, s40, v2
	s_and_b64 s[40:41], vcc, exec
	s_andn2_saveexec_b64 s[38:39], s[38:39]
	s_cbranch_execnz .LBB54_818
.LBB54_802:
	s_or_b64 exec, exec, s[38:39]
	v_mov_b32_e32 v5, 0
	s_and_saveexec_b64 s[38:39], s[40:41]
	s_cbranch_execz .LBB54_804
.LBB54_803:
	v_lshlrev_b32_e32 v3, 24, v2
	v_and_b32_e32 v2, 0xffff, v2
	v_and_b32_e32 v5, 7, v2
	v_ffbh_u32_e32 v7, v5
	v_min_u32_e32 v7, 32, v7
	v_subrev_u32_e32 v8, 28, v7
	v_bfe_u32 v6, v2, 3, 4
	v_lshlrev_b32_e32 v2, v8, v2
	v_sub_u32_e32 v7, 29, v7
	v_and_b32_e32 v2, 7, v2
	v_cmp_eq_u32_e32 vcc, 0, v6
	v_cndmask_b32_e32 v6, v6, v7, vcc
	v_cndmask_b32_e32 v2, v5, v2, vcc
	v_mov_b32_e32 v5, 0x3b800000
	v_lshlrev_b32_e32 v2, 20, v2
	v_and_b32_e32 v3, 0x80000000, v3
	v_lshl_add_u32 v5, v6, 23, v5
	v_or3_b32 v2, v3, v5, v2
	v_cvt_i32_f32_e32 v5, v2
.LBB54_804:
	s_or_b64 exec, exec, s[38:39]
.LBB54_805:
	s_mov_b64 s[38:39], -1
.LBB54_806:
	s_mov_b64 s[40:41], 0
.LBB54_807:
	s_and_b64 vcc, exec, s[40:41]
	s_cbranch_vccz .LBB54_838
; %bb.808:
	s_cmp_gt_i32 s42, 22
	s_cbranch_scc0 .LBB54_816
; %bb.809:
	s_cmp_lt_i32 s42, 24
	s_cbranch_scc1 .LBB54_819
; %bb.810:
	s_cmp_gt_i32 s42, 24
	s_cbranch_scc0 .LBB54_820
; %bb.811:
	global_load_ubyte v2, v[0:1], off
	s_movk_i32 s36, 0x7f
	s_mov_b64 s[38:39], 0
	s_waitcnt vmcnt(0)
	v_cmp_lt_i16_e32 vcc, s36, v2
	s_and_saveexec_b64 s[36:37], vcc
	s_xor_b64 s[36:37], exec, s[36:37]
	s_cbranch_execz .LBB54_832
; %bb.812:
	s_movk_i32 s38, 0x80
	v_cmp_ne_u16_e32 vcc, s38, v2
	s_and_b64 s[38:39], vcc, exec
	s_andn2_saveexec_b64 s[36:37], s[36:37]
	s_cbranch_execnz .LBB54_833
.LBB54_813:
	s_or_b64 exec, exec, s[36:37]
	v_mov_b32_e32 v5, 0
	s_and_saveexec_b64 s[36:37], s[38:39]
	s_cbranch_execz .LBB54_815
.LBB54_814:
	v_lshlrev_b32_e32 v3, 24, v2
	v_and_b32_e32 v2, 0xffff, v2
	v_and_b32_e32 v5, 3, v2
	v_ffbh_u32_e32 v7, v5
	v_min_u32_e32 v7, 32, v7
	v_subrev_u32_e32 v8, 29, v7
	v_bfe_u32 v6, v2, 2, 5
	v_lshlrev_b32_e32 v2, v8, v2
	v_sub_u32_e32 v7, 30, v7
	v_and_b32_e32 v2, 3, v2
	v_cmp_eq_u32_e32 vcc, 0, v6
	v_cndmask_b32_e32 v6, v6, v7, vcc
	v_cndmask_b32_e32 v2, v5, v2, vcc
	v_mov_b32_e32 v5, 0x37800000
	v_lshlrev_b32_e32 v2, 21, v2
	v_and_b32_e32 v3, 0x80000000, v3
	v_lshl_add_u32 v5, v6, 23, v5
	v_or3_b32 v2, v3, v5, v2
	v_cvt_i32_f32_e32 v5, v2
.LBB54_815:
	s_or_b64 exec, exec, s[36:37]
	s_mov_b64 s[36:37], 0
	s_branch .LBB54_821
.LBB54_816:
	s_mov_b64 s[36:37], -1
                                        ; implicit-def: $vgpr5
	s_branch .LBB54_827
.LBB54_817:
	s_andn2_saveexec_b64 s[38:39], s[38:39]
	s_cbranch_execz .LBB54_802
.LBB54_818:
	v_cmp_ne_u16_e32 vcc, 0, v2
	s_andn2_b64 s[40:41], s[40:41], exec
	s_and_b64 s[44:45], vcc, exec
	s_or_b64 s[40:41], s[40:41], s[44:45]
	s_or_b64 exec, exec, s[38:39]
	v_mov_b32_e32 v5, 0
	s_and_saveexec_b64 s[38:39], s[40:41]
	s_cbranch_execnz .LBB54_803
	s_branch .LBB54_804
.LBB54_819:
	s_mov_b64 s[36:37], -1
                                        ; implicit-def: $vgpr5
	s_branch .LBB54_824
.LBB54_820:
	s_mov_b64 s[36:37], -1
                                        ; implicit-def: $vgpr5
.LBB54_821:
	s_and_b64 vcc, exec, s[36:37]
	s_cbranch_vccz .LBB54_823
; %bb.822:
	global_load_ubyte v2, v[0:1], off
	s_mov_b32 s36, 0x7f800000
	s_waitcnt vmcnt(0)
	v_lshlrev_b32_e32 v2, 24, v2
	v_and_b32_e32 v3, 0x7f000000, v2
	v_ffbh_u32_e32 v5, v3
	v_min_u32_e32 v5, 32, v5
	v_sub_u32_e64 v5, v5, 4 clamp
	v_lshlrev_b32_e32 v7, v5, v3
	v_lshlrev_b32_e32 v5, 23, v5
	v_lshrrev_b32_e32 v7, 4, v7
	v_add_u32_e32 v6, 0x1000000, v3
	v_sub_u32_e32 v5, v7, v5
	v_ashrrev_i32_e32 v6, 8, v6
	v_add_u32_e32 v5, 0x3c000000, v5
	v_and_or_b32 v5, v6, s36, v5
	v_cmp_ne_u32_e32 vcc, 0, v3
	v_cndmask_b32_e32 v3, 0, v5, vcc
	s_brev_b32 s36, 1
	v_and_or_b32 v2, v2, s36, v3
	v_cvt_i32_f32_e32 v5, v2
.LBB54_823:
	s_mov_b64 s[36:37], 0
.LBB54_824:
	s_andn2_b64 vcc, exec, s[36:37]
	s_cbranch_vccnz .LBB54_826
; %bb.825:
	global_load_ubyte v2, v[0:1], off
	s_movk_i32 s36, 0x7f00
	s_brev_b32 s37, 16
	s_waitcnt vmcnt(0)
	v_lshlrev_b16_e32 v3, 8, v2
	v_lshlrev_b32_e32 v2, 25, v2
	v_lshrrev_b32_e32 v5, 4, v2
	v_and_or_b32 v6, v3, s36, 0.5
	v_or_b32_e32 v5, 0x70000000, v5
	v_add_f32_e32 v6, -0.5, v6
	v_mul_f32_e32 v5, 0x7800000, v5
	v_cmp_gt_u32_e32 vcc, s37, v2
	v_bfe_i32 v3, v3, 0, 16
	v_cndmask_b32_e32 v2, v5, v6, vcc
	s_brev_b32 s36, 1
	v_and_or_b32 v2, v3, s36, v2
	v_cvt_i32_f32_e32 v5, v2
.LBB54_826:
	s_mov_b64 s[36:37], 0
	s_mov_b64 s[38:39], -1
.LBB54_827:
	s_andn2_b64 vcc, exec, s[36:37]
	s_mov_b64 s[36:37], 0
	s_cbranch_vccnz .LBB54_838
; %bb.828:
	s_cmp_gt_i32 s42, 14
	s_cbranch_scc0 .LBB54_831
; %bb.829:
	s_cmp_eq_u32 s42, 15
	s_cbranch_scc0 .LBB54_834
; %bb.830:
	global_load_ushort v2, v[0:1], off
	s_mov_b64 s[34:35], 0
	s_mov_b64 s[38:39], -1
	s_waitcnt vmcnt(0)
	v_lshlrev_b32_e32 v2, 16, v2
	v_cvt_i32_f32_e32 v5, v2
	s_branch .LBB54_835
.LBB54_831:
	s_mov_b64 s[40:41], -1
                                        ; implicit-def: $vgpr5
	s_branch .LBB54_836
.LBB54_832:
	s_andn2_saveexec_b64 s[36:37], s[36:37]
	s_cbranch_execz .LBB54_813
.LBB54_833:
	v_cmp_ne_u16_e32 vcc, 0, v2
	s_andn2_b64 s[38:39], s[38:39], exec
	s_and_b64 s[40:41], vcc, exec
	s_or_b64 s[38:39], s[38:39], s[40:41]
	s_or_b64 exec, exec, s[36:37]
	v_mov_b32_e32 v5, 0
	s_and_saveexec_b64 s[36:37], s[38:39]
	s_cbranch_execnz .LBB54_814
	s_branch .LBB54_815
.LBB54_834:
	s_mov_b64 s[34:35], -1
                                        ; implicit-def: $vgpr5
.LBB54_835:
	s_mov_b64 s[40:41], 0
.LBB54_836:
	s_and_b64 vcc, exec, s[40:41]
	s_cbranch_vccz .LBB54_838
; %bb.837:
	s_cmp_lg_u32 s42, 11
	s_cselect_b64 s[40:41], -1, 0
	s_andn2_b64 s[34:35], s[34:35], exec
	s_and_b64 s[40:41], s[40:41], exec
	s_mov_b64 s[36:37], -1
	s_or_b64 s[34:35], s[34:35], s[40:41]
.LBB54_838:
	s_mov_b64 s[40:41], 0
.LBB54_839:
	s_and_b64 s[42:43], s[40:41], exec
	s_andn2_b64 s[40:41], s[0:1], exec
	s_and_b64 s[34:35], s[34:35], exec
	s_and_b64 s[38:39], s[38:39], exec
	s_and_b64 s[36:37], s[36:37], exec
	s_or_b64 s[40:41], s[40:41], s[34:35]
.LBB54_840:
	s_or_b64 exec, exec, s[28:29]
	s_and_b64 s[34:35], s[36:37], exec
	s_andn2_b64 s[0:1], s[0:1], exec
	s_and_b64 s[36:37], s[40:41], exec
	s_and_b64 s[38:39], s[38:39], exec
	;; [unrolled: 1-line block ×3, first 2 shown]
	s_or_b64 s[0:1], s[0:1], s[36:37]
.LBB54_841:
	s_or_b64 exec, exec, s[26:27]
	s_andn2_b64 s[22:23], s[22:23], exec
	s_and_b64 s[26:27], s[30:31], exec
	s_andn2_b64 s[20:21], s[20:21], exec
	s_and_b64 s[0:1], s[0:1], exec
	s_or_b64 s[22:23], s[22:23], s[26:27]
	s_and_b64 s[30:31], s[38:39], exec
	s_and_b64 s[28:29], s[28:29], exec
	s_and_b64 s[26:27], s[34:35], exec
	s_or_b64 s[20:21], s[20:21], s[0:1]
.LBB54_842:
	s_or_b64 exec, exec, s[24:25]
	s_andn2_b64 s[0:1], s[14:15], exec
	s_and_b64 s[14:15], s[22:23], exec
	s_andn2_b64 s[16:17], s[16:17], exec
	s_and_b64 s[20:21], s[20:21], exec
	s_or_b64 s[14:15], s[0:1], s[14:15]
	s_and_b64 s[0:1], s[30:31], exec
	s_and_b64 s[24:25], s[28:29], exec
	;; [unrolled: 1-line block ×3, first 2 shown]
	s_or_b64 s[16:17], s[16:17], s[20:21]
	s_or_b64 exec, exec, s[18:19]
	s_mov_b64 s[18:19], 0
	s_and_saveexec_b64 s[20:21], s[16:17]
	s_cbranch_execz .LBB54_258
.LBB54_843:
	s_mov_b64 s[18:19], exec
	s_andn2_b64 s[22:23], s[22:23], exec
	s_trap 2
	s_or_b64 exec, exec, s[20:21]
	s_and_saveexec_b64 s[16:17], s[22:23]
	s_xor_b64 s[16:17], exec, s[16:17]
	s_cbranch_execnz .LBB54_259
.LBB54_844:
	s_or_b64 exec, exec, s[16:17]
	s_and_saveexec_b64 s[16:17], s[24:25]
	s_cbranch_execz .LBB54_890
.LBB54_845:
	s_sext_i32_i16 s20, s33
	s_cmp_lt_i32 s20, 5
	s_cbranch_scc1 .LBB54_850
; %bb.846:
	s_cmp_lt_i32 s20, 8
	s_cbranch_scc1 .LBB54_851
; %bb.847:
	;; [unrolled: 3-line block ×3, first 2 shown]
	s_cmp_gt_i32 s20, 9
	s_cbranch_scc0 .LBB54_853
; %bb.849:
	global_load_dwordx2 v[2:3], v[0:1], off
	s_mov_b64 s[20:21], 0
	s_waitcnt vmcnt(0)
	v_cvt_i32_f64_e32 v5, v[2:3]
	s_branch .LBB54_854
.LBB54_850:
                                        ; implicit-def: $vgpr5
	s_branch .LBB54_871
.LBB54_851:
                                        ; implicit-def: $vgpr5
	s_branch .LBB54_860
.LBB54_852:
	s_mov_b64 s[20:21], -1
                                        ; implicit-def: $vgpr5
	s_branch .LBB54_857
.LBB54_853:
	s_mov_b64 s[20:21], -1
                                        ; implicit-def: $vgpr5
.LBB54_854:
	s_andn2_b64 vcc, exec, s[20:21]
	s_cbranch_vccnz .LBB54_856
; %bb.855:
	global_load_dword v2, v[0:1], off
	s_waitcnt vmcnt(0)
	v_cvt_i32_f32_e32 v5, v2
.LBB54_856:
	s_mov_b64 s[20:21], 0
.LBB54_857:
	s_andn2_b64 vcc, exec, s[20:21]
	s_cbranch_vccnz .LBB54_859
; %bb.858:
	global_load_dword v2, v[0:1], off
	s_waitcnt vmcnt(0)
	v_cvt_f32_f16_e32 v2, v2
	v_cvt_i32_f32_e32 v5, v2
.LBB54_859:
	s_cbranch_execnz .LBB54_870
.LBB54_860:
	s_sext_i32_i16 s20, s33
	s_cmp_lt_i32 s20, 6
	s_cbranch_scc1 .LBB54_863
; %bb.861:
	s_cmp_gt_i32 s20, 6
	s_cbranch_scc0 .LBB54_864
; %bb.862:
	global_load_dwordx2 v[2:3], v[0:1], off
	s_mov_b64 s[20:21], 0
	s_waitcnt vmcnt(0)
	v_cvt_i32_f64_e32 v5, v[2:3]
	s_branch .LBB54_865
.LBB54_863:
	s_mov_b64 s[20:21], -1
                                        ; implicit-def: $vgpr5
	s_branch .LBB54_868
.LBB54_864:
	s_mov_b64 s[20:21], -1
                                        ; implicit-def: $vgpr5
.LBB54_865:
	s_andn2_b64 vcc, exec, s[20:21]
	s_cbranch_vccnz .LBB54_867
; %bb.866:
	global_load_dword v2, v[0:1], off
	s_waitcnt vmcnt(0)
	v_cvt_i32_f32_e32 v5, v2
.LBB54_867:
	s_mov_b64 s[20:21], 0
.LBB54_868:
	s_andn2_b64 vcc, exec, s[20:21]
	s_cbranch_vccnz .LBB54_870
; %bb.869:
	global_load_ushort v2, v[0:1], off
	s_waitcnt vmcnt(0)
	v_cvt_f32_f16_e32 v2, v2
	v_cvt_i32_f32_e32 v5, v2
.LBB54_870:
	s_cbranch_execnz .LBB54_889
.LBB54_871:
	s_sext_i32_i16 s20, s33
	s_cmp_lt_i32 s20, 2
	s_cbranch_scc1 .LBB54_875
; %bb.872:
	s_cmp_lt_i32 s20, 3
	s_cbranch_scc1 .LBB54_876
; %bb.873:
	s_cmp_gt_i32 s20, 3
	s_cbranch_scc0 .LBB54_877
; %bb.874:
	global_load_dword v5, v[0:1], off
	s_mov_b64 s[20:21], 0
	s_branch .LBB54_878
.LBB54_875:
                                        ; implicit-def: $vgpr5
	s_branch .LBB54_884
.LBB54_876:
	s_mov_b64 s[20:21], -1
                                        ; implicit-def: $vgpr5
	s_branch .LBB54_881
.LBB54_877:
	s_mov_b64 s[20:21], -1
                                        ; implicit-def: $vgpr5
.LBB54_878:
	s_andn2_b64 vcc, exec, s[20:21]
	s_cbranch_vccnz .LBB54_880
; %bb.879:
	global_load_dword v5, v[0:1], off
.LBB54_880:
	s_mov_b64 s[20:21], 0
.LBB54_881:
	s_andn2_b64 vcc, exec, s[20:21]
	s_cbranch_vccnz .LBB54_883
; %bb.882:
	global_load_sshort v5, v[0:1], off
.LBB54_883:
	s_cbranch_execnz .LBB54_889
.LBB54_884:
	s_sext_i32_i16 s20, s33
	s_cmp_gt_i32 s20, 0
	s_cbranch_scc0 .LBB54_886
; %bb.885:
	global_load_sbyte v5, v[0:1], off
	s_mov_b64 s[20:21], 0
	s_branch .LBB54_887
.LBB54_886:
	s_mov_b64 s[20:21], -1
                                        ; implicit-def: $vgpr5
.LBB54_887:
	s_andn2_b64 vcc, exec, s[20:21]
	s_cbranch_vccnz .LBB54_889
; %bb.888:
	global_load_ubyte v5, v[0:1], off
.LBB54_889:
	s_or_b64 s[0:1], s[0:1], exec
.LBB54_890:
	s_or_b64 exec, exec, s[16:17]
	s_mov_b64 s[22:23], 0
	s_mov_b64 s[20:21], 0
                                        ; implicit-def: $sgpr28
                                        ; implicit-def: $vgpr2_vgpr3
                                        ; implicit-def: $vgpr0
	s_and_saveexec_b64 s[16:17], s[0:1]
	s_cbranch_execz .LBB54_898
; %bb.891:
	v_mul_lo_u32 v1, v4, s12
	s_waitcnt vmcnt(0)
	v_lshlrev_b32_e64 v0, v5, s2
	v_cmp_gt_u32_e32 vcc, 32, v5
	v_cndmask_b32_e32 v0, 0, v0, vcc
	v_ashrrev_i32_e32 v3, 31, v1
	v_mov_b32_e32 v4, s9
	s_and_b32 s28, s3, 0xff
	v_add_co_u32_e32 v2, vcc, s8, v1
	s_cmp_lt_i32 s28, 11
	v_addc_co_u32_e32 v3, vcc, v4, v3, vcc
	s_cbranch_scc1 .LBB54_901
; %bb.892:
	s_and_b32 s29, 0xffff, s28
	s_mov_b64 s[22:23], -1
	s_cmp_gt_i32 s29, 25
	s_mov_b64 s[0:1], s[14:15]
	s_cbranch_scc0 .LBB54_929
; %bb.893:
	s_mov_b64 s[20:21], -1
	s_cmp_gt_i32 s29, 28
	s_mov_b64 s[0:1], s[14:15]
	s_cbranch_scc0 .LBB54_913
; %bb.894:
	s_cmp_gt_i32 s29, 43
	s_mov_b64 s[0:1], s[14:15]
	s_cbranch_scc0 .LBB54_909
; %bb.895:
	;; [unrolled: 4-line block ×3, first 2 shown]
	s_cmp_eq_u32 s29, 46
	s_mov_b64 s[0:1], -1
	s_cbranch_scc0 .LBB54_902
; %bb.897:
	v_cvt_f32_i32_e32 v1, v0
	s_movk_i32 s0, 0x7fff
	s_mov_b64 s[20:21], 0
	v_bfe_u32 v4, v1, 16, 1
	v_add3_u32 v1, v1, v4, s0
	v_lshrrev_b32_e32 v1, 16, v1
	global_store_dword v[2:3], v1, off
	s_mov_b64 s[0:1], 0
	s_branch .LBB54_903
.LBB54_898:
	s_or_b64 exec, exec, s[16:17]
	s_and_saveexec_b64 s[0:1], s[14:15]
	s_cbranch_execnz .LBB54_971
.LBB54_899:
	s_or_b64 exec, exec, s[0:1]
	s_and_saveexec_b64 s[0:1], s[22:23]
	s_xor_b64 s[0:1], exec, s[0:1]
	s_cbranch_execz .LBB54_972
.LBB54_900:
	v_cmp_ne_u32_e32 vcc, 0, v0
	v_cndmask_b32_e64 v1, 0, 1, vcc
	s_waitcnt vmcnt(0)
	global_store_byte v[2:3], v1, off
	s_or_b64 exec, exec, s[0:1]
	s_and_saveexec_b64 s[0:1], s[20:21]
	s_xor_b64 s[0:1], exec, s[0:1]
	s_cbranch_execz .LBB54_1010
	s_branch .LBB54_973
.LBB54_901:
	s_mov_b64 s[20:21], -1
	s_mov_b64 s[0:1], s[14:15]
	s_branch .LBB54_970
.LBB54_902:
	s_mov_b64 s[20:21], 0
.LBB54_903:
	s_and_b64 vcc, exec, s[20:21]
	s_cbranch_vccz .LBB54_908
; %bb.904:
	s_cmp_eq_u32 s29, 44
	s_mov_b64 s[0:1], -1
	s_cbranch_scc0 .LBB54_908
; %bb.905:
	v_cvt_f32_i32_e32 v1, v0
	s_movk_i32 s0, 0xff
	v_mov_b32_e32 v5, 0xff
	v_bfe_u32 v4, v1, 23, 8
	v_cmp_ne_u32_e32 vcc, s0, v4
	s_and_saveexec_b64 s[20:21], vcc
; %bb.906:
	s_mov_b32 s0, 0x3fffff
	v_lshrrev_b32_e32 v5, 23, v1
	v_and_b32_e32 v6, 0x400000, v1
	v_and_or_b32 v1, v1, s0, v4
	v_cmp_ne_u32_e32 vcc, 0, v6
	v_cmp_ne_u32_e64 s[0:1], 0, v1
	s_and_b64 s[0:1], vcc, s[0:1]
	v_cndmask_b32_e64 v1, 0, 1, s[0:1]
	v_add_u32_e32 v5, v5, v1
; %bb.907:
	s_or_b64 exec, exec, s[20:21]
	s_mov_b64 s[0:1], 0
	global_store_byte v[2:3], v5, off
.LBB54_908:
	s_mov_b64 s[20:21], 0
.LBB54_909:
	s_and_b64 vcc, exec, s[20:21]
	s_cbranch_vccz .LBB54_912
; %bb.910:
	s_cmp_eq_u32 s29, 29
	s_mov_b64 s[0:1], -1
	s_cbranch_scc0 .LBB54_912
; %bb.911:
	v_ashrrev_i32_e32 v1, 31, v0
	global_store_dwordx2 v[2:3], v[0:1], off
	s_mov_b64 s[0:1], 0
.LBB54_912:
	s_mov_b64 s[20:21], 0
.LBB54_913:
	s_and_b64 vcc, exec, s[20:21]
	s_cbranch_vccz .LBB54_928
; %bb.914:
	s_cmp_lt_i32 s29, 27
	s_mov_b64 s[20:21], -1
	s_cbranch_scc1 .LBB54_920
; %bb.915:
	s_cmp_gt_i32 s29, 27
	s_cbranch_scc0 .LBB54_917
; %bb.916:
	s_mov_b64 s[20:21], 0
	global_store_dword v[2:3], v0, off
.LBB54_917:
	s_andn2_b64 vcc, exec, s[20:21]
	s_cbranch_vccnz .LBB54_919
; %bb.918:
	global_store_short v[2:3], v0, off
.LBB54_919:
	s_mov_b64 s[20:21], 0
.LBB54_920:
	s_andn2_b64 vcc, exec, s[20:21]
	s_cbranch_vccnz .LBB54_928
; %bb.921:
	v_cvt_f32_i32_e32 v1, v0
	s_mov_b32 s20, 0x43800000
	v_mov_b32_e32 v5, 0x80
	v_and_b32_e32 v4, 0x7fffffff, v1
	v_cmp_gt_u32_e32 vcc, s20, v4
	s_and_saveexec_b64 s[20:21], vcc
	s_cbranch_execz .LBB54_927
; %bb.922:
	s_mov_b32 s22, 0x3bffffff
	v_cmp_lt_u32_e32 vcc, s22, v4
	s_mov_b64 s[22:23], 0
                                        ; implicit-def: $vgpr4
	s_and_saveexec_b64 s[24:25], vcc
	s_xor_b64 s[24:25], exec, s[24:25]
	s_cbranch_execz .LBB54_1025
; %bb.923:
	v_bfe_u32 v4, v1, 20, 1
	s_mov_b32 s26, 0x487ffff
	v_add3_u32 v4, v1, v4, s26
	s_mov_b64 s[22:23], exec
	v_lshrrev_b32_e32 v4, 20, v4
	s_andn2_saveexec_b64 s[24:25], s[24:25]
	s_cbranch_execnz .LBB54_1026
.LBB54_924:
	s_or_b64 exec, exec, s[24:25]
	v_mov_b32_e32 v5, 0
	s_and_saveexec_b64 s[24:25], s[22:23]
.LBB54_925:
	v_lshrrev_b32_e32 v1, 24, v1
	s_movk_i32 s22, 0x80
	v_and_or_b32 v5, v1, s22, v4
.LBB54_926:
	s_or_b64 exec, exec, s[24:25]
.LBB54_927:
	s_or_b64 exec, exec, s[20:21]
	global_store_byte v[2:3], v5, off
.LBB54_928:
	s_mov_b64 s[22:23], 0
.LBB54_929:
	s_mov_b64 s[20:21], 0
	s_and_b64 vcc, exec, s[22:23]
	s_cbranch_vccz .LBB54_969
; %bb.930:
	s_cmp_gt_i32 s29, 22
	s_mov_b64 s[22:23], -1
	s_cbranch_scc0 .LBB54_962
; %bb.931:
	s_cmp_lt_i32 s29, 24
	s_cbranch_scc1 .LBB54_951
; %bb.932:
	s_cmp_gt_i32 s29, 24
	s_cbranch_scc0 .LBB54_940
; %bb.933:
	v_cvt_f32_i32_e32 v1, v0
	s_mov_b32 s22, 0x47800000
	v_mov_b32_e32 v5, 0x80
	v_and_b32_e32 v4, 0x7fffffff, v1
	v_cmp_gt_u32_e32 vcc, s22, v4
	s_and_saveexec_b64 s[22:23], vcc
	s_cbranch_execz .LBB54_939
; %bb.934:
	s_mov_b32 s24, 0x37ffffff
	v_cmp_lt_u32_e32 vcc, s24, v4
	s_mov_b64 s[24:25], 0
                                        ; implicit-def: $vgpr4
	s_and_saveexec_b64 s[26:27], vcc
	s_xor_b64 s[26:27], exec, s[26:27]
	s_cbranch_execz .LBB54_1145
; %bb.935:
	v_bfe_u32 v4, v1, 21, 1
	s_mov_b32 s30, 0x88fffff
	v_add3_u32 v4, v1, v4, s30
	s_mov_b64 s[24:25], exec
	v_lshrrev_b32_e32 v4, 21, v4
	s_andn2_saveexec_b64 s[26:27], s[26:27]
	s_cbranch_execnz .LBB54_1146
.LBB54_936:
	s_or_b64 exec, exec, s[26:27]
	v_mov_b32_e32 v5, 0
	s_and_saveexec_b64 s[26:27], s[24:25]
.LBB54_937:
	v_lshrrev_b32_e32 v1, 24, v1
	s_movk_i32 s24, 0x80
	v_and_or_b32 v5, v1, s24, v4
.LBB54_938:
	s_or_b64 exec, exec, s[26:27]
.LBB54_939:
	s_or_b64 exec, exec, s[22:23]
	s_mov_b64 s[22:23], 0
	global_store_byte v[2:3], v5, off
.LBB54_940:
	s_and_b64 vcc, exec, s[22:23]
	s_cbranch_vccz .LBB54_950
; %bb.941:
	v_cvt_f32_i32_e32 v1, v0
	s_mov_b32 s22, 0x43f00000
                                        ; implicit-def: $vgpr4
	v_and_b32_e32 v5, 0x7fffffff, v1
	v_cmp_gt_u32_e32 vcc, s22, v5
	s_and_saveexec_b64 s[22:23], vcc
	s_xor_b64 s[22:23], exec, s[22:23]
	s_cbranch_execz .LBB54_947
; %bb.942:
	s_mov_b32 s24, 0x3c7fffff
	v_cmp_lt_u32_e32 vcc, s24, v5
                                        ; implicit-def: $vgpr4
	s_and_saveexec_b64 s[24:25], vcc
	s_xor_b64 s[24:25], exec, s[24:25]
; %bb.943:
	v_bfe_u32 v4, v1, 20, 1
	s_mov_b32 s26, 0x407ffff
	v_add3_u32 v4, v1, v4, s26
	v_lshrrev_b32_e32 v5, 20, v4
	v_and_b32_e32 v4, 0xff00000, v4
	s_mov_b32 s26, 0x7f00000
	v_mov_b32_e32 v6, 0x7e
	v_cmp_ne_u32_e32 vcc, s26, v4
	v_cndmask_b32_e32 v4, v6, v5, vcc
; %bb.944:
	s_andn2_saveexec_b64 s[24:25], s[24:25]
; %bb.945:
	s_mov_b32 s26, 0x46800000
	v_add_f32_e64 v4, |v1|, s26
; %bb.946:
	s_or_b64 exec, exec, s[24:25]
                                        ; implicit-def: $vgpr5
.LBB54_947:
	s_andn2_saveexec_b64 s[22:23], s[22:23]
; %bb.948:
	s_mov_b32 s24, 0x7f800000
	v_mov_b32_e32 v4, 0x7e
	v_mov_b32_e32 v6, 0x7f
	v_cmp_lt_u32_e32 vcc, s24, v5
	v_cndmask_b32_e32 v4, v4, v6, vcc
; %bb.949:
	s_or_b64 exec, exec, s[22:23]
	v_lshrrev_b32_e32 v1, 24, v1
	s_movk_i32 s22, 0x80
	v_and_or_b32 v1, v1, s22, v4
	global_store_byte v[2:3], v1, off
.LBB54_950:
	s_mov_b64 s[22:23], 0
.LBB54_951:
	s_andn2_b64 vcc, exec, s[22:23]
	s_cbranch_vccnz .LBB54_961
; %bb.952:
	v_cvt_f32_i32_e32 v1, v0
	s_mov_b32 s22, 0x47800000
                                        ; implicit-def: $vgpr4
	v_and_b32_e32 v5, 0x7fffffff, v1
	v_cmp_gt_u32_e32 vcc, s22, v5
	s_and_saveexec_b64 s[22:23], vcc
	s_xor_b64 s[22:23], exec, s[22:23]
	s_cbranch_execz .LBB54_958
; %bb.953:
	s_mov_b32 s24, 0x387fffff
	v_cmp_lt_u32_e32 vcc, s24, v5
                                        ; implicit-def: $vgpr4
	s_and_saveexec_b64 s[24:25], vcc
	s_xor_b64 s[24:25], exec, s[24:25]
; %bb.954:
	v_bfe_u32 v4, v1, 21, 1
	s_mov_b32 s26, 0x80fffff
	v_add3_u32 v4, v1, v4, s26
	v_lshrrev_b32_e32 v4, 21, v4
; %bb.955:
	s_andn2_saveexec_b64 s[24:25], s[24:25]
; %bb.956:
	s_mov_b32 s26, 0x43000000
	v_add_f32_e64 v4, |v1|, s26
; %bb.957:
	s_or_b64 exec, exec, s[24:25]
                                        ; implicit-def: $vgpr5
.LBB54_958:
	s_andn2_saveexec_b64 s[22:23], s[22:23]
; %bb.959:
	s_mov_b32 s24, 0x7f800000
	v_mov_b32_e32 v4, 0x7c
	v_mov_b32_e32 v6, 0x7f
	v_cmp_lt_u32_e32 vcc, s24, v5
	v_cndmask_b32_e32 v4, v4, v6, vcc
; %bb.960:
	s_or_b64 exec, exec, s[22:23]
	v_lshrrev_b32_e32 v1, 24, v1
	s_movk_i32 s22, 0x80
	v_and_or_b32 v1, v1, s22, v4
	global_store_byte v[2:3], v1, off
.LBB54_961:
	s_mov_b64 s[22:23], 0
.LBB54_962:
	s_andn2_b64 vcc, exec, s[22:23]
	s_mov_b64 s[22:23], 0
	s_cbranch_vccnz .LBB54_970
; %bb.963:
	s_cmp_gt_i32 s29, 14
	s_mov_b64 s[24:25], -1
	s_cbranch_scc0 .LBB54_967
; %bb.964:
	s_cmp_eq_u32 s29, 15
	s_mov_b64 s[0:1], -1
	s_cbranch_scc0 .LBB54_966
; %bb.965:
	v_cvt_f32_i32_e32 v1, v0
	s_movk_i32 s0, 0x7fff
	v_bfe_u32 v4, v1, 16, 1
	v_add3_u32 v1, v1, v4, s0
	global_store_short_d16_hi v[2:3], v1, off
	s_mov_b64 s[0:1], 0
.LBB54_966:
	s_mov_b64 s[24:25], 0
.LBB54_967:
	s_and_b64 vcc, exec, s[24:25]
	s_cbranch_vccz .LBB54_970
; %bb.968:
	s_cmp_lg_u32 s29, 11
	s_cselect_b64 s[24:25], -1, 0
	s_andn2_b64 s[0:1], s[0:1], exec
	s_and_b64 s[24:25], s[24:25], exec
	s_mov_b64 s[22:23], -1
	s_or_b64 s[0:1], s[0:1], s[24:25]
	s_branch .LBB54_970
.LBB54_969:
	s_mov_b64 s[22:23], 0
.LBB54_970:
	s_andn2_b64 s[14:15], s[14:15], exec
	s_and_b64 s[0:1], s[0:1], exec
	s_and_b64 s[20:21], s[20:21], exec
	;; [unrolled: 1-line block ×3, first 2 shown]
	s_or_b64 s[14:15], s[14:15], s[0:1]
	s_or_b64 exec, exec, s[16:17]
	s_and_saveexec_b64 s[0:1], s[14:15]
	s_cbranch_execz .LBB54_899
.LBB54_971:
	s_or_b64 s[18:19], s[18:19], exec
	s_andn2_b64 s[22:23], s[22:23], exec
	s_trap 2
	s_or_b64 exec, exec, s[0:1]
	s_and_saveexec_b64 s[0:1], s[22:23]
	s_xor_b64 s[0:1], exec, s[0:1]
	s_cbranch_execnz .LBB54_900
.LBB54_972:
	s_or_b64 exec, exec, s[0:1]
	s_and_saveexec_b64 s[0:1], s[20:21]
	s_xor_b64 s[0:1], exec, s[0:1]
	s_cbranch_execz .LBB54_1010
.LBB54_973:
	s_sext_i32_i16 s16, s28
	s_cmp_lt_i32 s16, 5
	s_mov_b64 s[14:15], -1
	s_cbranch_scc1 .LBB54_994
; %bb.974:
	s_cmp_lt_i32 s16, 8
	s_cbranch_scc1 .LBB54_984
; %bb.975:
	s_cmp_lt_i32 s16, 9
	s_cbranch_scc1 .LBB54_981
; %bb.976:
	s_cmp_gt_i32 s16, 9
	s_cbranch_scc0 .LBB54_978
; %bb.977:
	s_waitcnt vmcnt(0)
	v_cvt_f64_i32_e32 v[4:5], v0
	v_mov_b32_e32 v6, 0
	v_mov_b32_e32 v7, v6
	s_mov_b64 s[14:15], 0
	global_store_dwordx4 v[2:3], v[4:7], off
.LBB54_978:
	s_andn2_b64 vcc, exec, s[14:15]
	s_cbranch_vccnz .LBB54_980
; %bb.979:
	v_cvt_f32_i32_e32 v4, v0
	s_waitcnt vmcnt(0)
	v_mov_b32_e32 v5, 0
	global_store_dwordx2 v[2:3], v[4:5], off
.LBB54_980:
	s_mov_b64 s[14:15], 0
.LBB54_981:
	s_andn2_b64 vcc, exec, s[14:15]
	s_cbranch_vccnz .LBB54_983
; %bb.982:
	v_cvt_f32_i32_e32 v1, v0
	v_cvt_f16_f32_e32 v1, v1
	s_waitcnt vmcnt(0)
	global_store_dword v[2:3], v1, off
.LBB54_983:
	s_mov_b64 s[14:15], 0
.LBB54_984:
	s_andn2_b64 vcc, exec, s[14:15]
	s_cbranch_vccnz .LBB54_993
; %bb.985:
	s_sext_i32_i16 s16, s28
	s_cmp_lt_i32 s16, 6
	s_mov_b64 s[14:15], -1
	s_cbranch_scc1 .LBB54_991
; %bb.986:
	s_cmp_gt_i32 s16, 6
	s_cbranch_scc0 .LBB54_988
; %bb.987:
	s_waitcnt vmcnt(0)
	v_cvt_f64_i32_e32 v[4:5], v0
	s_mov_b64 s[14:15], 0
	global_store_dwordx2 v[2:3], v[4:5], off
.LBB54_988:
	s_andn2_b64 vcc, exec, s[14:15]
	s_cbranch_vccnz .LBB54_990
; %bb.989:
	v_cvt_f32_i32_e32 v1, v0
	s_waitcnt vmcnt(0)
	global_store_dword v[2:3], v1, off
.LBB54_990:
	s_mov_b64 s[14:15], 0
.LBB54_991:
	s_andn2_b64 vcc, exec, s[14:15]
	s_cbranch_vccnz .LBB54_993
; %bb.992:
	v_cvt_f32_i32_e32 v1, v0
	v_cvt_f16_f32_e32 v1, v1
	s_waitcnt vmcnt(0)
	global_store_short v[2:3], v1, off
.LBB54_993:
	s_mov_b64 s[14:15], 0
.LBB54_994:
	s_andn2_b64 vcc, exec, s[14:15]
	s_cbranch_vccnz .LBB54_1010
; %bb.995:
	s_sext_i32_i16 s16, s28
	s_cmp_lt_i32 s16, 2
	s_mov_b64 s[14:15], -1
	s_cbranch_scc1 .LBB54_1005
; %bb.996:
	s_cmp_lt_i32 s16, 3
	s_cbranch_scc1 .LBB54_1002
; %bb.997:
	s_cmp_gt_i32 s16, 3
	s_cbranch_scc0 .LBB54_999
; %bb.998:
	v_ashrrev_i32_e32 v1, 31, v0
	s_mov_b64 s[14:15], 0
	s_waitcnt vmcnt(0)
	global_store_dwordx2 v[2:3], v[0:1], off
.LBB54_999:
	s_andn2_b64 vcc, exec, s[14:15]
	s_cbranch_vccnz .LBB54_1001
; %bb.1000:
	s_waitcnt vmcnt(0)
	global_store_dword v[2:3], v0, off
.LBB54_1001:
	s_mov_b64 s[14:15], 0
.LBB54_1002:
	s_andn2_b64 vcc, exec, s[14:15]
	s_cbranch_vccnz .LBB54_1004
; %bb.1003:
	s_waitcnt vmcnt(0)
	global_store_short v[2:3], v0, off
.LBB54_1004:
	s_mov_b64 s[14:15], 0
.LBB54_1005:
	s_andn2_b64 vcc, exec, s[14:15]
	s_cbranch_vccnz .LBB54_1010
; %bb.1006:
	s_sext_i32_i16 s14, s28
	s_cmp_gt_i32 s14, 0
	s_mov_b64 s[14:15], -1
	s_cbranch_scc0 .LBB54_1008
; %bb.1007:
	s_mov_b64 s[14:15], 0
	s_waitcnt vmcnt(0)
	global_store_byte v[2:3], v0, off
.LBB54_1008:
	s_andn2_b64 vcc, exec, s[14:15]
	s_cbranch_vccnz .LBB54_1010
; %bb.1009:
	s_waitcnt vmcnt(0)
	global_store_byte v[2:3], v0, off
.LBB54_1010:
	s_or_b64 exec, exec, s[0:1]
	s_and_b64 s[14:15], s[18:19], exec
                                        ; implicit-def: $vgpr4
.LBB54_1011:
	s_or_saveexec_b64 s[6:7], s[6:7]
	s_mov_b64 s[0:1], 0
                                        ; implicit-def: $sgpr22
                                        ; implicit-def: $vgpr2_vgpr3
                                        ; implicit-def: $vgpr0
	s_xor_b64 exec, exec, s[6:7]
	s_cbranch_execz .LBB54_1942
; %bb.1012:
	v_mul_lo_u32 v3, s13, v4
	v_mov_b32_e32 v1, s11
	s_and_b32 s22, 0xffff, s33
	s_cmp_lt_i32 s22, 11
	s_waitcnt vmcnt(0)
	v_ashrrev_i32_e32 v2, 31, v3
	v_add_co_u32_e32 v0, vcc, s10, v3
	v_addc_co_u32_e32 v1, vcc, v1, v2, vcc
	s_cbranch_scc1 .LBB54_1019
; %bb.1013:
	s_cmp_gt_i32 s22, 25
	s_cbranch_scc0 .LBB54_1021
; %bb.1014:
	s_cmp_gt_i32 s22, 28
	s_cbranch_scc0 .LBB54_1022
	;; [unrolled: 3-line block ×4, first 2 shown]
; %bb.1017:
	s_cmp_eq_u32 s22, 46
	s_mov_b64 s[16:17], 0
	s_cbranch_scc0 .LBB54_1027
; %bb.1018:
	global_load_dword v2, v[0:1], off
	s_mov_b64 s[18:19], -1
	s_waitcnt vmcnt(0)
	v_lshlrev_b32_e32 v2, 16, v2
	v_cvt_i32_f32_e32 v2, v2
	s_branch .LBB54_1028
.LBB54_1019:
	s_mov_b64 s[18:19], 0
                                        ; implicit-def: $vgpr2
	s_mov_b64 s[16:17], s[14:15]
	s_cbranch_execnz .LBB54_1086
.LBB54_1020:
	s_andn2_b64 vcc, exec, s[18:19]
	s_cbranch_vccz .LBB54_1131
	s_branch .LBB54_1940
.LBB54_1021:
	s_mov_b64 s[18:19], 0
                                        ; implicit-def: $vgpr2
	s_cbranch_execnz .LBB54_1053
	s_branch .LBB54_1082
.LBB54_1022:
	s_mov_b64 s[18:19], 0
                                        ; implicit-def: $vgpr2
	s_cbranch_execz .LBB54_1052
	s_branch .LBB54_1037
.LBB54_1023:
	s_mov_b64 s[18:19], 0
                                        ; implicit-def: $vgpr2
	s_cbranch_execnz .LBB54_1033
	s_branch .LBB54_1036
.LBB54_1024:
	s_mov_b64 s[16:17], -1
	s_mov_b64 s[18:19], 0
                                        ; implicit-def: $vgpr2
	s_branch .LBB54_1028
.LBB54_1025:
	s_andn2_saveexec_b64 s[24:25], s[24:25]
	s_cbranch_execz .LBB54_924
.LBB54_1026:
	s_mov_b32 s26, 0x46000000
	v_add_f32_e64 v4, |v1|, s26
	v_and_b32_e32 v4, 0xff, v4
	v_cmp_ne_u32_e32 vcc, 0, v4
	s_andn2_b64 s[22:23], s[22:23], exec
	s_and_b64 s[26:27], vcc, exec
	s_or_b64 s[22:23], s[22:23], s[26:27]
	s_or_b64 exec, exec, s[24:25]
	v_mov_b32_e32 v5, 0
	s_and_saveexec_b64 s[24:25], s[22:23]
	s_cbranch_execnz .LBB54_925
	s_branch .LBB54_926
.LBB54_1027:
	s_mov_b64 s[0:1], -1
                                        ; implicit-def: $vgpr2
	s_mov_b64 s[18:19], 0
.LBB54_1028:
	s_and_b64 vcc, exec, s[16:17]
	s_cbranch_vccz .LBB54_1031
; %bb.1029:
	s_cmp_eq_u32 s22, 44
	s_cbranch_scc0 .LBB54_1032
; %bb.1030:
	global_load_ubyte v2, v[0:1], off
	s_mov_b64 s[0:1], 0
	s_mov_b64 s[18:19], -1
	s_waitcnt vmcnt(0)
	v_lshlrev_b32_e32 v5, 23, v2
	v_cvt_i32_f32_e32 v5, v5
	v_cmp_ne_u32_e32 vcc, 0, v2
	v_cndmask_b32_e32 v2, 0, v5, vcc
.LBB54_1031:
	s_branch .LBB54_1036
.LBB54_1032:
	s_mov_b64 s[0:1], -1
                                        ; implicit-def: $vgpr2
	s_branch .LBB54_1036
.LBB54_1033:
	s_cmp_eq_u32 s22, 29
	s_cbranch_scc0 .LBB54_1035
; %bb.1034:
	global_load_dword v2, v[0:1], off
	s_mov_b64 s[0:1], 0
	s_mov_b64 s[18:19], -1
	s_branch .LBB54_1036
.LBB54_1035:
	s_mov_b64 s[0:1], -1
                                        ; implicit-def: $vgpr2
.LBB54_1036:
	s_branch .LBB54_1052
.LBB54_1037:
	s_cmp_lt_i32 s22, 27
	s_cbranch_scc1 .LBB54_1040
; %bb.1038:
	s_cmp_gt_i32 s22, 27
	s_cbranch_scc0 .LBB54_1041
; %bb.1039:
	global_load_dword v2, v[0:1], off
	s_mov_b64 s[16:17], 0
	s_branch .LBB54_1042
.LBB54_1040:
	s_mov_b64 s[16:17], -1
                                        ; implicit-def: $vgpr2
	s_branch .LBB54_1045
.LBB54_1041:
	s_mov_b64 s[16:17], -1
                                        ; implicit-def: $vgpr2
.LBB54_1042:
	s_andn2_b64 vcc, exec, s[16:17]
	s_cbranch_vccnz .LBB54_1044
; %bb.1043:
	global_load_ushort v2, v[0:1], off
.LBB54_1044:
	s_mov_b64 s[16:17], 0
.LBB54_1045:
	s_andn2_b64 vcc, exec, s[16:17]
	s_cbranch_vccnz .LBB54_1051
; %bb.1046:
	global_load_ubyte v5, v[0:1], off
	s_movk_i32 s16, 0x7f
	s_mov_b64 s[18:19], 0
	s_waitcnt vmcnt(0)
	v_cmp_lt_i16_e32 vcc, s16, v5
	s_and_saveexec_b64 s[16:17], vcc
	s_xor_b64 s[16:17], exec, s[16:17]
	s_cbranch_execz .LBB54_1062
; %bb.1047:
	s_movk_i32 s18, 0x80
	v_cmp_ne_u16_e32 vcc, s18, v5
	s_and_b64 s[18:19], vcc, exec
	s_andn2_saveexec_b64 s[16:17], s[16:17]
	s_cbranch_execnz .LBB54_1063
.LBB54_1048:
	s_or_b64 exec, exec, s[16:17]
	v_mov_b32_e32 v2, 0
	s_and_saveexec_b64 s[16:17], s[18:19]
	s_cbranch_execz .LBB54_1050
.LBB54_1049:
	v_lshlrev_b32_e32 v2, 24, v5
	v_and_b32_e32 v5, 0xffff, v5
	v_and_b32_e32 v6, 7, v5
	v_ffbh_u32_e32 v8, v6
	v_min_u32_e32 v8, 32, v8
	v_subrev_u32_e32 v9, 28, v8
	v_bfe_u32 v7, v5, 3, 4
	v_lshlrev_b32_e32 v5, v9, v5
	v_sub_u32_e32 v8, 29, v8
	v_and_b32_e32 v5, 7, v5
	v_cmp_eq_u32_e32 vcc, 0, v7
	v_cndmask_b32_e32 v7, v7, v8, vcc
	v_cndmask_b32_e32 v5, v6, v5, vcc
	v_mov_b32_e32 v6, 0x3b800000
	v_lshlrev_b32_e32 v5, 20, v5
	v_and_b32_e32 v2, 0x80000000, v2
	v_lshl_add_u32 v6, v7, 23, v6
	v_or3_b32 v2, v2, v6, v5
	v_cvt_i32_f32_e32 v2, v2
.LBB54_1050:
	s_or_b64 exec, exec, s[16:17]
.LBB54_1051:
	s_mov_b64 s[18:19], -1
.LBB54_1052:
	s_branch .LBB54_1082
.LBB54_1053:
	s_cmp_gt_i32 s22, 22
	s_cbranch_scc0 .LBB54_1061
; %bb.1054:
	s_cmp_lt_i32 s22, 24
	s_cbranch_scc1 .LBB54_1064
; %bb.1055:
	s_cmp_gt_i32 s22, 24
	s_cbranch_scc0 .LBB54_1065
; %bb.1056:
	global_load_ubyte v5, v[0:1], off
	s_movk_i32 s4, 0x7f
	s_mov_b64 s[16:17], 0
	s_waitcnt vmcnt(0)
	v_cmp_lt_i16_e32 vcc, s4, v5
	s_and_saveexec_b64 s[4:5], vcc
	s_xor_b64 s[4:5], exec, s[4:5]
	s_cbranch_execz .LBB54_1076
; %bb.1057:
	s_movk_i32 s16, 0x80
	v_cmp_ne_u16_e32 vcc, s16, v5
	s_and_b64 s[16:17], vcc, exec
	s_andn2_saveexec_b64 s[4:5], s[4:5]
	s_cbranch_execnz .LBB54_1077
.LBB54_1058:
	s_or_b64 exec, exec, s[4:5]
	v_mov_b32_e32 v2, 0
	s_and_saveexec_b64 s[4:5], s[16:17]
	s_cbranch_execz .LBB54_1060
.LBB54_1059:
	v_lshlrev_b32_e32 v2, 24, v5
	v_and_b32_e32 v5, 0xffff, v5
	v_and_b32_e32 v6, 3, v5
	v_ffbh_u32_e32 v8, v6
	v_min_u32_e32 v8, 32, v8
	v_subrev_u32_e32 v9, 29, v8
	v_bfe_u32 v7, v5, 2, 5
	v_lshlrev_b32_e32 v5, v9, v5
	v_sub_u32_e32 v8, 30, v8
	v_and_b32_e32 v5, 3, v5
	v_cmp_eq_u32_e32 vcc, 0, v7
	v_cndmask_b32_e32 v7, v7, v8, vcc
	v_cndmask_b32_e32 v5, v6, v5, vcc
	v_mov_b32_e32 v6, 0x37800000
	v_lshlrev_b32_e32 v5, 21, v5
	v_and_b32_e32 v2, 0x80000000, v2
	v_lshl_add_u32 v6, v7, 23, v6
	v_or3_b32 v2, v2, v6, v5
	v_cvt_i32_f32_e32 v2, v2
.LBB54_1060:
	s_or_b64 exec, exec, s[4:5]
	s_mov_b64 s[4:5], 0
	s_branch .LBB54_1066
.LBB54_1061:
                                        ; implicit-def: $vgpr2
	s_mov_b64 s[4:5], 0
	s_branch .LBB54_1072
.LBB54_1062:
	s_andn2_saveexec_b64 s[16:17], s[16:17]
	s_cbranch_execz .LBB54_1048
.LBB54_1063:
	v_cmp_ne_u16_e32 vcc, 0, v5
	s_andn2_b64 s[18:19], s[18:19], exec
	s_and_b64 s[20:21], vcc, exec
	s_or_b64 s[18:19], s[18:19], s[20:21]
	s_or_b64 exec, exec, s[16:17]
	v_mov_b32_e32 v2, 0
	s_and_saveexec_b64 s[16:17], s[18:19]
	s_cbranch_execnz .LBB54_1049
	s_branch .LBB54_1050
.LBB54_1064:
	s_mov_b64 s[4:5], -1
                                        ; implicit-def: $vgpr2
	s_branch .LBB54_1069
.LBB54_1065:
	s_mov_b64 s[4:5], -1
                                        ; implicit-def: $vgpr2
.LBB54_1066:
	s_and_b64 vcc, exec, s[4:5]
	s_cbranch_vccz .LBB54_1068
; %bb.1067:
	global_load_ubyte v2, v[0:1], off
	s_mov_b32 s4, 0x7f800000
	s_waitcnt vmcnt(0)
	v_lshlrev_b32_e32 v2, 24, v2
	v_and_b32_e32 v5, 0x7f000000, v2
	v_ffbh_u32_e32 v6, v5
	v_min_u32_e32 v6, 32, v6
	v_sub_u32_e64 v6, v6, 4 clamp
	v_lshlrev_b32_e32 v8, v6, v5
	v_lshlrev_b32_e32 v6, 23, v6
	v_lshrrev_b32_e32 v8, 4, v8
	v_add_u32_e32 v7, 0x1000000, v5
	v_sub_u32_e32 v6, v8, v6
	v_ashrrev_i32_e32 v7, 8, v7
	v_add_u32_e32 v6, 0x3c000000, v6
	v_and_or_b32 v6, v7, s4, v6
	v_cmp_ne_u32_e32 vcc, 0, v5
	v_cndmask_b32_e32 v5, 0, v6, vcc
	s_brev_b32 s4, 1
	v_and_or_b32 v2, v2, s4, v5
	v_cvt_i32_f32_e32 v2, v2
.LBB54_1068:
	s_mov_b64 s[4:5], 0
.LBB54_1069:
	s_andn2_b64 vcc, exec, s[4:5]
	s_cbranch_vccnz .LBB54_1071
; %bb.1070:
	global_load_ubyte v2, v[0:1], off
	s_movk_i32 s4, 0x7f00
	s_brev_b32 s5, 16
	s_waitcnt vmcnt(0)
	v_lshlrev_b16_e32 v5, 8, v2
	v_lshlrev_b32_e32 v2, 25, v2
	v_lshrrev_b32_e32 v6, 4, v2
	v_and_or_b32 v7, v5, s4, 0.5
	v_or_b32_e32 v6, 0x70000000, v6
	v_add_f32_e32 v7, -0.5, v7
	v_mul_f32_e32 v6, 0x7800000, v6
	v_cmp_gt_u32_e32 vcc, s5, v2
	v_bfe_i32 v5, v5, 0, 16
	v_cndmask_b32_e32 v2, v6, v7, vcc
	s_brev_b32 s4, 1
	v_and_or_b32 v2, v5, s4, v2
	v_cvt_i32_f32_e32 v2, v2
.LBB54_1071:
	s_mov_b64 s[18:19], -1
	s_mov_b64 s[4:5], 0
	s_cbranch_execnz .LBB54_1082
.LBB54_1072:
	s_cmp_gt_i32 s22, 14
	s_cbranch_scc0 .LBB54_1075
; %bb.1073:
	s_cmp_eq_u32 s22, 15
	s_cbranch_scc0 .LBB54_1078
; %bb.1074:
	global_load_ushort v2, v[0:1], off
	s_mov_b64 s[0:1], 0
	s_mov_b64 s[18:19], -1
	s_waitcnt vmcnt(0)
	v_lshlrev_b32_e32 v2, 16, v2
	v_cvt_i32_f32_e32 v2, v2
	s_branch .LBB54_1079
.LBB54_1075:
	s_mov_b64 s[16:17], -1
                                        ; implicit-def: $vgpr2
	s_branch .LBB54_1080
.LBB54_1076:
	s_andn2_saveexec_b64 s[4:5], s[4:5]
	s_cbranch_execz .LBB54_1058
.LBB54_1077:
	v_cmp_ne_u16_e32 vcc, 0, v5
	s_andn2_b64 s[16:17], s[16:17], exec
	s_and_b64 s[18:19], vcc, exec
	s_or_b64 s[16:17], s[16:17], s[18:19]
	s_or_b64 exec, exec, s[4:5]
	v_mov_b32_e32 v2, 0
	s_and_saveexec_b64 s[4:5], s[16:17]
	s_cbranch_execnz .LBB54_1059
	s_branch .LBB54_1060
.LBB54_1078:
	s_mov_b64 s[0:1], -1
                                        ; implicit-def: $vgpr2
.LBB54_1079:
	s_mov_b64 s[16:17], 0
.LBB54_1080:
	s_and_b64 vcc, exec, s[16:17]
	s_cbranch_vccz .LBB54_1082
; %bb.1081:
	s_cmp_lg_u32 s22, 11
	s_mov_b64 s[4:5], -1
	s_cselect_b64 s[0:1], -1, 0
.LBB54_1082:
	s_and_b64 vcc, exec, s[0:1]
	s_mov_b64 s[16:17], s[14:15]
	s_cbranch_vccnz .LBB54_1143
; %bb.1083:
	s_andn2_b64 vcc, exec, s[4:5]
	s_cbranch_vccnz .LBB54_1085
.LBB54_1084:
	global_load_ubyte v2, v[0:1], off
	s_mov_b64 s[18:19], -1
	s_waitcnt vmcnt(0)
	v_cmp_ne_u16_e32 vcc, 0, v2
	v_cndmask_b32_e64 v2, 0, 1, vcc
.LBB54_1085:
	s_branch .LBB54_1020
.LBB54_1086:
	s_cmp_lt_i32 s22, 5
	s_cbranch_scc1 .LBB54_1091
; %bb.1087:
	s_cmp_lt_i32 s22, 8
	s_cbranch_scc1 .LBB54_1092
; %bb.1088:
	;; [unrolled: 3-line block ×3, first 2 shown]
	s_cmp_gt_i32 s22, 9
	s_cbranch_scc0 .LBB54_1094
; %bb.1090:
	global_load_dwordx2 v[5:6], v[0:1], off
	s_mov_b64 s[0:1], 0
	s_waitcnt vmcnt(0)
	v_cvt_i32_f64_e32 v2, v[5:6]
	s_branch .LBB54_1095
.LBB54_1091:
                                        ; implicit-def: $vgpr2
	s_branch .LBB54_1112
.LBB54_1092:
                                        ; implicit-def: $vgpr2
	s_branch .LBB54_1101
.LBB54_1093:
	s_mov_b64 s[0:1], -1
                                        ; implicit-def: $vgpr2
	s_branch .LBB54_1098
.LBB54_1094:
	s_mov_b64 s[0:1], -1
                                        ; implicit-def: $vgpr2
.LBB54_1095:
	s_andn2_b64 vcc, exec, s[0:1]
	s_cbranch_vccnz .LBB54_1097
; %bb.1096:
	global_load_dword v2, v[0:1], off
	s_waitcnt vmcnt(0)
	v_cvt_i32_f32_e32 v2, v2
.LBB54_1097:
	s_mov_b64 s[0:1], 0
.LBB54_1098:
	s_andn2_b64 vcc, exec, s[0:1]
	s_cbranch_vccnz .LBB54_1100
; %bb.1099:
	global_load_dword v2, v[0:1], off
	s_waitcnt vmcnt(0)
	v_cvt_f32_f16_e32 v2, v2
	v_cvt_i32_f32_e32 v2, v2
.LBB54_1100:
	s_cbranch_execnz .LBB54_1111
.LBB54_1101:
	s_cmp_lt_i32 s22, 6
	s_cbranch_scc1 .LBB54_1104
; %bb.1102:
	s_cmp_gt_i32 s22, 6
	s_cbranch_scc0 .LBB54_1105
; %bb.1103:
	global_load_dwordx2 v[5:6], v[0:1], off
	s_mov_b64 s[0:1], 0
	s_waitcnt vmcnt(0)
	v_cvt_i32_f64_e32 v2, v[5:6]
	s_branch .LBB54_1106
.LBB54_1104:
	s_mov_b64 s[0:1], -1
                                        ; implicit-def: $vgpr2
	s_branch .LBB54_1109
.LBB54_1105:
	s_mov_b64 s[0:1], -1
                                        ; implicit-def: $vgpr2
.LBB54_1106:
	s_andn2_b64 vcc, exec, s[0:1]
	s_cbranch_vccnz .LBB54_1108
; %bb.1107:
	global_load_dword v2, v[0:1], off
	s_waitcnt vmcnt(0)
	v_cvt_i32_f32_e32 v2, v2
.LBB54_1108:
	s_mov_b64 s[0:1], 0
.LBB54_1109:
	s_andn2_b64 vcc, exec, s[0:1]
	s_cbranch_vccnz .LBB54_1111
; %bb.1110:
	global_load_ushort v2, v[0:1], off
	s_waitcnt vmcnt(0)
	v_cvt_f32_f16_e32 v2, v2
	v_cvt_i32_f32_e32 v2, v2
.LBB54_1111:
	s_cbranch_execnz .LBB54_1130
.LBB54_1112:
	s_cmp_lt_i32 s22, 2
	s_cbranch_scc1 .LBB54_1116
; %bb.1113:
	s_cmp_lt_i32 s22, 3
	s_cbranch_scc1 .LBB54_1117
; %bb.1114:
	s_cmp_gt_i32 s22, 3
	s_cbranch_scc0 .LBB54_1118
; %bb.1115:
	global_load_dword v2, v[0:1], off
	s_mov_b64 s[0:1], 0
	s_branch .LBB54_1119
.LBB54_1116:
                                        ; implicit-def: $vgpr2
	s_branch .LBB54_1125
.LBB54_1117:
	s_mov_b64 s[0:1], -1
                                        ; implicit-def: $vgpr2
	s_branch .LBB54_1122
.LBB54_1118:
	s_mov_b64 s[0:1], -1
                                        ; implicit-def: $vgpr2
.LBB54_1119:
	s_andn2_b64 vcc, exec, s[0:1]
	s_cbranch_vccnz .LBB54_1121
; %bb.1120:
	global_load_dword v2, v[0:1], off
.LBB54_1121:
	s_mov_b64 s[0:1], 0
.LBB54_1122:
	s_andn2_b64 vcc, exec, s[0:1]
	s_cbranch_vccnz .LBB54_1124
; %bb.1123:
	global_load_sshort v2, v[0:1], off
.LBB54_1124:
	s_cbranch_execnz .LBB54_1130
.LBB54_1125:
	s_cmp_gt_i32 s22, 0
	s_cbranch_scc0 .LBB54_1127
; %bb.1126:
	global_load_sbyte v2, v[0:1], off
	s_mov_b64 s[0:1], 0
	s_branch .LBB54_1128
.LBB54_1127:
	s_mov_b64 s[0:1], -1
                                        ; implicit-def: $vgpr2
.LBB54_1128:
	s_andn2_b64 vcc, exec, s[0:1]
	s_cbranch_vccnz .LBB54_1130
; %bb.1129:
	global_load_ubyte v2, v[0:1], off
.LBB54_1130:
.LBB54_1131:
	s_lshl_b32 s13, s13, 7
	v_add_u32_e32 v3, s13, v3
	v_ashrrev_i32_e32 v1, 31, v3
	v_mov_b32_e32 v5, s11
	v_add_co_u32_e32 v0, vcc, s10, v3
	s_cmp_lt_i32 s22, 11
	v_addc_co_u32_e32 v1, vcc, v5, v1, vcc
	s_cbranch_scc1 .LBB54_1138
; %bb.1132:
	s_cmp_gt_i32 s22, 25
	s_mov_b64 s[4:5], 0
	s_cbranch_scc0 .LBB54_1140
; %bb.1133:
	s_cmp_gt_i32 s22, 28
	s_cbranch_scc0 .LBB54_1141
; %bb.1134:
	s_cmp_gt_i32 s22, 43
	;; [unrolled: 3-line block ×3, first 2 shown]
	s_cbranch_scc0 .LBB54_1144
; %bb.1136:
	s_cmp_eq_u32 s22, 46
	s_mov_b64 s[20:21], 0
	s_cbranch_scc0 .LBB54_1147
; %bb.1137:
	global_load_dword v5, v[0:1], off
	s_mov_b64 s[0:1], 0
	s_mov_b64 s[18:19], -1
	s_waitcnt vmcnt(0)
	v_lshlrev_b32_e32 v5, 16, v5
	v_cvt_i32_f32_e32 v7, v5
	s_branch .LBB54_1148
.LBB54_1138:
	s_mov_b64 s[18:19], 0
                                        ; implicit-def: $vgpr7
	s_cbranch_execnz .LBB54_1209
.LBB54_1139:
	s_andn2_b64 vcc, exec, s[18:19]
	s_cbranch_vccnz .LBB54_1940
	s_branch .LBB54_1256
.LBB54_1140:
	s_mov_b64 s[18:19], 0
	s_mov_b64 s[0:1], 0
                                        ; implicit-def: $vgpr7
	s_cbranch_execnz .LBB54_1175
	s_branch .LBB54_1205
.LBB54_1141:
	s_mov_b64 s[20:21], -1
	s_mov_b64 s[18:19], 0
	s_mov_b64 s[0:1], 0
                                        ; implicit-def: $vgpr7
	s_branch .LBB54_1158
.LBB54_1142:
	s_mov_b64 s[20:21], -1
	s_mov_b64 s[18:19], 0
	s_mov_b64 s[0:1], 0
                                        ; implicit-def: $vgpr7
	s_branch .LBB54_1153
.LBB54_1143:
	s_or_b64 s[16:17], s[14:15], exec
	s_trap 2
	s_cbranch_execz .LBB54_1084
	s_branch .LBB54_1085
.LBB54_1144:
	s_mov_b64 s[20:21], -1
	s_mov_b64 s[18:19], 0
	s_mov_b64 s[0:1], 0
                                        ; implicit-def: $vgpr7
	s_branch .LBB54_1148
.LBB54_1145:
	s_andn2_saveexec_b64 s[26:27], s[26:27]
	s_cbranch_execz .LBB54_936
.LBB54_1146:
	s_mov_b32 s30, 0x42800000
	v_add_f32_e64 v4, |v1|, s30
	v_and_b32_e32 v4, 0xff, v4
	v_cmp_ne_u32_e32 vcc, 0, v4
	s_andn2_b64 s[24:25], s[24:25], exec
	s_and_b64 s[30:31], vcc, exec
	s_or_b64 s[24:25], s[24:25], s[30:31]
	s_or_b64 exec, exec, s[26:27]
	v_mov_b32_e32 v5, 0
	s_and_saveexec_b64 s[26:27], s[24:25]
	s_cbranch_execnz .LBB54_937
	s_branch .LBB54_938
.LBB54_1147:
	s_mov_b64 s[0:1], -1
                                        ; implicit-def: $vgpr7
	s_mov_b64 s[18:19], 0
.LBB54_1148:
	s_and_b64 vcc, exec, s[20:21]
	s_cbranch_vccz .LBB54_1152
; %bb.1149:
	s_cmp_eq_u32 s22, 44
	s_cbranch_scc0 .LBB54_1151
; %bb.1150:
	global_load_ubyte v5, v[0:1], off
	s_mov_b64 s[0:1], 0
	s_mov_b64 s[18:19], -1
	s_waitcnt vmcnt(0)
	v_lshlrev_b32_e32 v6, 23, v5
	v_cvt_i32_f32_e32 v6, v6
	v_cmp_ne_u32_e32 vcc, 0, v5
	v_cndmask_b32_e32 v7, 0, v6, vcc
	s_branch .LBB54_1152
.LBB54_1151:
	s_mov_b64 s[0:1], -1
                                        ; implicit-def: $vgpr7
.LBB54_1152:
	s_mov_b64 s[20:21], 0
.LBB54_1153:
	s_and_b64 vcc, exec, s[20:21]
	s_cbranch_vccz .LBB54_1157
; %bb.1154:
	s_cmp_eq_u32 s22, 29
	s_cbranch_scc0 .LBB54_1156
; %bb.1155:
	global_load_dword v7, v[0:1], off
	s_mov_b64 s[0:1], 0
	s_mov_b64 s[18:19], -1
	s_branch .LBB54_1157
.LBB54_1156:
	s_mov_b64 s[0:1], -1
                                        ; implicit-def: $vgpr7
.LBB54_1157:
	s_mov_b64 s[20:21], 0
.LBB54_1158:
	s_and_b64 vcc, exec, s[20:21]
	s_cbranch_vccz .LBB54_1174
; %bb.1159:
	s_cmp_lt_i32 s22, 27
	s_cbranch_scc1 .LBB54_1162
; %bb.1160:
	s_cmp_gt_i32 s22, 27
	s_cbranch_scc0 .LBB54_1163
; %bb.1161:
	global_load_dword v7, v[0:1], off
	s_mov_b64 s[18:19], 0
	s_branch .LBB54_1164
.LBB54_1162:
	s_mov_b64 s[18:19], -1
                                        ; implicit-def: $vgpr7
	s_branch .LBB54_1167
.LBB54_1163:
	s_mov_b64 s[18:19], -1
                                        ; implicit-def: $vgpr7
.LBB54_1164:
	s_andn2_b64 vcc, exec, s[18:19]
	s_cbranch_vccnz .LBB54_1166
; %bb.1165:
	global_load_ushort v7, v[0:1], off
.LBB54_1166:
	s_mov_b64 s[18:19], 0
.LBB54_1167:
	s_andn2_b64 vcc, exec, s[18:19]
	s_cbranch_vccnz .LBB54_1173
; %bb.1168:
	global_load_ubyte v5, v[0:1], off
	s_movk_i32 s18, 0x7f
	s_mov_b64 s[20:21], 0
	s_waitcnt vmcnt(0)
	v_cmp_lt_i16_e32 vcc, s18, v5
	s_and_saveexec_b64 s[18:19], vcc
	s_xor_b64 s[18:19], exec, s[18:19]
	s_cbranch_execz .LBB54_1184
; %bb.1169:
	s_movk_i32 s20, 0x80
	v_cmp_ne_u16_e32 vcc, s20, v5
	s_and_b64 s[20:21], vcc, exec
	s_andn2_saveexec_b64 s[18:19], s[18:19]
	s_cbranch_execnz .LBB54_1185
.LBB54_1170:
	s_or_b64 exec, exec, s[18:19]
	v_mov_b32_e32 v7, 0
	s_and_saveexec_b64 s[18:19], s[20:21]
	s_cbranch_execz .LBB54_1172
.LBB54_1171:
	v_lshlrev_b32_e32 v6, 24, v5
	v_and_b32_e32 v5, 0xffff, v5
	v_and_b32_e32 v7, 7, v5
	v_ffbh_u32_e32 v9, v7
	v_min_u32_e32 v9, 32, v9
	v_subrev_u32_e32 v10, 28, v9
	v_bfe_u32 v8, v5, 3, 4
	v_lshlrev_b32_e32 v5, v10, v5
	v_sub_u32_e32 v9, 29, v9
	v_and_b32_e32 v5, 7, v5
	v_cmp_eq_u32_e32 vcc, 0, v8
	v_cndmask_b32_e32 v8, v8, v9, vcc
	v_cndmask_b32_e32 v5, v7, v5, vcc
	v_mov_b32_e32 v7, 0x3b800000
	v_lshlrev_b32_e32 v5, 20, v5
	v_and_b32_e32 v6, 0x80000000, v6
	v_lshl_add_u32 v7, v8, 23, v7
	v_or3_b32 v5, v6, v7, v5
	v_cvt_i32_f32_e32 v7, v5
.LBB54_1172:
	s_or_b64 exec, exec, s[18:19]
.LBB54_1173:
	s_mov_b64 s[18:19], -1
.LBB54_1174:
	s_branch .LBB54_1205
.LBB54_1175:
	s_cmp_gt_i32 s22, 22
	s_cbranch_scc0 .LBB54_1183
; %bb.1176:
	s_cmp_lt_i32 s22, 24
	s_cbranch_scc1 .LBB54_1186
; %bb.1177:
	s_cmp_gt_i32 s22, 24
	s_cbranch_scc0 .LBB54_1187
; %bb.1178:
	global_load_ubyte v5, v[0:1], off
	s_movk_i32 s4, 0x7f
	s_mov_b64 s[18:19], 0
	s_waitcnt vmcnt(0)
	v_cmp_lt_i16_e32 vcc, s4, v5
	s_and_saveexec_b64 s[4:5], vcc
	s_xor_b64 s[4:5], exec, s[4:5]
	s_cbranch_execz .LBB54_1199
; %bb.1179:
	s_movk_i32 s18, 0x80
	v_cmp_ne_u16_e32 vcc, s18, v5
	s_and_b64 s[18:19], vcc, exec
	s_andn2_saveexec_b64 s[4:5], s[4:5]
	s_cbranch_execnz .LBB54_1200
.LBB54_1180:
	s_or_b64 exec, exec, s[4:5]
	v_mov_b32_e32 v7, 0
	s_and_saveexec_b64 s[4:5], s[18:19]
	s_cbranch_execz .LBB54_1182
.LBB54_1181:
	v_lshlrev_b32_e32 v6, 24, v5
	v_and_b32_e32 v5, 0xffff, v5
	v_and_b32_e32 v7, 3, v5
	v_ffbh_u32_e32 v9, v7
	v_min_u32_e32 v9, 32, v9
	v_subrev_u32_e32 v10, 29, v9
	v_bfe_u32 v8, v5, 2, 5
	v_lshlrev_b32_e32 v5, v10, v5
	v_sub_u32_e32 v9, 30, v9
	v_and_b32_e32 v5, 3, v5
	v_cmp_eq_u32_e32 vcc, 0, v8
	v_cndmask_b32_e32 v8, v8, v9, vcc
	v_cndmask_b32_e32 v5, v7, v5, vcc
	v_mov_b32_e32 v7, 0x37800000
	v_lshlrev_b32_e32 v5, 21, v5
	v_and_b32_e32 v6, 0x80000000, v6
	v_lshl_add_u32 v7, v8, 23, v7
	v_or3_b32 v5, v6, v7, v5
	v_cvt_i32_f32_e32 v7, v5
.LBB54_1182:
	s_or_b64 exec, exec, s[4:5]
	s_mov_b64 s[4:5], 0
	s_branch .LBB54_1188
.LBB54_1183:
	s_mov_b64 s[4:5], -1
                                        ; implicit-def: $vgpr7
	s_branch .LBB54_1194
.LBB54_1184:
	s_andn2_saveexec_b64 s[18:19], s[18:19]
	s_cbranch_execz .LBB54_1170
.LBB54_1185:
	v_cmp_ne_u16_e32 vcc, 0, v5
	s_andn2_b64 s[20:21], s[20:21], exec
	s_and_b64 s[24:25], vcc, exec
	s_or_b64 s[20:21], s[20:21], s[24:25]
	s_or_b64 exec, exec, s[18:19]
	v_mov_b32_e32 v7, 0
	s_and_saveexec_b64 s[18:19], s[20:21]
	s_cbranch_execnz .LBB54_1171
	s_branch .LBB54_1172
.LBB54_1186:
	s_mov_b64 s[4:5], -1
                                        ; implicit-def: $vgpr7
	s_branch .LBB54_1191
.LBB54_1187:
	s_mov_b64 s[4:5], -1
                                        ; implicit-def: $vgpr7
.LBB54_1188:
	s_and_b64 vcc, exec, s[4:5]
	s_cbranch_vccz .LBB54_1190
; %bb.1189:
	global_load_ubyte v5, v[0:1], off
	s_mov_b32 s4, 0x7f800000
	s_waitcnt vmcnt(0)
	v_lshlrev_b32_e32 v5, 24, v5
	v_and_b32_e32 v6, 0x7f000000, v5
	v_ffbh_u32_e32 v7, v6
	v_min_u32_e32 v7, 32, v7
	v_sub_u32_e64 v7, v7, 4 clamp
	v_lshlrev_b32_e32 v9, v7, v6
	v_lshlrev_b32_e32 v7, 23, v7
	v_lshrrev_b32_e32 v9, 4, v9
	v_add_u32_e32 v8, 0x1000000, v6
	v_sub_u32_e32 v7, v9, v7
	v_ashrrev_i32_e32 v8, 8, v8
	v_add_u32_e32 v7, 0x3c000000, v7
	v_and_or_b32 v7, v8, s4, v7
	v_cmp_ne_u32_e32 vcc, 0, v6
	v_cndmask_b32_e32 v6, 0, v7, vcc
	s_brev_b32 s4, 1
	v_and_or_b32 v5, v5, s4, v6
	v_cvt_i32_f32_e32 v7, v5
.LBB54_1190:
	s_mov_b64 s[4:5], 0
.LBB54_1191:
	s_andn2_b64 vcc, exec, s[4:5]
	s_cbranch_vccnz .LBB54_1193
; %bb.1192:
	global_load_ubyte v5, v[0:1], off
	s_movk_i32 s4, 0x7f00
	s_brev_b32 s5, 16
	s_waitcnt vmcnt(0)
	v_lshlrev_b16_e32 v6, 8, v5
	v_lshlrev_b32_e32 v5, 25, v5
	v_lshrrev_b32_e32 v7, 4, v5
	v_and_or_b32 v8, v6, s4, 0.5
	v_or_b32_e32 v7, 0x70000000, v7
	v_add_f32_e32 v8, -0.5, v8
	v_mul_f32_e32 v7, 0x7800000, v7
	v_cmp_gt_u32_e32 vcc, s5, v5
	v_bfe_i32 v6, v6, 0, 16
	v_cndmask_b32_e32 v5, v7, v8, vcc
	s_brev_b32 s4, 1
	v_and_or_b32 v5, v6, s4, v5
	v_cvt_i32_f32_e32 v7, v5
.LBB54_1193:
	s_mov_b64 s[4:5], 0
	s_mov_b64 s[18:19], -1
.LBB54_1194:
	s_andn2_b64 vcc, exec, s[4:5]
	s_mov_b64 s[4:5], 0
	s_cbranch_vccnz .LBB54_1205
; %bb.1195:
	s_cmp_gt_i32 s22, 14
	s_cbranch_scc0 .LBB54_1198
; %bb.1196:
	s_cmp_eq_u32 s22, 15
	s_cbranch_scc0 .LBB54_1201
; %bb.1197:
	global_load_ushort v5, v[0:1], off
	s_mov_b64 s[0:1], 0
	s_mov_b64 s[18:19], -1
	s_waitcnt vmcnt(0)
	v_lshlrev_b32_e32 v5, 16, v5
	v_cvt_i32_f32_e32 v7, v5
	s_branch .LBB54_1202
.LBB54_1198:
	s_mov_b64 s[20:21], -1
                                        ; implicit-def: $vgpr7
	s_branch .LBB54_1203
.LBB54_1199:
	s_andn2_saveexec_b64 s[4:5], s[4:5]
	s_cbranch_execz .LBB54_1180
.LBB54_1200:
	v_cmp_ne_u16_e32 vcc, 0, v5
	s_andn2_b64 s[18:19], s[18:19], exec
	s_and_b64 s[20:21], vcc, exec
	s_or_b64 s[18:19], s[18:19], s[20:21]
	s_or_b64 exec, exec, s[4:5]
	v_mov_b32_e32 v7, 0
	s_and_saveexec_b64 s[4:5], s[18:19]
	s_cbranch_execnz .LBB54_1181
	s_branch .LBB54_1182
.LBB54_1201:
	s_mov_b64 s[0:1], -1
                                        ; implicit-def: $vgpr7
.LBB54_1202:
	s_mov_b64 s[20:21], 0
.LBB54_1203:
	s_and_b64 vcc, exec, s[20:21]
	s_cbranch_vccz .LBB54_1205
; %bb.1204:
	s_cmp_lg_u32 s22, 11
	s_mov_b64 s[4:5], -1
	s_cselect_b64 s[0:1], -1, 0
.LBB54_1205:
	s_and_b64 vcc, exec, s[0:1]
	s_cbranch_vccnz .LBB54_1268
; %bb.1206:
	s_andn2_b64 vcc, exec, s[4:5]
	s_cbranch_vccnz .LBB54_1208
.LBB54_1207:
	global_load_ubyte v5, v[0:1], off
	s_mov_b64 s[18:19], -1
	s_waitcnt vmcnt(0)
	v_cmp_ne_u16_e32 vcc, 0, v5
	v_cndmask_b32_e64 v7, 0, 1, vcc
.LBB54_1208:
	s_branch .LBB54_1139
.LBB54_1209:
	s_cmp_lt_i32 s22, 5
	s_cbranch_scc1 .LBB54_1214
; %bb.1210:
	s_cmp_lt_i32 s22, 8
	s_cbranch_scc1 .LBB54_1215
; %bb.1211:
	;; [unrolled: 3-line block ×3, first 2 shown]
	s_cmp_gt_i32 s22, 9
	s_cbranch_scc0 .LBB54_1217
; %bb.1213:
	global_load_dwordx2 v[5:6], v[0:1], off
	s_mov_b64 s[0:1], 0
	s_waitcnt vmcnt(0)
	v_cvt_i32_f64_e32 v7, v[5:6]
	s_branch .LBB54_1218
.LBB54_1214:
                                        ; implicit-def: $vgpr7
	s_branch .LBB54_1236
.LBB54_1215:
	s_mov_b64 s[0:1], -1
                                        ; implicit-def: $vgpr7
	s_branch .LBB54_1224
.LBB54_1216:
	s_mov_b64 s[0:1], -1
                                        ; implicit-def: $vgpr7
	s_branch .LBB54_1221
.LBB54_1217:
	s_mov_b64 s[0:1], -1
                                        ; implicit-def: $vgpr7
.LBB54_1218:
	s_andn2_b64 vcc, exec, s[0:1]
	s_cbranch_vccnz .LBB54_1220
; %bb.1219:
	global_load_dword v5, v[0:1], off
	s_waitcnt vmcnt(0)
	v_cvt_i32_f32_e32 v7, v5
.LBB54_1220:
	s_mov_b64 s[0:1], 0
.LBB54_1221:
	s_andn2_b64 vcc, exec, s[0:1]
	s_cbranch_vccnz .LBB54_1223
; %bb.1222:
	global_load_dword v5, v[0:1], off
	s_waitcnt vmcnt(0)
	v_cvt_f32_f16_e32 v5, v5
	v_cvt_i32_f32_e32 v7, v5
.LBB54_1223:
	s_mov_b64 s[0:1], 0
.LBB54_1224:
	s_andn2_b64 vcc, exec, s[0:1]
	s_cbranch_vccnz .LBB54_1235
; %bb.1225:
	s_cmp_lt_i32 s22, 6
	s_cbranch_scc1 .LBB54_1228
; %bb.1226:
	s_cmp_gt_i32 s22, 6
	s_cbranch_scc0 .LBB54_1229
; %bb.1227:
	global_load_dwordx2 v[5:6], v[0:1], off
	s_mov_b64 s[0:1], 0
	s_waitcnt vmcnt(0)
	v_cvt_i32_f64_e32 v7, v[5:6]
	s_branch .LBB54_1230
.LBB54_1228:
	s_mov_b64 s[0:1], -1
                                        ; implicit-def: $vgpr7
	s_branch .LBB54_1233
.LBB54_1229:
	s_mov_b64 s[0:1], -1
                                        ; implicit-def: $vgpr7
.LBB54_1230:
	s_andn2_b64 vcc, exec, s[0:1]
	s_cbranch_vccnz .LBB54_1232
; %bb.1231:
	global_load_dword v5, v[0:1], off
	s_waitcnt vmcnt(0)
	v_cvt_i32_f32_e32 v7, v5
.LBB54_1232:
	s_mov_b64 s[0:1], 0
.LBB54_1233:
	s_andn2_b64 vcc, exec, s[0:1]
	s_cbranch_vccnz .LBB54_1235
; %bb.1234:
	global_load_ushort v5, v[0:1], off
	s_waitcnt vmcnt(0)
	v_cvt_f32_f16_e32 v5, v5
	v_cvt_i32_f32_e32 v7, v5
.LBB54_1235:
	s_cbranch_execnz .LBB54_1255
.LBB54_1236:
	s_cmp_lt_i32 s22, 2
	s_cbranch_scc1 .LBB54_1240
; %bb.1237:
	s_cmp_lt_i32 s22, 3
	s_cbranch_scc1 .LBB54_1241
; %bb.1238:
	s_cmp_gt_i32 s22, 3
	s_cbranch_scc0 .LBB54_1242
; %bb.1239:
	global_load_dword v7, v[0:1], off
	s_mov_b64 s[0:1], 0
	s_branch .LBB54_1243
.LBB54_1240:
	s_mov_b64 s[0:1], -1
                                        ; implicit-def: $vgpr7
	s_branch .LBB54_1249
.LBB54_1241:
	s_mov_b64 s[0:1], -1
                                        ; implicit-def: $vgpr7
	s_branch .LBB54_1246
.LBB54_1242:
	s_mov_b64 s[0:1], -1
                                        ; implicit-def: $vgpr7
.LBB54_1243:
	s_andn2_b64 vcc, exec, s[0:1]
	s_cbranch_vccnz .LBB54_1245
; %bb.1244:
	global_load_dword v7, v[0:1], off
.LBB54_1245:
	s_mov_b64 s[0:1], 0
.LBB54_1246:
	s_andn2_b64 vcc, exec, s[0:1]
	s_cbranch_vccnz .LBB54_1248
; %bb.1247:
	global_load_sshort v7, v[0:1], off
.LBB54_1248:
	s_mov_b64 s[0:1], 0
.LBB54_1249:
	s_andn2_b64 vcc, exec, s[0:1]
	s_cbranch_vccnz .LBB54_1255
; %bb.1250:
	s_cmp_gt_i32 s22, 0
	s_cbranch_scc0 .LBB54_1252
; %bb.1251:
	global_load_sbyte v7, v[0:1], off
	s_mov_b64 s[0:1], 0
	s_branch .LBB54_1253
.LBB54_1252:
	s_mov_b64 s[0:1], -1
                                        ; implicit-def: $vgpr7
.LBB54_1253:
	s_andn2_b64 vcc, exec, s[0:1]
	s_cbranch_vccnz .LBB54_1255
; %bb.1254:
	global_load_ubyte v7, v[0:1], off
.LBB54_1255:
.LBB54_1256:
	v_add_u32_e32 v3, s13, v3
	v_ashrrev_i32_e32 v1, 31, v3
	v_mov_b32_e32 v5, s11
	v_add_co_u32_e32 v0, vcc, s10, v3
	s_cmp_lt_i32 s22, 11
	v_addc_co_u32_e32 v1, vcc, v5, v1, vcc
	s_cbranch_scc1 .LBB54_1263
; %bb.1257:
	s_cmp_gt_i32 s22, 25
	s_mov_b64 s[4:5], 0
	s_cbranch_scc0 .LBB54_1265
; %bb.1258:
	s_cmp_gt_i32 s22, 28
	s_cbranch_scc0 .LBB54_1266
; %bb.1259:
	s_cmp_gt_i32 s22, 43
	s_cbranch_scc0 .LBB54_1267
; %bb.1260:
	s_cmp_gt_i32 s22, 45
	s_cbranch_scc0 .LBB54_1269
; %bb.1261:
	s_cmp_eq_u32 s22, 46
	s_mov_b64 s[20:21], 0
	s_cbranch_scc0 .LBB54_1270
; %bb.1262:
	global_load_dword v5, v[0:1], off
	s_mov_b64 s[0:1], 0
	s_mov_b64 s[18:19], -1
	s_waitcnt vmcnt(0)
	v_lshlrev_b32_e32 v5, 16, v5
	v_cvt_i32_f32_e32 v6, v5
	s_branch .LBB54_1271
.LBB54_1263:
	s_mov_b64 s[18:19], 0
                                        ; implicit-def: $vgpr6
	s_cbranch_execnz .LBB54_1333
.LBB54_1264:
	s_andn2_b64 vcc, exec, s[18:19]
	s_cbranch_vccnz .LBB54_1940
	s_branch .LBB54_1381
.LBB54_1265:
	s_mov_b64 s[20:21], -1
	s_mov_b64 s[18:19], 0
	s_mov_b64 s[0:1], 0
                                        ; implicit-def: $vgpr6
	s_branch .LBB54_1298
.LBB54_1266:
	s_mov_b64 s[20:21], -1
	s_mov_b64 s[18:19], 0
	s_mov_b64 s[0:1], 0
                                        ; implicit-def: $vgpr6
	s_branch .LBB54_1281
.LBB54_1267:
	s_mov_b64 s[20:21], -1
	s_mov_b64 s[18:19], 0
	s_mov_b64 s[0:1], 0
                                        ; implicit-def: $vgpr6
	s_branch .LBB54_1276
.LBB54_1268:
	s_trap 2
	s_or_b64 s[16:17], s[16:17], exec
	s_cbranch_execz .LBB54_1207
	s_branch .LBB54_1208
.LBB54_1269:
	s_mov_b64 s[20:21], -1
	s_mov_b64 s[18:19], 0
	s_mov_b64 s[0:1], 0
                                        ; implicit-def: $vgpr6
	s_branch .LBB54_1271
.LBB54_1270:
	s_mov_b64 s[0:1], -1
                                        ; implicit-def: $vgpr6
	s_mov_b64 s[18:19], 0
.LBB54_1271:
	s_and_b64 vcc, exec, s[20:21]
	s_cbranch_vccz .LBB54_1275
; %bb.1272:
	s_cmp_eq_u32 s22, 44
	s_cbranch_scc0 .LBB54_1274
; %bb.1273:
	global_load_ubyte v5, v[0:1], off
	s_mov_b64 s[0:1], 0
	s_mov_b64 s[18:19], -1
	s_waitcnt vmcnt(0)
	v_lshlrev_b32_e32 v6, 23, v5
	v_cvt_i32_f32_e32 v6, v6
	v_cmp_ne_u32_e32 vcc, 0, v5
	v_cndmask_b32_e32 v6, 0, v6, vcc
	s_branch .LBB54_1275
.LBB54_1274:
	s_mov_b64 s[0:1], -1
                                        ; implicit-def: $vgpr6
.LBB54_1275:
	s_mov_b64 s[20:21], 0
.LBB54_1276:
	s_and_b64 vcc, exec, s[20:21]
	s_cbranch_vccz .LBB54_1280
; %bb.1277:
	s_cmp_eq_u32 s22, 29
	s_cbranch_scc0 .LBB54_1279
; %bb.1278:
	global_load_dword v6, v[0:1], off
	s_mov_b64 s[0:1], 0
	s_mov_b64 s[18:19], -1
	s_branch .LBB54_1280
.LBB54_1279:
	s_mov_b64 s[0:1], -1
                                        ; implicit-def: $vgpr6
.LBB54_1280:
	s_mov_b64 s[20:21], 0
.LBB54_1281:
	s_and_b64 vcc, exec, s[20:21]
	s_cbranch_vccz .LBB54_1297
; %bb.1282:
	s_cmp_lt_i32 s22, 27
	s_cbranch_scc1 .LBB54_1285
; %bb.1283:
	s_cmp_gt_i32 s22, 27
	s_cbranch_scc0 .LBB54_1286
; %bb.1284:
	global_load_dword v6, v[0:1], off
	s_mov_b64 s[18:19], 0
	s_branch .LBB54_1287
.LBB54_1285:
	s_mov_b64 s[18:19], -1
                                        ; implicit-def: $vgpr6
	s_branch .LBB54_1290
.LBB54_1286:
	s_mov_b64 s[18:19], -1
                                        ; implicit-def: $vgpr6
.LBB54_1287:
	s_andn2_b64 vcc, exec, s[18:19]
	s_cbranch_vccnz .LBB54_1289
; %bb.1288:
	global_load_ushort v6, v[0:1], off
.LBB54_1289:
	s_mov_b64 s[18:19], 0
.LBB54_1290:
	s_andn2_b64 vcc, exec, s[18:19]
	s_cbranch_vccnz .LBB54_1296
; %bb.1291:
	global_load_ubyte v5, v[0:1], off
	s_movk_i32 s18, 0x7f
	s_mov_b64 s[20:21], 0
	s_waitcnt vmcnt(0)
	v_cmp_lt_i16_e32 vcc, s18, v5
	s_and_saveexec_b64 s[18:19], vcc
	s_xor_b64 s[18:19], exec, s[18:19]
	s_cbranch_execz .LBB54_1308
; %bb.1292:
	s_movk_i32 s20, 0x80
	v_cmp_ne_u16_e32 vcc, s20, v5
	s_and_b64 s[20:21], vcc, exec
	s_andn2_saveexec_b64 s[18:19], s[18:19]
	s_cbranch_execnz .LBB54_1309
.LBB54_1293:
	s_or_b64 exec, exec, s[18:19]
	v_mov_b32_e32 v6, 0
	s_and_saveexec_b64 s[18:19], s[20:21]
	s_cbranch_execz .LBB54_1295
.LBB54_1294:
	v_lshlrev_b32_e32 v6, 24, v5
	v_and_b32_e32 v5, 0xffff, v5
	v_and_b32_e32 v8, 7, v5
	v_ffbh_u32_e32 v10, v8
	v_min_u32_e32 v10, 32, v10
	v_subrev_u32_e32 v11, 28, v10
	v_bfe_u32 v9, v5, 3, 4
	v_lshlrev_b32_e32 v5, v11, v5
	v_sub_u32_e32 v10, 29, v10
	v_and_b32_e32 v5, 7, v5
	v_cmp_eq_u32_e32 vcc, 0, v9
	v_cndmask_b32_e32 v9, v9, v10, vcc
	v_cndmask_b32_e32 v5, v8, v5, vcc
	v_mov_b32_e32 v8, 0x3b800000
	v_lshlrev_b32_e32 v5, 20, v5
	v_and_b32_e32 v6, 0x80000000, v6
	v_lshl_add_u32 v8, v9, 23, v8
	v_or3_b32 v5, v6, v8, v5
	v_cvt_i32_f32_e32 v6, v5
.LBB54_1295:
	s_or_b64 exec, exec, s[18:19]
.LBB54_1296:
	s_mov_b64 s[18:19], -1
.LBB54_1297:
	s_mov_b64 s[20:21], 0
.LBB54_1298:
	s_and_b64 vcc, exec, s[20:21]
	s_cbranch_vccz .LBB54_1329
; %bb.1299:
	s_cmp_gt_i32 s22, 22
	s_cbranch_scc0 .LBB54_1307
; %bb.1300:
	s_cmp_lt_i32 s22, 24
	s_cbranch_scc1 .LBB54_1310
; %bb.1301:
	s_cmp_gt_i32 s22, 24
	s_cbranch_scc0 .LBB54_1311
; %bb.1302:
	global_load_ubyte v5, v[0:1], off
	s_movk_i32 s4, 0x7f
	s_mov_b64 s[18:19], 0
	s_waitcnt vmcnt(0)
	v_cmp_lt_i16_e32 vcc, s4, v5
	s_and_saveexec_b64 s[4:5], vcc
	s_xor_b64 s[4:5], exec, s[4:5]
	s_cbranch_execz .LBB54_1323
; %bb.1303:
	s_movk_i32 s18, 0x80
	v_cmp_ne_u16_e32 vcc, s18, v5
	s_and_b64 s[18:19], vcc, exec
	s_andn2_saveexec_b64 s[4:5], s[4:5]
	s_cbranch_execnz .LBB54_1324
.LBB54_1304:
	s_or_b64 exec, exec, s[4:5]
	v_mov_b32_e32 v6, 0
	s_and_saveexec_b64 s[4:5], s[18:19]
	s_cbranch_execz .LBB54_1306
.LBB54_1305:
	v_lshlrev_b32_e32 v6, 24, v5
	v_and_b32_e32 v5, 0xffff, v5
	v_and_b32_e32 v8, 3, v5
	v_ffbh_u32_e32 v10, v8
	v_min_u32_e32 v10, 32, v10
	v_subrev_u32_e32 v11, 29, v10
	v_bfe_u32 v9, v5, 2, 5
	v_lshlrev_b32_e32 v5, v11, v5
	v_sub_u32_e32 v10, 30, v10
	v_and_b32_e32 v5, 3, v5
	v_cmp_eq_u32_e32 vcc, 0, v9
	v_cndmask_b32_e32 v9, v9, v10, vcc
	v_cndmask_b32_e32 v5, v8, v5, vcc
	v_mov_b32_e32 v8, 0x37800000
	v_lshlrev_b32_e32 v5, 21, v5
	v_and_b32_e32 v6, 0x80000000, v6
	v_lshl_add_u32 v8, v9, 23, v8
	v_or3_b32 v5, v6, v8, v5
	v_cvt_i32_f32_e32 v6, v5
.LBB54_1306:
	s_or_b64 exec, exec, s[4:5]
	s_mov_b64 s[4:5], 0
	s_branch .LBB54_1312
.LBB54_1307:
	s_mov_b64 s[4:5], -1
                                        ; implicit-def: $vgpr6
	s_branch .LBB54_1318
.LBB54_1308:
	s_andn2_saveexec_b64 s[18:19], s[18:19]
	s_cbranch_execz .LBB54_1293
.LBB54_1309:
	v_cmp_ne_u16_e32 vcc, 0, v5
	s_andn2_b64 s[20:21], s[20:21], exec
	s_and_b64 s[24:25], vcc, exec
	s_or_b64 s[20:21], s[20:21], s[24:25]
	s_or_b64 exec, exec, s[18:19]
	v_mov_b32_e32 v6, 0
	s_and_saveexec_b64 s[18:19], s[20:21]
	s_cbranch_execnz .LBB54_1294
	s_branch .LBB54_1295
.LBB54_1310:
	s_mov_b64 s[4:5], -1
                                        ; implicit-def: $vgpr6
	s_branch .LBB54_1315
.LBB54_1311:
	s_mov_b64 s[4:5], -1
                                        ; implicit-def: $vgpr6
.LBB54_1312:
	s_and_b64 vcc, exec, s[4:5]
	s_cbranch_vccz .LBB54_1314
; %bb.1313:
	global_load_ubyte v5, v[0:1], off
	s_mov_b32 s4, 0x7f800000
	s_waitcnt vmcnt(0)
	v_lshlrev_b32_e32 v5, 24, v5
	v_and_b32_e32 v6, 0x7f000000, v5
	v_ffbh_u32_e32 v8, v6
	v_min_u32_e32 v8, 32, v8
	v_sub_u32_e64 v8, v8, 4 clamp
	v_lshlrev_b32_e32 v10, v8, v6
	v_lshlrev_b32_e32 v8, 23, v8
	v_lshrrev_b32_e32 v10, 4, v10
	v_add_u32_e32 v9, 0x1000000, v6
	v_sub_u32_e32 v8, v10, v8
	v_ashrrev_i32_e32 v9, 8, v9
	v_add_u32_e32 v8, 0x3c000000, v8
	v_and_or_b32 v8, v9, s4, v8
	v_cmp_ne_u32_e32 vcc, 0, v6
	v_cndmask_b32_e32 v6, 0, v8, vcc
	s_brev_b32 s4, 1
	v_and_or_b32 v5, v5, s4, v6
	v_cvt_i32_f32_e32 v6, v5
.LBB54_1314:
	s_mov_b64 s[4:5], 0
.LBB54_1315:
	s_andn2_b64 vcc, exec, s[4:5]
	s_cbranch_vccnz .LBB54_1317
; %bb.1316:
	global_load_ubyte v5, v[0:1], off
	s_movk_i32 s4, 0x7f00
	s_brev_b32 s5, 16
	s_waitcnt vmcnt(0)
	v_lshlrev_b16_e32 v6, 8, v5
	v_lshlrev_b32_e32 v5, 25, v5
	v_lshrrev_b32_e32 v8, 4, v5
	v_and_or_b32 v9, v6, s4, 0.5
	v_or_b32_e32 v8, 0x70000000, v8
	v_add_f32_e32 v9, -0.5, v9
	v_mul_f32_e32 v8, 0x7800000, v8
	v_cmp_gt_u32_e32 vcc, s5, v5
	v_bfe_i32 v6, v6, 0, 16
	v_cndmask_b32_e32 v5, v8, v9, vcc
	s_brev_b32 s4, 1
	v_and_or_b32 v5, v6, s4, v5
	v_cvt_i32_f32_e32 v6, v5
.LBB54_1317:
	s_mov_b64 s[4:5], 0
	s_mov_b64 s[18:19], -1
.LBB54_1318:
	s_andn2_b64 vcc, exec, s[4:5]
	s_mov_b64 s[4:5], 0
	s_cbranch_vccnz .LBB54_1329
; %bb.1319:
	s_cmp_gt_i32 s22, 14
	s_cbranch_scc0 .LBB54_1322
; %bb.1320:
	s_cmp_eq_u32 s22, 15
	s_cbranch_scc0 .LBB54_1325
; %bb.1321:
	global_load_ushort v5, v[0:1], off
	s_mov_b64 s[0:1], 0
	s_mov_b64 s[18:19], -1
	s_waitcnt vmcnt(0)
	v_lshlrev_b32_e32 v5, 16, v5
	v_cvt_i32_f32_e32 v6, v5
	s_branch .LBB54_1326
.LBB54_1322:
	s_mov_b64 s[20:21], -1
                                        ; implicit-def: $vgpr6
	s_branch .LBB54_1327
.LBB54_1323:
	s_andn2_saveexec_b64 s[4:5], s[4:5]
	s_cbranch_execz .LBB54_1304
.LBB54_1324:
	v_cmp_ne_u16_e32 vcc, 0, v5
	s_andn2_b64 s[18:19], s[18:19], exec
	s_and_b64 s[20:21], vcc, exec
	s_or_b64 s[18:19], s[18:19], s[20:21]
	s_or_b64 exec, exec, s[4:5]
	v_mov_b32_e32 v6, 0
	s_and_saveexec_b64 s[4:5], s[18:19]
	s_cbranch_execnz .LBB54_1305
	s_branch .LBB54_1306
.LBB54_1325:
	s_mov_b64 s[0:1], -1
                                        ; implicit-def: $vgpr6
.LBB54_1326:
	s_mov_b64 s[20:21], 0
.LBB54_1327:
	s_and_b64 vcc, exec, s[20:21]
	s_cbranch_vccz .LBB54_1329
; %bb.1328:
	s_cmp_lg_u32 s22, 11
	s_mov_b64 s[4:5], -1
	s_cselect_b64 s[0:1], -1, 0
.LBB54_1329:
	s_and_b64 vcc, exec, s[0:1]
	s_cbranch_vccnz .LBB54_1392
; %bb.1330:
	s_andn2_b64 vcc, exec, s[4:5]
	s_cbranch_vccnz .LBB54_1332
.LBB54_1331:
	global_load_ubyte v5, v[0:1], off
	s_mov_b64 s[18:19], -1
	s_waitcnt vmcnt(0)
	v_cmp_ne_u16_e32 vcc, 0, v5
	v_cndmask_b32_e64 v6, 0, 1, vcc
.LBB54_1332:
	s_branch .LBB54_1264
.LBB54_1333:
	s_cmp_lt_i32 s22, 5
	s_cbranch_scc1 .LBB54_1338
; %bb.1334:
	s_cmp_lt_i32 s22, 8
	s_cbranch_scc1 .LBB54_1339
; %bb.1335:
	;; [unrolled: 3-line block ×3, first 2 shown]
	s_cmp_gt_i32 s22, 9
	s_cbranch_scc0 .LBB54_1341
; %bb.1337:
	global_load_dwordx2 v[5:6], v[0:1], off
	s_mov_b64 s[0:1], 0
	s_waitcnt vmcnt(0)
	v_cvt_i32_f64_e32 v6, v[5:6]
	s_branch .LBB54_1342
.LBB54_1338:
	s_mov_b64 s[0:1], -1
                                        ; implicit-def: $vgpr6
	s_branch .LBB54_1360
.LBB54_1339:
	s_mov_b64 s[0:1], -1
                                        ; implicit-def: $vgpr6
	s_branch .LBB54_1348
.LBB54_1340:
	s_mov_b64 s[0:1], -1
                                        ; implicit-def: $vgpr6
	s_branch .LBB54_1345
.LBB54_1341:
	s_mov_b64 s[0:1], -1
                                        ; implicit-def: $vgpr6
.LBB54_1342:
	s_andn2_b64 vcc, exec, s[0:1]
	s_cbranch_vccnz .LBB54_1344
; %bb.1343:
	global_load_dword v5, v[0:1], off
	s_waitcnt vmcnt(0)
	v_cvt_i32_f32_e32 v6, v5
.LBB54_1344:
	s_mov_b64 s[0:1], 0
.LBB54_1345:
	s_andn2_b64 vcc, exec, s[0:1]
	s_cbranch_vccnz .LBB54_1347
; %bb.1346:
	global_load_dword v5, v[0:1], off
	s_waitcnt vmcnt(0)
	v_cvt_f32_f16_e32 v5, v5
	v_cvt_i32_f32_e32 v6, v5
.LBB54_1347:
	s_mov_b64 s[0:1], 0
.LBB54_1348:
	s_andn2_b64 vcc, exec, s[0:1]
	s_cbranch_vccnz .LBB54_1359
; %bb.1349:
	s_cmp_lt_i32 s22, 6
	s_cbranch_scc1 .LBB54_1352
; %bb.1350:
	s_cmp_gt_i32 s22, 6
	s_cbranch_scc0 .LBB54_1353
; %bb.1351:
	global_load_dwordx2 v[5:6], v[0:1], off
	s_mov_b64 s[0:1], 0
	s_waitcnt vmcnt(0)
	v_cvt_i32_f64_e32 v6, v[5:6]
	s_branch .LBB54_1354
.LBB54_1352:
	s_mov_b64 s[0:1], -1
                                        ; implicit-def: $vgpr6
	s_branch .LBB54_1357
.LBB54_1353:
	s_mov_b64 s[0:1], -1
                                        ; implicit-def: $vgpr6
.LBB54_1354:
	s_andn2_b64 vcc, exec, s[0:1]
	s_cbranch_vccnz .LBB54_1356
; %bb.1355:
	global_load_dword v5, v[0:1], off
	s_waitcnt vmcnt(0)
	v_cvt_i32_f32_e32 v6, v5
.LBB54_1356:
	s_mov_b64 s[0:1], 0
.LBB54_1357:
	s_andn2_b64 vcc, exec, s[0:1]
	s_cbranch_vccnz .LBB54_1359
; %bb.1358:
	global_load_ushort v5, v[0:1], off
	s_waitcnt vmcnt(0)
	v_cvt_f32_f16_e32 v5, v5
	v_cvt_i32_f32_e32 v6, v5
.LBB54_1359:
	s_mov_b64 s[0:1], 0
.LBB54_1360:
	s_andn2_b64 vcc, exec, s[0:1]
	s_cbranch_vccnz .LBB54_1380
; %bb.1361:
	s_cmp_lt_i32 s22, 2
	s_cbranch_scc1 .LBB54_1365
; %bb.1362:
	s_cmp_lt_i32 s22, 3
	s_cbranch_scc1 .LBB54_1366
; %bb.1363:
	s_cmp_gt_i32 s22, 3
	s_cbranch_scc0 .LBB54_1367
; %bb.1364:
	global_load_dword v6, v[0:1], off
	s_mov_b64 s[0:1], 0
	s_branch .LBB54_1368
.LBB54_1365:
	s_mov_b64 s[0:1], -1
                                        ; implicit-def: $vgpr6
	s_branch .LBB54_1374
.LBB54_1366:
	s_mov_b64 s[0:1], -1
                                        ; implicit-def: $vgpr6
	s_branch .LBB54_1371
.LBB54_1367:
	s_mov_b64 s[0:1], -1
                                        ; implicit-def: $vgpr6
.LBB54_1368:
	s_andn2_b64 vcc, exec, s[0:1]
	s_cbranch_vccnz .LBB54_1370
; %bb.1369:
	global_load_dword v6, v[0:1], off
.LBB54_1370:
	s_mov_b64 s[0:1], 0
.LBB54_1371:
	s_andn2_b64 vcc, exec, s[0:1]
	s_cbranch_vccnz .LBB54_1373
; %bb.1372:
	global_load_sshort v6, v[0:1], off
.LBB54_1373:
	s_mov_b64 s[0:1], 0
.LBB54_1374:
	s_andn2_b64 vcc, exec, s[0:1]
	s_cbranch_vccnz .LBB54_1380
; %bb.1375:
	s_cmp_gt_i32 s22, 0
	s_cbranch_scc0 .LBB54_1377
; %bb.1376:
	global_load_sbyte v6, v[0:1], off
	s_mov_b64 s[0:1], 0
	s_branch .LBB54_1378
.LBB54_1377:
	s_mov_b64 s[0:1], -1
                                        ; implicit-def: $vgpr6
.LBB54_1378:
	s_andn2_b64 vcc, exec, s[0:1]
	s_cbranch_vccnz .LBB54_1380
; %bb.1379:
	global_load_ubyte v6, v[0:1], off
.LBB54_1380:
.LBB54_1381:
	v_add_u32_e32 v0, s13, v3
	v_ashrrev_i32_e32 v1, 31, v0
	v_mov_b32_e32 v3, s11
	v_add_co_u32_e32 v0, vcc, s10, v0
	s_cmp_lt_i32 s22, 11
	v_addc_co_u32_e32 v1, vcc, v3, v1, vcc
	s_cbranch_scc1 .LBB54_1388
; %bb.1382:
	s_cmp_gt_i32 s22, 25
	s_mov_b64 s[4:5], 0
	s_cbranch_scc0 .LBB54_1389
; %bb.1383:
	s_cmp_gt_i32 s22, 28
	s_cbranch_scc0 .LBB54_1390
; %bb.1384:
	s_cmp_gt_i32 s22, 43
	s_cbranch_scc0 .LBB54_1391
; %bb.1385:
	s_cmp_gt_i32 s22, 45
	s_cbranch_scc0 .LBB54_1393
; %bb.1386:
	s_cmp_eq_u32 s22, 46
	s_mov_b64 s[18:19], 0
	s_cbranch_scc0 .LBB54_1394
; %bb.1387:
	global_load_dword v3, v[0:1], off
	s_mov_b64 s[0:1], 0
	s_mov_b64 s[10:11], -1
	s_waitcnt vmcnt(0)
	v_lshlrev_b32_e32 v3, 16, v3
	v_cvt_i32_f32_e32 v5, v3
	s_branch .LBB54_1395
.LBB54_1388:
	s_mov_b64 s[0:1], -1
	s_mov_b64 s[10:11], 0
                                        ; implicit-def: $vgpr5
	s_branch .LBB54_1457
.LBB54_1389:
	s_mov_b64 s[18:19], -1
	s_mov_b64 s[10:11], 0
	s_mov_b64 s[0:1], 0
                                        ; implicit-def: $vgpr5
	s_branch .LBB54_1422
.LBB54_1390:
	s_mov_b64 s[18:19], -1
	s_mov_b64 s[10:11], 0
	s_mov_b64 s[0:1], 0
                                        ; implicit-def: $vgpr5
	s_branch .LBB54_1405
.LBB54_1391:
	s_mov_b64 s[18:19], -1
	s_mov_b64 s[10:11], 0
	s_mov_b64 s[0:1], 0
                                        ; implicit-def: $vgpr5
	s_branch .LBB54_1400
.LBB54_1392:
	s_trap 2
	s_or_b64 s[16:17], s[16:17], exec
	s_cbranch_execz .LBB54_1331
	s_branch .LBB54_1332
.LBB54_1393:
	s_mov_b64 s[18:19], -1
	s_mov_b64 s[10:11], 0
	s_mov_b64 s[0:1], 0
                                        ; implicit-def: $vgpr5
	s_branch .LBB54_1395
.LBB54_1394:
	s_mov_b64 s[0:1], -1
                                        ; implicit-def: $vgpr5
	s_mov_b64 s[10:11], 0
.LBB54_1395:
	s_and_b64 vcc, exec, s[18:19]
	s_cbranch_vccz .LBB54_1399
; %bb.1396:
	s_cmp_eq_u32 s22, 44
	s_cbranch_scc0 .LBB54_1398
; %bb.1397:
	global_load_ubyte v3, v[0:1], off
	s_mov_b64 s[0:1], 0
	s_mov_b64 s[10:11], -1
	s_waitcnt vmcnt(0)
	v_lshlrev_b32_e32 v5, 23, v3
	v_cvt_i32_f32_e32 v5, v5
	v_cmp_ne_u32_e32 vcc, 0, v3
	v_cndmask_b32_e32 v5, 0, v5, vcc
	s_branch .LBB54_1399
.LBB54_1398:
	s_mov_b64 s[0:1], -1
                                        ; implicit-def: $vgpr5
.LBB54_1399:
	s_mov_b64 s[18:19], 0
.LBB54_1400:
	s_and_b64 vcc, exec, s[18:19]
	s_cbranch_vccz .LBB54_1404
; %bb.1401:
	s_cmp_eq_u32 s22, 29
	s_cbranch_scc0 .LBB54_1403
; %bb.1402:
	global_load_dword v5, v[0:1], off
	s_mov_b64 s[0:1], 0
	s_mov_b64 s[10:11], -1
	s_branch .LBB54_1404
.LBB54_1403:
	s_mov_b64 s[0:1], -1
                                        ; implicit-def: $vgpr5
.LBB54_1404:
	s_mov_b64 s[18:19], 0
.LBB54_1405:
	s_and_b64 vcc, exec, s[18:19]
	s_cbranch_vccz .LBB54_1421
; %bb.1406:
	s_cmp_lt_i32 s22, 27
	s_cbranch_scc1 .LBB54_1409
; %bb.1407:
	s_cmp_gt_i32 s22, 27
	s_cbranch_scc0 .LBB54_1410
; %bb.1408:
	global_load_dword v5, v[0:1], off
	s_mov_b64 s[10:11], 0
	s_branch .LBB54_1411
.LBB54_1409:
	s_mov_b64 s[10:11], -1
                                        ; implicit-def: $vgpr5
	s_branch .LBB54_1414
.LBB54_1410:
	s_mov_b64 s[10:11], -1
                                        ; implicit-def: $vgpr5
.LBB54_1411:
	s_andn2_b64 vcc, exec, s[10:11]
	s_cbranch_vccnz .LBB54_1413
; %bb.1412:
	global_load_ushort v5, v[0:1], off
.LBB54_1413:
	s_mov_b64 s[10:11], 0
.LBB54_1414:
	s_andn2_b64 vcc, exec, s[10:11]
	s_cbranch_vccnz .LBB54_1420
; %bb.1415:
	global_load_ubyte v3, v[0:1], off
	s_movk_i32 s10, 0x7f
	s_mov_b64 s[18:19], 0
	s_waitcnt vmcnt(0)
	v_cmp_lt_i16_e32 vcc, s10, v3
	s_and_saveexec_b64 s[10:11], vcc
	s_xor_b64 s[10:11], exec, s[10:11]
	s_cbranch_execz .LBB54_1432
; %bb.1416:
	s_movk_i32 s13, 0x80
	v_cmp_ne_u16_e32 vcc, s13, v3
	s_and_b64 s[18:19], vcc, exec
	s_andn2_saveexec_b64 s[10:11], s[10:11]
	s_cbranch_execnz .LBB54_1433
.LBB54_1417:
	s_or_b64 exec, exec, s[10:11]
	v_mov_b32_e32 v5, 0
	s_and_saveexec_b64 s[10:11], s[18:19]
	s_cbranch_execz .LBB54_1419
.LBB54_1418:
	v_lshlrev_b32_e32 v5, 24, v3
	v_and_b32_e32 v3, 0xffff, v3
	v_and_b32_e32 v8, 7, v3
	v_ffbh_u32_e32 v10, v8
	v_min_u32_e32 v10, 32, v10
	v_subrev_u32_e32 v11, 28, v10
	v_bfe_u32 v9, v3, 3, 4
	v_lshlrev_b32_e32 v3, v11, v3
	v_sub_u32_e32 v10, 29, v10
	v_and_b32_e32 v3, 7, v3
	v_cmp_eq_u32_e32 vcc, 0, v9
	v_cndmask_b32_e32 v9, v9, v10, vcc
	v_cndmask_b32_e32 v3, v8, v3, vcc
	v_mov_b32_e32 v8, 0x3b800000
	v_lshlrev_b32_e32 v3, 20, v3
	v_and_b32_e32 v5, 0x80000000, v5
	v_lshl_add_u32 v8, v9, 23, v8
	v_or3_b32 v3, v5, v8, v3
	v_cvt_i32_f32_e32 v5, v3
.LBB54_1419:
	s_or_b64 exec, exec, s[10:11]
.LBB54_1420:
	s_mov_b64 s[10:11], -1
.LBB54_1421:
	s_mov_b64 s[18:19], 0
.LBB54_1422:
	s_and_b64 vcc, exec, s[18:19]
	s_cbranch_vccz .LBB54_1453
; %bb.1423:
	s_cmp_gt_i32 s22, 22
	s_cbranch_scc0 .LBB54_1431
; %bb.1424:
	s_cmp_lt_i32 s22, 24
	s_cbranch_scc1 .LBB54_1434
; %bb.1425:
	s_cmp_gt_i32 s22, 24
	s_cbranch_scc0 .LBB54_1435
; %bb.1426:
	global_load_ubyte v3, v[0:1], off
	s_movk_i32 s4, 0x7f
	s_mov_b64 s[10:11], 0
	s_waitcnt vmcnt(0)
	v_cmp_lt_i16_e32 vcc, s4, v3
	s_and_saveexec_b64 s[4:5], vcc
	s_xor_b64 s[4:5], exec, s[4:5]
	s_cbranch_execz .LBB54_1447
; %bb.1427:
	s_movk_i32 s10, 0x80
	v_cmp_ne_u16_e32 vcc, s10, v3
	s_and_b64 s[10:11], vcc, exec
	s_andn2_saveexec_b64 s[4:5], s[4:5]
	s_cbranch_execnz .LBB54_1448
.LBB54_1428:
	s_or_b64 exec, exec, s[4:5]
	v_mov_b32_e32 v5, 0
	s_and_saveexec_b64 s[4:5], s[10:11]
	s_cbranch_execz .LBB54_1430
.LBB54_1429:
	v_lshlrev_b32_e32 v5, 24, v3
	v_and_b32_e32 v3, 0xffff, v3
	v_and_b32_e32 v8, 3, v3
	v_ffbh_u32_e32 v10, v8
	v_min_u32_e32 v10, 32, v10
	v_subrev_u32_e32 v11, 29, v10
	v_bfe_u32 v9, v3, 2, 5
	v_lshlrev_b32_e32 v3, v11, v3
	v_sub_u32_e32 v10, 30, v10
	v_and_b32_e32 v3, 3, v3
	v_cmp_eq_u32_e32 vcc, 0, v9
	v_cndmask_b32_e32 v9, v9, v10, vcc
	v_cndmask_b32_e32 v3, v8, v3, vcc
	v_mov_b32_e32 v8, 0x37800000
	v_lshlrev_b32_e32 v3, 21, v3
	v_and_b32_e32 v5, 0x80000000, v5
	v_lshl_add_u32 v8, v9, 23, v8
	v_or3_b32 v3, v5, v8, v3
	v_cvt_i32_f32_e32 v5, v3
.LBB54_1430:
	s_or_b64 exec, exec, s[4:5]
	s_mov_b64 s[4:5], 0
	s_branch .LBB54_1436
.LBB54_1431:
	s_mov_b64 s[4:5], -1
                                        ; implicit-def: $vgpr5
	s_branch .LBB54_1442
.LBB54_1432:
	s_andn2_saveexec_b64 s[10:11], s[10:11]
	s_cbranch_execz .LBB54_1417
.LBB54_1433:
	v_cmp_ne_u16_e32 vcc, 0, v3
	s_andn2_b64 s[18:19], s[18:19], exec
	s_and_b64 s[20:21], vcc, exec
	s_or_b64 s[18:19], s[18:19], s[20:21]
	s_or_b64 exec, exec, s[10:11]
	v_mov_b32_e32 v5, 0
	s_and_saveexec_b64 s[10:11], s[18:19]
	s_cbranch_execnz .LBB54_1418
	s_branch .LBB54_1419
.LBB54_1434:
	s_mov_b64 s[4:5], -1
                                        ; implicit-def: $vgpr5
	s_branch .LBB54_1439
.LBB54_1435:
	s_mov_b64 s[4:5], -1
                                        ; implicit-def: $vgpr5
.LBB54_1436:
	s_and_b64 vcc, exec, s[4:5]
	s_cbranch_vccz .LBB54_1438
; %bb.1437:
	global_load_ubyte v3, v[0:1], off
	s_mov_b32 s4, 0x7f800000
	s_waitcnt vmcnt(0)
	v_lshlrev_b32_e32 v3, 24, v3
	v_and_b32_e32 v5, 0x7f000000, v3
	v_ffbh_u32_e32 v8, v5
	v_min_u32_e32 v8, 32, v8
	v_sub_u32_e64 v8, v8, 4 clamp
	v_lshlrev_b32_e32 v10, v8, v5
	v_lshlrev_b32_e32 v8, 23, v8
	v_lshrrev_b32_e32 v10, 4, v10
	v_add_u32_e32 v9, 0x1000000, v5
	v_sub_u32_e32 v8, v10, v8
	v_ashrrev_i32_e32 v9, 8, v9
	v_add_u32_e32 v8, 0x3c000000, v8
	v_and_or_b32 v8, v9, s4, v8
	v_cmp_ne_u32_e32 vcc, 0, v5
	v_cndmask_b32_e32 v5, 0, v8, vcc
	s_brev_b32 s4, 1
	v_and_or_b32 v3, v3, s4, v5
	v_cvt_i32_f32_e32 v5, v3
.LBB54_1438:
	s_mov_b64 s[4:5], 0
.LBB54_1439:
	s_andn2_b64 vcc, exec, s[4:5]
	s_cbranch_vccnz .LBB54_1441
; %bb.1440:
	global_load_ubyte v3, v[0:1], off
	s_movk_i32 s4, 0x7f00
	s_brev_b32 s5, 16
	s_waitcnt vmcnt(0)
	v_lshlrev_b16_e32 v5, 8, v3
	v_lshlrev_b32_e32 v3, 25, v3
	v_lshrrev_b32_e32 v8, 4, v3
	v_and_or_b32 v9, v5, s4, 0.5
	v_or_b32_e32 v8, 0x70000000, v8
	v_add_f32_e32 v9, -0.5, v9
	v_mul_f32_e32 v8, 0x7800000, v8
	v_cmp_gt_u32_e32 vcc, s5, v3
	v_bfe_i32 v5, v5, 0, 16
	v_cndmask_b32_e32 v3, v8, v9, vcc
	s_brev_b32 s4, 1
	v_and_or_b32 v3, v5, s4, v3
	v_cvt_i32_f32_e32 v5, v3
.LBB54_1441:
	s_mov_b64 s[4:5], 0
	s_mov_b64 s[10:11], -1
.LBB54_1442:
	s_andn2_b64 vcc, exec, s[4:5]
	s_mov_b64 s[4:5], 0
	s_cbranch_vccnz .LBB54_1453
; %bb.1443:
	s_cmp_gt_i32 s22, 14
	s_cbranch_scc0 .LBB54_1446
; %bb.1444:
	s_cmp_eq_u32 s22, 15
	s_cbranch_scc0 .LBB54_1449
; %bb.1445:
	global_load_ushort v3, v[0:1], off
	s_mov_b64 s[0:1], 0
	s_mov_b64 s[10:11], -1
	s_waitcnt vmcnt(0)
	v_lshlrev_b32_e32 v3, 16, v3
	v_cvt_i32_f32_e32 v5, v3
	s_branch .LBB54_1450
.LBB54_1446:
	s_mov_b64 s[18:19], -1
                                        ; implicit-def: $vgpr5
	s_branch .LBB54_1451
.LBB54_1447:
	s_andn2_saveexec_b64 s[4:5], s[4:5]
	s_cbranch_execz .LBB54_1428
.LBB54_1448:
	v_cmp_ne_u16_e32 vcc, 0, v3
	s_andn2_b64 s[10:11], s[10:11], exec
	s_and_b64 s[18:19], vcc, exec
	s_or_b64 s[10:11], s[10:11], s[18:19]
	s_or_b64 exec, exec, s[4:5]
	v_mov_b32_e32 v5, 0
	s_and_saveexec_b64 s[4:5], s[10:11]
	s_cbranch_execnz .LBB54_1429
	s_branch .LBB54_1430
.LBB54_1449:
	s_mov_b64 s[0:1], -1
                                        ; implicit-def: $vgpr5
.LBB54_1450:
	s_mov_b64 s[18:19], 0
.LBB54_1451:
	s_and_b64 vcc, exec, s[18:19]
	s_cbranch_vccz .LBB54_1453
; %bb.1452:
	s_cmp_lg_u32 s22, 11
	s_mov_b64 s[4:5], -1
	s_cselect_b64 s[0:1], -1, 0
.LBB54_1453:
	s_and_b64 vcc, exec, s[0:1]
	s_cbranch_vccnz .LBB54_1986
; %bb.1454:
	s_andn2_b64 vcc, exec, s[4:5]
	s_cbranch_vccnz .LBB54_1456
.LBB54_1455:
	global_load_ubyte v3, v[0:1], off
	s_mov_b64 s[10:11], -1
	s_waitcnt vmcnt(0)
	v_cmp_ne_u16_e32 vcc, 0, v3
	v_cndmask_b32_e64 v5, 0, 1, vcc
.LBB54_1456:
	s_mov_b64 s[0:1], 0
.LBB54_1457:
	s_and_b64 vcc, exec, s[0:1]
	s_cbranch_vccz .LBB54_1506
; %bb.1458:
	s_cmp_lt_i32 s22, 5
	s_cbranch_scc1 .LBB54_1463
; %bb.1459:
	s_cmp_lt_i32 s22, 8
	s_cbranch_scc1 .LBB54_1464
	;; [unrolled: 3-line block ×3, first 2 shown]
; %bb.1461:
	s_cmp_gt_i32 s22, 9
	s_cbranch_scc0 .LBB54_1466
; %bb.1462:
	global_load_dwordx2 v[8:9], v[0:1], off
	s_mov_b64 s[0:1], 0
	s_waitcnt vmcnt(0)
	v_cvt_i32_f64_e32 v5, v[8:9]
	s_branch .LBB54_1467
.LBB54_1463:
	s_mov_b64 s[0:1], -1
                                        ; implicit-def: $vgpr5
	s_branch .LBB54_1485
.LBB54_1464:
	s_mov_b64 s[0:1], -1
                                        ; implicit-def: $vgpr5
	s_branch .LBB54_1473
.LBB54_1465:
	s_mov_b64 s[0:1], -1
                                        ; implicit-def: $vgpr5
	s_branch .LBB54_1470
.LBB54_1466:
	s_mov_b64 s[0:1], -1
                                        ; implicit-def: $vgpr5
.LBB54_1467:
	s_andn2_b64 vcc, exec, s[0:1]
	s_cbranch_vccnz .LBB54_1469
; %bb.1468:
	global_load_dword v3, v[0:1], off
	s_waitcnt vmcnt(0)
	v_cvt_i32_f32_e32 v5, v3
.LBB54_1469:
	s_mov_b64 s[0:1], 0
.LBB54_1470:
	s_andn2_b64 vcc, exec, s[0:1]
	s_cbranch_vccnz .LBB54_1472
; %bb.1471:
	global_load_dword v3, v[0:1], off
	s_waitcnt vmcnt(0)
	v_cvt_f32_f16_e32 v3, v3
	v_cvt_i32_f32_e32 v5, v3
.LBB54_1472:
	s_mov_b64 s[0:1], 0
.LBB54_1473:
	s_andn2_b64 vcc, exec, s[0:1]
	s_cbranch_vccnz .LBB54_1484
; %bb.1474:
	s_cmp_lt_i32 s22, 6
	s_cbranch_scc1 .LBB54_1477
; %bb.1475:
	s_cmp_gt_i32 s22, 6
	s_cbranch_scc0 .LBB54_1478
; %bb.1476:
	global_load_dwordx2 v[8:9], v[0:1], off
	s_mov_b64 s[0:1], 0
	s_waitcnt vmcnt(0)
	v_cvt_i32_f64_e32 v5, v[8:9]
	s_branch .LBB54_1479
.LBB54_1477:
	s_mov_b64 s[0:1], -1
                                        ; implicit-def: $vgpr5
	s_branch .LBB54_1482
.LBB54_1478:
	s_mov_b64 s[0:1], -1
                                        ; implicit-def: $vgpr5
.LBB54_1479:
	s_andn2_b64 vcc, exec, s[0:1]
	s_cbranch_vccnz .LBB54_1481
; %bb.1480:
	global_load_dword v3, v[0:1], off
	s_waitcnt vmcnt(0)
	v_cvt_i32_f32_e32 v5, v3
.LBB54_1481:
	s_mov_b64 s[0:1], 0
.LBB54_1482:
	s_andn2_b64 vcc, exec, s[0:1]
	s_cbranch_vccnz .LBB54_1484
; %bb.1483:
	global_load_ushort v3, v[0:1], off
	s_waitcnt vmcnt(0)
	v_cvt_f32_f16_e32 v3, v3
	v_cvt_i32_f32_e32 v5, v3
.LBB54_1484:
	s_mov_b64 s[0:1], 0
.LBB54_1485:
	s_andn2_b64 vcc, exec, s[0:1]
	s_cbranch_vccnz .LBB54_1505
; %bb.1486:
	s_cmp_lt_i32 s22, 2
	s_cbranch_scc1 .LBB54_1490
; %bb.1487:
	s_cmp_lt_i32 s22, 3
	s_cbranch_scc1 .LBB54_1491
; %bb.1488:
	s_cmp_gt_i32 s22, 3
	s_cbranch_scc0 .LBB54_1492
; %bb.1489:
	global_load_dword v5, v[0:1], off
	s_mov_b64 s[0:1], 0
	s_branch .LBB54_1493
.LBB54_1490:
	s_mov_b64 s[0:1], -1
                                        ; implicit-def: $vgpr5
	s_branch .LBB54_1499
.LBB54_1491:
	s_mov_b64 s[0:1], -1
                                        ; implicit-def: $vgpr5
	s_branch .LBB54_1496
.LBB54_1492:
	s_mov_b64 s[0:1], -1
                                        ; implicit-def: $vgpr5
.LBB54_1493:
	s_andn2_b64 vcc, exec, s[0:1]
	s_cbranch_vccnz .LBB54_1495
; %bb.1494:
	global_load_dword v5, v[0:1], off
.LBB54_1495:
	s_mov_b64 s[0:1], 0
.LBB54_1496:
	s_andn2_b64 vcc, exec, s[0:1]
	s_cbranch_vccnz .LBB54_1498
; %bb.1497:
	global_load_sshort v5, v[0:1], off
.LBB54_1498:
	s_mov_b64 s[0:1], 0
.LBB54_1499:
	s_andn2_b64 vcc, exec, s[0:1]
	s_cbranch_vccnz .LBB54_1505
; %bb.1500:
	s_cmp_gt_i32 s22, 0
	s_cbranch_scc0 .LBB54_1502
; %bb.1501:
	global_load_sbyte v5, v[0:1], off
	s_mov_b64 s[0:1], 0
	s_branch .LBB54_1503
.LBB54_1502:
	s_mov_b64 s[0:1], -1
                                        ; implicit-def: $vgpr5
.LBB54_1503:
	s_andn2_b64 vcc, exec, s[0:1]
	s_cbranch_vccnz .LBB54_1505
; %bb.1504:
	global_load_ubyte v5, v[0:1], off
.LBB54_1505:
	s_mov_b64 s[10:11], -1
.LBB54_1506:
	s_andn2_b64 vcc, exec, s[10:11]
	s_cbranch_vccnz .LBB54_1940
; %bb.1507:
	v_mul_lo_u32 v4, s12, v4
	s_waitcnt vmcnt(0)
	v_lshlrev_b32_e64 v0, v2, s2
	v_cmp_gt_u32_e32 vcc, 32, v2
	v_cndmask_b32_e32 v0, 0, v0, vcc
	v_ashrrev_i32_e32 v1, 31, v4
	v_mov_b32_e32 v3, s9
	s_and_b32 s22, s3, 0xff
	v_add_co_u32_e32 v2, vcc, s8, v4
	s_cmp_lt_i32 s22, 11
	v_addc_co_u32_e32 v3, vcc, v3, v1, vcc
	s_cbranch_scc1 .LBB54_1585
; %bb.1508:
	s_and_b32 s3, 0xffff, s22
	s_mov_b64 s[18:19], -1
	s_mov_b64 s[4:5], 0
	s_cmp_gt_i32 s3, 25
	s_mov_b64 s[10:11], 0
	s_mov_b64 s[0:1], 0
	s_cbranch_scc0 .LBB54_1541
; %bb.1509:
	s_cmp_gt_i32 s3, 28
	s_cbranch_scc0 .LBB54_1524
; %bb.1510:
	s_cmp_gt_i32 s3, 43
	s_cbranch_scc0 .LBB54_1520
; %bb.1511:
	s_cmp_gt_i32 s3, 45
	s_cbranch_scc0 .LBB54_1514
; %bb.1512:
	s_mov_b64 s[0:1], -1
	s_mov_b64 s[18:19], 0
	s_cmp_eq_u32 s3, 46
	s_cbranch_scc0 .LBB54_1514
; %bb.1513:
	v_cvt_f32_i32_e32 v1, v0
	s_movk_i32 s10, 0x7fff
	s_mov_b64 s[0:1], 0
	v_bfe_u32 v8, v1, 16, 1
	v_add3_u32 v1, v1, v8, s10
	v_lshrrev_b32_e32 v1, 16, v1
	global_store_dword v[2:3], v1, off
	s_mov_b64 s[10:11], -1
.LBB54_1514:
	s_and_b64 vcc, exec, s[18:19]
	s_cbranch_vccz .LBB54_1519
; %bb.1515:
	s_cmp_eq_u32 s3, 44
	s_mov_b64 s[0:1], -1
	s_cbranch_scc0 .LBB54_1519
; %bb.1516:
	v_cvt_f32_i32_e32 v1, v0
	s_movk_i32 s0, 0xff
	v_mov_b32_e32 v9, 0xff
	v_bfe_u32 v8, v1, 23, 8
	v_cmp_ne_u32_e32 vcc, s0, v8
	s_and_saveexec_b64 s[10:11], vcc
; %bb.1517:
	s_mov_b32 s0, 0x3fffff
	v_lshrrev_b32_e32 v9, 23, v1
	v_and_b32_e32 v10, 0x400000, v1
	v_and_or_b32 v1, v1, s0, v8
	v_cmp_ne_u32_e32 vcc, 0, v10
	v_cmp_ne_u32_e64 s[0:1], 0, v1
	s_and_b64 s[0:1], vcc, s[0:1]
	v_cndmask_b32_e64 v1, 0, 1, s[0:1]
	v_add_u32_e32 v9, v9, v1
; %bb.1518:
	s_or_b64 exec, exec, s[10:11]
	s_mov_b64 s[0:1], 0
	s_mov_b64 s[10:11], -1
	global_store_byte v[2:3], v9, off
.LBB54_1519:
	s_mov_b64 s[18:19], 0
.LBB54_1520:
	s_and_b64 vcc, exec, s[18:19]
	s_cbranch_vccz .LBB54_1523
; %bb.1521:
	s_cmp_eq_u32 s3, 29
	s_mov_b64 s[0:1], -1
	s_cbranch_scc0 .LBB54_1523
; %bb.1522:
	v_ashrrev_i32_e32 v1, 31, v0
	global_store_dwordx2 v[2:3], v[0:1], off
	s_mov_b64 s[0:1], 0
	s_mov_b64 s[10:11], -1
.LBB54_1523:
	s_mov_b64 s[18:19], 0
.LBB54_1524:
	s_and_b64 vcc, exec, s[18:19]
	s_cbranch_vccz .LBB54_1540
; %bb.1525:
	s_cmp_lt_i32 s3, 27
	s_mov_b64 s[10:11], -1
	s_cbranch_scc1 .LBB54_1531
; %bb.1526:
	s_cmp_gt_i32 s3, 27
	s_cbranch_scc0 .LBB54_1528
; %bb.1527:
	s_mov_b64 s[10:11], 0
	global_store_dword v[2:3], v0, off
.LBB54_1528:
	s_andn2_b64 vcc, exec, s[10:11]
	s_cbranch_vccnz .LBB54_1530
; %bb.1529:
	global_store_short v[2:3], v0, off
.LBB54_1530:
	s_mov_b64 s[10:11], 0
.LBB54_1531:
	s_andn2_b64 vcc, exec, s[10:11]
	s_cbranch_vccnz .LBB54_1539
; %bb.1532:
	v_cvt_f32_i32_e32 v1, v0
	s_mov_b32 s10, 0x43800000
	v_mov_b32_e32 v9, 0x80
	v_and_b32_e32 v8, 0x7fffffff, v1
	v_cmp_gt_u32_e32 vcc, s10, v8
	s_and_saveexec_b64 s[10:11], vcc
	s_cbranch_execz .LBB54_1538
; %bb.1533:
	s_mov_b32 s13, 0x3bffffff
	v_cmp_lt_u32_e32 vcc, s13, v8
	s_mov_b64 s[18:19], 0
                                        ; implicit-def: $vgpr8
	s_and_saveexec_b64 s[20:21], vcc
	s_xor_b64 s[20:21], exec, s[20:21]
	s_cbranch_execz .LBB54_1987
; %bb.1534:
	v_bfe_u32 v8, v1, 20, 1
	s_mov_b32 s13, 0x487ffff
	v_add3_u32 v8, v1, v8, s13
	s_mov_b64 s[18:19], exec
	v_lshrrev_b32_e32 v8, 20, v8
	s_andn2_saveexec_b64 s[20:21], s[20:21]
	s_cbranch_execnz .LBB54_1988
.LBB54_1535:
	s_or_b64 exec, exec, s[20:21]
	v_mov_b32_e32 v9, 0
	s_and_saveexec_b64 s[20:21], s[18:19]
.LBB54_1536:
	v_lshrrev_b32_e32 v1, 24, v1
	s_movk_i32 s13, 0x80
	v_and_or_b32 v9, v1, s13, v8
.LBB54_1537:
	s_or_b64 exec, exec, s[20:21]
.LBB54_1538:
	s_or_b64 exec, exec, s[10:11]
	global_store_byte v[2:3], v9, off
.LBB54_1539:
	s_mov_b64 s[10:11], -1
.LBB54_1540:
	s_mov_b64 s[18:19], 0
.LBB54_1541:
	s_and_b64 vcc, exec, s[18:19]
	s_cbranch_vccz .LBB54_1581
; %bb.1542:
	s_cmp_gt_i32 s3, 22
	s_mov_b64 s[4:5], -1
	s_cbranch_scc0 .LBB54_1574
; %bb.1543:
	s_cmp_lt_i32 s3, 24
	s_cbranch_scc1 .LBB54_1563
; %bb.1544:
	s_cmp_gt_i32 s3, 24
	s_cbranch_scc0 .LBB54_1552
; %bb.1545:
	v_cvt_f32_i32_e32 v1, v0
	s_mov_b32 s4, 0x47800000
	v_mov_b32_e32 v9, 0x80
	v_and_b32_e32 v8, 0x7fffffff, v1
	v_cmp_gt_u32_e32 vcc, s4, v8
	s_and_saveexec_b64 s[4:5], vcc
	s_cbranch_execz .LBB54_1551
; %bb.1546:
	s_mov_b32 s10, 0x37ffffff
	v_cmp_lt_u32_e32 vcc, s10, v8
	s_mov_b64 s[10:11], 0
                                        ; implicit-def: $vgpr8
	s_and_saveexec_b64 s[18:19], vcc
	s_xor_b64 s[18:19], exec, s[18:19]
	s_cbranch_execz .LBB54_1990
; %bb.1547:
	v_bfe_u32 v8, v1, 21, 1
	s_mov_b32 s13, 0x88fffff
	v_add3_u32 v8, v1, v8, s13
	s_mov_b64 s[10:11], exec
	v_lshrrev_b32_e32 v8, 21, v8
	s_andn2_saveexec_b64 s[18:19], s[18:19]
	s_cbranch_execnz .LBB54_1991
.LBB54_1548:
	s_or_b64 exec, exec, s[18:19]
	v_mov_b32_e32 v9, 0
	s_and_saveexec_b64 s[18:19], s[10:11]
.LBB54_1549:
	v_lshrrev_b32_e32 v1, 24, v1
	s_movk_i32 s10, 0x80
	v_and_or_b32 v9, v1, s10, v8
.LBB54_1550:
	s_or_b64 exec, exec, s[18:19]
.LBB54_1551:
	s_or_b64 exec, exec, s[4:5]
	s_mov_b64 s[4:5], 0
	global_store_byte v[2:3], v9, off
.LBB54_1552:
	s_and_b64 vcc, exec, s[4:5]
	s_cbranch_vccz .LBB54_1562
; %bb.1553:
	v_cvt_f32_i32_e32 v1, v0
	s_mov_b32 s4, 0x43f00000
                                        ; implicit-def: $vgpr8
	v_and_b32_e32 v9, 0x7fffffff, v1
	v_cmp_gt_u32_e32 vcc, s4, v9
	s_and_saveexec_b64 s[4:5], vcc
	s_xor_b64 s[4:5], exec, s[4:5]
	s_cbranch_execz .LBB54_1559
; %bb.1554:
	s_mov_b32 s10, 0x3c7fffff
	v_cmp_lt_u32_e32 vcc, s10, v9
                                        ; implicit-def: $vgpr8
	s_and_saveexec_b64 s[10:11], vcc
	s_xor_b64 s[10:11], exec, s[10:11]
; %bb.1555:
	v_bfe_u32 v8, v1, 20, 1
	s_mov_b32 s13, 0x407ffff
	v_add3_u32 v8, v1, v8, s13
	v_lshrrev_b32_e32 v9, 20, v8
	v_and_b32_e32 v8, 0xff00000, v8
	s_mov_b32 s13, 0x7f00000
	v_mov_b32_e32 v10, 0x7e
	v_cmp_ne_u32_e32 vcc, s13, v8
	v_cndmask_b32_e32 v8, v10, v9, vcc
; %bb.1556:
	s_andn2_saveexec_b64 s[10:11], s[10:11]
; %bb.1557:
	s_mov_b32 s13, 0x46800000
	v_add_f32_e64 v8, |v1|, s13
; %bb.1558:
	s_or_b64 exec, exec, s[10:11]
                                        ; implicit-def: $vgpr9
.LBB54_1559:
	s_andn2_saveexec_b64 s[4:5], s[4:5]
; %bb.1560:
	s_mov_b32 s10, 0x7f800000
	v_mov_b32_e32 v8, 0x7e
	v_mov_b32_e32 v10, 0x7f
	v_cmp_lt_u32_e32 vcc, s10, v9
	v_cndmask_b32_e32 v8, v8, v10, vcc
; %bb.1561:
	s_or_b64 exec, exec, s[4:5]
	v_lshrrev_b32_e32 v1, 24, v1
	s_movk_i32 s4, 0x80
	v_and_or_b32 v1, v1, s4, v8
	global_store_byte v[2:3], v1, off
.LBB54_1562:
	s_mov_b64 s[4:5], 0
.LBB54_1563:
	s_andn2_b64 vcc, exec, s[4:5]
	s_cbranch_vccnz .LBB54_1573
; %bb.1564:
	v_cvt_f32_i32_e32 v1, v0
	s_mov_b32 s4, 0x47800000
                                        ; implicit-def: $vgpr8
	v_and_b32_e32 v9, 0x7fffffff, v1
	v_cmp_gt_u32_e32 vcc, s4, v9
	s_and_saveexec_b64 s[4:5], vcc
	s_xor_b64 s[4:5], exec, s[4:5]
	s_cbranch_execz .LBB54_1570
; %bb.1565:
	s_mov_b32 s10, 0x387fffff
	v_cmp_lt_u32_e32 vcc, s10, v9
                                        ; implicit-def: $vgpr8
	s_and_saveexec_b64 s[10:11], vcc
	s_xor_b64 s[10:11], exec, s[10:11]
; %bb.1566:
	v_bfe_u32 v8, v1, 21, 1
	s_mov_b32 s13, 0x80fffff
	v_add3_u32 v8, v1, v8, s13
	v_lshrrev_b32_e32 v8, 21, v8
; %bb.1567:
	s_andn2_saveexec_b64 s[10:11], s[10:11]
; %bb.1568:
	s_mov_b32 s13, 0x43000000
	v_add_f32_e64 v8, |v1|, s13
; %bb.1569:
	s_or_b64 exec, exec, s[10:11]
                                        ; implicit-def: $vgpr9
.LBB54_1570:
	s_andn2_saveexec_b64 s[4:5], s[4:5]
; %bb.1571:
	s_mov_b32 s10, 0x7f800000
	v_mov_b32_e32 v8, 0x7c
	v_mov_b32_e32 v10, 0x7f
	v_cmp_lt_u32_e32 vcc, s10, v9
	v_cndmask_b32_e32 v8, v8, v10, vcc
; %bb.1572:
	s_or_b64 exec, exec, s[4:5]
	v_lshrrev_b32_e32 v1, 24, v1
	s_movk_i32 s4, 0x80
	v_and_or_b32 v1, v1, s4, v8
	global_store_byte v[2:3], v1, off
.LBB54_1573:
	s_mov_b64 s[4:5], 0
	s_mov_b64 s[10:11], -1
.LBB54_1574:
	s_andn2_b64 vcc, exec, s[4:5]
	s_mov_b64 s[4:5], 0
	s_cbranch_vccnz .LBB54_1581
; %bb.1575:
	s_cmp_gt_i32 s3, 14
	s_mov_b64 s[18:19], -1
	s_cbranch_scc0 .LBB54_1579
; %bb.1576:
	s_cmp_eq_u32 s3, 15
	s_mov_b64 s[0:1], -1
	s_cbranch_scc0 .LBB54_1578
; %bb.1577:
	v_cvt_f32_i32_e32 v1, v0
	s_movk_i32 s4, 0x7fff
	s_mov_b64 s[0:1], 0
	s_mov_b64 s[10:11], -1
	v_bfe_u32 v8, v1, 16, 1
	v_add3_u32 v1, v1, v8, s4
	global_store_short_d16_hi v[2:3], v1, off
.LBB54_1578:
	s_mov_b64 s[18:19], 0
.LBB54_1579:
	s_mov_b64 s[4:5], 0
	s_and_b64 vcc, exec, s[18:19]
	s_cbranch_vccz .LBB54_1581
; %bb.1580:
	s_cmp_lg_u32 s3, 11
	s_mov_b64 s[4:5], -1
	s_cselect_b64 s[0:1], -1, 0
.LBB54_1581:
	s_and_b64 vcc, exec, s[0:1]
	s_cbranch_vccnz .LBB54_1989
; %bb.1582:
	s_andn2_b64 vcc, exec, s[4:5]
	s_cbranch_vccnz .LBB54_1584
.LBB54_1583:
	v_cmp_ne_u32_e32 vcc, 0, v0
	v_cndmask_b32_e64 v1, 0, 1, vcc
	s_mov_b64 s[10:11], -1
	global_store_byte v[2:3], v1, off
.LBB54_1584:
	s_mov_b64 s[0:1], 0
	s_branch .LBB54_1586
.LBB54_1585:
	s_mov_b64 s[0:1], -1
	s_mov_b64 s[10:11], 0
.LBB54_1586:
	s_and_b64 vcc, exec, s[0:1]
	s_cbranch_vccz .LBB54_1625
; %bb.1587:
	s_and_b32 s3, 0xffff, s22
	s_cmp_lt_i32 s3, 5
	s_mov_b64 s[0:1], -1
	s_cbranch_scc1 .LBB54_1608
; %bb.1588:
	s_cmp_lt_i32 s3, 8
	s_cbranch_scc1 .LBB54_1598
; %bb.1589:
	s_cmp_lt_i32 s3, 9
	s_cbranch_scc1 .LBB54_1595
; %bb.1590:
	s_cmp_gt_i32 s3, 9
	s_cbranch_scc0 .LBB54_1592
; %bb.1591:
	v_cvt_f64_i32_e32 v[8:9], v0
	v_mov_b32_e32 v10, 0
	v_mov_b32_e32 v11, v10
	s_mov_b64 s[0:1], 0
	global_store_dwordx4 v[2:3], v[8:11], off
.LBB54_1592:
	s_andn2_b64 vcc, exec, s[0:1]
	s_cbranch_vccnz .LBB54_1594
; %bb.1593:
	v_cvt_f32_i32_e32 v8, v0
	v_mov_b32_e32 v9, 0
	global_store_dwordx2 v[2:3], v[8:9], off
.LBB54_1594:
	s_mov_b64 s[0:1], 0
.LBB54_1595:
	s_andn2_b64 vcc, exec, s[0:1]
	s_cbranch_vccnz .LBB54_1597
; %bb.1596:
	v_cvt_f32_i32_e32 v1, v0
	v_cvt_f16_f32_e32 v1, v1
	global_store_dword v[2:3], v1, off
.LBB54_1597:
	s_mov_b64 s[0:1], 0
.LBB54_1598:
	s_andn2_b64 vcc, exec, s[0:1]
	s_cbranch_vccnz .LBB54_1607
; %bb.1599:
	s_cmp_lt_i32 s3, 6
	s_mov_b64 s[0:1], -1
	s_cbranch_scc1 .LBB54_1605
; %bb.1600:
	s_cmp_gt_i32 s3, 6
	s_cbranch_scc0 .LBB54_1602
; %bb.1601:
	v_cvt_f64_i32_e32 v[8:9], v0
	s_mov_b64 s[0:1], 0
	global_store_dwordx2 v[2:3], v[8:9], off
.LBB54_1602:
	s_andn2_b64 vcc, exec, s[0:1]
	s_cbranch_vccnz .LBB54_1604
; %bb.1603:
	v_cvt_f32_i32_e32 v1, v0
	global_store_dword v[2:3], v1, off
.LBB54_1604:
	s_mov_b64 s[0:1], 0
.LBB54_1605:
	s_andn2_b64 vcc, exec, s[0:1]
	s_cbranch_vccnz .LBB54_1607
; %bb.1606:
	v_cvt_f32_i32_e32 v1, v0
	v_cvt_f16_f32_e32 v1, v1
	global_store_short v[2:3], v1, off
.LBB54_1607:
	s_mov_b64 s[0:1], 0
.LBB54_1608:
	s_andn2_b64 vcc, exec, s[0:1]
	s_cbranch_vccnz .LBB54_1624
; %bb.1609:
	s_cmp_lt_i32 s3, 2
	s_mov_b64 s[0:1], -1
	s_cbranch_scc1 .LBB54_1619
; %bb.1610:
	s_cmp_lt_i32 s3, 3
	s_cbranch_scc1 .LBB54_1616
; %bb.1611:
	s_cmp_gt_i32 s3, 3
	s_cbranch_scc0 .LBB54_1613
; %bb.1612:
	v_ashrrev_i32_e32 v1, 31, v0
	global_store_dwordx2 v[2:3], v[0:1], off
	s_mov_b64 s[0:1], 0
.LBB54_1613:
	s_andn2_b64 vcc, exec, s[0:1]
	s_cbranch_vccnz .LBB54_1615
; %bb.1614:
	global_store_dword v[2:3], v0, off
.LBB54_1615:
	s_mov_b64 s[0:1], 0
.LBB54_1616:
	s_andn2_b64 vcc, exec, s[0:1]
	s_cbranch_vccnz .LBB54_1618
; %bb.1617:
	global_store_short v[2:3], v0, off
.LBB54_1618:
	s_mov_b64 s[0:1], 0
.LBB54_1619:
	s_andn2_b64 vcc, exec, s[0:1]
	s_cbranch_vccnz .LBB54_1624
; %bb.1620:
	s_cmp_gt_i32 s3, 0
	s_mov_b64 s[0:1], -1
	s_cbranch_scc0 .LBB54_1622
; %bb.1621:
	global_store_byte v[2:3], v0, off
	s_mov_b64 s[0:1], 0
.LBB54_1622:
	s_andn2_b64 vcc, exec, s[0:1]
	s_cbranch_vccnz .LBB54_1624
; %bb.1623:
	global_store_byte v[2:3], v0, off
.LBB54_1624:
	s_mov_b64 s[10:11], -1
.LBB54_1625:
	s_andn2_b64 vcc, exec, s[10:11]
	s_cbranch_vccnz .LBB54_1940
; %bb.1626:
	s_lshl_b32 s3, s12, 7
	v_lshlrev_b32_e64 v0, v7, s2
	v_cmp_gt_u32_e32 vcc, 32, v7
	v_add_u32_e32 v4, s3, v4
	v_cndmask_b32_e32 v0, 0, v0, vcc
	v_ashrrev_i32_e32 v1, 31, v4
	v_mov_b32_e32 v3, s9
	v_add_co_u32_e32 v2, vcc, s8, v4
	s_cmp_lt_i32 s22, 11
	v_addc_co_u32_e32 v3, vcc, v3, v1, vcc
	s_cbranch_scc1 .LBB54_1704
; %bb.1627:
	s_and_b32 s20, 0xffff, s22
	s_mov_b64 s[12:13], -1
	s_mov_b64 s[4:5], 0
	s_cmp_gt_i32 s20, 25
	s_mov_b64 s[10:11], 0
	s_mov_b64 s[0:1], 0
	s_cbranch_scc0 .LBB54_1660
; %bb.1628:
	s_cmp_gt_i32 s20, 28
	s_cbranch_scc0 .LBB54_1643
; %bb.1629:
	s_cmp_gt_i32 s20, 43
	;; [unrolled: 3-line block ×3, first 2 shown]
	s_cbranch_scc0 .LBB54_1633
; %bb.1631:
	s_mov_b64 s[0:1], -1
	s_mov_b64 s[12:13], 0
	s_cmp_eq_u32 s20, 46
	s_cbranch_scc0 .LBB54_1633
; %bb.1632:
	v_cvt_f32_i32_e32 v1, v0
	s_movk_i32 s10, 0x7fff
	s_mov_b64 s[0:1], 0
	v_bfe_u32 v7, v1, 16, 1
	v_add3_u32 v1, v1, v7, s10
	v_lshrrev_b32_e32 v1, 16, v1
	global_store_dword v[2:3], v1, off
	s_mov_b64 s[10:11], -1
.LBB54_1633:
	s_and_b64 vcc, exec, s[12:13]
	s_cbranch_vccz .LBB54_1638
; %bb.1634:
	s_cmp_eq_u32 s20, 44
	s_mov_b64 s[0:1], -1
	s_cbranch_scc0 .LBB54_1638
; %bb.1635:
	v_cvt_f32_i32_e32 v1, v0
	s_movk_i32 s0, 0xff
	v_mov_b32_e32 v8, 0xff
	v_bfe_u32 v7, v1, 23, 8
	v_cmp_ne_u32_e32 vcc, s0, v7
	s_and_saveexec_b64 s[10:11], vcc
; %bb.1636:
	s_mov_b32 s0, 0x3fffff
	v_lshrrev_b32_e32 v8, 23, v1
	v_and_b32_e32 v9, 0x400000, v1
	v_and_or_b32 v1, v1, s0, v7
	v_cmp_ne_u32_e32 vcc, 0, v9
	v_cmp_ne_u32_e64 s[0:1], 0, v1
	s_and_b64 s[0:1], vcc, s[0:1]
	v_cndmask_b32_e64 v1, 0, 1, s[0:1]
	v_add_u32_e32 v8, v8, v1
; %bb.1637:
	s_or_b64 exec, exec, s[10:11]
	s_mov_b64 s[0:1], 0
	s_mov_b64 s[10:11], -1
	global_store_byte v[2:3], v8, off
.LBB54_1638:
	s_mov_b64 s[12:13], 0
.LBB54_1639:
	s_and_b64 vcc, exec, s[12:13]
	s_cbranch_vccz .LBB54_1642
; %bb.1640:
	s_cmp_eq_u32 s20, 29
	s_mov_b64 s[0:1], -1
	s_cbranch_scc0 .LBB54_1642
; %bb.1641:
	v_ashrrev_i32_e32 v1, 31, v0
	global_store_dwordx2 v[2:3], v[0:1], off
	s_mov_b64 s[0:1], 0
	s_mov_b64 s[10:11], -1
.LBB54_1642:
	s_mov_b64 s[12:13], 0
.LBB54_1643:
	s_and_b64 vcc, exec, s[12:13]
	s_cbranch_vccz .LBB54_1659
; %bb.1644:
	s_cmp_lt_i32 s20, 27
	s_mov_b64 s[10:11], -1
	s_cbranch_scc1 .LBB54_1650
; %bb.1645:
	s_cmp_gt_i32 s20, 27
	s_cbranch_scc0 .LBB54_1647
; %bb.1646:
	s_mov_b64 s[10:11], 0
	global_store_dword v[2:3], v0, off
.LBB54_1647:
	s_andn2_b64 vcc, exec, s[10:11]
	s_cbranch_vccnz .LBB54_1649
; %bb.1648:
	global_store_short v[2:3], v0, off
.LBB54_1649:
	s_mov_b64 s[10:11], 0
.LBB54_1650:
	s_andn2_b64 vcc, exec, s[10:11]
	s_cbranch_vccnz .LBB54_1658
; %bb.1651:
	v_cvt_f32_i32_e32 v1, v0
	s_mov_b32 s10, 0x43800000
	v_mov_b32_e32 v8, 0x80
	v_and_b32_e32 v7, 0x7fffffff, v1
	v_cmp_gt_u32_e32 vcc, s10, v7
	s_and_saveexec_b64 s[10:11], vcc
	s_cbranch_execz .LBB54_1657
; %bb.1652:
	s_mov_b32 s12, 0x3bffffff
	v_cmp_lt_u32_e32 vcc, s12, v7
	s_mov_b64 s[12:13], 0
                                        ; implicit-def: $vgpr7
	s_and_saveexec_b64 s[18:19], vcc
	s_xor_b64 s[18:19], exec, s[18:19]
	s_cbranch_execz .LBB54_1992
; %bb.1653:
	v_bfe_u32 v7, v1, 20, 1
	s_mov_b32 s21, 0x487ffff
	v_add3_u32 v7, v1, v7, s21
	s_mov_b64 s[12:13], exec
	v_lshrrev_b32_e32 v7, 20, v7
	s_andn2_saveexec_b64 s[18:19], s[18:19]
	s_cbranch_execnz .LBB54_1993
.LBB54_1654:
	s_or_b64 exec, exec, s[18:19]
	v_mov_b32_e32 v8, 0
	s_and_saveexec_b64 s[18:19], s[12:13]
.LBB54_1655:
	v_lshrrev_b32_e32 v1, 24, v1
	s_movk_i32 s12, 0x80
	v_and_or_b32 v8, v1, s12, v7
.LBB54_1656:
	s_or_b64 exec, exec, s[18:19]
.LBB54_1657:
	s_or_b64 exec, exec, s[10:11]
	global_store_byte v[2:3], v8, off
.LBB54_1658:
	s_mov_b64 s[10:11], -1
.LBB54_1659:
	s_mov_b64 s[12:13], 0
.LBB54_1660:
	s_and_b64 vcc, exec, s[12:13]
	s_cbranch_vccz .LBB54_1700
; %bb.1661:
	s_cmp_gt_i32 s20, 22
	s_mov_b64 s[4:5], -1
	s_cbranch_scc0 .LBB54_1693
; %bb.1662:
	s_cmp_lt_i32 s20, 24
	s_cbranch_scc1 .LBB54_1682
; %bb.1663:
	s_cmp_gt_i32 s20, 24
	s_cbranch_scc0 .LBB54_1671
; %bb.1664:
	v_cvt_f32_i32_e32 v1, v0
	s_mov_b32 s4, 0x47800000
	v_mov_b32_e32 v8, 0x80
	v_and_b32_e32 v7, 0x7fffffff, v1
	v_cmp_gt_u32_e32 vcc, s4, v7
	s_and_saveexec_b64 s[4:5], vcc
	s_cbranch_execz .LBB54_1670
; %bb.1665:
	s_mov_b32 s10, 0x37ffffff
	v_cmp_lt_u32_e32 vcc, s10, v7
	s_mov_b64 s[10:11], 0
                                        ; implicit-def: $vgpr7
	s_and_saveexec_b64 s[12:13], vcc
	s_xor_b64 s[12:13], exec, s[12:13]
	s_cbranch_execz .LBB54_1995
; %bb.1666:
	v_bfe_u32 v7, v1, 21, 1
	s_mov_b32 s18, 0x88fffff
	v_add3_u32 v7, v1, v7, s18
	s_mov_b64 s[10:11], exec
	v_lshrrev_b32_e32 v7, 21, v7
	s_andn2_saveexec_b64 s[12:13], s[12:13]
	s_cbranch_execnz .LBB54_1996
.LBB54_1667:
	s_or_b64 exec, exec, s[12:13]
	v_mov_b32_e32 v8, 0
	s_and_saveexec_b64 s[12:13], s[10:11]
.LBB54_1668:
	v_lshrrev_b32_e32 v1, 24, v1
	s_movk_i32 s10, 0x80
	v_and_or_b32 v8, v1, s10, v7
.LBB54_1669:
	s_or_b64 exec, exec, s[12:13]
.LBB54_1670:
	s_or_b64 exec, exec, s[4:5]
	s_mov_b64 s[4:5], 0
	global_store_byte v[2:3], v8, off
.LBB54_1671:
	s_and_b64 vcc, exec, s[4:5]
	s_cbranch_vccz .LBB54_1681
; %bb.1672:
	v_cvt_f32_i32_e32 v1, v0
	s_mov_b32 s4, 0x43f00000
                                        ; implicit-def: $vgpr7
	v_and_b32_e32 v8, 0x7fffffff, v1
	v_cmp_gt_u32_e32 vcc, s4, v8
	s_and_saveexec_b64 s[4:5], vcc
	s_xor_b64 s[4:5], exec, s[4:5]
	s_cbranch_execz .LBB54_1678
; %bb.1673:
	s_mov_b32 s10, 0x3c7fffff
	v_cmp_lt_u32_e32 vcc, s10, v8
                                        ; implicit-def: $vgpr7
	s_and_saveexec_b64 s[10:11], vcc
	s_xor_b64 s[10:11], exec, s[10:11]
; %bb.1674:
	v_bfe_u32 v7, v1, 20, 1
	s_mov_b32 s12, 0x407ffff
	v_add3_u32 v7, v1, v7, s12
	v_lshrrev_b32_e32 v8, 20, v7
	v_and_b32_e32 v7, 0xff00000, v7
	s_mov_b32 s12, 0x7f00000
	v_mov_b32_e32 v9, 0x7e
	v_cmp_ne_u32_e32 vcc, s12, v7
	v_cndmask_b32_e32 v7, v9, v8, vcc
; %bb.1675:
	s_andn2_saveexec_b64 s[10:11], s[10:11]
; %bb.1676:
	s_mov_b32 s12, 0x46800000
	v_add_f32_e64 v7, |v1|, s12
; %bb.1677:
	s_or_b64 exec, exec, s[10:11]
                                        ; implicit-def: $vgpr8
.LBB54_1678:
	s_andn2_saveexec_b64 s[4:5], s[4:5]
; %bb.1679:
	s_mov_b32 s10, 0x7f800000
	v_mov_b32_e32 v7, 0x7e
	v_mov_b32_e32 v9, 0x7f
	v_cmp_lt_u32_e32 vcc, s10, v8
	v_cndmask_b32_e32 v7, v7, v9, vcc
; %bb.1680:
	s_or_b64 exec, exec, s[4:5]
	v_lshrrev_b32_e32 v1, 24, v1
	s_movk_i32 s4, 0x80
	v_and_or_b32 v1, v1, s4, v7
	global_store_byte v[2:3], v1, off
.LBB54_1681:
	s_mov_b64 s[4:5], 0
.LBB54_1682:
	s_andn2_b64 vcc, exec, s[4:5]
	s_cbranch_vccnz .LBB54_1692
; %bb.1683:
	v_cvt_f32_i32_e32 v1, v0
	s_mov_b32 s4, 0x47800000
                                        ; implicit-def: $vgpr7
	v_and_b32_e32 v8, 0x7fffffff, v1
	v_cmp_gt_u32_e32 vcc, s4, v8
	s_and_saveexec_b64 s[4:5], vcc
	s_xor_b64 s[4:5], exec, s[4:5]
	s_cbranch_execz .LBB54_1689
; %bb.1684:
	s_mov_b32 s10, 0x387fffff
	v_cmp_lt_u32_e32 vcc, s10, v8
                                        ; implicit-def: $vgpr7
	s_and_saveexec_b64 s[10:11], vcc
	s_xor_b64 s[10:11], exec, s[10:11]
; %bb.1685:
	v_bfe_u32 v7, v1, 21, 1
	s_mov_b32 s12, 0x80fffff
	v_add3_u32 v7, v1, v7, s12
	v_lshrrev_b32_e32 v7, 21, v7
; %bb.1686:
	s_andn2_saveexec_b64 s[10:11], s[10:11]
; %bb.1687:
	s_mov_b32 s12, 0x43000000
	v_add_f32_e64 v7, |v1|, s12
; %bb.1688:
	s_or_b64 exec, exec, s[10:11]
                                        ; implicit-def: $vgpr8
.LBB54_1689:
	s_andn2_saveexec_b64 s[4:5], s[4:5]
; %bb.1690:
	s_mov_b32 s10, 0x7f800000
	v_mov_b32_e32 v7, 0x7c
	v_mov_b32_e32 v9, 0x7f
	v_cmp_lt_u32_e32 vcc, s10, v8
	v_cndmask_b32_e32 v7, v7, v9, vcc
; %bb.1691:
	s_or_b64 exec, exec, s[4:5]
	v_lshrrev_b32_e32 v1, 24, v1
	s_movk_i32 s4, 0x80
	v_and_or_b32 v1, v1, s4, v7
	global_store_byte v[2:3], v1, off
.LBB54_1692:
	s_mov_b64 s[4:5], 0
	s_mov_b64 s[10:11], -1
.LBB54_1693:
	s_andn2_b64 vcc, exec, s[4:5]
	s_mov_b64 s[4:5], 0
	s_cbranch_vccnz .LBB54_1700
; %bb.1694:
	s_cmp_gt_i32 s20, 14
	s_mov_b64 s[12:13], -1
	s_cbranch_scc0 .LBB54_1698
; %bb.1695:
	s_cmp_eq_u32 s20, 15
	s_mov_b64 s[0:1], -1
	s_cbranch_scc0 .LBB54_1697
; %bb.1696:
	v_cvt_f32_i32_e32 v1, v0
	s_movk_i32 s4, 0x7fff
	s_mov_b64 s[0:1], 0
	s_mov_b64 s[10:11], -1
	v_bfe_u32 v7, v1, 16, 1
	v_add3_u32 v1, v1, v7, s4
	global_store_short_d16_hi v[2:3], v1, off
.LBB54_1697:
	s_mov_b64 s[12:13], 0
.LBB54_1698:
	s_mov_b64 s[4:5], 0
	s_and_b64 vcc, exec, s[12:13]
	s_cbranch_vccz .LBB54_1700
; %bb.1699:
	s_cmp_lg_u32 s20, 11
	s_mov_b64 s[4:5], -1
	s_cselect_b64 s[0:1], -1, 0
.LBB54_1700:
	s_and_b64 vcc, exec, s[0:1]
	s_cbranch_vccnz .LBB54_1994
; %bb.1701:
	s_andn2_b64 vcc, exec, s[4:5]
	s_cbranch_vccnz .LBB54_1703
.LBB54_1702:
	v_cmp_ne_u32_e32 vcc, 0, v0
	v_cndmask_b32_e64 v1, 0, 1, vcc
	s_mov_b64 s[10:11], -1
	global_store_byte v[2:3], v1, off
.LBB54_1703:
	s_mov_b64 s[0:1], 0
	s_branch .LBB54_1705
.LBB54_1704:
	s_mov_b64 s[0:1], -1
	s_mov_b64 s[10:11], 0
.LBB54_1705:
	s_and_b64 vcc, exec, s[0:1]
	s_cbranch_vccz .LBB54_1744
; %bb.1706:
	s_and_b32 s4, 0xffff, s22
	s_cmp_lt_i32 s4, 5
	s_mov_b64 s[0:1], -1
	s_cbranch_scc1 .LBB54_1727
; %bb.1707:
	s_cmp_lt_i32 s4, 8
	s_cbranch_scc1 .LBB54_1717
; %bb.1708:
	s_cmp_lt_i32 s4, 9
	s_cbranch_scc1 .LBB54_1714
; %bb.1709:
	s_cmp_gt_i32 s4, 9
	s_cbranch_scc0 .LBB54_1711
; %bb.1710:
	v_cvt_f64_i32_e32 v[7:8], v0
	v_mov_b32_e32 v9, 0
	v_mov_b32_e32 v10, v9
	s_mov_b64 s[0:1], 0
	global_store_dwordx4 v[2:3], v[7:10], off
.LBB54_1711:
	s_andn2_b64 vcc, exec, s[0:1]
	s_cbranch_vccnz .LBB54_1713
; %bb.1712:
	v_cvt_f32_i32_e32 v7, v0
	v_mov_b32_e32 v8, 0
	global_store_dwordx2 v[2:3], v[7:8], off
.LBB54_1713:
	s_mov_b64 s[0:1], 0
.LBB54_1714:
	s_andn2_b64 vcc, exec, s[0:1]
	s_cbranch_vccnz .LBB54_1716
; %bb.1715:
	v_cvt_f32_i32_e32 v1, v0
	v_cvt_f16_f32_e32 v1, v1
	global_store_dword v[2:3], v1, off
.LBB54_1716:
	s_mov_b64 s[0:1], 0
.LBB54_1717:
	s_andn2_b64 vcc, exec, s[0:1]
	s_cbranch_vccnz .LBB54_1726
; %bb.1718:
	s_cmp_lt_i32 s4, 6
	s_mov_b64 s[0:1], -1
	s_cbranch_scc1 .LBB54_1724
; %bb.1719:
	s_cmp_gt_i32 s4, 6
	s_cbranch_scc0 .LBB54_1721
; %bb.1720:
	v_cvt_f64_i32_e32 v[7:8], v0
	s_mov_b64 s[0:1], 0
	global_store_dwordx2 v[2:3], v[7:8], off
.LBB54_1721:
	s_andn2_b64 vcc, exec, s[0:1]
	s_cbranch_vccnz .LBB54_1723
; %bb.1722:
	v_cvt_f32_i32_e32 v1, v0
	global_store_dword v[2:3], v1, off
.LBB54_1723:
	s_mov_b64 s[0:1], 0
.LBB54_1724:
	s_andn2_b64 vcc, exec, s[0:1]
	s_cbranch_vccnz .LBB54_1726
; %bb.1725:
	v_cvt_f32_i32_e32 v1, v0
	v_cvt_f16_f32_e32 v1, v1
	global_store_short v[2:3], v1, off
.LBB54_1726:
	s_mov_b64 s[0:1], 0
.LBB54_1727:
	s_andn2_b64 vcc, exec, s[0:1]
	s_cbranch_vccnz .LBB54_1743
; %bb.1728:
	s_cmp_lt_i32 s4, 2
	s_mov_b64 s[0:1], -1
	s_cbranch_scc1 .LBB54_1738
; %bb.1729:
	s_cmp_lt_i32 s4, 3
	s_cbranch_scc1 .LBB54_1735
; %bb.1730:
	s_cmp_gt_i32 s4, 3
	s_cbranch_scc0 .LBB54_1732
; %bb.1731:
	v_ashrrev_i32_e32 v1, 31, v0
	global_store_dwordx2 v[2:3], v[0:1], off
	s_mov_b64 s[0:1], 0
.LBB54_1732:
	s_andn2_b64 vcc, exec, s[0:1]
	s_cbranch_vccnz .LBB54_1734
; %bb.1733:
	global_store_dword v[2:3], v0, off
.LBB54_1734:
	s_mov_b64 s[0:1], 0
.LBB54_1735:
	s_andn2_b64 vcc, exec, s[0:1]
	s_cbranch_vccnz .LBB54_1737
; %bb.1736:
	global_store_short v[2:3], v0, off
.LBB54_1737:
	s_mov_b64 s[0:1], 0
.LBB54_1738:
	s_andn2_b64 vcc, exec, s[0:1]
	s_cbranch_vccnz .LBB54_1743
; %bb.1739:
	s_cmp_gt_i32 s4, 0
	s_mov_b64 s[0:1], -1
	s_cbranch_scc0 .LBB54_1741
; %bb.1740:
	global_store_byte v[2:3], v0, off
	s_mov_b64 s[0:1], 0
.LBB54_1741:
	s_andn2_b64 vcc, exec, s[0:1]
	s_cbranch_vccnz .LBB54_1743
; %bb.1742:
	global_store_byte v[2:3], v0, off
.LBB54_1743:
	s_mov_b64 s[10:11], -1
.LBB54_1744:
	s_andn2_b64 vcc, exec, s[10:11]
	s_cbranch_vccnz .LBB54_1940
; %bb.1745:
	v_lshlrev_b32_e64 v0, v6, s2
	v_cmp_gt_u32_e32 vcc, 32, v6
	v_add_u32_e32 v4, s3, v4
	v_cndmask_b32_e32 v0, 0, v0, vcc
	v_ashrrev_i32_e32 v1, 31, v4
	v_mov_b32_e32 v3, s9
	v_add_co_u32_e32 v2, vcc, s8, v4
	s_cmp_lt_i32 s22, 11
	v_addc_co_u32_e32 v3, vcc, v3, v1, vcc
	s_cbranch_scc1 .LBB54_1823
; %bb.1746:
	s_and_b32 s20, 0xffff, s22
	s_mov_b64 s[12:13], -1
	s_mov_b64 s[4:5], 0
	s_cmp_gt_i32 s20, 25
	s_mov_b64 s[10:11], 0
	s_mov_b64 s[0:1], 0
	s_cbranch_scc0 .LBB54_1779
; %bb.1747:
	s_cmp_gt_i32 s20, 28
	s_cbranch_scc0 .LBB54_1762
; %bb.1748:
	s_cmp_gt_i32 s20, 43
	;; [unrolled: 3-line block ×3, first 2 shown]
	s_cbranch_scc0 .LBB54_1752
; %bb.1750:
	s_mov_b64 s[0:1], -1
	s_mov_b64 s[12:13], 0
	s_cmp_eq_u32 s20, 46
	s_cbranch_scc0 .LBB54_1752
; %bb.1751:
	v_cvt_f32_i32_e32 v1, v0
	s_movk_i32 s10, 0x7fff
	s_mov_b64 s[0:1], 0
	v_bfe_u32 v6, v1, 16, 1
	v_add3_u32 v1, v1, v6, s10
	v_lshrrev_b32_e32 v1, 16, v1
	global_store_dword v[2:3], v1, off
	s_mov_b64 s[10:11], -1
.LBB54_1752:
	s_and_b64 vcc, exec, s[12:13]
	s_cbranch_vccz .LBB54_1757
; %bb.1753:
	s_cmp_eq_u32 s20, 44
	s_mov_b64 s[0:1], -1
	s_cbranch_scc0 .LBB54_1757
; %bb.1754:
	v_cvt_f32_i32_e32 v1, v0
	s_movk_i32 s0, 0xff
	v_mov_b32_e32 v7, 0xff
	v_bfe_u32 v6, v1, 23, 8
	v_cmp_ne_u32_e32 vcc, s0, v6
	s_and_saveexec_b64 s[10:11], vcc
; %bb.1755:
	s_mov_b32 s0, 0x3fffff
	v_lshrrev_b32_e32 v7, 23, v1
	v_and_b32_e32 v8, 0x400000, v1
	v_and_or_b32 v1, v1, s0, v6
	v_cmp_ne_u32_e32 vcc, 0, v8
	v_cmp_ne_u32_e64 s[0:1], 0, v1
	s_and_b64 s[0:1], vcc, s[0:1]
	v_cndmask_b32_e64 v1, 0, 1, s[0:1]
	v_add_u32_e32 v7, v7, v1
; %bb.1756:
	s_or_b64 exec, exec, s[10:11]
	s_mov_b64 s[0:1], 0
	s_mov_b64 s[10:11], -1
	global_store_byte v[2:3], v7, off
.LBB54_1757:
	s_mov_b64 s[12:13], 0
.LBB54_1758:
	s_and_b64 vcc, exec, s[12:13]
	s_cbranch_vccz .LBB54_1761
; %bb.1759:
	s_cmp_eq_u32 s20, 29
	s_mov_b64 s[0:1], -1
	s_cbranch_scc0 .LBB54_1761
; %bb.1760:
	v_ashrrev_i32_e32 v1, 31, v0
	global_store_dwordx2 v[2:3], v[0:1], off
	s_mov_b64 s[0:1], 0
	s_mov_b64 s[10:11], -1
.LBB54_1761:
	s_mov_b64 s[12:13], 0
.LBB54_1762:
	s_and_b64 vcc, exec, s[12:13]
	s_cbranch_vccz .LBB54_1778
; %bb.1763:
	s_cmp_lt_i32 s20, 27
	s_mov_b64 s[10:11], -1
	s_cbranch_scc1 .LBB54_1769
; %bb.1764:
	s_cmp_gt_i32 s20, 27
	s_cbranch_scc0 .LBB54_1766
; %bb.1765:
	s_mov_b64 s[10:11], 0
	global_store_dword v[2:3], v0, off
.LBB54_1766:
	s_andn2_b64 vcc, exec, s[10:11]
	s_cbranch_vccnz .LBB54_1768
; %bb.1767:
	global_store_short v[2:3], v0, off
.LBB54_1768:
	s_mov_b64 s[10:11], 0
.LBB54_1769:
	s_andn2_b64 vcc, exec, s[10:11]
	s_cbranch_vccnz .LBB54_1777
; %bb.1770:
	v_cvt_f32_i32_e32 v1, v0
	s_mov_b32 s10, 0x43800000
	v_mov_b32_e32 v7, 0x80
	v_and_b32_e32 v6, 0x7fffffff, v1
	v_cmp_gt_u32_e32 vcc, s10, v6
	s_and_saveexec_b64 s[10:11], vcc
	s_cbranch_execz .LBB54_1776
; %bb.1771:
	s_mov_b32 s12, 0x3bffffff
	v_cmp_lt_u32_e32 vcc, s12, v6
	s_mov_b64 s[12:13], 0
                                        ; implicit-def: $vgpr6
	s_and_saveexec_b64 s[18:19], vcc
	s_xor_b64 s[18:19], exec, s[18:19]
	s_cbranch_execz .LBB54_1997
; %bb.1772:
	v_bfe_u32 v6, v1, 20, 1
	s_mov_b32 s21, 0x487ffff
	v_add3_u32 v6, v1, v6, s21
	s_mov_b64 s[12:13], exec
	v_lshrrev_b32_e32 v6, 20, v6
	s_andn2_saveexec_b64 s[18:19], s[18:19]
	s_cbranch_execnz .LBB54_1998
.LBB54_1773:
	s_or_b64 exec, exec, s[18:19]
	v_mov_b32_e32 v7, 0
	s_and_saveexec_b64 s[18:19], s[12:13]
.LBB54_1774:
	v_lshrrev_b32_e32 v1, 24, v1
	s_movk_i32 s12, 0x80
	v_and_or_b32 v7, v1, s12, v6
.LBB54_1775:
	s_or_b64 exec, exec, s[18:19]
.LBB54_1776:
	s_or_b64 exec, exec, s[10:11]
	global_store_byte v[2:3], v7, off
.LBB54_1777:
	s_mov_b64 s[10:11], -1
.LBB54_1778:
	s_mov_b64 s[12:13], 0
.LBB54_1779:
	s_and_b64 vcc, exec, s[12:13]
	s_cbranch_vccz .LBB54_1819
; %bb.1780:
	s_cmp_gt_i32 s20, 22
	s_mov_b64 s[4:5], -1
	s_cbranch_scc0 .LBB54_1812
; %bb.1781:
	s_cmp_lt_i32 s20, 24
	s_cbranch_scc1 .LBB54_1801
; %bb.1782:
	s_cmp_gt_i32 s20, 24
	s_cbranch_scc0 .LBB54_1790
; %bb.1783:
	v_cvt_f32_i32_e32 v1, v0
	s_mov_b32 s4, 0x47800000
	v_mov_b32_e32 v7, 0x80
	v_and_b32_e32 v6, 0x7fffffff, v1
	v_cmp_gt_u32_e32 vcc, s4, v6
	s_and_saveexec_b64 s[4:5], vcc
	s_cbranch_execz .LBB54_1789
; %bb.1784:
	s_mov_b32 s10, 0x37ffffff
	v_cmp_lt_u32_e32 vcc, s10, v6
	s_mov_b64 s[10:11], 0
                                        ; implicit-def: $vgpr6
	s_and_saveexec_b64 s[12:13], vcc
	s_xor_b64 s[12:13], exec, s[12:13]
	s_cbranch_execz .LBB54_2000
; %bb.1785:
	v_bfe_u32 v6, v1, 21, 1
	s_mov_b32 s18, 0x88fffff
	v_add3_u32 v6, v1, v6, s18
	s_mov_b64 s[10:11], exec
	v_lshrrev_b32_e32 v6, 21, v6
	s_andn2_saveexec_b64 s[12:13], s[12:13]
	s_cbranch_execnz .LBB54_2001
.LBB54_1786:
	s_or_b64 exec, exec, s[12:13]
	v_mov_b32_e32 v7, 0
	s_and_saveexec_b64 s[12:13], s[10:11]
.LBB54_1787:
	v_lshrrev_b32_e32 v1, 24, v1
	s_movk_i32 s10, 0x80
	v_and_or_b32 v7, v1, s10, v6
.LBB54_1788:
	s_or_b64 exec, exec, s[12:13]
.LBB54_1789:
	s_or_b64 exec, exec, s[4:5]
	s_mov_b64 s[4:5], 0
	global_store_byte v[2:3], v7, off
.LBB54_1790:
	s_and_b64 vcc, exec, s[4:5]
	s_cbranch_vccz .LBB54_1800
; %bb.1791:
	v_cvt_f32_i32_e32 v1, v0
	s_mov_b32 s4, 0x43f00000
                                        ; implicit-def: $vgpr6
	v_and_b32_e32 v7, 0x7fffffff, v1
	v_cmp_gt_u32_e32 vcc, s4, v7
	s_and_saveexec_b64 s[4:5], vcc
	s_xor_b64 s[4:5], exec, s[4:5]
	s_cbranch_execz .LBB54_1797
; %bb.1792:
	s_mov_b32 s10, 0x3c7fffff
	v_cmp_lt_u32_e32 vcc, s10, v7
                                        ; implicit-def: $vgpr6
	s_and_saveexec_b64 s[10:11], vcc
	s_xor_b64 s[10:11], exec, s[10:11]
; %bb.1793:
	v_bfe_u32 v6, v1, 20, 1
	s_mov_b32 s12, 0x407ffff
	v_add3_u32 v6, v1, v6, s12
	v_lshrrev_b32_e32 v7, 20, v6
	v_and_b32_e32 v6, 0xff00000, v6
	s_mov_b32 s12, 0x7f00000
	v_mov_b32_e32 v8, 0x7e
	v_cmp_ne_u32_e32 vcc, s12, v6
	v_cndmask_b32_e32 v6, v8, v7, vcc
; %bb.1794:
	s_andn2_saveexec_b64 s[10:11], s[10:11]
; %bb.1795:
	s_mov_b32 s12, 0x46800000
	v_add_f32_e64 v6, |v1|, s12
; %bb.1796:
	s_or_b64 exec, exec, s[10:11]
                                        ; implicit-def: $vgpr7
.LBB54_1797:
	s_andn2_saveexec_b64 s[4:5], s[4:5]
; %bb.1798:
	s_mov_b32 s10, 0x7f800000
	v_mov_b32_e32 v6, 0x7e
	v_mov_b32_e32 v8, 0x7f
	v_cmp_lt_u32_e32 vcc, s10, v7
	v_cndmask_b32_e32 v6, v6, v8, vcc
; %bb.1799:
	s_or_b64 exec, exec, s[4:5]
	v_lshrrev_b32_e32 v1, 24, v1
	s_movk_i32 s4, 0x80
	v_and_or_b32 v1, v1, s4, v6
	global_store_byte v[2:3], v1, off
.LBB54_1800:
	s_mov_b64 s[4:5], 0
.LBB54_1801:
	s_andn2_b64 vcc, exec, s[4:5]
	s_cbranch_vccnz .LBB54_1811
; %bb.1802:
	v_cvt_f32_i32_e32 v1, v0
	s_mov_b32 s4, 0x47800000
                                        ; implicit-def: $vgpr6
	v_and_b32_e32 v7, 0x7fffffff, v1
	v_cmp_gt_u32_e32 vcc, s4, v7
	s_and_saveexec_b64 s[4:5], vcc
	s_xor_b64 s[4:5], exec, s[4:5]
	s_cbranch_execz .LBB54_1808
; %bb.1803:
	s_mov_b32 s10, 0x387fffff
	v_cmp_lt_u32_e32 vcc, s10, v7
                                        ; implicit-def: $vgpr6
	s_and_saveexec_b64 s[10:11], vcc
	s_xor_b64 s[10:11], exec, s[10:11]
; %bb.1804:
	v_bfe_u32 v6, v1, 21, 1
	s_mov_b32 s12, 0x80fffff
	v_add3_u32 v6, v1, v6, s12
	v_lshrrev_b32_e32 v6, 21, v6
; %bb.1805:
	s_andn2_saveexec_b64 s[10:11], s[10:11]
; %bb.1806:
	s_mov_b32 s12, 0x43000000
	v_add_f32_e64 v6, |v1|, s12
; %bb.1807:
	s_or_b64 exec, exec, s[10:11]
                                        ; implicit-def: $vgpr7
.LBB54_1808:
	s_andn2_saveexec_b64 s[4:5], s[4:5]
; %bb.1809:
	s_mov_b32 s10, 0x7f800000
	v_mov_b32_e32 v6, 0x7c
	v_mov_b32_e32 v8, 0x7f
	v_cmp_lt_u32_e32 vcc, s10, v7
	v_cndmask_b32_e32 v6, v6, v8, vcc
; %bb.1810:
	s_or_b64 exec, exec, s[4:5]
	v_lshrrev_b32_e32 v1, 24, v1
	s_movk_i32 s4, 0x80
	v_and_or_b32 v1, v1, s4, v6
	global_store_byte v[2:3], v1, off
.LBB54_1811:
	s_mov_b64 s[4:5], 0
	s_mov_b64 s[10:11], -1
.LBB54_1812:
	s_andn2_b64 vcc, exec, s[4:5]
	s_mov_b64 s[4:5], 0
	s_cbranch_vccnz .LBB54_1819
; %bb.1813:
	s_cmp_gt_i32 s20, 14
	s_mov_b64 s[12:13], -1
	s_cbranch_scc0 .LBB54_1817
; %bb.1814:
	s_cmp_eq_u32 s20, 15
	s_mov_b64 s[0:1], -1
	s_cbranch_scc0 .LBB54_1816
; %bb.1815:
	v_cvt_f32_i32_e32 v1, v0
	s_movk_i32 s4, 0x7fff
	s_mov_b64 s[0:1], 0
	s_mov_b64 s[10:11], -1
	v_bfe_u32 v6, v1, 16, 1
	v_add3_u32 v1, v1, v6, s4
	global_store_short_d16_hi v[2:3], v1, off
.LBB54_1816:
	s_mov_b64 s[12:13], 0
.LBB54_1817:
	s_mov_b64 s[4:5], 0
	s_and_b64 vcc, exec, s[12:13]
	s_cbranch_vccz .LBB54_1819
; %bb.1818:
	s_cmp_lg_u32 s20, 11
	s_mov_b64 s[4:5], -1
	s_cselect_b64 s[0:1], -1, 0
.LBB54_1819:
	s_and_b64 vcc, exec, s[0:1]
	s_cbranch_vccnz .LBB54_1999
; %bb.1820:
	s_andn2_b64 vcc, exec, s[4:5]
	s_cbranch_vccnz .LBB54_1822
.LBB54_1821:
	v_cmp_ne_u32_e32 vcc, 0, v0
	v_cndmask_b32_e64 v1, 0, 1, vcc
	s_mov_b64 s[10:11], -1
	global_store_byte v[2:3], v1, off
.LBB54_1822:
	s_mov_b64 s[0:1], 0
	s_branch .LBB54_1824
.LBB54_1823:
	s_mov_b64 s[0:1], -1
	s_mov_b64 s[10:11], 0
.LBB54_1824:
	s_and_b64 vcc, exec, s[0:1]
	s_cbranch_vccz .LBB54_1863
; %bb.1825:
	s_and_b32 s4, 0xffff, s22
	s_cmp_lt_i32 s4, 5
	s_mov_b64 s[0:1], -1
	s_cbranch_scc1 .LBB54_1846
; %bb.1826:
	s_cmp_lt_i32 s4, 8
	s_cbranch_scc1 .LBB54_1836
; %bb.1827:
	s_cmp_lt_i32 s4, 9
	s_cbranch_scc1 .LBB54_1833
; %bb.1828:
	s_cmp_gt_i32 s4, 9
	s_cbranch_scc0 .LBB54_1830
; %bb.1829:
	v_cvt_f64_i32_e32 v[6:7], v0
	v_mov_b32_e32 v8, 0
	v_mov_b32_e32 v9, v8
	s_mov_b64 s[0:1], 0
	global_store_dwordx4 v[2:3], v[6:9], off
.LBB54_1830:
	s_andn2_b64 vcc, exec, s[0:1]
	s_cbranch_vccnz .LBB54_1832
; %bb.1831:
	v_cvt_f32_i32_e32 v6, v0
	v_mov_b32_e32 v7, 0
	global_store_dwordx2 v[2:3], v[6:7], off
.LBB54_1832:
	s_mov_b64 s[0:1], 0
.LBB54_1833:
	s_andn2_b64 vcc, exec, s[0:1]
	s_cbranch_vccnz .LBB54_1835
; %bb.1834:
	v_cvt_f32_i32_e32 v1, v0
	v_cvt_f16_f32_e32 v1, v1
	global_store_dword v[2:3], v1, off
.LBB54_1835:
	s_mov_b64 s[0:1], 0
.LBB54_1836:
	s_andn2_b64 vcc, exec, s[0:1]
	s_cbranch_vccnz .LBB54_1845
; %bb.1837:
	s_cmp_lt_i32 s4, 6
	s_mov_b64 s[0:1], -1
	s_cbranch_scc1 .LBB54_1843
; %bb.1838:
	s_cmp_gt_i32 s4, 6
	s_cbranch_scc0 .LBB54_1840
; %bb.1839:
	v_cvt_f64_i32_e32 v[6:7], v0
	s_mov_b64 s[0:1], 0
	global_store_dwordx2 v[2:3], v[6:7], off
.LBB54_1840:
	s_andn2_b64 vcc, exec, s[0:1]
	s_cbranch_vccnz .LBB54_1842
; %bb.1841:
	v_cvt_f32_i32_e32 v1, v0
	global_store_dword v[2:3], v1, off
.LBB54_1842:
	s_mov_b64 s[0:1], 0
.LBB54_1843:
	s_andn2_b64 vcc, exec, s[0:1]
	s_cbranch_vccnz .LBB54_1845
; %bb.1844:
	v_cvt_f32_i32_e32 v1, v0
	v_cvt_f16_f32_e32 v1, v1
	global_store_short v[2:3], v1, off
.LBB54_1845:
	s_mov_b64 s[0:1], 0
.LBB54_1846:
	s_andn2_b64 vcc, exec, s[0:1]
	s_cbranch_vccnz .LBB54_1862
; %bb.1847:
	s_cmp_lt_i32 s4, 2
	s_mov_b64 s[0:1], -1
	s_cbranch_scc1 .LBB54_1857
; %bb.1848:
	s_cmp_lt_i32 s4, 3
	s_cbranch_scc1 .LBB54_1854
; %bb.1849:
	s_cmp_gt_i32 s4, 3
	s_cbranch_scc0 .LBB54_1851
; %bb.1850:
	v_ashrrev_i32_e32 v1, 31, v0
	global_store_dwordx2 v[2:3], v[0:1], off
	s_mov_b64 s[0:1], 0
.LBB54_1851:
	s_andn2_b64 vcc, exec, s[0:1]
	s_cbranch_vccnz .LBB54_1853
; %bb.1852:
	global_store_dword v[2:3], v0, off
.LBB54_1853:
	s_mov_b64 s[0:1], 0
.LBB54_1854:
	s_andn2_b64 vcc, exec, s[0:1]
	s_cbranch_vccnz .LBB54_1856
; %bb.1855:
	global_store_short v[2:3], v0, off
.LBB54_1856:
	s_mov_b64 s[0:1], 0
.LBB54_1857:
	s_andn2_b64 vcc, exec, s[0:1]
	s_cbranch_vccnz .LBB54_1862
; %bb.1858:
	s_cmp_gt_i32 s4, 0
	s_mov_b64 s[0:1], -1
	s_cbranch_scc0 .LBB54_1860
; %bb.1859:
	global_store_byte v[2:3], v0, off
	s_mov_b64 s[0:1], 0
.LBB54_1860:
	s_andn2_b64 vcc, exec, s[0:1]
	s_cbranch_vccnz .LBB54_1862
; %bb.1861:
	global_store_byte v[2:3], v0, off
.LBB54_1862:
	s_mov_b64 s[10:11], -1
.LBB54_1863:
	s_andn2_b64 vcc, exec, s[10:11]
	s_cbranch_vccnz .LBB54_1940
; %bb.1864:
	v_lshlrev_b32_e64 v0, v5, s2
	v_cmp_gt_u32_e32 vcc, 32, v5
	v_add_u32_e32 v1, s3, v4
	v_cndmask_b32_e32 v0, 0, v0, vcc
	v_ashrrev_i32_e32 v3, 31, v1
	v_mov_b32_e32 v4, s9
	v_add_co_u32_e32 v2, vcc, s8, v1
	s_cmp_lt_i32 s22, 11
	v_addc_co_u32_e32 v3, vcc, v4, v3, vcc
	s_cbranch_scc1 .LBB54_1985
; %bb.1865:
	s_and_b32 s12, 0xffff, s22
	s_mov_b64 s[4:5], -1
	s_mov_b64 s[2:3], 0
	s_cmp_gt_i32 s12, 25
	s_mov_b64 s[0:1], 0
	s_cbranch_scc0 .LBB54_1898
; %bb.1866:
	s_cmp_gt_i32 s12, 28
	s_cbranch_scc0 .LBB54_1882
; %bb.1867:
	s_cmp_gt_i32 s12, 43
	;; [unrolled: 3-line block ×3, first 2 shown]
	s_cbranch_scc0 .LBB54_1872
; %bb.1869:
	s_cmp_eq_u32 s12, 46
	s_mov_b64 s[0:1], -1
	s_cbranch_scc0 .LBB54_1871
; %bb.1870:
	v_cvt_f32_i32_e32 v1, v0
	s_movk_i32 s0, 0x7fff
	v_bfe_u32 v4, v1, 16, 1
	v_add3_u32 v1, v1, v4, s0
	v_lshrrev_b32_e32 v1, 16, v1
	global_store_dword v[2:3], v1, off
	s_mov_b64 s[0:1], 0
.LBB54_1871:
	s_mov_b64 s[4:5], 0
.LBB54_1872:
	s_and_b64 vcc, exec, s[4:5]
	s_cbranch_vccz .LBB54_1877
; %bb.1873:
	s_cmp_eq_u32 s12, 44
	s_mov_b64 s[0:1], -1
	s_cbranch_scc0 .LBB54_1877
; %bb.1874:
	v_cvt_f32_i32_e32 v1, v0
	s_movk_i32 s0, 0xff
	v_mov_b32_e32 v5, 0xff
	v_bfe_u32 v4, v1, 23, 8
	v_cmp_ne_u32_e32 vcc, s0, v4
	s_and_saveexec_b64 s[4:5], vcc
; %bb.1875:
	s_mov_b32 s0, 0x3fffff
	v_lshrrev_b32_e32 v5, 23, v1
	v_and_b32_e32 v6, 0x400000, v1
	v_and_or_b32 v1, v1, s0, v4
	v_cmp_ne_u32_e32 vcc, 0, v6
	v_cmp_ne_u32_e64 s[0:1], 0, v1
	s_and_b64 s[0:1], vcc, s[0:1]
	v_cndmask_b32_e64 v1, 0, 1, s[0:1]
	v_add_u32_e32 v5, v5, v1
; %bb.1876:
	s_or_b64 exec, exec, s[4:5]
	s_mov_b64 s[0:1], 0
	global_store_byte v[2:3], v5, off
.LBB54_1877:
	s_mov_b64 s[4:5], 0
.LBB54_1878:
	s_and_b64 vcc, exec, s[4:5]
	s_cbranch_vccz .LBB54_1881
; %bb.1879:
	s_cmp_eq_u32 s12, 29
	s_mov_b64 s[0:1], -1
	s_cbranch_scc0 .LBB54_1881
; %bb.1880:
	v_ashrrev_i32_e32 v1, 31, v0
	global_store_dwordx2 v[2:3], v[0:1], off
	s_mov_b64 s[0:1], 0
.LBB54_1881:
	s_mov_b64 s[4:5], 0
.LBB54_1882:
	s_and_b64 vcc, exec, s[4:5]
	s_cbranch_vccz .LBB54_1897
; %bb.1883:
	s_cmp_lt_i32 s12, 27
	s_mov_b64 s[4:5], -1
	s_cbranch_scc1 .LBB54_1889
; %bb.1884:
	s_cmp_gt_i32 s12, 27
	s_cbranch_scc0 .LBB54_1886
; %bb.1885:
	global_store_dword v[2:3], v0, off
	s_mov_b64 s[4:5], 0
.LBB54_1886:
	s_andn2_b64 vcc, exec, s[4:5]
	s_cbranch_vccnz .LBB54_1888
; %bb.1887:
	global_store_short v[2:3], v0, off
.LBB54_1888:
	s_mov_b64 s[4:5], 0
.LBB54_1889:
	s_andn2_b64 vcc, exec, s[4:5]
	s_cbranch_vccnz .LBB54_1897
; %bb.1890:
	v_cvt_f32_i32_e32 v1, v0
	s_mov_b32 s4, 0x43800000
	v_mov_b32_e32 v5, 0x80
	v_and_b32_e32 v4, 0x7fffffff, v1
	v_cmp_gt_u32_e32 vcc, s4, v4
	s_and_saveexec_b64 s[4:5], vcc
	s_cbranch_execz .LBB54_1896
; %bb.1891:
	s_mov_b32 s8, 0x3bffffff
	v_cmp_lt_u32_e32 vcc, s8, v4
	s_mov_b64 s[8:9], 0
                                        ; implicit-def: $vgpr4
	s_and_saveexec_b64 s[10:11], vcc
	s_xor_b64 s[10:11], exec, s[10:11]
	s_cbranch_execz .LBB54_2002
; %bb.1892:
	v_bfe_u32 v4, v1, 20, 1
	s_mov_b32 s13, 0x487ffff
	v_add3_u32 v4, v1, v4, s13
	s_mov_b64 s[8:9], exec
	v_lshrrev_b32_e32 v4, 20, v4
	s_andn2_saveexec_b64 s[10:11], s[10:11]
	s_cbranch_execnz .LBB54_2003
.LBB54_1893:
	s_or_b64 exec, exec, s[10:11]
	v_mov_b32_e32 v5, 0
	s_and_saveexec_b64 s[10:11], s[8:9]
.LBB54_1894:
	v_lshrrev_b32_e32 v1, 24, v1
	s_movk_i32 s8, 0x80
	v_and_or_b32 v5, v1, s8, v4
.LBB54_1895:
	s_or_b64 exec, exec, s[10:11]
.LBB54_1896:
	s_or_b64 exec, exec, s[4:5]
	global_store_byte v[2:3], v5, off
.LBB54_1897:
	s_mov_b64 s[4:5], 0
.LBB54_1898:
	s_and_b64 vcc, exec, s[4:5]
	s_cbranch_vccz .LBB54_1938
; %bb.1899:
	s_cmp_gt_i32 s12, 22
	s_mov_b64 s[2:3], -1
	s_cbranch_scc0 .LBB54_1931
; %bb.1900:
	s_cmp_lt_i32 s12, 24
	s_cbranch_scc1 .LBB54_1920
; %bb.1901:
	s_cmp_gt_i32 s12, 24
	s_cbranch_scc0 .LBB54_1909
; %bb.1902:
	v_cvt_f32_i32_e32 v1, v0
	s_mov_b32 s2, 0x47800000
	v_mov_b32_e32 v5, 0x80
	v_and_b32_e32 v4, 0x7fffffff, v1
	v_cmp_gt_u32_e32 vcc, s2, v4
	s_and_saveexec_b64 s[2:3], vcc
	s_cbranch_execz .LBB54_1908
; %bb.1903:
	s_mov_b32 s4, 0x37ffffff
	v_cmp_lt_u32_e32 vcc, s4, v4
	s_mov_b64 s[4:5], 0
                                        ; implicit-def: $vgpr4
	s_and_saveexec_b64 s[8:9], vcc
	s_xor_b64 s[8:9], exec, s[8:9]
	s_cbranch_execz .LBB54_2005
; %bb.1904:
	v_bfe_u32 v4, v1, 21, 1
	s_mov_b32 s10, 0x88fffff
	v_add3_u32 v4, v1, v4, s10
	s_mov_b64 s[4:5], exec
	v_lshrrev_b32_e32 v4, 21, v4
	s_andn2_saveexec_b64 s[8:9], s[8:9]
	s_cbranch_execnz .LBB54_2006
.LBB54_1905:
	s_or_b64 exec, exec, s[8:9]
	v_mov_b32_e32 v5, 0
	s_and_saveexec_b64 s[8:9], s[4:5]
.LBB54_1906:
	v_lshrrev_b32_e32 v1, 24, v1
	s_movk_i32 s4, 0x80
	v_and_or_b32 v5, v1, s4, v4
.LBB54_1907:
	s_or_b64 exec, exec, s[8:9]
.LBB54_1908:
	s_or_b64 exec, exec, s[2:3]
	s_mov_b64 s[2:3], 0
	global_store_byte v[2:3], v5, off
.LBB54_1909:
	s_and_b64 vcc, exec, s[2:3]
	s_cbranch_vccz .LBB54_1919
; %bb.1910:
	v_cvt_f32_i32_e32 v1, v0
	s_mov_b32 s2, 0x43f00000
                                        ; implicit-def: $vgpr4
	v_and_b32_e32 v5, 0x7fffffff, v1
	v_cmp_gt_u32_e32 vcc, s2, v5
	s_and_saveexec_b64 s[2:3], vcc
	s_xor_b64 s[2:3], exec, s[2:3]
	s_cbranch_execz .LBB54_1916
; %bb.1911:
	s_mov_b32 s4, 0x3c7fffff
	v_cmp_lt_u32_e32 vcc, s4, v5
                                        ; implicit-def: $vgpr4
	s_and_saveexec_b64 s[4:5], vcc
	s_xor_b64 s[4:5], exec, s[4:5]
; %bb.1912:
	v_bfe_u32 v4, v1, 20, 1
	s_mov_b32 s8, 0x407ffff
	v_add3_u32 v4, v1, v4, s8
	v_lshrrev_b32_e32 v5, 20, v4
	v_and_b32_e32 v4, 0xff00000, v4
	s_mov_b32 s8, 0x7f00000
	v_mov_b32_e32 v6, 0x7e
	v_cmp_ne_u32_e32 vcc, s8, v4
	v_cndmask_b32_e32 v4, v6, v5, vcc
; %bb.1913:
	s_andn2_saveexec_b64 s[4:5], s[4:5]
; %bb.1914:
	s_mov_b32 s8, 0x46800000
	v_add_f32_e64 v4, |v1|, s8
; %bb.1915:
	s_or_b64 exec, exec, s[4:5]
                                        ; implicit-def: $vgpr5
.LBB54_1916:
	s_andn2_saveexec_b64 s[2:3], s[2:3]
; %bb.1917:
	s_mov_b32 s4, 0x7f800000
	v_mov_b32_e32 v4, 0x7e
	v_mov_b32_e32 v6, 0x7f
	v_cmp_lt_u32_e32 vcc, s4, v5
	v_cndmask_b32_e32 v4, v4, v6, vcc
; %bb.1918:
	s_or_b64 exec, exec, s[2:3]
	v_lshrrev_b32_e32 v1, 24, v1
	s_movk_i32 s2, 0x80
	v_and_or_b32 v1, v1, s2, v4
	global_store_byte v[2:3], v1, off
.LBB54_1919:
	s_mov_b64 s[2:3], 0
.LBB54_1920:
	s_andn2_b64 vcc, exec, s[2:3]
	s_cbranch_vccnz .LBB54_1930
; %bb.1921:
	v_cvt_f32_i32_e32 v1, v0
	s_mov_b32 s2, 0x47800000
                                        ; implicit-def: $vgpr4
	v_and_b32_e32 v5, 0x7fffffff, v1
	v_cmp_gt_u32_e32 vcc, s2, v5
	s_and_saveexec_b64 s[2:3], vcc
	s_xor_b64 s[2:3], exec, s[2:3]
	s_cbranch_execz .LBB54_1927
; %bb.1922:
	s_mov_b32 s4, 0x387fffff
	v_cmp_lt_u32_e32 vcc, s4, v5
                                        ; implicit-def: $vgpr4
	s_and_saveexec_b64 s[4:5], vcc
	s_xor_b64 s[4:5], exec, s[4:5]
; %bb.1923:
	v_bfe_u32 v4, v1, 21, 1
	s_mov_b32 s8, 0x80fffff
	v_add3_u32 v4, v1, v4, s8
	v_lshrrev_b32_e32 v4, 21, v4
; %bb.1924:
	s_andn2_saveexec_b64 s[4:5], s[4:5]
; %bb.1925:
	s_mov_b32 s8, 0x43000000
	v_add_f32_e64 v4, |v1|, s8
; %bb.1926:
	s_or_b64 exec, exec, s[4:5]
                                        ; implicit-def: $vgpr5
.LBB54_1927:
	s_andn2_saveexec_b64 s[2:3], s[2:3]
; %bb.1928:
	s_mov_b32 s4, 0x7f800000
	v_mov_b32_e32 v4, 0x7c
	v_mov_b32_e32 v6, 0x7f
	v_cmp_lt_u32_e32 vcc, s4, v5
	v_cndmask_b32_e32 v4, v4, v6, vcc
; %bb.1929:
	s_or_b64 exec, exec, s[2:3]
	v_lshrrev_b32_e32 v1, 24, v1
	s_movk_i32 s2, 0x80
	v_and_or_b32 v1, v1, s2, v4
	global_store_byte v[2:3], v1, off
.LBB54_1930:
	s_mov_b64 s[2:3], 0
.LBB54_1931:
	s_andn2_b64 vcc, exec, s[2:3]
	s_mov_b64 s[2:3], 0
	s_cbranch_vccnz .LBB54_1938
; %bb.1932:
	s_cmp_gt_i32 s12, 14
	s_mov_b64 s[4:5], -1
	s_cbranch_scc0 .LBB54_1936
; %bb.1933:
	s_cmp_eq_u32 s12, 15
	s_mov_b64 s[0:1], -1
	s_cbranch_scc0 .LBB54_1935
; %bb.1934:
	v_cvt_f32_i32_e32 v1, v0
	s_movk_i32 s0, 0x7fff
	v_bfe_u32 v4, v1, 16, 1
	v_add3_u32 v1, v1, v4, s0
	global_store_short_d16_hi v[2:3], v1, off
	s_mov_b64 s[0:1], 0
.LBB54_1935:
	s_mov_b64 s[4:5], 0
.LBB54_1936:
	s_and_b64 vcc, exec, s[4:5]
	s_cbranch_vccz .LBB54_1938
; %bb.1937:
	s_cmp_lg_u32 s12, 11
	s_mov_b64 s[2:3], -1
	s_cselect_b64 s[0:1], -1, 0
.LBB54_1938:
	s_and_b64 vcc, exec, s[0:1]
	s_cbranch_vccnz .LBB54_2004
.LBB54_1939:
	s_mov_b64 s[0:1], 0
	s_branch .LBB54_1941
.LBB54_1940:
	s_mov_b64 s[0:1], 0
	s_mov_b64 s[2:3], 0
                                        ; implicit-def: $sgpr22
                                        ; implicit-def: $vgpr2_vgpr3
                                        ; implicit-def: $vgpr0
.LBB54_1941:
	s_and_b64 s[4:5], s[2:3], exec
	s_andn2_b64 s[2:3], s[14:15], exec
	s_and_b64 s[8:9], s[16:17], exec
	s_and_b64 s[0:1], s[0:1], exec
	s_or_b64 s[14:15], s[2:3], s[8:9]
.LBB54_1942:
	s_or_b64 exec, exec, s[6:7]
	s_and_saveexec_b64 s[2:3], s[14:15]
	s_cbranch_execz .LBB54_1945
; %bb.1943:
	; divergent unreachable
	s_or_b64 exec, exec, s[2:3]
	s_and_saveexec_b64 s[2:3], s[4:5]
	s_xor_b64 s[2:3], exec, s[2:3]
	s_cbranch_execnz .LBB54_1946
.LBB54_1944:
	s_or_b64 exec, exec, s[2:3]
	s_and_saveexec_b64 s[2:3], s[0:1]
	s_cbranch_execnz .LBB54_1947
	s_branch .LBB54_1984
.LBB54_1945:
	s_or_b64 exec, exec, s[2:3]
	s_and_saveexec_b64 s[2:3], s[4:5]
	s_xor_b64 s[2:3], exec, s[2:3]
	s_cbranch_execz .LBB54_1944
.LBB54_1946:
	v_cmp_ne_u32_e32 vcc, 0, v0
	v_cndmask_b32_e64 v1, 0, 1, vcc
	s_waitcnt vmcnt(0)
	global_store_byte v[2:3], v1, off
	s_or_b64 exec, exec, s[2:3]
	s_and_saveexec_b64 s[2:3], s[0:1]
	s_cbranch_execz .LBB54_1984
.LBB54_1947:
	s_sext_i32_i16 s2, s22
	s_cmp_lt_i32 s2, 5
	s_mov_b64 s[0:1], -1
	s_cbranch_scc1 .LBB54_1968
; %bb.1948:
	s_cmp_lt_i32 s2, 8
	s_cbranch_scc1 .LBB54_1958
; %bb.1949:
	s_cmp_lt_i32 s2, 9
	s_cbranch_scc1 .LBB54_1955
; %bb.1950:
	s_cmp_gt_i32 s2, 9
	s_cbranch_scc0 .LBB54_1952
; %bb.1951:
	s_waitcnt vmcnt(0)
	v_cvt_f64_i32_e32 v[4:5], v0
	v_mov_b32_e32 v6, 0
	v_mov_b32_e32 v7, v6
	s_mov_b64 s[0:1], 0
	global_store_dwordx4 v[2:3], v[4:7], off
.LBB54_1952:
	s_andn2_b64 vcc, exec, s[0:1]
	s_cbranch_vccnz .LBB54_1954
; %bb.1953:
	v_cvt_f32_i32_e32 v4, v0
	s_waitcnt vmcnt(0)
	v_mov_b32_e32 v5, 0
	global_store_dwordx2 v[2:3], v[4:5], off
.LBB54_1954:
	s_mov_b64 s[0:1], 0
.LBB54_1955:
	s_andn2_b64 vcc, exec, s[0:1]
	s_cbranch_vccnz .LBB54_1957
; %bb.1956:
	v_cvt_f32_i32_e32 v1, v0
	v_cvt_f16_f32_e32 v1, v1
	s_waitcnt vmcnt(0)
	global_store_dword v[2:3], v1, off
.LBB54_1957:
	s_mov_b64 s[0:1], 0
.LBB54_1958:
	s_andn2_b64 vcc, exec, s[0:1]
	s_cbranch_vccnz .LBB54_1967
; %bb.1959:
	s_sext_i32_i16 s2, s22
	s_cmp_lt_i32 s2, 6
	s_mov_b64 s[0:1], -1
	s_cbranch_scc1 .LBB54_1965
; %bb.1960:
	s_cmp_gt_i32 s2, 6
	s_cbranch_scc0 .LBB54_1962
; %bb.1961:
	s_waitcnt vmcnt(0)
	v_cvt_f64_i32_e32 v[4:5], v0
	s_mov_b64 s[0:1], 0
	global_store_dwordx2 v[2:3], v[4:5], off
.LBB54_1962:
	s_andn2_b64 vcc, exec, s[0:1]
	s_cbranch_vccnz .LBB54_1964
; %bb.1963:
	v_cvt_f32_i32_e32 v1, v0
	s_waitcnt vmcnt(0)
	global_store_dword v[2:3], v1, off
.LBB54_1964:
	s_mov_b64 s[0:1], 0
.LBB54_1965:
	s_andn2_b64 vcc, exec, s[0:1]
	s_cbranch_vccnz .LBB54_1967
; %bb.1966:
	v_cvt_f32_i32_e32 v1, v0
	v_cvt_f16_f32_e32 v1, v1
	s_waitcnt vmcnt(0)
	global_store_short v[2:3], v1, off
.LBB54_1967:
	s_mov_b64 s[0:1], 0
.LBB54_1968:
	s_andn2_b64 vcc, exec, s[0:1]
	s_cbranch_vccnz .LBB54_1984
; %bb.1969:
	s_sext_i32_i16 s2, s22
	s_cmp_lt_i32 s2, 2
	s_mov_b64 s[0:1], -1
	s_cbranch_scc1 .LBB54_1979
; %bb.1970:
	s_cmp_lt_i32 s2, 3
	s_cbranch_scc1 .LBB54_1976
; %bb.1971:
	s_cmp_gt_i32 s2, 3
	s_cbranch_scc0 .LBB54_1973
; %bb.1972:
	v_ashrrev_i32_e32 v1, 31, v0
	s_waitcnt vmcnt(0)
	global_store_dwordx2 v[2:3], v[0:1], off
	s_mov_b64 s[0:1], 0
.LBB54_1973:
	s_andn2_b64 vcc, exec, s[0:1]
	s_cbranch_vccnz .LBB54_1975
; %bb.1974:
	s_waitcnt vmcnt(0)
	global_store_dword v[2:3], v0, off
.LBB54_1975:
	s_mov_b64 s[0:1], 0
.LBB54_1976:
	s_andn2_b64 vcc, exec, s[0:1]
	s_cbranch_vccnz .LBB54_1978
; %bb.1977:
	s_waitcnt vmcnt(0)
	global_store_short v[2:3], v0, off
.LBB54_1978:
	s_mov_b64 s[0:1], 0
.LBB54_1979:
	s_andn2_b64 vcc, exec, s[0:1]
	s_cbranch_vccnz .LBB54_1984
; %bb.1980:
	s_sext_i32_i16 s0, s22
	s_cmp_gt_i32 s0, 0
	s_mov_b64 s[0:1], -1
	s_cbranch_scc0 .LBB54_1982
; %bb.1981:
	s_waitcnt vmcnt(0)
	global_store_byte v[2:3], v0, off
	s_mov_b64 s[0:1], 0
.LBB54_1982:
	s_andn2_b64 vcc, exec, s[0:1]
	s_cbranch_vccnz .LBB54_1984
; %bb.1983:
	s_waitcnt vmcnt(0)
	global_store_byte v[2:3], v0, off
	s_endpgm
.LBB54_1984:
	s_endpgm
.LBB54_1985:
	s_mov_b64 s[2:3], 0
	s_mov_b64 s[0:1], -1
	s_branch .LBB54_1941
.LBB54_1986:
	s_trap 2
	s_or_b64 s[16:17], s[16:17], exec
	s_cbranch_execz .LBB54_1455
	s_branch .LBB54_1456
.LBB54_1987:
	s_andn2_saveexec_b64 s[20:21], s[20:21]
	s_cbranch_execz .LBB54_1535
.LBB54_1988:
	s_mov_b32 s13, 0x46000000
	v_add_f32_e64 v8, |v1|, s13
	v_and_b32_e32 v8, 0xff, v8
	v_cmp_ne_u32_e32 vcc, 0, v8
	s_andn2_b64 s[18:19], s[18:19], exec
	s_and_b64 s[24:25], vcc, exec
	s_or_b64 s[18:19], s[18:19], s[24:25]
	s_or_b64 exec, exec, s[20:21]
	v_mov_b32_e32 v9, 0
	s_and_saveexec_b64 s[20:21], s[18:19]
	s_cbranch_execnz .LBB54_1536
	s_branch .LBB54_1537
.LBB54_1989:
	s_trap 2
	s_or_b64 s[16:17], s[16:17], exec
	s_cbranch_execz .LBB54_1583
	s_branch .LBB54_1584
.LBB54_1990:
	s_andn2_saveexec_b64 s[18:19], s[18:19]
	s_cbranch_execz .LBB54_1548
.LBB54_1991:
	s_mov_b32 s13, 0x42800000
	v_add_f32_e64 v8, |v1|, s13
	v_and_b32_e32 v8, 0xff, v8
	v_cmp_ne_u32_e32 vcc, 0, v8
	s_andn2_b64 s[10:11], s[10:11], exec
	s_and_b64 s[20:21], vcc, exec
	s_or_b64 s[10:11], s[10:11], s[20:21]
	s_or_b64 exec, exec, s[18:19]
	v_mov_b32_e32 v9, 0
	s_and_saveexec_b64 s[18:19], s[10:11]
	s_cbranch_execnz .LBB54_1549
	s_branch .LBB54_1550
.LBB54_1992:
	s_andn2_saveexec_b64 s[18:19], s[18:19]
	s_cbranch_execz .LBB54_1654
.LBB54_1993:
	s_mov_b32 s21, 0x46000000
	v_add_f32_e64 v7, |v1|, s21
	v_and_b32_e32 v7, 0xff, v7
	v_cmp_ne_u32_e32 vcc, 0, v7
	s_andn2_b64 s[12:13], s[12:13], exec
	s_and_b64 s[24:25], vcc, exec
	s_or_b64 s[12:13], s[12:13], s[24:25]
	s_or_b64 exec, exec, s[18:19]
	v_mov_b32_e32 v8, 0
	s_and_saveexec_b64 s[18:19], s[12:13]
	s_cbranch_execnz .LBB54_1655
	s_branch .LBB54_1656
.LBB54_1994:
	s_trap 2
	s_or_b64 s[16:17], s[16:17], exec
	s_cbranch_execz .LBB54_1702
	s_branch .LBB54_1703
.LBB54_1995:
	s_andn2_saveexec_b64 s[12:13], s[12:13]
	s_cbranch_execz .LBB54_1667
.LBB54_1996:
	s_mov_b32 s18, 0x42800000
	v_add_f32_e64 v7, |v1|, s18
	v_and_b32_e32 v7, 0xff, v7
	v_cmp_ne_u32_e32 vcc, 0, v7
	s_andn2_b64 s[10:11], s[10:11], exec
	s_and_b64 s[18:19], vcc, exec
	s_or_b64 s[10:11], s[10:11], s[18:19]
	s_or_b64 exec, exec, s[12:13]
	v_mov_b32_e32 v8, 0
	s_and_saveexec_b64 s[12:13], s[10:11]
	s_cbranch_execnz .LBB54_1668
	s_branch .LBB54_1669
.LBB54_1997:
	s_andn2_saveexec_b64 s[18:19], s[18:19]
	s_cbranch_execz .LBB54_1773
.LBB54_1998:
	s_mov_b32 s21, 0x46000000
	v_add_f32_e64 v6, |v1|, s21
	v_and_b32_e32 v6, 0xff, v6
	v_cmp_ne_u32_e32 vcc, 0, v6
	s_andn2_b64 s[12:13], s[12:13], exec
	s_and_b64 s[24:25], vcc, exec
	s_or_b64 s[12:13], s[12:13], s[24:25]
	s_or_b64 exec, exec, s[18:19]
	v_mov_b32_e32 v7, 0
	s_and_saveexec_b64 s[18:19], s[12:13]
	s_cbranch_execnz .LBB54_1774
	s_branch .LBB54_1775
.LBB54_1999:
	s_trap 2
	s_or_b64 s[16:17], s[16:17], exec
	s_cbranch_execz .LBB54_1821
	s_branch .LBB54_1822
.LBB54_2000:
	s_andn2_saveexec_b64 s[12:13], s[12:13]
	s_cbranch_execz .LBB54_1786
.LBB54_2001:
	s_mov_b32 s18, 0x42800000
	v_add_f32_e64 v6, |v1|, s18
	v_and_b32_e32 v6, 0xff, v6
	v_cmp_ne_u32_e32 vcc, 0, v6
	s_andn2_b64 s[10:11], s[10:11], exec
	s_and_b64 s[18:19], vcc, exec
	s_or_b64 s[10:11], s[10:11], s[18:19]
	s_or_b64 exec, exec, s[12:13]
	v_mov_b32_e32 v7, 0
	s_and_saveexec_b64 s[12:13], s[10:11]
	s_cbranch_execnz .LBB54_1787
	s_branch .LBB54_1788
.LBB54_2002:
	s_andn2_saveexec_b64 s[10:11], s[10:11]
	s_cbranch_execz .LBB54_1893
.LBB54_2003:
	s_mov_b32 s13, 0x46000000
	v_add_f32_e64 v4, |v1|, s13
	v_and_b32_e32 v4, 0xff, v4
	v_cmp_ne_u32_e32 vcc, 0, v4
	s_andn2_b64 s[8:9], s[8:9], exec
	s_and_b64 s[18:19], vcc, exec
	s_or_b64 s[8:9], s[8:9], s[18:19]
	s_or_b64 exec, exec, s[10:11]
	v_mov_b32_e32 v5, 0
	s_and_saveexec_b64 s[10:11], s[8:9]
	s_cbranch_execnz .LBB54_1894
	s_branch .LBB54_1895
.LBB54_2004:
	s_mov_b64 s[2:3], 0
	s_or_b64 s[16:17], s[16:17], exec
	s_trap 2
	s_branch .LBB54_1939
.LBB54_2005:
	s_andn2_saveexec_b64 s[8:9], s[8:9]
	s_cbranch_execz .LBB54_1905
.LBB54_2006:
	s_mov_b32 s10, 0x42800000
	v_add_f32_e64 v4, |v1|, s10
	v_and_b32_e32 v4, 0xff, v4
	v_cmp_ne_u32_e32 vcc, 0, v4
	s_andn2_b64 s[4:5], s[4:5], exec
	s_and_b64 s[10:11], vcc, exec
	s_or_b64 s[4:5], s[4:5], s[10:11]
	s_or_b64 exec, exec, s[8:9]
	v_mov_b32_e32 v5, 0
	s_and_saveexec_b64 s[8:9], s[4:5]
	s_cbranch_execnz .LBB54_1906
	s_branch .LBB54_1907
	.section	.rodata,"a",@progbits
	.p2align	6, 0x0
	.amdhsa_kernel _ZN2at6native32elementwise_kernel_manual_unrollILi128ELi4EZNS0_15gpu_kernel_implINS0_13AUnaryFunctorIiiiZZZNS0_18lshift_kernel_cudaERNS_18TensorIteratorBaseEENKUlvE_clEvENKUlvE1_clEvEUliiE_EEEEvS5_RKT_EUlibE_EEviT1_
		.amdhsa_group_segment_fixed_size 0
		.amdhsa_private_segment_fixed_size 0
		.amdhsa_kernarg_size 48
		.amdhsa_user_sgpr_count 6
		.amdhsa_user_sgpr_private_segment_buffer 1
		.amdhsa_user_sgpr_dispatch_ptr 0
		.amdhsa_user_sgpr_queue_ptr 0
		.amdhsa_user_sgpr_kernarg_segment_ptr 1
		.amdhsa_user_sgpr_dispatch_id 0
		.amdhsa_user_sgpr_flat_scratch_init 0
		.amdhsa_user_sgpr_private_segment_size 0
		.amdhsa_uses_dynamic_stack 0
		.amdhsa_system_sgpr_private_segment_wavefront_offset 0
		.amdhsa_system_sgpr_workgroup_id_x 1
		.amdhsa_system_sgpr_workgroup_id_y 0
		.amdhsa_system_sgpr_workgroup_id_z 0
		.amdhsa_system_sgpr_workgroup_info 0
		.amdhsa_system_vgpr_workitem_id 0
		.amdhsa_next_free_vgpr 12
		.amdhsa_next_free_sgpr 46
		.amdhsa_reserve_vcc 1
		.amdhsa_reserve_flat_scratch 0
		.amdhsa_float_round_mode_32 0
		.amdhsa_float_round_mode_16_64 0
		.amdhsa_float_denorm_mode_32 3
		.amdhsa_float_denorm_mode_16_64 3
		.amdhsa_dx10_clamp 1
		.amdhsa_ieee_mode 1
		.amdhsa_fp16_overflow 0
		.amdhsa_exception_fp_ieee_invalid_op 0
		.amdhsa_exception_fp_denorm_src 0
		.amdhsa_exception_fp_ieee_div_zero 0
		.amdhsa_exception_fp_ieee_overflow 0
		.amdhsa_exception_fp_ieee_underflow 0
		.amdhsa_exception_fp_ieee_inexact 0
		.amdhsa_exception_int_div_zero 0
	.end_amdhsa_kernel
	.section	.text._ZN2at6native32elementwise_kernel_manual_unrollILi128ELi4EZNS0_15gpu_kernel_implINS0_13AUnaryFunctorIiiiZZZNS0_18lshift_kernel_cudaERNS_18TensorIteratorBaseEENKUlvE_clEvENKUlvE1_clEvEUliiE_EEEEvS5_RKT_EUlibE_EEviT1_,"axG",@progbits,_ZN2at6native32elementwise_kernel_manual_unrollILi128ELi4EZNS0_15gpu_kernel_implINS0_13AUnaryFunctorIiiiZZZNS0_18lshift_kernel_cudaERNS_18TensorIteratorBaseEENKUlvE_clEvENKUlvE1_clEvEUliiE_EEEEvS5_RKT_EUlibE_EEviT1_,comdat
.Lfunc_end54:
	.size	_ZN2at6native32elementwise_kernel_manual_unrollILi128ELi4EZNS0_15gpu_kernel_implINS0_13AUnaryFunctorIiiiZZZNS0_18lshift_kernel_cudaERNS_18TensorIteratorBaseEENKUlvE_clEvENKUlvE1_clEvEUliiE_EEEEvS5_RKT_EUlibE_EEviT1_, .Lfunc_end54-_ZN2at6native32elementwise_kernel_manual_unrollILi128ELi4EZNS0_15gpu_kernel_implINS0_13AUnaryFunctorIiiiZZZNS0_18lshift_kernel_cudaERNS_18TensorIteratorBaseEENKUlvE_clEvENKUlvE1_clEvEUliiE_EEEEvS5_RKT_EUlibE_EEviT1_
                                        ; -- End function
	.set _ZN2at6native32elementwise_kernel_manual_unrollILi128ELi4EZNS0_15gpu_kernel_implINS0_13AUnaryFunctorIiiiZZZNS0_18lshift_kernel_cudaERNS_18TensorIteratorBaseEENKUlvE_clEvENKUlvE1_clEvEUliiE_EEEEvS5_RKT_EUlibE_EEviT1_.num_vgpr, 12
	.set _ZN2at6native32elementwise_kernel_manual_unrollILi128ELi4EZNS0_15gpu_kernel_implINS0_13AUnaryFunctorIiiiZZZNS0_18lshift_kernel_cudaERNS_18TensorIteratorBaseEENKUlvE_clEvENKUlvE1_clEvEUliiE_EEEEvS5_RKT_EUlibE_EEviT1_.num_agpr, 0
	.set _ZN2at6native32elementwise_kernel_manual_unrollILi128ELi4EZNS0_15gpu_kernel_implINS0_13AUnaryFunctorIiiiZZZNS0_18lshift_kernel_cudaERNS_18TensorIteratorBaseEENKUlvE_clEvENKUlvE1_clEvEUliiE_EEEEvS5_RKT_EUlibE_EEviT1_.numbered_sgpr, 46
	.set _ZN2at6native32elementwise_kernel_manual_unrollILi128ELi4EZNS0_15gpu_kernel_implINS0_13AUnaryFunctorIiiiZZZNS0_18lshift_kernel_cudaERNS_18TensorIteratorBaseEENKUlvE_clEvENKUlvE1_clEvEUliiE_EEEEvS5_RKT_EUlibE_EEviT1_.num_named_barrier, 0
	.set _ZN2at6native32elementwise_kernel_manual_unrollILi128ELi4EZNS0_15gpu_kernel_implINS0_13AUnaryFunctorIiiiZZZNS0_18lshift_kernel_cudaERNS_18TensorIteratorBaseEENKUlvE_clEvENKUlvE1_clEvEUliiE_EEEEvS5_RKT_EUlibE_EEviT1_.private_seg_size, 0
	.set _ZN2at6native32elementwise_kernel_manual_unrollILi128ELi4EZNS0_15gpu_kernel_implINS0_13AUnaryFunctorIiiiZZZNS0_18lshift_kernel_cudaERNS_18TensorIteratorBaseEENKUlvE_clEvENKUlvE1_clEvEUliiE_EEEEvS5_RKT_EUlibE_EEviT1_.uses_vcc, 1
	.set _ZN2at6native32elementwise_kernel_manual_unrollILi128ELi4EZNS0_15gpu_kernel_implINS0_13AUnaryFunctorIiiiZZZNS0_18lshift_kernel_cudaERNS_18TensorIteratorBaseEENKUlvE_clEvENKUlvE1_clEvEUliiE_EEEEvS5_RKT_EUlibE_EEviT1_.uses_flat_scratch, 0
	.set _ZN2at6native32elementwise_kernel_manual_unrollILi128ELi4EZNS0_15gpu_kernel_implINS0_13AUnaryFunctorIiiiZZZNS0_18lshift_kernel_cudaERNS_18TensorIteratorBaseEENKUlvE_clEvENKUlvE1_clEvEUliiE_EEEEvS5_RKT_EUlibE_EEviT1_.has_dyn_sized_stack, 0
	.set _ZN2at6native32elementwise_kernel_manual_unrollILi128ELi4EZNS0_15gpu_kernel_implINS0_13AUnaryFunctorIiiiZZZNS0_18lshift_kernel_cudaERNS_18TensorIteratorBaseEENKUlvE_clEvENKUlvE1_clEvEUliiE_EEEEvS5_RKT_EUlibE_EEviT1_.has_recursion, 0
	.set _ZN2at6native32elementwise_kernel_manual_unrollILi128ELi4EZNS0_15gpu_kernel_implINS0_13AUnaryFunctorIiiiZZZNS0_18lshift_kernel_cudaERNS_18TensorIteratorBaseEENKUlvE_clEvENKUlvE1_clEvEUliiE_EEEEvS5_RKT_EUlibE_EEviT1_.has_indirect_call, 0
	.section	.AMDGPU.csdata,"",@progbits
; Kernel info:
; codeLenInByte = 29400
; TotalNumSgprs: 50
; NumVgprs: 12
; ScratchSize: 0
; MemoryBound: 1
; FloatMode: 240
; IeeeMode: 1
; LDSByteSize: 0 bytes/workgroup (compile time only)
; SGPRBlocks: 6
; VGPRBlocks: 2
; NumSGPRsForWavesPerEU: 50
; NumVGPRsForWavesPerEU: 12
; Occupancy: 10
; WaveLimiterHint : 0
; COMPUTE_PGM_RSRC2:SCRATCH_EN: 0
; COMPUTE_PGM_RSRC2:USER_SGPR: 6
; COMPUTE_PGM_RSRC2:TRAP_HANDLER: 0
; COMPUTE_PGM_RSRC2:TGID_X_EN: 1
; COMPUTE_PGM_RSRC2:TGID_Y_EN: 0
; COMPUTE_PGM_RSRC2:TGID_Z_EN: 0
; COMPUTE_PGM_RSRC2:TIDIG_COMP_CNT: 0
	.section	.text._ZN2at6native32elementwise_kernel_manual_unrollILi128ELi4EZNS0_15gpu_kernel_implINS0_13AUnaryFunctorIiiiZZZNS0_18lshift_kernel_cudaERNS_18TensorIteratorBaseEENKUlvE_clEvENKUlvE1_clEvEUliiE_EEEEvS5_RKT_EUlibE0_EEviT1_,"axG",@progbits,_ZN2at6native32elementwise_kernel_manual_unrollILi128ELi4EZNS0_15gpu_kernel_implINS0_13AUnaryFunctorIiiiZZZNS0_18lshift_kernel_cudaERNS_18TensorIteratorBaseEENKUlvE_clEvENKUlvE1_clEvEUliiE_EEEEvS5_RKT_EUlibE0_EEviT1_,comdat
	.globl	_ZN2at6native32elementwise_kernel_manual_unrollILi128ELi4EZNS0_15gpu_kernel_implINS0_13AUnaryFunctorIiiiZZZNS0_18lshift_kernel_cudaERNS_18TensorIteratorBaseEENKUlvE_clEvENKUlvE1_clEvEUliiE_EEEEvS5_RKT_EUlibE0_EEviT1_ ; -- Begin function _ZN2at6native32elementwise_kernel_manual_unrollILi128ELi4EZNS0_15gpu_kernel_implINS0_13AUnaryFunctorIiiiZZZNS0_18lshift_kernel_cudaERNS_18TensorIteratorBaseEENKUlvE_clEvENKUlvE1_clEvEUliiE_EEEEvS5_RKT_EUlibE0_EEviT1_
	.p2align	8
	.type	_ZN2at6native32elementwise_kernel_manual_unrollILi128ELi4EZNS0_15gpu_kernel_implINS0_13AUnaryFunctorIiiiZZZNS0_18lshift_kernel_cudaERNS_18TensorIteratorBaseEENKUlvE_clEvENKUlvE1_clEvEUliiE_EEEEvS5_RKT_EUlibE0_EEviT1_,@function
_ZN2at6native32elementwise_kernel_manual_unrollILi128ELi4EZNS0_15gpu_kernel_implINS0_13AUnaryFunctorIiiiZZZNS0_18lshift_kernel_cudaERNS_18TensorIteratorBaseEENKUlvE_clEvENKUlvE1_clEvEUliiE_EEEEvS5_RKT_EUlibE0_EEviT1_: ; @_ZN2at6native32elementwise_kernel_manual_unrollILi128ELi4EZNS0_15gpu_kernel_implINS0_13AUnaryFunctorIiiiZZZNS0_18lshift_kernel_cudaERNS_18TensorIteratorBaseEENKUlvE_clEvENKUlvE1_clEvEUliiE_EEEEvS5_RKT_EUlibE0_EEviT1_
; %bb.0:
	s_load_dword s72, s[4:5], 0x0
	s_load_dword s33, s[4:5], 0x8
	s_add_u32 s34, s4, 8
	s_addc_u32 s35, s5, 0
	v_lshl_or_b32 v8, s6, 9, v0
	v_or_b32_e32 v15, 0x180, v8
	s_waitcnt lgkmcnt(0)
	s_add_i32 s74, s33, -1
	s_cmp_gt_u32 s74, 1
	v_cmp_le_i32_e32 vcc, s72, v15
	s_cselect_b64 s[40:41], -1, 0
	s_mov_b64 s[6:7], 0
	s_mov_b64 s[28:29], 0
	s_and_saveexec_b64 s[0:1], vcc
	s_xor_b64 s[42:43], exec, s[0:1]
	s_cbranch_execz .LBB55_1070
; %bb.1:
	s_load_dwordx4 s[28:31], s[34:35], 0x4
	s_load_dwordx2 s[46:47], s[34:35], 0x14
	s_load_dwordx2 s[44:45], s[34:35], 0x15c
	s_cmp_lg_u32 s33, 0
	s_load_dwordx4 s[36:39], s[34:35], 0xc4
	s_load_dwordx4 s[24:27], s[34:35], 0x148
	s_cselect_b64 s[52:53], -1, 0
	s_add_u32 s50, s34, 0xc4
	s_addc_u32 s51, s35, 0
	s_min_u32 s76, s74, 15
	s_cmp_gt_u32 s33, 1
	s_cselect_b64 s[48:49], -1, 0
	s_waitcnt lgkmcnt(0)
	s_bfe_u32 s75, s45, 0x80008
	v_cmp_gt_i32_e32 vcc, s72, v8
	s_mov_b64 s[2:3], -1
	s_mov_b64 s[62:63], 0
	s_mov_b64 s[56:57], 0
	;; [unrolled: 1-line block ×3, first 2 shown]
	s_and_saveexec_b64 s[58:59], vcc
	s_cbranch_execz .LBB55_262
; %bb.2:
	s_andn2_b64 vcc, exec, s[40:41]
	s_cbranch_vccnz .LBB55_7
; %bb.3:
	s_andn2_b64 vcc, exec, s[52:53]
	s_cbranch_vccnz .LBB55_8
; %bb.4:
	s_add_i32 s61, s76, 1
	s_cmp_eq_u32 s74, 2
	s_cbranch_scc1 .LBB55_9
; %bb.5:
	s_and_b32 s60, s61, 28
	v_mov_b32_e32 v2, 0
	s_mov_b32 s64, 0
	s_mov_b64 s[54:55], s[34:35]
	s_mov_b64 s[56:57], s[50:51]
	v_mov_b32_e32 v0, 0
	v_mov_b32_e32 v1, v8
.LBB55_6:                               ; =>This Inner Loop Header: Depth=1
	s_load_dwordx8 s[16:23], s[54:55], 0x4
	s_load_dwordx4 s[0:3], s[54:55], 0x24
	s_load_dwordx8 s[8:15], s[56:57], 0x0
	s_add_u32 s54, s54, 48
	s_addc_u32 s55, s55, 0
	s_waitcnt lgkmcnt(0)
	v_mul_hi_u32 v3, s17, v1
	s_add_i32 s64, s64, 4
	s_add_u32 s56, s56, 32
	s_addc_u32 s57, s57, 0
	v_add_u32_e32 v3, v1, v3
	v_lshrrev_b32_e32 v3, s18, v3
	v_mul_lo_u32 v4, v3, s16
	v_mul_hi_u32 v5, s20, v3
	s_cmp_lg_u32 s60, s64
	v_sub_u32_e32 v1, v1, v4
	v_add_u32_e32 v4, v3, v5
	v_mul_lo_u32 v5, v1, s8
	v_mul_lo_u32 v6, v1, s9
	v_lshrrev_b32_e32 v1, s21, v4
	v_mul_lo_u32 v4, v1, s19
	v_mul_hi_u32 v7, s23, v1
	v_sub_u32_e32 v3, v3, v4
	v_add_u32_e32 v4, v1, v7
	v_lshrrev_b32_e32 v4, s0, v4
	v_mul_hi_u32 v9, s2, v4
	v_mul_lo_u32 v10, v4, s22
	v_mul_lo_u32 v7, v3, s10
	v_mul_lo_u32 v3, v3, s11
	v_sub_u32_e32 v10, v1, v10
	v_add_u32_e32 v1, v4, v9
	v_lshrrev_b32_e32 v1, s3, v1
	v_mul_lo_u32 v9, v1, s1
	v_mul_lo_u32 v11, v10, s12
	;; [unrolled: 1-line block ×3, first 2 shown]
	v_add3_u32 v0, v5, v0, v7
	v_sub_u32_e32 v4, v4, v9
	v_mul_lo_u32 v9, v4, s14
	v_mul_lo_u32 v4, v4, s15
	v_add3_u32 v2, v6, v2, v3
	v_add3_u32 v0, v11, v0, v9
	;; [unrolled: 1-line block ×3, first 2 shown]
	s_cbranch_scc1 .LBB55_6
	s_branch .LBB55_10
.LBB55_7:
                                        ; implicit-def: $vgpr0
                                        ; implicit-def: $vgpr2
	s_branch .LBB55_14
.LBB55_8:
	v_mov_b32_e32 v0, 0
	v_mov_b32_e32 v2, 0
	s_branch .LBB55_13
.LBB55_9:
	s_mov_b32 s60, 0
	v_mov_b32_e32 v0, 0
	v_mov_b32_e32 v2, 0
	v_mov_b32_e32 v1, v8
.LBB55_10:
	s_and_b32 s8, s61, 3
	s_cmp_eq_u32 s8, 0
	s_cbranch_scc1 .LBB55_13
; %bb.11:
	s_lshl_b32 s0, s60, 3
	s_add_u32 s0, s34, s0
	s_addc_u32 s1, s35, 0
	s_add_u32 s0, s0, 0xc4
	s_addc_u32 s1, s1, 0
	s_mul_i32 s2, s60, 12
	s_add_u32 s2, s34, s2
	s_addc_u32 s3, s35, 0
.LBB55_12:                              ; =>This Inner Loop Header: Depth=1
	s_load_dwordx2 s[10:11], s[2:3], 0x4
	s_load_dword s9, s[2:3], 0xc
	s_load_dwordx2 s[12:13], s[0:1], 0x0
	s_add_u32 s2, s2, 12
	s_addc_u32 s3, s3, 0
	s_waitcnt lgkmcnt(0)
	v_mul_hi_u32 v3, s11, v1
	s_add_u32 s0, s0, 8
	s_addc_u32 s1, s1, 0
	s_add_i32 s8, s8, -1
	v_add_u32_e32 v3, v1, v3
	v_lshrrev_b32_e32 v4, s9, v3
	v_mul_lo_u32 v3, v4, s10
	s_cmp_lg_u32 s8, 0
	v_sub_u32_e32 v3, v1, v3
	v_mad_u64_u32 v[0:1], s[10:11], v3, s12, v[0:1]
	v_mad_u64_u32 v[2:3], s[10:11], v3, s13, v[2:3]
	v_mov_b32_e32 v1, v4
	s_cbranch_scc1 .LBB55_12
.LBB55_13:
	s_cbranch_execnz .LBB55_16
.LBB55_14:
	v_mul_hi_u32 v0, s29, v8
	s_andn2_b64 vcc, exec, s[48:49]
	v_add_u32_e32 v0, v8, v0
	v_lshrrev_b32_e32 v1, s30, v0
	v_mul_lo_u32 v0, v1, s28
	v_sub_u32_e32 v2, v8, v0
	v_mul_lo_u32 v0, v2, s36
	v_mul_lo_u32 v2, v2, s37
	s_cbranch_vccnz .LBB55_16
; %bb.15:
	v_mul_hi_u32 v3, s46, v1
	v_add_u32_e32 v3, v1, v3
	v_lshrrev_b32_e32 v3, s47, v3
	v_mul_lo_u32 v3, v3, s31
	v_sub_u32_e32 v3, v1, v3
	v_mad_u64_u32 v[0:1], s[0:1], v3, s38, v[0:1]
	v_mad_u64_u32 v[2:3], s[0:1], v3, s39, v[2:3]
.LBB55_16:
	v_mov_b32_e32 v3, s27
	s_and_b32 s10, 0xffff, s75
	v_add_co_u32_e32 v1, vcc, s26, v2
	s_cmp_lt_i32 s10, 11
	v_addc_co_u32_e32 v2, vcc, 0, v3, vcc
	s_cbranch_scc1 .LBB55_23
; %bb.17:
	s_cmp_gt_i32 s10, 25
	s_cbranch_scc0 .LBB55_32
; %bb.18:
	s_cmp_gt_i32 s10, 28
	s_cbranch_scc0 .LBB55_35
	;; [unrolled: 3-line block ×4, first 2 shown]
; %bb.21:
	s_cmp_eq_u32 s10, 46
	s_mov_b64 s[8:9], 0
	s_cbranch_scc0 .LBB55_41
; %bb.22:
	global_load_dword v3, v[1:2], off
	s_mov_b64 s[0:1], -1
	s_mov_b64 s[2:3], 0
	s_waitcnt vmcnt(0)
	v_lshlrev_b32_e32 v3, 16, v3
	v_cvt_i32_f32_e32 v3, v3
	s_branch .LBB55_43
.LBB55_23:
	s_mov_b64 s[2:3], 0
                                        ; implicit-def: $vgpr3
	s_mov_b64 s[0:1], 0
	s_cbranch_execnz .LBB55_212
.LBB55_24:
	s_andn2_b64 vcc, exec, s[0:1]
	s_cbranch_vccnz .LBB55_259
.LBB55_25:
	s_waitcnt vmcnt(0)
	v_lshlrev_b32_e64 v1, v3, s44
	v_cmp_gt_u32_e32 vcc, 32, v3
	v_cndmask_b32_e32 v1, 0, v1, vcc
	v_mov_b32_e32 v2, s25
	s_and_b32 s14, s45, 0xff
	v_add_co_u32_e32 v3, vcc, s24, v0
	s_cmp_lt_i32 s14, 11
	v_addc_co_u32_e32 v4, vcc, 0, v2, vcc
	s_cbranch_scc1 .LBB55_33
; %bb.26:
	s_and_b32 s15, 0xffff, s14
	s_cmp_gt_i32 s15, 25
	s_cbranch_scc0 .LBB55_36
; %bb.27:
	s_cmp_gt_i32 s15, 28
	s_cbranch_scc0 .LBB55_38
; %bb.28:
	;; [unrolled: 3-line block ×4, first 2 shown]
	s_mov_b64 s[10:11], 0
	s_mov_b64 s[0:1], -1
	s_cmp_eq_u32 s15, 46
	s_mov_b64 s[8:9], 0
	s_cbranch_scc0 .LBB55_47
; %bb.31:
	v_cvt_f32_i32_e32 v0, v1
	s_movk_i32 s0, 0x7fff
	s_mov_b64 s[8:9], -1
	v_bfe_u32 v2, v0, 16, 1
	v_add3_u32 v0, v0, v2, s0
	v_lshrrev_b32_e32 v0, 16, v0
	global_store_dword v[3:4], v0, off
	s_mov_b64 s[0:1], 0
	s_branch .LBB55_47
.LBB55_32:
	s_mov_b64 s[2:3], 0
	s_mov_b64 s[0:1], 0
                                        ; implicit-def: $vgpr3
	s_cbranch_execnz .LBB55_179
	s_branch .LBB55_211
.LBB55_33:
	s_mov_b64 s[0:1], 0
	s_mov_b64 s[8:9], 0
	s_cbranch_execnz .LBB55_116
.LBB55_34:
	s_andn2_b64 vcc, exec, s[8:9]
	s_cbranch_vccnz .LBB55_260
	s_branch .LBB55_154
.LBB55_35:
	s_mov_b64 s[8:9], -1
	s_mov_b64 s[2:3], 0
	s_mov_b64 s[0:1], 0
                                        ; implicit-def: $vgpr3
	s_branch .LBB55_162
.LBB55_36:
	s_mov_b64 s[10:11], -1
	s_mov_b64 s[0:1], 0
	s_mov_b64 s[8:9], 0
	s_branch .LBB55_74
.LBB55_37:
	s_mov_b64 s[8:9], -1
	s_mov_b64 s[2:3], 0
	s_mov_b64 s[0:1], 0
                                        ; implicit-def: $vgpr3
	s_branch .LBB55_157
.LBB55_38:
	s_mov_b64 s[10:11], -1
	s_mov_b64 s[0:1], 0
	s_mov_b64 s[8:9], 0
	s_branch .LBB55_57
.LBB55_39:
	s_mov_b64 s[8:9], -1
	s_mov_b64 s[2:3], 0
	s_branch .LBB55_42
.LBB55_40:
	s_mov_b64 s[10:11], -1
	s_mov_b64 s[0:1], 0
	s_mov_b64 s[8:9], 0
	s_branch .LBB55_53
.LBB55_41:
	s_mov_b64 s[2:3], -1
.LBB55_42:
	s_mov_b64 s[0:1], 0
                                        ; implicit-def: $vgpr3
.LBB55_43:
	s_and_b64 vcc, exec, s[8:9]
	s_cbranch_vccz .LBB55_156
; %bb.44:
	s_cmp_eq_u32 s10, 44
	s_cbranch_scc0 .LBB55_155
; %bb.45:
	global_load_ubyte v3, v[1:2], off
	s_mov_b64 s[0:1], -1
	s_mov_b64 s[2:3], 0
	s_waitcnt vmcnt(0)
	v_lshlrev_b32_e32 v4, 23, v3
	v_cvt_i32_f32_e32 v4, v4
	v_cmp_ne_u32_e32 vcc, 0, v3
	v_cndmask_b32_e32 v3, 0, v4, vcc
	s_branch .LBB55_156
.LBB55_46:
	s_mov_b64 s[10:11], -1
	s_mov_b64 s[0:1], 0
	s_mov_b64 s[8:9], 0
.LBB55_47:
	s_and_b64 vcc, exec, s[10:11]
	s_cbranch_vccz .LBB55_52
; %bb.48:
	s_cmp_eq_u32 s15, 44
	s_mov_b64 s[0:1], -1
	s_cbranch_scc0 .LBB55_52
; %bb.49:
	v_cvt_f32_i32_e32 v0, v1
	s_movk_i32 s0, 0xff
	v_mov_b32_e32 v5, 0xff
	v_bfe_u32 v2, v0, 23, 8
	v_cmp_ne_u32_e32 vcc, s0, v2
	s_and_saveexec_b64 s[8:9], vcc
; %bb.50:
	s_mov_b32 s0, 0x3fffff
	v_lshrrev_b32_e32 v5, 23, v0
	v_and_b32_e32 v6, 0x400000, v0
	v_and_or_b32 v0, v0, s0, v2
	v_cmp_ne_u32_e32 vcc, 0, v6
	v_cmp_ne_u32_e64 s[0:1], 0, v0
	s_and_b64 s[0:1], vcc, s[0:1]
	v_cndmask_b32_e64 v0, 0, 1, s[0:1]
	v_add_u32_e32 v5, v5, v0
; %bb.51:
	s_or_b64 exec, exec, s[8:9]
	s_mov_b64 s[8:9], -1
	s_mov_b64 s[0:1], 0
	global_store_byte v[3:4], v5, off
.LBB55_52:
	s_mov_b64 s[10:11], 0
.LBB55_53:
	s_and_b64 vcc, exec, s[10:11]
	s_cbranch_vccz .LBB55_56
; %bb.54:
	s_cmp_eq_u32 s15, 29
	s_mov_b64 s[0:1], -1
	s_cbranch_scc0 .LBB55_56
; %bb.55:
	v_ashrrev_i32_e32 v2, 31, v1
	global_store_dwordx2 v[3:4], v[1:2], off
	s_mov_b64 s[8:9], -1
	s_mov_b64 s[0:1], 0
.LBB55_56:
	s_mov_b64 s[10:11], 0
.LBB55_57:
	s_and_b64 vcc, exec, s[10:11]
	s_cbranch_vccz .LBB55_73
; %bb.58:
	s_cmp_lt_i32 s15, 27
	s_mov_b64 s[8:9], -1
	s_cbranch_scc1 .LBB55_64
; %bb.59:
	s_cmp_gt_i32 s15, 27
	s_cbranch_scc0 .LBB55_61
; %bb.60:
	s_mov_b64 s[8:9], 0
	global_store_dword v[3:4], v1, off
.LBB55_61:
	s_andn2_b64 vcc, exec, s[8:9]
	s_cbranch_vccnz .LBB55_63
; %bb.62:
	global_store_short v[3:4], v1, off
.LBB55_63:
	s_mov_b64 s[8:9], 0
.LBB55_64:
	s_andn2_b64 vcc, exec, s[8:9]
	s_cbranch_vccnz .LBB55_72
; %bb.65:
	v_cvt_f32_i32_e32 v0, v1
	s_mov_b32 s8, 0x43800000
	v_mov_b32_e32 v5, 0x80
	v_and_b32_e32 v2, 0x7fffffff, v0
	v_cmp_gt_u32_e32 vcc, s8, v2
	s_and_saveexec_b64 s[8:9], vcc
	s_cbranch_execz .LBB55_71
; %bb.66:
	s_mov_b32 s10, 0x3bffffff
	v_cmp_lt_u32_e32 vcc, s10, v2
	s_mov_b64 s[10:11], 0
                                        ; implicit-def: $vgpr2
	s_and_saveexec_b64 s[12:13], vcc
	s_xor_b64 s[12:13], exec, s[12:13]
	s_cbranch_execz .LBB55_303
; %bb.67:
	v_bfe_u32 v2, v0, 20, 1
	s_mov_b32 s16, 0x487ffff
	v_add3_u32 v2, v0, v2, s16
	s_mov_b64 s[10:11], exec
	v_lshrrev_b32_e32 v2, 20, v2
	s_andn2_saveexec_b64 s[12:13], s[12:13]
	s_cbranch_execnz .LBB55_304
.LBB55_68:
	s_or_b64 exec, exec, s[12:13]
	v_mov_b32_e32 v5, 0
	s_and_saveexec_b64 s[12:13], s[10:11]
.LBB55_69:
	v_lshrrev_b32_e32 v0, 24, v0
	s_movk_i32 s10, 0x80
	v_and_or_b32 v5, v0, s10, v2
.LBB55_70:
	s_or_b64 exec, exec, s[12:13]
.LBB55_71:
	s_or_b64 exec, exec, s[8:9]
	global_store_byte v[3:4], v5, off
.LBB55_72:
	s_mov_b64 s[8:9], -1
.LBB55_73:
	s_mov_b64 s[10:11], 0
.LBB55_74:
	s_and_b64 vcc, exec, s[10:11]
	s_cbranch_vccz .LBB55_115
; %bb.75:
	s_cmp_gt_i32 s15, 22
	s_mov_b64 s[10:11], -1
	s_cbranch_scc0 .LBB55_107
; %bb.76:
	s_cmp_lt_i32 s15, 24
	s_mov_b64 s[8:9], -1
	s_cbranch_scc1 .LBB55_96
; %bb.77:
	s_cmp_gt_i32 s15, 24
	s_cbranch_scc0 .LBB55_85
; %bb.78:
	v_cvt_f32_i32_e32 v0, v1
	s_mov_b32 s8, 0x47800000
	v_mov_b32_e32 v5, 0x80
	v_and_b32_e32 v2, 0x7fffffff, v0
	v_cmp_gt_u32_e32 vcc, s8, v2
	s_and_saveexec_b64 s[8:9], vcc
	s_cbranch_execz .LBB55_84
; %bb.79:
	s_mov_b32 s10, 0x37ffffff
	v_cmp_lt_u32_e32 vcc, s10, v2
	s_mov_b64 s[10:11], 0
                                        ; implicit-def: $vgpr2
	s_and_saveexec_b64 s[12:13], vcc
	s_xor_b64 s[12:13], exec, s[12:13]
	s_cbranch_execz .LBB55_307
; %bb.80:
	v_bfe_u32 v2, v0, 21, 1
	s_mov_b32 s16, 0x88fffff
	v_add3_u32 v2, v0, v2, s16
	s_mov_b64 s[10:11], exec
	v_lshrrev_b32_e32 v2, 21, v2
	s_andn2_saveexec_b64 s[12:13], s[12:13]
	s_cbranch_execnz .LBB55_308
.LBB55_81:
	s_or_b64 exec, exec, s[12:13]
	v_mov_b32_e32 v5, 0
	s_and_saveexec_b64 s[12:13], s[10:11]
.LBB55_82:
	v_lshrrev_b32_e32 v0, 24, v0
	s_movk_i32 s10, 0x80
	v_and_or_b32 v5, v0, s10, v2
.LBB55_83:
	s_or_b64 exec, exec, s[12:13]
.LBB55_84:
	s_or_b64 exec, exec, s[8:9]
	s_mov_b64 s[8:9], 0
	global_store_byte v[3:4], v5, off
.LBB55_85:
	s_and_b64 vcc, exec, s[8:9]
	s_cbranch_vccz .LBB55_95
; %bb.86:
	v_cvt_f32_i32_e32 v0, v1
	s_mov_b32 s8, 0x43f00000
                                        ; implicit-def: $vgpr2
	v_and_b32_e32 v5, 0x7fffffff, v0
	v_cmp_gt_u32_e32 vcc, s8, v5
	s_and_saveexec_b64 s[8:9], vcc
	s_xor_b64 s[8:9], exec, s[8:9]
	s_cbranch_execz .LBB55_92
; %bb.87:
	s_mov_b32 s10, 0x3c7fffff
	v_cmp_lt_u32_e32 vcc, s10, v5
                                        ; implicit-def: $vgpr2
	s_and_saveexec_b64 s[10:11], vcc
	s_xor_b64 s[10:11], exec, s[10:11]
; %bb.88:
	v_bfe_u32 v2, v0, 20, 1
	s_mov_b32 s12, 0x407ffff
	v_add3_u32 v2, v0, v2, s12
	v_lshrrev_b32_e32 v5, 20, v2
	v_and_b32_e32 v2, 0xff00000, v2
	s_mov_b32 s12, 0x7f00000
	v_mov_b32_e32 v6, 0x7e
	v_cmp_ne_u32_e32 vcc, s12, v2
	v_cndmask_b32_e32 v2, v6, v5, vcc
; %bb.89:
	s_andn2_saveexec_b64 s[10:11], s[10:11]
; %bb.90:
	s_mov_b32 s12, 0x46800000
	v_add_f32_e64 v2, |v0|, s12
; %bb.91:
	s_or_b64 exec, exec, s[10:11]
                                        ; implicit-def: $vgpr5
.LBB55_92:
	s_andn2_saveexec_b64 s[8:9], s[8:9]
; %bb.93:
	s_mov_b32 s10, 0x7f800000
	v_mov_b32_e32 v2, 0x7e
	v_mov_b32_e32 v6, 0x7f
	v_cmp_lt_u32_e32 vcc, s10, v5
	v_cndmask_b32_e32 v2, v2, v6, vcc
; %bb.94:
	s_or_b64 exec, exec, s[8:9]
	v_lshrrev_b32_e32 v0, 24, v0
	s_movk_i32 s8, 0x80
	v_and_or_b32 v0, v0, s8, v2
	global_store_byte v[3:4], v0, off
.LBB55_95:
	s_mov_b64 s[8:9], 0
.LBB55_96:
	s_andn2_b64 vcc, exec, s[8:9]
	s_cbranch_vccnz .LBB55_106
; %bb.97:
	v_cvt_f32_i32_e32 v0, v1
	s_mov_b32 s8, 0x47800000
                                        ; implicit-def: $vgpr2
	v_and_b32_e32 v5, 0x7fffffff, v0
	v_cmp_gt_u32_e32 vcc, s8, v5
	s_and_saveexec_b64 s[8:9], vcc
	s_xor_b64 s[8:9], exec, s[8:9]
	s_cbranch_execz .LBB55_103
; %bb.98:
	s_mov_b32 s10, 0x387fffff
	v_cmp_lt_u32_e32 vcc, s10, v5
                                        ; implicit-def: $vgpr2
	s_and_saveexec_b64 s[10:11], vcc
	s_xor_b64 s[10:11], exec, s[10:11]
; %bb.99:
	v_bfe_u32 v2, v0, 21, 1
	s_mov_b32 s12, 0x80fffff
	v_add3_u32 v2, v0, v2, s12
	v_lshrrev_b32_e32 v2, 21, v2
; %bb.100:
	s_andn2_saveexec_b64 s[10:11], s[10:11]
; %bb.101:
	s_mov_b32 s12, 0x43000000
	v_add_f32_e64 v2, |v0|, s12
; %bb.102:
	s_or_b64 exec, exec, s[10:11]
                                        ; implicit-def: $vgpr5
.LBB55_103:
	s_andn2_saveexec_b64 s[8:9], s[8:9]
; %bb.104:
	s_mov_b32 s10, 0x7f800000
	v_mov_b32_e32 v2, 0x7c
	v_mov_b32_e32 v6, 0x7f
	v_cmp_lt_u32_e32 vcc, s10, v5
	v_cndmask_b32_e32 v2, v2, v6, vcc
; %bb.105:
	s_or_b64 exec, exec, s[8:9]
	v_lshrrev_b32_e32 v0, 24, v0
	s_movk_i32 s8, 0x80
	v_and_or_b32 v0, v0, s8, v2
	global_store_byte v[3:4], v0, off
.LBB55_106:
	s_mov_b64 s[10:11], 0
	s_mov_b64 s[8:9], -1
.LBB55_107:
	s_andn2_b64 vcc, exec, s[10:11]
	s_cbranch_vccnz .LBB55_115
; %bb.108:
	s_cmp_gt_i32 s15, 14
	s_mov_b64 s[10:11], -1
	s_cbranch_scc0 .LBB55_112
; %bb.109:
	s_cmp_eq_u32 s15, 15
	s_mov_b64 s[0:1], -1
	s_cbranch_scc0 .LBB55_111
; %bb.110:
	v_cvt_f32_i32_e32 v0, v1
	s_movk_i32 s0, 0x7fff
	s_mov_b64 s[8:9], -1
	v_bfe_u32 v2, v0, 16, 1
	v_add3_u32 v0, v0, v2, s0
	global_store_short_d16_hi v[3:4], v0, off
	s_mov_b64 s[0:1], 0
.LBB55_111:
	s_mov_b64 s[10:11], 0
.LBB55_112:
	s_and_b64 vcc, exec, s[10:11]
	s_cbranch_vccz .LBB55_115
; %bb.113:
	s_cmp_eq_u32 s15, 11
	s_mov_b64 s[0:1], -1
	s_cbranch_scc0 .LBB55_115
; %bb.114:
	v_cmp_ne_u32_e32 vcc, 0, v1
	v_cndmask_b32_e64 v0, 0, 1, vcc
	s_mov_b64 s[8:9], -1
	s_mov_b64 s[0:1], 0
	global_store_byte v[3:4], v0, off
.LBB55_115:
	s_branch .LBB55_34
.LBB55_116:
	s_and_b32 s10, 0xffff, s14
	s_cmp_lt_i32 s10, 5
	s_mov_b64 s[8:9], -1
	s_cbranch_scc1 .LBB55_137
; %bb.117:
	s_cmp_lt_i32 s10, 8
	s_cbranch_scc1 .LBB55_127
; %bb.118:
	s_cmp_lt_i32 s10, 9
	s_cbranch_scc1 .LBB55_124
; %bb.119:
	s_cmp_gt_i32 s10, 9
	s_cbranch_scc0 .LBB55_121
; %bb.120:
	v_cvt_f64_i32_e32 v[9:10], v1
	v_mov_b32_e32 v11, 0
	v_mov_b32_e32 v12, v11
	s_mov_b64 s[8:9], 0
	global_store_dwordx4 v[3:4], v[9:12], off
.LBB55_121:
	s_andn2_b64 vcc, exec, s[8:9]
	s_cbranch_vccnz .LBB55_123
; %bb.122:
	v_cvt_f32_i32_e32 v5, v1
	v_mov_b32_e32 v6, 0
	global_store_dwordx2 v[3:4], v[5:6], off
.LBB55_123:
	s_mov_b64 s[8:9], 0
.LBB55_124:
	s_andn2_b64 vcc, exec, s[8:9]
	s_cbranch_vccnz .LBB55_126
; %bb.125:
	v_cvt_f32_i32_e32 v0, v1
	v_cvt_f16_f32_e32 v0, v0
	global_store_dword v[3:4], v0, off
.LBB55_126:
	s_mov_b64 s[8:9], 0
.LBB55_127:
	s_andn2_b64 vcc, exec, s[8:9]
	s_cbranch_vccnz .LBB55_136
; %bb.128:
	s_cmp_lt_i32 s10, 6
	s_mov_b64 s[8:9], -1
	s_cbranch_scc1 .LBB55_134
; %bb.129:
	s_cmp_gt_i32 s10, 6
	s_cbranch_scc0 .LBB55_131
; %bb.130:
	v_cvt_f64_i32_e32 v[5:6], v1
	s_mov_b64 s[8:9], 0
	global_store_dwordx2 v[3:4], v[5:6], off
.LBB55_131:
	s_andn2_b64 vcc, exec, s[8:9]
	s_cbranch_vccnz .LBB55_133
; %bb.132:
	v_cvt_f32_i32_e32 v0, v1
	global_store_dword v[3:4], v0, off
.LBB55_133:
	s_mov_b64 s[8:9], 0
.LBB55_134:
	s_andn2_b64 vcc, exec, s[8:9]
	s_cbranch_vccnz .LBB55_136
; %bb.135:
	v_cvt_f32_i32_e32 v0, v1
	v_cvt_f16_f32_e32 v0, v0
	global_store_short v[3:4], v0, off
.LBB55_136:
	s_mov_b64 s[8:9], 0
.LBB55_137:
	s_andn2_b64 vcc, exec, s[8:9]
	s_cbranch_vccnz .LBB55_153
; %bb.138:
	s_cmp_lt_i32 s10, 2
	s_mov_b64 s[8:9], -1
	s_cbranch_scc1 .LBB55_148
; %bb.139:
	s_cmp_lt_i32 s10, 3
	s_cbranch_scc1 .LBB55_145
; %bb.140:
	s_cmp_gt_i32 s10, 3
	s_cbranch_scc0 .LBB55_142
; %bb.141:
	v_ashrrev_i32_e32 v2, 31, v1
	global_store_dwordx2 v[3:4], v[1:2], off
	s_mov_b64 s[8:9], 0
.LBB55_142:
	s_andn2_b64 vcc, exec, s[8:9]
	s_cbranch_vccnz .LBB55_144
; %bb.143:
	global_store_dword v[3:4], v1, off
.LBB55_144:
	s_mov_b64 s[8:9], 0
.LBB55_145:
	s_andn2_b64 vcc, exec, s[8:9]
	s_cbranch_vccnz .LBB55_147
; %bb.146:
	global_store_short v[3:4], v1, off
.LBB55_147:
	s_mov_b64 s[8:9], 0
.LBB55_148:
	s_andn2_b64 vcc, exec, s[8:9]
	s_cbranch_vccnz .LBB55_153
; %bb.149:
	s_cmp_gt_i32 s10, 0
	s_mov_b64 s[8:9], -1
	s_cbranch_scc0 .LBB55_151
; %bb.150:
	global_store_byte v[3:4], v1, off
	s_mov_b64 s[8:9], 0
.LBB55_151:
	s_andn2_b64 vcc, exec, s[8:9]
	s_cbranch_vccnz .LBB55_153
; %bb.152:
	global_store_byte v[3:4], v1, off
.LBB55_153:
.LBB55_154:
	v_add_u32_e32 v8, 0x80, v8
	s_mov_b64 s[8:9], -1
	s_branch .LBB55_261
.LBB55_155:
	s_mov_b64 s[2:3], -1
                                        ; implicit-def: $vgpr3
.LBB55_156:
	s_mov_b64 s[8:9], 0
.LBB55_157:
	s_and_b64 vcc, exec, s[8:9]
	s_cbranch_vccz .LBB55_161
; %bb.158:
	s_cmp_eq_u32 s10, 29
	s_cbranch_scc0 .LBB55_160
; %bb.159:
	global_load_dword v3, v[1:2], off
	s_mov_b64 s[0:1], -1
	s_mov_b64 s[2:3], 0
	s_branch .LBB55_161
.LBB55_160:
	s_mov_b64 s[2:3], -1
                                        ; implicit-def: $vgpr3
.LBB55_161:
	s_mov_b64 s[8:9], 0
.LBB55_162:
	s_and_b64 vcc, exec, s[8:9]
	s_cbranch_vccz .LBB55_178
; %bb.163:
	s_cmp_lt_i32 s10, 27
	s_cbranch_scc1 .LBB55_166
; %bb.164:
	s_cmp_gt_i32 s10, 27
	s_cbranch_scc0 .LBB55_167
; %bb.165:
	global_load_dword v3, v[1:2], off
	s_mov_b64 s[0:1], 0
	s_branch .LBB55_168
.LBB55_166:
	s_mov_b64 s[0:1], -1
                                        ; implicit-def: $vgpr3
	s_branch .LBB55_171
.LBB55_167:
	s_mov_b64 s[0:1], -1
                                        ; implicit-def: $vgpr3
.LBB55_168:
	s_andn2_b64 vcc, exec, s[0:1]
	s_cbranch_vccnz .LBB55_170
; %bb.169:
	global_load_ushort v3, v[1:2], off
.LBB55_170:
	s_mov_b64 s[0:1], 0
.LBB55_171:
	s_andn2_b64 vcc, exec, s[0:1]
	s_cbranch_vccnz .LBB55_177
; %bb.172:
	global_load_ubyte v4, v[1:2], off
	s_movk_i32 s0, 0x7f
	s_mov_b64 s[8:9], 0
	s_waitcnt vmcnt(0)
	v_cmp_lt_i16_e32 vcc, s0, v4
	s_and_saveexec_b64 s[0:1], vcc
	s_xor_b64 s[0:1], exec, s[0:1]
	s_cbranch_execz .LBB55_188
; %bb.173:
	s_movk_i32 s8, 0x80
	v_cmp_ne_u16_e32 vcc, s8, v4
	s_and_b64 s[8:9], vcc, exec
	s_andn2_saveexec_b64 s[0:1], s[0:1]
	s_cbranch_execnz .LBB55_189
.LBB55_174:
	s_or_b64 exec, exec, s[0:1]
	v_mov_b32_e32 v3, 0
	s_and_saveexec_b64 s[0:1], s[8:9]
	s_cbranch_execz .LBB55_176
.LBB55_175:
	v_lshlrev_b32_e32 v3, 24, v4
	v_and_b32_e32 v4, 0xffff, v4
	v_and_b32_e32 v5, 7, v4
	v_ffbh_u32_e32 v7, v5
	v_min_u32_e32 v7, 32, v7
	v_subrev_u32_e32 v9, 28, v7
	v_bfe_u32 v6, v4, 3, 4
	v_lshlrev_b32_e32 v4, v9, v4
	v_sub_u32_e32 v7, 29, v7
	v_and_b32_e32 v4, 7, v4
	v_cmp_eq_u32_e32 vcc, 0, v6
	v_cndmask_b32_e32 v6, v6, v7, vcc
	v_cndmask_b32_e32 v4, v5, v4, vcc
	v_mov_b32_e32 v5, 0x3b800000
	v_lshlrev_b32_e32 v4, 20, v4
	v_and_b32_e32 v3, 0x80000000, v3
	v_lshl_add_u32 v5, v6, 23, v5
	v_or3_b32 v3, v3, v5, v4
	v_cvt_i32_f32_e32 v3, v3
.LBB55_176:
	s_or_b64 exec, exec, s[0:1]
.LBB55_177:
	s_mov_b64 s[0:1], -1
.LBB55_178:
	s_branch .LBB55_211
.LBB55_179:
	s_cmp_gt_i32 s10, 22
	s_cbranch_scc0 .LBB55_187
; %bb.180:
	s_cmp_lt_i32 s10, 24
	s_cbranch_scc1 .LBB55_190
; %bb.181:
	s_cmp_gt_i32 s10, 24
	s_cbranch_scc0 .LBB55_191
; %bb.182:
	global_load_ubyte v4, v[1:2], off
	s_movk_i32 s0, 0x7f
	s_mov_b64 s[8:9], 0
	s_waitcnt vmcnt(0)
	v_cmp_lt_i16_e32 vcc, s0, v4
	s_and_saveexec_b64 s[0:1], vcc
	s_xor_b64 s[0:1], exec, s[0:1]
	s_cbranch_execz .LBB55_203
; %bb.183:
	s_movk_i32 s8, 0x80
	v_cmp_ne_u16_e32 vcc, s8, v4
	s_and_b64 s[8:9], vcc, exec
	s_andn2_saveexec_b64 s[0:1], s[0:1]
	s_cbranch_execnz .LBB55_204
.LBB55_184:
	s_or_b64 exec, exec, s[0:1]
	v_mov_b32_e32 v3, 0
	s_and_saveexec_b64 s[0:1], s[8:9]
	s_cbranch_execz .LBB55_186
.LBB55_185:
	v_lshlrev_b32_e32 v3, 24, v4
	v_and_b32_e32 v4, 0xffff, v4
	v_and_b32_e32 v5, 3, v4
	v_ffbh_u32_e32 v7, v5
	v_min_u32_e32 v7, 32, v7
	v_subrev_u32_e32 v9, 29, v7
	v_bfe_u32 v6, v4, 2, 5
	v_lshlrev_b32_e32 v4, v9, v4
	v_sub_u32_e32 v7, 30, v7
	v_and_b32_e32 v4, 3, v4
	v_cmp_eq_u32_e32 vcc, 0, v6
	v_cndmask_b32_e32 v6, v6, v7, vcc
	v_cndmask_b32_e32 v4, v5, v4, vcc
	v_mov_b32_e32 v5, 0x37800000
	v_lshlrev_b32_e32 v4, 21, v4
	v_and_b32_e32 v3, 0x80000000, v3
	v_lshl_add_u32 v5, v6, 23, v5
	v_or3_b32 v3, v3, v5, v4
	v_cvt_i32_f32_e32 v3, v3
.LBB55_186:
	s_or_b64 exec, exec, s[0:1]
	s_mov_b64 s[0:1], 0
	s_branch .LBB55_192
.LBB55_187:
	s_mov_b64 s[8:9], -1
                                        ; implicit-def: $vgpr3
	s_branch .LBB55_198
.LBB55_188:
	s_andn2_saveexec_b64 s[0:1], s[0:1]
	s_cbranch_execz .LBB55_174
.LBB55_189:
	v_cmp_ne_u16_e32 vcc, 0, v4
	s_andn2_b64 s[8:9], s[8:9], exec
	s_and_b64 s[12:13], vcc, exec
	s_or_b64 s[8:9], s[8:9], s[12:13]
	s_or_b64 exec, exec, s[0:1]
	v_mov_b32_e32 v3, 0
	s_and_saveexec_b64 s[0:1], s[8:9]
	s_cbranch_execnz .LBB55_175
	s_branch .LBB55_176
.LBB55_190:
	s_mov_b64 s[0:1], -1
                                        ; implicit-def: $vgpr3
	s_branch .LBB55_195
.LBB55_191:
	s_mov_b64 s[0:1], -1
                                        ; implicit-def: $vgpr3
.LBB55_192:
	s_and_b64 vcc, exec, s[0:1]
	s_cbranch_vccz .LBB55_194
; %bb.193:
	global_load_ubyte v3, v[1:2], off
	s_mov_b32 s0, 0x7f800000
	s_waitcnt vmcnt(0)
	v_lshlrev_b32_e32 v3, 24, v3
	v_and_b32_e32 v4, 0x7f000000, v3
	v_ffbh_u32_e32 v5, v4
	v_min_u32_e32 v5, 32, v5
	v_sub_u32_e64 v5, v5, 4 clamp
	v_lshlrev_b32_e32 v7, v5, v4
	v_lshlrev_b32_e32 v5, 23, v5
	v_lshrrev_b32_e32 v7, 4, v7
	v_add_u32_e32 v6, 0x1000000, v4
	v_sub_u32_e32 v5, v7, v5
	v_ashrrev_i32_e32 v6, 8, v6
	v_add_u32_e32 v5, 0x3c000000, v5
	v_and_or_b32 v5, v6, s0, v5
	v_cmp_ne_u32_e32 vcc, 0, v4
	v_cndmask_b32_e32 v4, 0, v5, vcc
	s_brev_b32 s0, 1
	v_and_or_b32 v3, v3, s0, v4
	v_cvt_i32_f32_e32 v3, v3
.LBB55_194:
	s_mov_b64 s[0:1], 0
.LBB55_195:
	s_andn2_b64 vcc, exec, s[0:1]
	s_cbranch_vccnz .LBB55_197
; %bb.196:
	global_load_ubyte v3, v[1:2], off
	s_movk_i32 s0, 0x7f00
	s_brev_b32 s1, 16
	s_waitcnt vmcnt(0)
	v_lshlrev_b16_e32 v4, 8, v3
	v_lshlrev_b32_e32 v3, 25, v3
	v_lshrrev_b32_e32 v5, 4, v3
	v_and_or_b32 v6, v4, s0, 0.5
	v_or_b32_e32 v5, 0x70000000, v5
	v_add_f32_e32 v6, -0.5, v6
	v_mul_f32_e32 v5, 0x7800000, v5
	v_cmp_gt_u32_e32 vcc, s1, v3
	v_bfe_i32 v4, v4, 0, 16
	v_cndmask_b32_e32 v3, v5, v6, vcc
	s_brev_b32 s0, 1
	v_and_or_b32 v3, v4, s0, v3
	v_cvt_i32_f32_e32 v3, v3
.LBB55_197:
	s_mov_b64 s[8:9], 0
	s_mov_b64 s[0:1], -1
.LBB55_198:
	s_andn2_b64 vcc, exec, s[8:9]
	s_cbranch_vccnz .LBB55_211
; %bb.199:
	s_cmp_gt_i32 s10, 14
	s_cbranch_scc0 .LBB55_202
; %bb.200:
	s_cmp_eq_u32 s10, 15
	s_cbranch_scc0 .LBB55_205
; %bb.201:
	global_load_ushort v3, v[1:2], off
	s_mov_b64 s[0:1], -1
	s_mov_b64 s[2:3], 0
	s_waitcnt vmcnt(0)
	v_lshlrev_b32_e32 v3, 16, v3
	v_cvt_i32_f32_e32 v3, v3
	s_branch .LBB55_206
.LBB55_202:
	s_mov_b64 s[8:9], -1
                                        ; implicit-def: $vgpr3
	s_branch .LBB55_207
.LBB55_203:
	s_andn2_saveexec_b64 s[0:1], s[0:1]
	s_cbranch_execz .LBB55_184
.LBB55_204:
	v_cmp_ne_u16_e32 vcc, 0, v4
	s_andn2_b64 s[8:9], s[8:9], exec
	s_and_b64 s[12:13], vcc, exec
	s_or_b64 s[8:9], s[8:9], s[12:13]
	s_or_b64 exec, exec, s[0:1]
	v_mov_b32_e32 v3, 0
	s_and_saveexec_b64 s[0:1], s[8:9]
	s_cbranch_execnz .LBB55_185
	s_branch .LBB55_186
.LBB55_205:
	s_mov_b64 s[2:3], -1
                                        ; implicit-def: $vgpr3
.LBB55_206:
	s_mov_b64 s[8:9], 0
.LBB55_207:
	s_and_b64 vcc, exec, s[8:9]
	s_cbranch_vccz .LBB55_211
; %bb.208:
	s_cmp_eq_u32 s10, 11
	s_cbranch_scc0 .LBB55_210
; %bb.209:
	global_load_ubyte v3, v[1:2], off
	s_mov_b64 s[0:1], -1
	s_mov_b64 s[2:3], 0
	s_waitcnt vmcnt(0)
	v_cmp_ne_u16_e32 vcc, 0, v3
	v_cndmask_b32_e64 v3, 0, 1, vcc
	s_branch .LBB55_211
.LBB55_210:
	s_mov_b64 s[2:3], -1
                                        ; implicit-def: $vgpr3
.LBB55_211:
	s_branch .LBB55_24
.LBB55_212:
	s_cmp_lt_i32 s10, 5
	s_cbranch_scc1 .LBB55_217
; %bb.213:
	s_cmp_lt_i32 s10, 8
	s_cbranch_scc1 .LBB55_218
; %bb.214:
	;; [unrolled: 3-line block ×3, first 2 shown]
	s_cmp_gt_i32 s10, 9
	s_cbranch_scc0 .LBB55_220
; %bb.216:
	global_load_dwordx2 v[3:4], v[1:2], off
	s_mov_b64 s[0:1], 0
	s_waitcnt vmcnt(0)
	v_cvt_i32_f64_e32 v3, v[3:4]
	s_branch .LBB55_221
.LBB55_217:
                                        ; implicit-def: $vgpr3
	s_branch .LBB55_239
.LBB55_218:
	s_mov_b64 s[0:1], -1
                                        ; implicit-def: $vgpr3
	s_branch .LBB55_227
.LBB55_219:
	s_mov_b64 s[0:1], -1
                                        ; implicit-def: $vgpr3
	s_branch .LBB55_224
.LBB55_220:
	s_mov_b64 s[0:1], -1
                                        ; implicit-def: $vgpr3
.LBB55_221:
	s_andn2_b64 vcc, exec, s[0:1]
	s_cbranch_vccnz .LBB55_223
; %bb.222:
	global_load_dword v3, v[1:2], off
	s_waitcnt vmcnt(0)
	v_cvt_i32_f32_e32 v3, v3
.LBB55_223:
	s_mov_b64 s[0:1], 0
.LBB55_224:
	s_andn2_b64 vcc, exec, s[0:1]
	s_cbranch_vccnz .LBB55_226
; %bb.225:
	global_load_dword v3, v[1:2], off
	s_waitcnt vmcnt(0)
	v_cvt_f32_f16_e32 v3, v3
	v_cvt_i32_f32_e32 v3, v3
.LBB55_226:
	s_mov_b64 s[0:1], 0
.LBB55_227:
	s_andn2_b64 vcc, exec, s[0:1]
	s_cbranch_vccnz .LBB55_238
; %bb.228:
	s_cmp_lt_i32 s10, 6
	s_cbranch_scc1 .LBB55_231
; %bb.229:
	s_cmp_gt_i32 s10, 6
	s_cbranch_scc0 .LBB55_232
; %bb.230:
	global_load_dwordx2 v[3:4], v[1:2], off
	s_mov_b64 s[0:1], 0
	s_waitcnt vmcnt(0)
	v_cvt_i32_f64_e32 v3, v[3:4]
	s_branch .LBB55_233
.LBB55_231:
	s_mov_b64 s[0:1], -1
                                        ; implicit-def: $vgpr3
	s_branch .LBB55_236
.LBB55_232:
	s_mov_b64 s[0:1], -1
                                        ; implicit-def: $vgpr3
.LBB55_233:
	s_andn2_b64 vcc, exec, s[0:1]
	s_cbranch_vccnz .LBB55_235
; %bb.234:
	global_load_dword v3, v[1:2], off
	s_waitcnt vmcnt(0)
	v_cvt_i32_f32_e32 v3, v3
.LBB55_235:
	s_mov_b64 s[0:1], 0
.LBB55_236:
	s_andn2_b64 vcc, exec, s[0:1]
	s_cbranch_vccnz .LBB55_238
; %bb.237:
	global_load_ushort v3, v[1:2], off
	s_waitcnt vmcnt(0)
	v_cvt_f32_f16_e32 v3, v3
	v_cvt_i32_f32_e32 v3, v3
.LBB55_238:
	s_cbranch_execnz .LBB55_258
.LBB55_239:
	s_cmp_lt_i32 s10, 2
	s_cbranch_scc1 .LBB55_243
; %bb.240:
	s_cmp_lt_i32 s10, 3
	s_cbranch_scc1 .LBB55_244
; %bb.241:
	s_cmp_gt_i32 s10, 3
	s_cbranch_scc0 .LBB55_245
; %bb.242:
	global_load_dword v3, v[1:2], off
	s_mov_b64 s[0:1], 0
	s_branch .LBB55_246
.LBB55_243:
	s_mov_b64 s[0:1], -1
                                        ; implicit-def: $vgpr3
	s_branch .LBB55_252
.LBB55_244:
	s_mov_b64 s[0:1], -1
                                        ; implicit-def: $vgpr3
	s_branch .LBB55_249
.LBB55_245:
	s_mov_b64 s[0:1], -1
                                        ; implicit-def: $vgpr3
.LBB55_246:
	s_andn2_b64 vcc, exec, s[0:1]
	s_cbranch_vccnz .LBB55_248
; %bb.247:
	global_load_dword v3, v[1:2], off
.LBB55_248:
	s_mov_b64 s[0:1], 0
.LBB55_249:
	s_andn2_b64 vcc, exec, s[0:1]
	s_cbranch_vccnz .LBB55_251
; %bb.250:
	global_load_sshort v3, v[1:2], off
.LBB55_251:
	s_mov_b64 s[0:1], 0
.LBB55_252:
	s_andn2_b64 vcc, exec, s[0:1]
	s_cbranch_vccnz .LBB55_258
; %bb.253:
	s_cmp_gt_i32 s10, 0
	s_cbranch_scc0 .LBB55_255
; %bb.254:
	global_load_sbyte v3, v[1:2], off
	s_mov_b64 s[0:1], 0
	s_branch .LBB55_256
.LBB55_255:
	s_mov_b64 s[0:1], -1
                                        ; implicit-def: $vgpr3
.LBB55_256:
	s_andn2_b64 vcc, exec, s[0:1]
	s_cbranch_vccnz .LBB55_258
; %bb.257:
	global_load_ubyte v3, v[1:2], off
.LBB55_258:
	s_branch .LBB55_25
.LBB55_259:
	s_mov_b64 s[0:1], 0
.LBB55_260:
	s_mov_b64 s[8:9], 0
                                        ; implicit-def: $vgpr8
.LBB55_261:
	s_and_b64 s[54:55], s[0:1], exec
	s_and_b64 s[56:57], s[2:3], exec
	s_orn2_b64 s[2:3], s[8:9], exec
.LBB55_262:
	s_or_b64 exec, exec, s[58:59]
	s_mov_b64 s[10:11], 0
	s_mov_b64 s[0:1], 0
                                        ; implicit-def: $vgpr1_vgpr2
                                        ; implicit-def: $vgpr0
                                        ; implicit-def: $vgpr5
	s_and_saveexec_b64 s[58:59], s[2:3]
	s_cbranch_execz .LBB55_269
; %bb.263:
	v_cmp_gt_i32_e32 vcc, s72, v8
	s_mov_b64 s[0:1], -1
	s_mov_b64 s[60:61], s[56:57]
	s_mov_b64 s[62:63], s[54:55]
	s_and_saveexec_b64 s[64:65], vcc
	s_cbranch_execz .LBB55_534
; %bb.264:
	s_andn2_b64 vcc, exec, s[40:41]
	s_cbranch_vccnz .LBB55_272
; %bb.265:
	s_andn2_b64 vcc, exec, s[52:53]
	s_cbranch_vccnz .LBB55_273
; %bb.266:
	s_add_i32 s67, s76, 1
	s_cmp_eq_u32 s74, 2
	s_cbranch_scc1 .LBB55_274
; %bb.267:
	s_and_b32 s66, s67, 28
	v_mov_b32_e32 v2, 0
	s_mov_b32 s68, 0
	s_mov_b64 s[60:61], s[34:35]
	s_mov_b64 s[62:63], s[50:51]
	v_mov_b32_e32 v0, 0
	v_mov_b32_e32 v1, v8
.LBB55_268:                             ; =>This Inner Loop Header: Depth=1
	s_load_dwordx8 s[16:23], s[60:61], 0x4
	s_load_dwordx4 s[0:3], s[60:61], 0x24
	s_load_dwordx8 s[8:15], s[62:63], 0x0
	s_add_u32 s60, s60, 48
	s_addc_u32 s61, s61, 0
	s_waitcnt vmcnt(0) lgkmcnt(0)
	v_mul_hi_u32 v3, s17, v1
	s_add_i32 s68, s68, 4
	s_add_u32 s62, s62, 32
	s_addc_u32 s63, s63, 0
	v_add_u32_e32 v3, v1, v3
	v_lshrrev_b32_e32 v3, s18, v3
	v_mul_lo_u32 v4, v3, s16
	v_mul_hi_u32 v5, s20, v3
	s_cmp_eq_u32 s66, s68
	v_sub_u32_e32 v1, v1, v4
	v_add_u32_e32 v4, v3, v5
	v_mul_lo_u32 v5, v1, s8
	v_mul_lo_u32 v6, v1, s9
	v_lshrrev_b32_e32 v1, s21, v4
	v_mul_lo_u32 v4, v1, s19
	v_mul_hi_u32 v7, s23, v1
	v_sub_u32_e32 v3, v3, v4
	v_add_u32_e32 v4, v1, v7
	v_lshrrev_b32_e32 v4, s0, v4
	v_mul_hi_u32 v9, s2, v4
	v_mul_lo_u32 v10, v4, s22
	v_mul_lo_u32 v7, v3, s10
	;; [unrolled: 1-line block ×3, first 2 shown]
	v_sub_u32_e32 v10, v1, v10
	v_add_u32_e32 v1, v4, v9
	v_lshrrev_b32_e32 v1, s3, v1
	v_mul_lo_u32 v9, v1, s1
	v_mul_lo_u32 v11, v10, s12
	v_mul_lo_u32 v10, v10, s13
	v_add3_u32 v0, v5, v0, v7
	v_sub_u32_e32 v4, v4, v9
	v_mul_lo_u32 v9, v4, s14
	v_mul_lo_u32 v4, v4, s15
	v_add3_u32 v2, v6, v2, v3
	v_add3_u32 v0, v11, v0, v9
	;; [unrolled: 1-line block ×3, first 2 shown]
	s_cbranch_scc0 .LBB55_268
	s_branch .LBB55_275
.LBB55_269:
	s_or_b64 exec, exec, s[58:59]
	s_mov_b64 s[2:3], 0
	s_and_saveexec_b64 s[8:9], s[56:57]
	s_cbranch_execnz .LBB55_902
.LBB55_270:
	s_or_b64 exec, exec, s[8:9]
	s_and_saveexec_b64 s[8:9], s[62:63]
	s_xor_b64 s[8:9], exec, s[8:9]
	s_cbranch_execz .LBB55_903
.LBB55_271:
	global_load_ubyte v3, v[1:2], off
	s_or_b64 s[0:1], s[0:1], exec
	s_waitcnt vmcnt(0)
	v_cmp_ne_u16_e32 vcc, 0, v3
	v_cndmask_b32_e64 v5, 0, 1, vcc
	s_or_b64 exec, exec, s[8:9]
	s_and_saveexec_b64 s[8:9], s[10:11]
	s_cbranch_execz .LBB55_949
	s_branch .LBB55_904
.LBB55_272:
                                        ; implicit-def: $vgpr0
                                        ; implicit-def: $vgpr2
	s_andn2_b64 vcc, exec, s[0:1]
	s_cbranch_vccz .LBB55_279
	s_branch .LBB55_281
.LBB55_273:
	v_mov_b32_e32 v0, 0
	v_mov_b32_e32 v2, 0
	s_branch .LBB55_278
.LBB55_274:
	s_mov_b32 s66, 0
	v_mov_b32_e32 v0, 0
	v_mov_b32_e32 v2, 0
	;; [unrolled: 1-line block ×3, first 2 shown]
.LBB55_275:
	s_and_b32 s8, s67, 3
	s_cmp_eq_u32 s8, 0
	s_cbranch_scc1 .LBB55_278
; %bb.276:
	s_lshl_b32 s0, s66, 3
	s_add_u32 s0, s34, s0
	s_addc_u32 s1, s35, 0
	s_add_u32 s0, s0, 0xc4
	s_addc_u32 s1, s1, 0
	s_mul_i32 s2, s66, 12
	s_add_u32 s2, s34, s2
	s_addc_u32 s3, s35, 0
.LBB55_277:                             ; =>This Inner Loop Header: Depth=1
	s_load_dwordx2 s[10:11], s[2:3], 0x4
	s_load_dword s9, s[2:3], 0xc
	s_load_dwordx2 s[12:13], s[0:1], 0x0
	s_add_u32 s2, s2, 12
	s_addc_u32 s3, s3, 0
	s_waitcnt vmcnt(0) lgkmcnt(0)
	v_mul_hi_u32 v3, s11, v1
	s_add_u32 s0, s0, 8
	s_addc_u32 s1, s1, 0
	s_add_i32 s8, s8, -1
	v_add_u32_e32 v3, v1, v3
	v_lshrrev_b32_e32 v4, s9, v3
	v_mul_lo_u32 v3, v4, s10
	s_cmp_lg_u32 s8, 0
	v_sub_u32_e32 v3, v1, v3
	v_mad_u64_u32 v[0:1], s[10:11], v3, s12, v[0:1]
	v_mad_u64_u32 v[2:3], s[10:11], v3, s13, v[2:3]
	v_mov_b32_e32 v1, v4
	s_cbranch_scc1 .LBB55_277
.LBB55_278:
	s_cbranch_execnz .LBB55_281
.LBB55_279:
	v_mul_hi_u32 v0, s29, v8
	s_andn2_b64 vcc, exec, s[48:49]
	v_add_u32_e32 v0, v8, v0
	v_lshrrev_b32_e32 v1, s30, v0
	v_mul_lo_u32 v0, v1, s28
	v_sub_u32_e32 v2, v8, v0
	v_mul_lo_u32 v0, v2, s36
	v_mul_lo_u32 v2, v2, s37
	s_cbranch_vccnz .LBB55_281
; %bb.280:
	s_waitcnt vmcnt(0)
	v_mul_hi_u32 v3, s46, v1
	v_add_u32_e32 v3, v1, v3
	v_lshrrev_b32_e32 v3, s47, v3
	v_mul_lo_u32 v3, v3, s31
	v_sub_u32_e32 v3, v1, v3
	v_mad_u64_u32 v[0:1], s[0:1], v3, s38, v[0:1]
	v_mad_u64_u32 v[2:3], s[0:1], v3, s39, v[2:3]
.LBB55_281:
	s_waitcnt vmcnt(0)
	v_mov_b32_e32 v3, s27
	s_and_b32 s10, 0xffff, s75
	v_add_co_u32_e32 v1, vcc, s26, v2
	s_cmp_lt_i32 s10, 11
	v_addc_co_u32_e32 v2, vcc, 0, v3, vcc
	s_cbranch_scc1 .LBB55_288
; %bb.282:
	s_cmp_gt_i32 s10, 25
	s_cbranch_scc0 .LBB55_297
; %bb.283:
	s_cmp_gt_i32 s10, 28
	s_cbranch_scc0 .LBB55_299
	;; [unrolled: 3-line block ×4, first 2 shown]
; %bb.286:
	s_cmp_eq_u32 s10, 46
	s_mov_b64 s[8:9], 0
	s_cbranch_scc0 .LBB55_309
; %bb.287:
	global_load_dword v3, v[1:2], off
	s_mov_b64 s[0:1], -1
	s_mov_b64 s[2:3], 0
	s_waitcnt vmcnt(0)
	v_lshlrev_b32_e32 v3, 16, v3
	v_cvt_i32_f32_e32 v3, v3
	s_branch .LBB55_310
.LBB55_288:
	s_mov_b64 s[0:1], 0
                                        ; implicit-def: $vgpr3
	s_mov_b64 s[2:3], s[56:57]
	s_cbranch_execnz .LBB55_483
.LBB55_289:
	s_andn2_b64 vcc, exec, s[0:1]
	s_cbranch_vccnz .LBB55_531
.LBB55_290:
	s_waitcnt vmcnt(0)
	v_lshlrev_b32_e64 v1, v3, s44
	v_cmp_gt_u32_e32 vcc, 32, v3
	v_cndmask_b32_e32 v1, 0, v1, vcc
	v_mov_b32_e32 v2, s25
	s_and_b32 s14, s45, 0xff
	v_add_co_u32_e32 v3, vcc, s24, v0
	s_cmp_lt_i32 s14, 11
	v_addc_co_u32_e32 v4, vcc, 0, v2, vcc
	s_cbranch_scc1 .LBB55_298
; %bb.291:
	s_and_b32 s15, 0xffff, s14
	s_cmp_gt_i32 s15, 25
	s_cbranch_scc0 .LBB55_300
; %bb.292:
	s_cmp_gt_i32 s15, 28
	s_cbranch_scc0 .LBB55_302
; %bb.293:
	;; [unrolled: 3-line block ×4, first 2 shown]
	s_mov_b64 s[10:11], 0
	s_mov_b64 s[0:1], -1
	s_cmp_eq_u32 s15, 46
	s_mov_b64 s[8:9], 0
	s_cbranch_scc0 .LBB55_314
; %bb.296:
	v_cvt_f32_i32_e32 v0, v1
	s_movk_i32 s0, 0x7fff
	s_mov_b64 s[8:9], -1
	v_bfe_u32 v2, v0, 16, 1
	v_add3_u32 v0, v0, v2, s0
	v_lshrrev_b32_e32 v0, 16, v0
	global_store_dword v[3:4], v0, off
	s_mov_b64 s[0:1], 0
	s_branch .LBB55_314
.LBB55_297:
	s_mov_b64 s[8:9], -1
	s_mov_b64 s[0:1], 0
	s_mov_b64 s[2:3], s[56:57]
                                        ; implicit-def: $vgpr3
	s_branch .LBB55_449
.LBB55_298:
	s_mov_b64 s[10:11], -1
	s_mov_b64 s[8:9], 0
	s_mov_b64 s[0:1], s[54:55]
	s_branch .LBB55_383
.LBB55_299:
	s_mov_b64 s[8:9], -1
	s_mov_b64 s[0:1], 0
	s_mov_b64 s[2:3], s[56:57]
                                        ; implicit-def: $vgpr3
	s_branch .LBB55_432
.LBB55_300:
	s_mov_b64 s[10:11], -1
	s_mov_b64 s[8:9], 0
	s_mov_b64 s[0:1], s[54:55]
	s_branch .LBB55_341
.LBB55_301:
	s_mov_b64 s[8:9], -1
	s_mov_b64 s[0:1], 0
	s_mov_b64 s[2:3], s[56:57]
                                        ; implicit-def: $vgpr3
	s_branch .LBB55_427
.LBB55_302:
	s_mov_b64 s[10:11], -1
	s_mov_b64 s[8:9], 0
	s_mov_b64 s[0:1], s[54:55]
	s_branch .LBB55_324
.LBB55_303:
	s_andn2_saveexec_b64 s[12:13], s[12:13]
	s_cbranch_execz .LBB55_68
.LBB55_304:
	s_mov_b32 s16, 0x46000000
	v_add_f32_e64 v2, |v0|, s16
	v_and_b32_e32 v2, 0xff, v2
	v_cmp_ne_u32_e32 vcc, 0, v2
	s_andn2_b64 s[10:11], s[10:11], exec
	s_and_b64 s[16:17], vcc, exec
	s_or_b64 s[10:11], s[10:11], s[16:17]
	s_or_b64 exec, exec, s[12:13]
	v_mov_b32_e32 v5, 0
	s_and_saveexec_b64 s[12:13], s[10:11]
	s_cbranch_execnz .LBB55_69
	s_branch .LBB55_70
.LBB55_305:
	s_mov_b64 s[8:9], -1
	s_mov_b64 s[0:1], 0
	s_mov_b64 s[2:3], s[56:57]
                                        ; implicit-def: $vgpr3
	s_branch .LBB55_310
.LBB55_306:
	s_mov_b64 s[10:11], -1
	s_mov_b64 s[8:9], 0
	s_mov_b64 s[0:1], s[54:55]
	s_branch .LBB55_320
.LBB55_307:
	s_andn2_saveexec_b64 s[12:13], s[12:13]
	s_cbranch_execz .LBB55_81
.LBB55_308:
	s_mov_b32 s16, 0x42800000
	v_add_f32_e64 v2, |v0|, s16
	v_and_b32_e32 v2, 0xff, v2
	v_cmp_ne_u32_e32 vcc, 0, v2
	s_andn2_b64 s[10:11], s[10:11], exec
	s_and_b64 s[16:17], vcc, exec
	s_or_b64 s[10:11], s[10:11], s[16:17]
	s_or_b64 exec, exec, s[12:13]
	v_mov_b32_e32 v5, 0
	s_and_saveexec_b64 s[12:13], s[10:11]
	s_cbranch_execnz .LBB55_82
	s_branch .LBB55_83
.LBB55_309:
	s_mov_b64 s[2:3], -1
                                        ; implicit-def: $vgpr3
	s_mov_b64 s[0:1], 0
.LBB55_310:
	s_and_b64 vcc, exec, s[8:9]
	s_cbranch_vccz .LBB55_426
; %bb.311:
	s_cmp_eq_u32 s10, 44
	s_cbranch_scc0 .LBB55_425
; %bb.312:
	global_load_ubyte v3, v[1:2], off
	s_mov_b64 s[0:1], -1
	s_mov_b64 s[2:3], 0
	s_waitcnt vmcnt(0)
	v_lshlrev_b32_e32 v4, 23, v3
	v_cvt_i32_f32_e32 v4, v4
	v_cmp_ne_u32_e32 vcc, 0, v3
	v_cndmask_b32_e32 v3, 0, v4, vcc
	s_branch .LBB55_426
.LBB55_313:
	s_mov_b64 s[10:11], -1
	s_mov_b64 s[8:9], 0
	s_mov_b64 s[0:1], s[54:55]
.LBB55_314:
	s_and_b64 vcc, exec, s[10:11]
	s_cbranch_vccz .LBB55_319
; %bb.315:
	s_cmp_eq_u32 s15, 44
	s_mov_b64 s[0:1], -1
	s_cbranch_scc0 .LBB55_319
; %bb.316:
	v_cvt_f32_i32_e32 v0, v1
	s_movk_i32 s0, 0xff
	v_mov_b32_e32 v5, 0xff
	v_bfe_u32 v2, v0, 23, 8
	v_cmp_ne_u32_e32 vcc, s0, v2
	s_and_saveexec_b64 s[8:9], vcc
; %bb.317:
	s_mov_b32 s0, 0x3fffff
	v_lshrrev_b32_e32 v5, 23, v0
	v_and_b32_e32 v6, 0x400000, v0
	v_and_or_b32 v0, v0, s0, v2
	v_cmp_ne_u32_e32 vcc, 0, v6
	v_cmp_ne_u32_e64 s[0:1], 0, v0
	s_and_b64 s[0:1], vcc, s[0:1]
	v_cndmask_b32_e64 v0, 0, 1, s[0:1]
	v_add_u32_e32 v5, v5, v0
; %bb.318:
	s_or_b64 exec, exec, s[8:9]
	s_mov_b64 s[8:9], -1
	s_mov_b64 s[0:1], 0
	global_store_byte v[3:4], v5, off
.LBB55_319:
	s_mov_b64 s[10:11], 0
.LBB55_320:
	s_and_b64 vcc, exec, s[10:11]
	s_cbranch_vccz .LBB55_323
; %bb.321:
	s_cmp_eq_u32 s15, 29
	s_mov_b64 s[0:1], -1
	s_cbranch_scc0 .LBB55_323
; %bb.322:
	v_ashrrev_i32_e32 v2, 31, v1
	global_store_dwordx2 v[3:4], v[1:2], off
	s_mov_b64 s[8:9], -1
	s_mov_b64 s[0:1], 0
.LBB55_323:
	s_mov_b64 s[10:11], 0
.LBB55_324:
	s_and_b64 vcc, exec, s[10:11]
	s_cbranch_vccz .LBB55_340
; %bb.325:
	s_cmp_lt_i32 s15, 27
	s_mov_b64 s[8:9], -1
	s_cbranch_scc1 .LBB55_331
; %bb.326:
	s_cmp_gt_i32 s15, 27
	s_cbranch_scc0 .LBB55_328
; %bb.327:
	s_mov_b64 s[8:9], 0
	global_store_dword v[3:4], v1, off
.LBB55_328:
	s_andn2_b64 vcc, exec, s[8:9]
	s_cbranch_vccnz .LBB55_330
; %bb.329:
	global_store_short v[3:4], v1, off
.LBB55_330:
	s_mov_b64 s[8:9], 0
.LBB55_331:
	s_andn2_b64 vcc, exec, s[8:9]
	s_cbranch_vccnz .LBB55_339
; %bb.332:
	v_cvt_f32_i32_e32 v0, v1
	s_mov_b32 s8, 0x43800000
	v_mov_b32_e32 v5, 0x80
	v_and_b32_e32 v2, 0x7fffffff, v0
	v_cmp_gt_u32_e32 vcc, s8, v2
	s_and_saveexec_b64 s[8:9], vcc
	s_cbranch_execz .LBB55_338
; %bb.333:
	s_mov_b32 s10, 0x3bffffff
	v_cmp_lt_u32_e32 vcc, s10, v2
	s_mov_b64 s[10:11], 0
                                        ; implicit-def: $vgpr2
	s_and_saveexec_b64 s[12:13], vcc
	s_xor_b64 s[12:13], exec, s[12:13]
	s_cbranch_execz .LBB55_562
; %bb.334:
	v_bfe_u32 v2, v0, 20, 1
	s_mov_b32 s16, 0x487ffff
	v_add3_u32 v2, v0, v2, s16
	s_mov_b64 s[10:11], exec
	v_lshrrev_b32_e32 v2, 20, v2
	s_andn2_saveexec_b64 s[12:13], s[12:13]
	s_cbranch_execnz .LBB55_563
.LBB55_335:
	s_or_b64 exec, exec, s[12:13]
	v_mov_b32_e32 v5, 0
	s_and_saveexec_b64 s[12:13], s[10:11]
.LBB55_336:
	v_lshrrev_b32_e32 v0, 24, v0
	s_movk_i32 s10, 0x80
	v_and_or_b32 v5, v0, s10, v2
.LBB55_337:
	s_or_b64 exec, exec, s[12:13]
.LBB55_338:
	s_or_b64 exec, exec, s[8:9]
	global_store_byte v[3:4], v5, off
.LBB55_339:
	s_mov_b64 s[8:9], -1
.LBB55_340:
	s_mov_b64 s[10:11], 0
.LBB55_341:
	s_and_b64 vcc, exec, s[10:11]
	s_cbranch_vccz .LBB55_382
; %bb.342:
	s_cmp_gt_i32 s15, 22
	s_mov_b64 s[10:11], -1
	s_cbranch_scc0 .LBB55_374
; %bb.343:
	s_cmp_lt_i32 s15, 24
	s_mov_b64 s[8:9], -1
	s_cbranch_scc1 .LBB55_363
; %bb.344:
	s_cmp_gt_i32 s15, 24
	s_cbranch_scc0 .LBB55_352
; %bb.345:
	v_cvt_f32_i32_e32 v0, v1
	s_mov_b32 s8, 0x47800000
	v_mov_b32_e32 v5, 0x80
	v_and_b32_e32 v2, 0x7fffffff, v0
	v_cmp_gt_u32_e32 vcc, s8, v2
	s_and_saveexec_b64 s[8:9], vcc
	s_cbranch_execz .LBB55_351
; %bb.346:
	s_mov_b32 s10, 0x37ffffff
	v_cmp_lt_u32_e32 vcc, s10, v2
	s_mov_b64 s[10:11], 0
                                        ; implicit-def: $vgpr2
	s_and_saveexec_b64 s[12:13], vcc
	s_xor_b64 s[12:13], exec, s[12:13]
	s_cbranch_execz .LBB55_565
; %bb.347:
	v_bfe_u32 v2, v0, 21, 1
	s_mov_b32 s16, 0x88fffff
	v_add3_u32 v2, v0, v2, s16
	s_mov_b64 s[10:11], exec
	v_lshrrev_b32_e32 v2, 21, v2
	s_andn2_saveexec_b64 s[12:13], s[12:13]
	s_cbranch_execnz .LBB55_566
.LBB55_348:
	s_or_b64 exec, exec, s[12:13]
	v_mov_b32_e32 v5, 0
	s_and_saveexec_b64 s[12:13], s[10:11]
.LBB55_349:
	v_lshrrev_b32_e32 v0, 24, v0
	s_movk_i32 s10, 0x80
	v_and_or_b32 v5, v0, s10, v2
.LBB55_350:
	s_or_b64 exec, exec, s[12:13]
.LBB55_351:
	s_or_b64 exec, exec, s[8:9]
	s_mov_b64 s[8:9], 0
	global_store_byte v[3:4], v5, off
.LBB55_352:
	s_and_b64 vcc, exec, s[8:9]
	s_cbranch_vccz .LBB55_362
; %bb.353:
	v_cvt_f32_i32_e32 v0, v1
	s_mov_b32 s8, 0x43f00000
                                        ; implicit-def: $vgpr2
	v_and_b32_e32 v5, 0x7fffffff, v0
	v_cmp_gt_u32_e32 vcc, s8, v5
	s_and_saveexec_b64 s[8:9], vcc
	s_xor_b64 s[8:9], exec, s[8:9]
	s_cbranch_execz .LBB55_359
; %bb.354:
	s_mov_b32 s10, 0x3c7fffff
	v_cmp_lt_u32_e32 vcc, s10, v5
                                        ; implicit-def: $vgpr2
	s_and_saveexec_b64 s[10:11], vcc
	s_xor_b64 s[10:11], exec, s[10:11]
; %bb.355:
	v_bfe_u32 v2, v0, 20, 1
	s_mov_b32 s12, 0x407ffff
	v_add3_u32 v2, v0, v2, s12
	v_lshrrev_b32_e32 v5, 20, v2
	v_and_b32_e32 v2, 0xff00000, v2
	s_mov_b32 s12, 0x7f00000
	v_mov_b32_e32 v6, 0x7e
	v_cmp_ne_u32_e32 vcc, s12, v2
	v_cndmask_b32_e32 v2, v6, v5, vcc
; %bb.356:
	s_andn2_saveexec_b64 s[10:11], s[10:11]
; %bb.357:
	s_mov_b32 s12, 0x46800000
	v_add_f32_e64 v2, |v0|, s12
; %bb.358:
	s_or_b64 exec, exec, s[10:11]
                                        ; implicit-def: $vgpr5
.LBB55_359:
	s_andn2_saveexec_b64 s[8:9], s[8:9]
; %bb.360:
	s_mov_b32 s10, 0x7f800000
	v_mov_b32_e32 v2, 0x7e
	v_mov_b32_e32 v6, 0x7f
	v_cmp_lt_u32_e32 vcc, s10, v5
	v_cndmask_b32_e32 v2, v2, v6, vcc
; %bb.361:
	s_or_b64 exec, exec, s[8:9]
	v_lshrrev_b32_e32 v0, 24, v0
	s_movk_i32 s8, 0x80
	v_and_or_b32 v0, v0, s8, v2
	global_store_byte v[3:4], v0, off
.LBB55_362:
	s_mov_b64 s[8:9], 0
.LBB55_363:
	s_andn2_b64 vcc, exec, s[8:9]
	s_cbranch_vccnz .LBB55_373
; %bb.364:
	v_cvt_f32_i32_e32 v0, v1
	s_mov_b32 s8, 0x47800000
                                        ; implicit-def: $vgpr2
	v_and_b32_e32 v5, 0x7fffffff, v0
	v_cmp_gt_u32_e32 vcc, s8, v5
	s_and_saveexec_b64 s[8:9], vcc
	s_xor_b64 s[8:9], exec, s[8:9]
	s_cbranch_execz .LBB55_370
; %bb.365:
	s_mov_b32 s10, 0x387fffff
	v_cmp_lt_u32_e32 vcc, s10, v5
                                        ; implicit-def: $vgpr2
	s_and_saveexec_b64 s[10:11], vcc
	s_xor_b64 s[10:11], exec, s[10:11]
; %bb.366:
	v_bfe_u32 v2, v0, 21, 1
	s_mov_b32 s12, 0x80fffff
	v_add3_u32 v2, v0, v2, s12
	v_lshrrev_b32_e32 v2, 21, v2
; %bb.367:
	s_andn2_saveexec_b64 s[10:11], s[10:11]
; %bb.368:
	s_mov_b32 s12, 0x43000000
	v_add_f32_e64 v2, |v0|, s12
; %bb.369:
	s_or_b64 exec, exec, s[10:11]
                                        ; implicit-def: $vgpr5
.LBB55_370:
	s_andn2_saveexec_b64 s[8:9], s[8:9]
; %bb.371:
	s_mov_b32 s10, 0x7f800000
	v_mov_b32_e32 v2, 0x7c
	v_mov_b32_e32 v6, 0x7f
	v_cmp_lt_u32_e32 vcc, s10, v5
	v_cndmask_b32_e32 v2, v2, v6, vcc
; %bb.372:
	s_or_b64 exec, exec, s[8:9]
	v_lshrrev_b32_e32 v0, 24, v0
	s_movk_i32 s8, 0x80
	v_and_or_b32 v0, v0, s8, v2
	global_store_byte v[3:4], v0, off
.LBB55_373:
	s_mov_b64 s[10:11], 0
	s_mov_b64 s[8:9], -1
.LBB55_374:
	s_andn2_b64 vcc, exec, s[10:11]
	s_cbranch_vccnz .LBB55_382
; %bb.375:
	s_cmp_gt_i32 s15, 14
	s_mov_b64 s[10:11], -1
	s_cbranch_scc0 .LBB55_379
; %bb.376:
	s_cmp_eq_u32 s15, 15
	s_mov_b64 s[0:1], -1
	s_cbranch_scc0 .LBB55_378
; %bb.377:
	v_cvt_f32_i32_e32 v0, v1
	s_movk_i32 s0, 0x7fff
	s_mov_b64 s[8:9], -1
	v_bfe_u32 v2, v0, 16, 1
	v_add3_u32 v0, v0, v2, s0
	global_store_short_d16_hi v[3:4], v0, off
	s_mov_b64 s[0:1], 0
.LBB55_378:
	s_mov_b64 s[10:11], 0
.LBB55_379:
	s_and_b64 vcc, exec, s[10:11]
	s_cbranch_vccz .LBB55_382
; %bb.380:
	s_cmp_eq_u32 s15, 11
	s_mov_b64 s[0:1], -1
	s_cbranch_scc0 .LBB55_382
; %bb.381:
	v_cmp_ne_u32_e32 vcc, 0, v1
	v_cndmask_b32_e64 v0, 0, 1, vcc
	s_mov_b64 s[8:9], -1
	s_mov_b64 s[0:1], 0
	global_store_byte v[3:4], v0, off
.LBB55_382:
	s_mov_b64 s[10:11], 0
.LBB55_383:
	s_and_b64 vcc, exec, s[10:11]
	s_cbranch_vccz .LBB55_422
; %bb.384:
	s_and_b32 s10, 0xffff, s14
	s_cmp_lt_i32 s10, 5
	s_mov_b64 s[8:9], -1
	s_cbranch_scc1 .LBB55_405
; %bb.385:
	s_cmp_lt_i32 s10, 8
	s_cbranch_scc1 .LBB55_395
; %bb.386:
	s_cmp_lt_i32 s10, 9
	s_cbranch_scc1 .LBB55_392
; %bb.387:
	s_cmp_gt_i32 s10, 9
	s_cbranch_scc0 .LBB55_389
; %bb.388:
	v_cvt_f64_i32_e32 v[9:10], v1
	v_mov_b32_e32 v11, 0
	v_mov_b32_e32 v12, v11
	s_mov_b64 s[8:9], 0
	global_store_dwordx4 v[3:4], v[9:12], off
.LBB55_389:
	s_andn2_b64 vcc, exec, s[8:9]
	s_cbranch_vccnz .LBB55_391
; %bb.390:
	v_cvt_f32_i32_e32 v5, v1
	v_mov_b32_e32 v6, 0
	global_store_dwordx2 v[3:4], v[5:6], off
.LBB55_391:
	s_mov_b64 s[8:9], 0
.LBB55_392:
	s_andn2_b64 vcc, exec, s[8:9]
	s_cbranch_vccnz .LBB55_394
; %bb.393:
	v_cvt_f32_i32_e32 v0, v1
	v_cvt_f16_f32_e32 v0, v0
	global_store_dword v[3:4], v0, off
.LBB55_394:
	s_mov_b64 s[8:9], 0
.LBB55_395:
	s_andn2_b64 vcc, exec, s[8:9]
	s_cbranch_vccnz .LBB55_404
; %bb.396:
	s_cmp_lt_i32 s10, 6
	s_mov_b64 s[8:9], -1
	s_cbranch_scc1 .LBB55_402
; %bb.397:
	s_cmp_gt_i32 s10, 6
	s_cbranch_scc0 .LBB55_399
; %bb.398:
	v_cvt_f64_i32_e32 v[5:6], v1
	s_mov_b64 s[8:9], 0
	global_store_dwordx2 v[3:4], v[5:6], off
.LBB55_399:
	s_andn2_b64 vcc, exec, s[8:9]
	s_cbranch_vccnz .LBB55_401
; %bb.400:
	v_cvt_f32_i32_e32 v0, v1
	global_store_dword v[3:4], v0, off
.LBB55_401:
	s_mov_b64 s[8:9], 0
.LBB55_402:
	s_andn2_b64 vcc, exec, s[8:9]
	s_cbranch_vccnz .LBB55_404
; %bb.403:
	v_cvt_f32_i32_e32 v0, v1
	v_cvt_f16_f32_e32 v0, v0
	global_store_short v[3:4], v0, off
.LBB55_404:
	s_mov_b64 s[8:9], 0
.LBB55_405:
	s_andn2_b64 vcc, exec, s[8:9]
	s_cbranch_vccnz .LBB55_421
; %bb.406:
	s_cmp_lt_i32 s10, 2
	s_mov_b64 s[8:9], -1
	s_cbranch_scc1 .LBB55_416
; %bb.407:
	s_cmp_lt_i32 s10, 3
	s_cbranch_scc1 .LBB55_413
; %bb.408:
	s_cmp_gt_i32 s10, 3
	s_cbranch_scc0 .LBB55_410
; %bb.409:
	v_ashrrev_i32_e32 v2, 31, v1
	s_mov_b64 s[8:9], 0
	global_store_dwordx2 v[3:4], v[1:2], off
.LBB55_410:
	s_andn2_b64 vcc, exec, s[8:9]
	s_cbranch_vccnz .LBB55_412
; %bb.411:
	global_store_dword v[3:4], v1, off
.LBB55_412:
	s_mov_b64 s[8:9], 0
.LBB55_413:
	s_andn2_b64 vcc, exec, s[8:9]
	s_cbranch_vccnz .LBB55_415
; %bb.414:
	global_store_short v[3:4], v1, off
.LBB55_415:
	s_mov_b64 s[8:9], 0
.LBB55_416:
	s_andn2_b64 vcc, exec, s[8:9]
	s_cbranch_vccnz .LBB55_421
; %bb.417:
	s_cmp_gt_i32 s10, 0
	s_mov_b64 s[8:9], -1
	s_cbranch_scc0 .LBB55_419
; %bb.418:
	s_mov_b64 s[8:9], 0
	global_store_byte v[3:4], v1, off
.LBB55_419:
	s_andn2_b64 vcc, exec, s[8:9]
	s_cbranch_vccnz .LBB55_421
; %bb.420:
	global_store_byte v[3:4], v1, off
.LBB55_421:
	s_mov_b64 s[8:9], -1
.LBB55_422:
	s_andn2_b64 vcc, exec, s[8:9]
	s_cbranch_vccnz .LBB55_424
; %bb.423:
	v_add_u32_e32 v8, 0x80, v8
	s_mov_b64 s[8:9], -1
	s_branch .LBB55_533
.LBB55_424:
	s_mov_b64 s[8:9], 0
	s_branch .LBB55_532
.LBB55_425:
	s_mov_b64 s[2:3], -1
                                        ; implicit-def: $vgpr3
.LBB55_426:
	s_mov_b64 s[8:9], 0
.LBB55_427:
	s_and_b64 vcc, exec, s[8:9]
	s_cbranch_vccz .LBB55_431
; %bb.428:
	s_cmp_eq_u32 s10, 29
	s_cbranch_scc0 .LBB55_430
; %bb.429:
	global_load_dword v3, v[1:2], off
	s_mov_b64 s[0:1], -1
	s_mov_b64 s[2:3], 0
	s_branch .LBB55_431
.LBB55_430:
	s_mov_b64 s[2:3], -1
                                        ; implicit-def: $vgpr3
.LBB55_431:
	s_mov_b64 s[8:9], 0
.LBB55_432:
	s_and_b64 vcc, exec, s[8:9]
	s_cbranch_vccz .LBB55_448
; %bb.433:
	s_cmp_lt_i32 s10, 27
	s_cbranch_scc1 .LBB55_436
; %bb.434:
	s_cmp_gt_i32 s10, 27
	s_cbranch_scc0 .LBB55_437
; %bb.435:
	global_load_dword v3, v[1:2], off
	s_mov_b64 s[0:1], 0
	s_branch .LBB55_438
.LBB55_436:
	s_mov_b64 s[0:1], -1
                                        ; implicit-def: $vgpr3
	s_branch .LBB55_441
.LBB55_437:
	s_mov_b64 s[0:1], -1
                                        ; implicit-def: $vgpr3
.LBB55_438:
	s_andn2_b64 vcc, exec, s[0:1]
	s_cbranch_vccnz .LBB55_440
; %bb.439:
	global_load_ushort v3, v[1:2], off
.LBB55_440:
	s_mov_b64 s[0:1], 0
.LBB55_441:
	s_andn2_b64 vcc, exec, s[0:1]
	s_cbranch_vccnz .LBB55_447
; %bb.442:
	global_load_ubyte v4, v[1:2], off
	s_movk_i32 s0, 0x7f
	s_mov_b64 s[8:9], 0
	s_waitcnt vmcnt(0)
	v_cmp_lt_i16_e32 vcc, s0, v4
	s_and_saveexec_b64 s[0:1], vcc
	s_xor_b64 s[0:1], exec, s[0:1]
	s_cbranch_execz .LBB55_459
; %bb.443:
	s_movk_i32 s8, 0x80
	v_cmp_ne_u16_e32 vcc, s8, v4
	s_and_b64 s[8:9], vcc, exec
	s_andn2_saveexec_b64 s[0:1], s[0:1]
	s_cbranch_execnz .LBB55_460
.LBB55_444:
	s_or_b64 exec, exec, s[0:1]
	v_mov_b32_e32 v3, 0
	s_and_saveexec_b64 s[0:1], s[8:9]
	s_cbranch_execz .LBB55_446
.LBB55_445:
	v_lshlrev_b32_e32 v3, 24, v4
	v_and_b32_e32 v4, 0xffff, v4
	v_and_b32_e32 v5, 7, v4
	v_ffbh_u32_e32 v7, v5
	v_min_u32_e32 v7, 32, v7
	v_subrev_u32_e32 v9, 28, v7
	v_bfe_u32 v6, v4, 3, 4
	v_lshlrev_b32_e32 v4, v9, v4
	v_sub_u32_e32 v7, 29, v7
	v_and_b32_e32 v4, 7, v4
	v_cmp_eq_u32_e32 vcc, 0, v6
	v_cndmask_b32_e32 v6, v6, v7, vcc
	v_cndmask_b32_e32 v4, v5, v4, vcc
	v_mov_b32_e32 v5, 0x3b800000
	v_lshlrev_b32_e32 v4, 20, v4
	v_and_b32_e32 v3, 0x80000000, v3
	v_lshl_add_u32 v5, v6, 23, v5
	v_or3_b32 v3, v3, v5, v4
	v_cvt_i32_f32_e32 v3, v3
.LBB55_446:
	s_or_b64 exec, exec, s[0:1]
.LBB55_447:
	s_mov_b64 s[0:1], -1
.LBB55_448:
	s_mov_b64 s[8:9], 0
.LBB55_449:
	s_and_b64 vcc, exec, s[8:9]
	s_cbranch_vccz .LBB55_482
; %bb.450:
	s_cmp_gt_i32 s10, 22
	s_cbranch_scc0 .LBB55_458
; %bb.451:
	s_cmp_lt_i32 s10, 24
	s_cbranch_scc1 .LBB55_461
; %bb.452:
	s_cmp_gt_i32 s10, 24
	s_cbranch_scc0 .LBB55_462
; %bb.453:
	global_load_ubyte v4, v[1:2], off
	s_movk_i32 s0, 0x7f
	s_mov_b64 s[8:9], 0
	s_waitcnt vmcnt(0)
	v_cmp_lt_i16_e32 vcc, s0, v4
	s_and_saveexec_b64 s[0:1], vcc
	s_xor_b64 s[0:1], exec, s[0:1]
	s_cbranch_execz .LBB55_474
; %bb.454:
	s_movk_i32 s8, 0x80
	v_cmp_ne_u16_e32 vcc, s8, v4
	s_and_b64 s[8:9], vcc, exec
	s_andn2_saveexec_b64 s[0:1], s[0:1]
	s_cbranch_execnz .LBB55_475
.LBB55_455:
	s_or_b64 exec, exec, s[0:1]
	v_mov_b32_e32 v3, 0
	s_and_saveexec_b64 s[0:1], s[8:9]
	s_cbranch_execz .LBB55_457
.LBB55_456:
	v_lshlrev_b32_e32 v3, 24, v4
	v_and_b32_e32 v4, 0xffff, v4
	v_and_b32_e32 v5, 3, v4
	v_ffbh_u32_e32 v7, v5
	v_min_u32_e32 v7, 32, v7
	v_subrev_u32_e32 v9, 29, v7
	v_bfe_u32 v6, v4, 2, 5
	v_lshlrev_b32_e32 v4, v9, v4
	v_sub_u32_e32 v7, 30, v7
	v_and_b32_e32 v4, 3, v4
	v_cmp_eq_u32_e32 vcc, 0, v6
	v_cndmask_b32_e32 v6, v6, v7, vcc
	v_cndmask_b32_e32 v4, v5, v4, vcc
	v_mov_b32_e32 v5, 0x37800000
	v_lshlrev_b32_e32 v4, 21, v4
	v_and_b32_e32 v3, 0x80000000, v3
	v_lshl_add_u32 v5, v6, 23, v5
	v_or3_b32 v3, v3, v5, v4
	v_cvt_i32_f32_e32 v3, v3
.LBB55_457:
	s_or_b64 exec, exec, s[0:1]
	s_mov_b64 s[0:1], 0
	s_branch .LBB55_463
.LBB55_458:
	s_mov_b64 s[8:9], -1
                                        ; implicit-def: $vgpr3
	s_branch .LBB55_469
.LBB55_459:
	s_andn2_saveexec_b64 s[0:1], s[0:1]
	s_cbranch_execz .LBB55_444
.LBB55_460:
	v_cmp_ne_u16_e32 vcc, 0, v4
	s_andn2_b64 s[8:9], s[8:9], exec
	s_and_b64 s[12:13], vcc, exec
	s_or_b64 s[8:9], s[8:9], s[12:13]
	s_or_b64 exec, exec, s[0:1]
	v_mov_b32_e32 v3, 0
	s_and_saveexec_b64 s[0:1], s[8:9]
	s_cbranch_execnz .LBB55_445
	s_branch .LBB55_446
.LBB55_461:
	s_mov_b64 s[0:1], -1
                                        ; implicit-def: $vgpr3
	s_branch .LBB55_466
.LBB55_462:
	s_mov_b64 s[0:1], -1
                                        ; implicit-def: $vgpr3
.LBB55_463:
	s_and_b64 vcc, exec, s[0:1]
	s_cbranch_vccz .LBB55_465
; %bb.464:
	global_load_ubyte v3, v[1:2], off
	s_mov_b32 s0, 0x7f800000
	s_waitcnt vmcnt(0)
	v_lshlrev_b32_e32 v3, 24, v3
	v_and_b32_e32 v4, 0x7f000000, v3
	v_ffbh_u32_e32 v5, v4
	v_min_u32_e32 v5, 32, v5
	v_sub_u32_e64 v5, v5, 4 clamp
	v_lshlrev_b32_e32 v7, v5, v4
	v_lshlrev_b32_e32 v5, 23, v5
	v_lshrrev_b32_e32 v7, 4, v7
	v_add_u32_e32 v6, 0x1000000, v4
	v_sub_u32_e32 v5, v7, v5
	v_ashrrev_i32_e32 v6, 8, v6
	v_add_u32_e32 v5, 0x3c000000, v5
	v_and_or_b32 v5, v6, s0, v5
	v_cmp_ne_u32_e32 vcc, 0, v4
	v_cndmask_b32_e32 v4, 0, v5, vcc
	s_brev_b32 s0, 1
	v_and_or_b32 v3, v3, s0, v4
	v_cvt_i32_f32_e32 v3, v3
.LBB55_465:
	s_mov_b64 s[0:1], 0
.LBB55_466:
	s_andn2_b64 vcc, exec, s[0:1]
	s_cbranch_vccnz .LBB55_468
; %bb.467:
	global_load_ubyte v3, v[1:2], off
	s_movk_i32 s0, 0x7f00
	s_brev_b32 s1, 16
	s_waitcnt vmcnt(0)
	v_lshlrev_b16_e32 v4, 8, v3
	v_lshlrev_b32_e32 v3, 25, v3
	v_lshrrev_b32_e32 v5, 4, v3
	v_and_or_b32 v6, v4, s0, 0.5
	v_or_b32_e32 v5, 0x70000000, v5
	v_add_f32_e32 v6, -0.5, v6
	v_mul_f32_e32 v5, 0x7800000, v5
	v_cmp_gt_u32_e32 vcc, s1, v3
	v_bfe_i32 v4, v4, 0, 16
	v_cndmask_b32_e32 v3, v5, v6, vcc
	s_brev_b32 s0, 1
	v_and_or_b32 v3, v4, s0, v3
	v_cvt_i32_f32_e32 v3, v3
.LBB55_468:
	s_mov_b64 s[8:9], 0
	s_mov_b64 s[0:1], -1
.LBB55_469:
	s_andn2_b64 vcc, exec, s[8:9]
	s_cbranch_vccnz .LBB55_482
; %bb.470:
	s_cmp_gt_i32 s10, 14
	s_cbranch_scc0 .LBB55_473
; %bb.471:
	s_cmp_eq_u32 s10, 15
	s_cbranch_scc0 .LBB55_476
; %bb.472:
	global_load_ushort v3, v[1:2], off
	s_mov_b64 s[0:1], -1
	s_mov_b64 s[2:3], 0
	s_waitcnt vmcnt(0)
	v_lshlrev_b32_e32 v3, 16, v3
	v_cvt_i32_f32_e32 v3, v3
	s_branch .LBB55_477
.LBB55_473:
	s_mov_b64 s[8:9], -1
                                        ; implicit-def: $vgpr3
	s_branch .LBB55_478
.LBB55_474:
	s_andn2_saveexec_b64 s[0:1], s[0:1]
	s_cbranch_execz .LBB55_455
.LBB55_475:
	v_cmp_ne_u16_e32 vcc, 0, v4
	s_andn2_b64 s[8:9], s[8:9], exec
	s_and_b64 s[12:13], vcc, exec
	s_or_b64 s[8:9], s[8:9], s[12:13]
	s_or_b64 exec, exec, s[0:1]
	v_mov_b32_e32 v3, 0
	s_and_saveexec_b64 s[0:1], s[8:9]
	s_cbranch_execnz .LBB55_456
	s_branch .LBB55_457
.LBB55_476:
	s_mov_b64 s[2:3], -1
                                        ; implicit-def: $vgpr3
.LBB55_477:
	s_mov_b64 s[8:9], 0
.LBB55_478:
	s_and_b64 vcc, exec, s[8:9]
	s_cbranch_vccz .LBB55_482
; %bb.479:
	s_cmp_eq_u32 s10, 11
	s_cbranch_scc0 .LBB55_481
; %bb.480:
	global_load_ubyte v3, v[1:2], off
	s_mov_b64 s[0:1], -1
	s_mov_b64 s[2:3], 0
	s_waitcnt vmcnt(0)
	v_cmp_ne_u16_e32 vcc, 0, v3
	v_cndmask_b32_e64 v3, 0, 1, vcc
	s_branch .LBB55_482
.LBB55_481:
	s_mov_b64 s[2:3], -1
                                        ; implicit-def: $vgpr3
.LBB55_482:
	s_branch .LBB55_289
.LBB55_483:
	s_cmp_lt_i32 s10, 5
	s_cbranch_scc1 .LBB55_488
; %bb.484:
	s_cmp_lt_i32 s10, 8
	s_cbranch_scc1 .LBB55_489
; %bb.485:
	;; [unrolled: 3-line block ×3, first 2 shown]
	s_cmp_gt_i32 s10, 9
	s_cbranch_scc0 .LBB55_491
; %bb.487:
	global_load_dwordx2 v[3:4], v[1:2], off
	s_mov_b64 s[0:1], 0
	s_waitcnt vmcnt(0)
	v_cvt_i32_f64_e32 v3, v[3:4]
	s_branch .LBB55_492
.LBB55_488:
	s_mov_b64 s[0:1], -1
                                        ; implicit-def: $vgpr3
	s_branch .LBB55_510
.LBB55_489:
	s_mov_b64 s[0:1], -1
                                        ; implicit-def: $vgpr3
	s_branch .LBB55_498
.LBB55_490:
	s_mov_b64 s[0:1], -1
                                        ; implicit-def: $vgpr3
	s_branch .LBB55_495
.LBB55_491:
	s_mov_b64 s[0:1], -1
                                        ; implicit-def: $vgpr3
.LBB55_492:
	s_andn2_b64 vcc, exec, s[0:1]
	s_cbranch_vccnz .LBB55_494
; %bb.493:
	global_load_dword v3, v[1:2], off
	s_waitcnt vmcnt(0)
	v_cvt_i32_f32_e32 v3, v3
.LBB55_494:
	s_mov_b64 s[0:1], 0
.LBB55_495:
	s_andn2_b64 vcc, exec, s[0:1]
	s_cbranch_vccnz .LBB55_497
; %bb.496:
	global_load_dword v3, v[1:2], off
	s_waitcnt vmcnt(0)
	v_cvt_f32_f16_e32 v3, v3
	v_cvt_i32_f32_e32 v3, v3
.LBB55_497:
	s_mov_b64 s[0:1], 0
.LBB55_498:
	s_andn2_b64 vcc, exec, s[0:1]
	s_cbranch_vccnz .LBB55_509
; %bb.499:
	s_cmp_lt_i32 s10, 6
	s_cbranch_scc1 .LBB55_502
; %bb.500:
	s_cmp_gt_i32 s10, 6
	s_cbranch_scc0 .LBB55_503
; %bb.501:
	global_load_dwordx2 v[3:4], v[1:2], off
	s_mov_b64 s[0:1], 0
	s_waitcnt vmcnt(0)
	v_cvt_i32_f64_e32 v3, v[3:4]
	s_branch .LBB55_504
.LBB55_502:
	s_mov_b64 s[0:1], -1
                                        ; implicit-def: $vgpr3
	s_branch .LBB55_507
.LBB55_503:
	s_mov_b64 s[0:1], -1
                                        ; implicit-def: $vgpr3
.LBB55_504:
	s_andn2_b64 vcc, exec, s[0:1]
	s_cbranch_vccnz .LBB55_506
; %bb.505:
	global_load_dword v3, v[1:2], off
	s_waitcnt vmcnt(0)
	v_cvt_i32_f32_e32 v3, v3
.LBB55_506:
	s_mov_b64 s[0:1], 0
.LBB55_507:
	s_andn2_b64 vcc, exec, s[0:1]
	s_cbranch_vccnz .LBB55_509
; %bb.508:
	global_load_ushort v3, v[1:2], off
	s_waitcnt vmcnt(0)
	v_cvt_f32_f16_e32 v3, v3
	v_cvt_i32_f32_e32 v3, v3
.LBB55_509:
	s_mov_b64 s[0:1], 0
.LBB55_510:
	s_andn2_b64 vcc, exec, s[0:1]
	s_cbranch_vccnz .LBB55_530
; %bb.511:
	s_cmp_lt_i32 s10, 2
	s_cbranch_scc1 .LBB55_515
; %bb.512:
	s_cmp_lt_i32 s10, 3
	s_cbranch_scc1 .LBB55_516
; %bb.513:
	s_cmp_gt_i32 s10, 3
	s_cbranch_scc0 .LBB55_517
; %bb.514:
	global_load_dword v3, v[1:2], off
	s_mov_b64 s[0:1], 0
	s_branch .LBB55_518
.LBB55_515:
	s_mov_b64 s[0:1], -1
                                        ; implicit-def: $vgpr3
	s_branch .LBB55_524
.LBB55_516:
	s_mov_b64 s[0:1], -1
                                        ; implicit-def: $vgpr3
	s_branch .LBB55_521
.LBB55_517:
	s_mov_b64 s[0:1], -1
                                        ; implicit-def: $vgpr3
.LBB55_518:
	s_andn2_b64 vcc, exec, s[0:1]
	s_cbranch_vccnz .LBB55_520
; %bb.519:
	global_load_dword v3, v[1:2], off
.LBB55_520:
	s_mov_b64 s[0:1], 0
.LBB55_521:
	s_andn2_b64 vcc, exec, s[0:1]
	s_cbranch_vccnz .LBB55_523
; %bb.522:
	global_load_sshort v3, v[1:2], off
.LBB55_523:
	s_mov_b64 s[0:1], 0
.LBB55_524:
	s_andn2_b64 vcc, exec, s[0:1]
	s_cbranch_vccnz .LBB55_530
; %bb.525:
	s_cmp_gt_i32 s10, 0
	s_cbranch_scc0 .LBB55_527
; %bb.526:
	global_load_sbyte v3, v[1:2], off
	s_mov_b64 s[0:1], 0
	s_branch .LBB55_528
.LBB55_527:
	s_mov_b64 s[0:1], -1
                                        ; implicit-def: $vgpr3
.LBB55_528:
	s_andn2_b64 vcc, exec, s[0:1]
	s_cbranch_vccnz .LBB55_530
; %bb.529:
	global_load_ubyte v3, v[1:2], off
.LBB55_530:
	s_branch .LBB55_290
.LBB55_531:
	s_mov_b64 s[8:9], 0
	s_mov_b64 s[0:1], s[54:55]
.LBB55_532:
                                        ; implicit-def: $vgpr8
.LBB55_533:
	s_andn2_b64 s[10:11], s[54:55], exec
	s_and_b64 s[0:1], s[0:1], exec
	s_or_b64 s[62:63], s[10:11], s[0:1]
	s_andn2_b64 s[0:1], s[56:57], exec
	s_and_b64 s[2:3], s[2:3], exec
	s_or_b64 s[60:61], s[0:1], s[2:3]
	s_orn2_b64 s[0:1], s[8:9], exec
.LBB55_534:
	s_or_b64 exec, exec, s[64:65]
	s_mov_b64 s[2:3], 0
	s_mov_b64 s[8:9], 0
	;; [unrolled: 1-line block ×3, first 2 shown]
                                        ; implicit-def: $vgpr1_vgpr2
                                        ; implicit-def: $vgpr0
                                        ; implicit-def: $vgpr5
	s_and_saveexec_b64 s[64:65], s[0:1]
	s_cbranch_execz .LBB55_901
; %bb.535:
	v_cmp_gt_i32_e32 vcc, s72, v8
	s_mov_b64 s[2:3], -1
	s_mov_b64 s[68:69], s[60:61]
	s_mov_b64 s[70:71], s[62:63]
	s_and_saveexec_b64 s[66:67], vcc
	s_cbranch_execz .LBB55_805
; %bb.536:
	s_andn2_b64 vcc, exec, s[40:41]
	s_cbranch_vccnz .LBB55_541
; %bb.537:
	s_andn2_b64 vcc, exec, s[52:53]
	s_cbranch_vccnz .LBB55_542
; %bb.538:
	s_add_i32 s77, s76, 1
	s_cmp_eq_u32 s74, 2
	s_cbranch_scc1 .LBB55_543
; %bb.539:
	s_and_b32 s73, s77, 28
	v_mov_b32_e32 v2, 0
	s_mov_b32 s78, 0
	s_mov_b64 s[68:69], s[34:35]
	s_mov_b64 s[70:71], s[50:51]
	v_mov_b32_e32 v0, 0
	v_mov_b32_e32 v1, v8
.LBB55_540:                             ; =>This Inner Loop Header: Depth=1
	s_load_dwordx8 s[16:23], s[68:69], 0x4
	s_load_dwordx4 s[0:3], s[68:69], 0x24
	s_load_dwordx8 s[8:15], s[70:71], 0x0
	s_add_u32 s68, s68, 48
	s_addc_u32 s69, s69, 0
	s_waitcnt vmcnt(0) lgkmcnt(0)
	v_mul_hi_u32 v3, s17, v1
	s_add_i32 s78, s78, 4
	s_add_u32 s70, s70, 32
	s_addc_u32 s71, s71, 0
	v_add_u32_e32 v3, v1, v3
	v_lshrrev_b32_e32 v3, s18, v3
	v_mul_lo_u32 v4, v3, s16
	v_mul_hi_u32 v5, s20, v3
	s_cmp_eq_u32 s73, s78
	v_sub_u32_e32 v1, v1, v4
	v_add_u32_e32 v4, v3, v5
	v_mul_lo_u32 v5, v1, s8
	v_mul_lo_u32 v6, v1, s9
	v_lshrrev_b32_e32 v1, s21, v4
	v_mul_lo_u32 v4, v1, s19
	v_mul_hi_u32 v7, s23, v1
	v_sub_u32_e32 v3, v3, v4
	v_add_u32_e32 v4, v1, v7
	v_lshrrev_b32_e32 v4, s0, v4
	v_mul_hi_u32 v9, s2, v4
	v_mul_lo_u32 v10, v4, s22
	v_mul_lo_u32 v7, v3, s10
	;; [unrolled: 1-line block ×3, first 2 shown]
	v_sub_u32_e32 v10, v1, v10
	v_add_u32_e32 v1, v4, v9
	v_lshrrev_b32_e32 v1, s3, v1
	v_mul_lo_u32 v9, v1, s1
	v_mul_lo_u32 v11, v10, s12
	;; [unrolled: 1-line block ×3, first 2 shown]
	v_add3_u32 v0, v5, v0, v7
	v_sub_u32_e32 v4, v4, v9
	v_mul_lo_u32 v9, v4, s14
	v_mul_lo_u32 v4, v4, s15
	v_add3_u32 v2, v6, v2, v3
	v_add3_u32 v0, v11, v0, v9
	v_add3_u32 v2, v10, v2, v4
	s_cbranch_scc0 .LBB55_540
	s_branch .LBB55_544
.LBB55_541:
	s_mov_b64 s[0:1], -1
                                        ; implicit-def: $vgpr0
                                        ; implicit-def: $vgpr2
	s_branch .LBB55_548
.LBB55_542:
	v_mov_b32_e32 v0, 0
	v_mov_b32_e32 v2, 0
	s_branch .LBB55_547
.LBB55_543:
	s_mov_b32 s73, 0
	v_mov_b32_e32 v0, 0
	v_mov_b32_e32 v2, 0
	v_mov_b32_e32 v1, v8
.LBB55_544:
	s_and_b32 s8, s77, 3
	s_cmp_eq_u32 s8, 0
	s_cbranch_scc1 .LBB55_547
; %bb.545:
	s_lshl_b32 s0, s73, 3
	s_add_u32 s0, s34, s0
	s_addc_u32 s1, s35, 0
	s_add_u32 s0, s0, 0xc4
	s_addc_u32 s1, s1, 0
	s_mul_i32 s2, s73, 12
	s_add_u32 s2, s34, s2
	s_addc_u32 s3, s35, 0
.LBB55_546:                             ; =>This Inner Loop Header: Depth=1
	s_load_dwordx2 s[10:11], s[2:3], 0x4
	s_load_dword s9, s[2:3], 0xc
	s_load_dwordx2 s[12:13], s[0:1], 0x0
	s_add_u32 s2, s2, 12
	s_addc_u32 s3, s3, 0
	s_waitcnt vmcnt(0) lgkmcnt(0)
	v_mul_hi_u32 v3, s11, v1
	s_add_u32 s0, s0, 8
	s_addc_u32 s1, s1, 0
	s_add_i32 s8, s8, -1
	v_add_u32_e32 v3, v1, v3
	v_lshrrev_b32_e32 v4, s9, v3
	v_mul_lo_u32 v3, v4, s10
	s_cmp_lg_u32 s8, 0
	v_sub_u32_e32 v3, v1, v3
	v_mad_u64_u32 v[0:1], s[10:11], v3, s12, v[0:1]
	v_mad_u64_u32 v[2:3], s[10:11], v3, s13, v[2:3]
	v_mov_b32_e32 v1, v4
	s_cbranch_scc1 .LBB55_546
.LBB55_547:
	s_mov_b64 s[0:1], 0
.LBB55_548:
	s_andn2_b64 vcc, exec, s[0:1]
	s_cbranch_vccnz .LBB55_551
; %bb.549:
	v_mul_hi_u32 v0, s29, v8
	s_andn2_b64 vcc, exec, s[48:49]
	v_add_u32_e32 v0, v8, v0
	v_lshrrev_b32_e32 v1, s30, v0
	v_mul_lo_u32 v0, v1, s28
	v_sub_u32_e32 v2, v8, v0
	v_mul_lo_u32 v0, v2, s36
	v_mul_lo_u32 v2, v2, s37
	s_cbranch_vccnz .LBB55_551
; %bb.550:
	s_waitcnt vmcnt(0)
	v_mul_hi_u32 v3, s46, v1
	v_add_u32_e32 v3, v1, v3
	v_lshrrev_b32_e32 v3, s47, v3
	v_mul_lo_u32 v3, v3, s31
	v_sub_u32_e32 v3, v1, v3
	v_mad_u64_u32 v[0:1], s[0:1], v3, s38, v[0:1]
	v_mad_u64_u32 v[2:3], s[0:1], v3, s39, v[2:3]
.LBB55_551:
	s_waitcnt vmcnt(0)
	v_mov_b32_e32 v3, s27
	s_and_b32 s10, 0xffff, s75
	v_add_co_u32_e32 v1, vcc, s26, v2
	s_cmp_lt_i32 s10, 11
	v_addc_co_u32_e32 v2, vcc, 0, v3, vcc
	s_cbranch_scc1 .LBB55_558
; %bb.552:
	s_cmp_gt_i32 s10, 25
	s_cbranch_scc0 .LBB55_559
; %bb.553:
	s_cmp_gt_i32 s10, 28
	s_cbranch_scc0 .LBB55_560
	;; [unrolled: 3-line block ×4, first 2 shown]
; %bb.556:
	s_cmp_eq_u32 s10, 46
	s_mov_b64 s[8:9], 0
	s_cbranch_scc0 .LBB55_567
; %bb.557:
	global_load_dword v3, v[1:2], off
	s_mov_b64 s[0:1], -1
	s_mov_b64 s[2:3], 0
	s_waitcnt vmcnt(0)
	v_lshlrev_b32_e32 v3, 16, v3
	v_cvt_i32_f32_e32 v3, v3
	s_branch .LBB55_568
.LBB55_558:
	s_mov_b64 s[8:9], -1
	s_mov_b64 s[0:1], 0
                                        ; implicit-def: $vgpr3
	s_mov_b64 s[2:3], s[60:61]
	s_branch .LBB55_629
.LBB55_559:
	s_mov_b64 s[8:9], -1
	s_mov_b64 s[0:1], 0
	s_mov_b64 s[2:3], s[60:61]
                                        ; implicit-def: $vgpr3
	s_branch .LBB55_595
.LBB55_560:
	s_mov_b64 s[8:9], -1
	s_mov_b64 s[0:1], 0
	s_mov_b64 s[2:3], s[60:61]
                                        ; implicit-def: $vgpr3
	s_branch .LBB55_578
.LBB55_561:
	s_mov_b64 s[8:9], -1
	s_mov_b64 s[0:1], 0
	s_mov_b64 s[2:3], s[60:61]
                                        ; implicit-def: $vgpr3
	s_branch .LBB55_573
.LBB55_562:
	s_andn2_saveexec_b64 s[12:13], s[12:13]
	s_cbranch_execz .LBB55_335
.LBB55_563:
	s_mov_b32 s16, 0x46000000
	v_add_f32_e64 v2, |v0|, s16
	v_and_b32_e32 v2, 0xff, v2
	v_cmp_ne_u32_e32 vcc, 0, v2
	s_andn2_b64 s[10:11], s[10:11], exec
	s_and_b64 s[16:17], vcc, exec
	s_or_b64 s[10:11], s[10:11], s[16:17]
	s_or_b64 exec, exec, s[12:13]
	v_mov_b32_e32 v5, 0
	s_and_saveexec_b64 s[12:13], s[10:11]
	s_cbranch_execnz .LBB55_336
	s_branch .LBB55_337
.LBB55_564:
	s_mov_b64 s[8:9], -1
	s_mov_b64 s[0:1], 0
	s_mov_b64 s[2:3], s[60:61]
                                        ; implicit-def: $vgpr3
	s_branch .LBB55_568
.LBB55_565:
	s_andn2_saveexec_b64 s[12:13], s[12:13]
	s_cbranch_execz .LBB55_348
.LBB55_566:
	s_mov_b32 s16, 0x42800000
	v_add_f32_e64 v2, |v0|, s16
	v_and_b32_e32 v2, 0xff, v2
	v_cmp_ne_u32_e32 vcc, 0, v2
	s_andn2_b64 s[10:11], s[10:11], exec
	s_and_b64 s[16:17], vcc, exec
	s_or_b64 s[10:11], s[10:11], s[16:17]
	s_or_b64 exec, exec, s[12:13]
	v_mov_b32_e32 v5, 0
	s_and_saveexec_b64 s[12:13], s[10:11]
	s_cbranch_execnz .LBB55_349
	s_branch .LBB55_350
.LBB55_567:
	s_mov_b64 s[2:3], -1
                                        ; implicit-def: $vgpr3
	s_mov_b64 s[0:1], 0
.LBB55_568:
	s_and_b64 vcc, exec, s[8:9]
	s_cbranch_vccz .LBB55_572
; %bb.569:
	s_cmp_eq_u32 s10, 44
	s_cbranch_scc0 .LBB55_571
; %bb.570:
	global_load_ubyte v3, v[1:2], off
	s_mov_b64 s[0:1], -1
	s_mov_b64 s[2:3], 0
	s_waitcnt vmcnt(0)
	v_lshlrev_b32_e32 v4, 23, v3
	v_cvt_i32_f32_e32 v4, v4
	v_cmp_ne_u32_e32 vcc, 0, v3
	v_cndmask_b32_e32 v3, 0, v4, vcc
	s_branch .LBB55_572
.LBB55_571:
	s_mov_b64 s[2:3], -1
                                        ; implicit-def: $vgpr3
.LBB55_572:
	s_mov_b64 s[8:9], 0
.LBB55_573:
	s_and_b64 vcc, exec, s[8:9]
	s_cbranch_vccz .LBB55_577
; %bb.574:
	s_cmp_eq_u32 s10, 29
	s_cbranch_scc0 .LBB55_576
; %bb.575:
	global_load_dword v3, v[1:2], off
	s_mov_b64 s[0:1], -1
	s_mov_b64 s[2:3], 0
	s_branch .LBB55_577
.LBB55_576:
	s_mov_b64 s[2:3], -1
                                        ; implicit-def: $vgpr3
.LBB55_577:
	s_mov_b64 s[8:9], 0
.LBB55_578:
	s_and_b64 vcc, exec, s[8:9]
	s_cbranch_vccz .LBB55_594
; %bb.579:
	s_cmp_lt_i32 s10, 27
	s_cbranch_scc1 .LBB55_582
; %bb.580:
	s_cmp_gt_i32 s10, 27
	s_cbranch_scc0 .LBB55_583
; %bb.581:
	global_load_dword v3, v[1:2], off
	s_mov_b64 s[0:1], 0
	s_branch .LBB55_584
.LBB55_582:
	s_mov_b64 s[0:1], -1
                                        ; implicit-def: $vgpr3
	s_branch .LBB55_587
.LBB55_583:
	s_mov_b64 s[0:1], -1
                                        ; implicit-def: $vgpr3
.LBB55_584:
	s_andn2_b64 vcc, exec, s[0:1]
	s_cbranch_vccnz .LBB55_586
; %bb.585:
	global_load_ushort v3, v[1:2], off
.LBB55_586:
	s_mov_b64 s[0:1], 0
.LBB55_587:
	s_andn2_b64 vcc, exec, s[0:1]
	s_cbranch_vccnz .LBB55_593
; %bb.588:
	global_load_ubyte v4, v[1:2], off
	s_movk_i32 s0, 0x7f
	s_mov_b64 s[8:9], 0
	s_waitcnt vmcnt(0)
	v_cmp_lt_i16_e32 vcc, s0, v4
	s_and_saveexec_b64 s[0:1], vcc
	s_xor_b64 s[0:1], exec, s[0:1]
	s_cbranch_execz .LBB55_605
; %bb.589:
	s_movk_i32 s8, 0x80
	v_cmp_ne_u16_e32 vcc, s8, v4
	s_and_b64 s[8:9], vcc, exec
	s_andn2_saveexec_b64 s[0:1], s[0:1]
	s_cbranch_execnz .LBB55_606
.LBB55_590:
	s_or_b64 exec, exec, s[0:1]
	v_mov_b32_e32 v3, 0
	s_and_saveexec_b64 s[0:1], s[8:9]
	s_cbranch_execz .LBB55_592
.LBB55_591:
	v_lshlrev_b32_e32 v3, 24, v4
	v_and_b32_e32 v4, 0xffff, v4
	v_and_b32_e32 v5, 7, v4
	v_ffbh_u32_e32 v7, v5
	v_min_u32_e32 v7, 32, v7
	v_subrev_u32_e32 v9, 28, v7
	v_bfe_u32 v6, v4, 3, 4
	v_lshlrev_b32_e32 v4, v9, v4
	v_sub_u32_e32 v7, 29, v7
	v_and_b32_e32 v4, 7, v4
	v_cmp_eq_u32_e32 vcc, 0, v6
	v_cndmask_b32_e32 v6, v6, v7, vcc
	v_cndmask_b32_e32 v4, v5, v4, vcc
	v_mov_b32_e32 v5, 0x3b800000
	v_lshlrev_b32_e32 v4, 20, v4
	v_and_b32_e32 v3, 0x80000000, v3
	v_lshl_add_u32 v5, v6, 23, v5
	v_or3_b32 v3, v3, v5, v4
	v_cvt_i32_f32_e32 v3, v3
.LBB55_592:
	s_or_b64 exec, exec, s[0:1]
.LBB55_593:
	s_mov_b64 s[0:1], -1
.LBB55_594:
	s_mov_b64 s[8:9], 0
.LBB55_595:
	s_and_b64 vcc, exec, s[8:9]
	s_cbranch_vccz .LBB55_628
; %bb.596:
	s_cmp_gt_i32 s10, 22
	s_cbranch_scc0 .LBB55_604
; %bb.597:
	s_cmp_lt_i32 s10, 24
	s_cbranch_scc1 .LBB55_607
; %bb.598:
	s_cmp_gt_i32 s10, 24
	s_cbranch_scc0 .LBB55_608
; %bb.599:
	global_load_ubyte v4, v[1:2], off
	s_movk_i32 s0, 0x7f
	s_mov_b64 s[8:9], 0
	s_waitcnt vmcnt(0)
	v_cmp_lt_i16_e32 vcc, s0, v4
	s_and_saveexec_b64 s[0:1], vcc
	s_xor_b64 s[0:1], exec, s[0:1]
	s_cbranch_execz .LBB55_620
; %bb.600:
	s_movk_i32 s8, 0x80
	v_cmp_ne_u16_e32 vcc, s8, v4
	s_and_b64 s[8:9], vcc, exec
	s_andn2_saveexec_b64 s[0:1], s[0:1]
	s_cbranch_execnz .LBB55_621
.LBB55_601:
	s_or_b64 exec, exec, s[0:1]
	v_mov_b32_e32 v3, 0
	s_and_saveexec_b64 s[0:1], s[8:9]
	s_cbranch_execz .LBB55_603
.LBB55_602:
	v_lshlrev_b32_e32 v3, 24, v4
	v_and_b32_e32 v4, 0xffff, v4
	v_and_b32_e32 v5, 3, v4
	v_ffbh_u32_e32 v7, v5
	v_min_u32_e32 v7, 32, v7
	v_subrev_u32_e32 v9, 29, v7
	v_bfe_u32 v6, v4, 2, 5
	v_lshlrev_b32_e32 v4, v9, v4
	v_sub_u32_e32 v7, 30, v7
	v_and_b32_e32 v4, 3, v4
	v_cmp_eq_u32_e32 vcc, 0, v6
	v_cndmask_b32_e32 v6, v6, v7, vcc
	v_cndmask_b32_e32 v4, v5, v4, vcc
	v_mov_b32_e32 v5, 0x37800000
	v_lshlrev_b32_e32 v4, 21, v4
	v_and_b32_e32 v3, 0x80000000, v3
	v_lshl_add_u32 v5, v6, 23, v5
	v_or3_b32 v3, v3, v5, v4
	v_cvt_i32_f32_e32 v3, v3
.LBB55_603:
	s_or_b64 exec, exec, s[0:1]
	s_mov_b64 s[0:1], 0
	s_branch .LBB55_609
.LBB55_604:
	s_mov_b64 s[8:9], -1
                                        ; implicit-def: $vgpr3
	s_branch .LBB55_615
.LBB55_605:
	s_andn2_saveexec_b64 s[0:1], s[0:1]
	s_cbranch_execz .LBB55_590
.LBB55_606:
	v_cmp_ne_u16_e32 vcc, 0, v4
	s_andn2_b64 s[8:9], s[8:9], exec
	s_and_b64 s[12:13], vcc, exec
	s_or_b64 s[8:9], s[8:9], s[12:13]
	s_or_b64 exec, exec, s[0:1]
	v_mov_b32_e32 v3, 0
	s_and_saveexec_b64 s[0:1], s[8:9]
	s_cbranch_execnz .LBB55_591
	s_branch .LBB55_592
.LBB55_607:
	s_mov_b64 s[0:1], -1
                                        ; implicit-def: $vgpr3
	s_branch .LBB55_612
.LBB55_608:
	s_mov_b64 s[0:1], -1
                                        ; implicit-def: $vgpr3
.LBB55_609:
	s_and_b64 vcc, exec, s[0:1]
	s_cbranch_vccz .LBB55_611
; %bb.610:
	global_load_ubyte v3, v[1:2], off
	s_mov_b32 s0, 0x7f800000
	s_waitcnt vmcnt(0)
	v_lshlrev_b32_e32 v3, 24, v3
	v_and_b32_e32 v4, 0x7f000000, v3
	v_ffbh_u32_e32 v5, v4
	v_min_u32_e32 v5, 32, v5
	v_sub_u32_e64 v5, v5, 4 clamp
	v_lshlrev_b32_e32 v7, v5, v4
	v_lshlrev_b32_e32 v5, 23, v5
	v_lshrrev_b32_e32 v7, 4, v7
	v_add_u32_e32 v6, 0x1000000, v4
	v_sub_u32_e32 v5, v7, v5
	v_ashrrev_i32_e32 v6, 8, v6
	v_add_u32_e32 v5, 0x3c000000, v5
	v_and_or_b32 v5, v6, s0, v5
	v_cmp_ne_u32_e32 vcc, 0, v4
	v_cndmask_b32_e32 v4, 0, v5, vcc
	s_brev_b32 s0, 1
	v_and_or_b32 v3, v3, s0, v4
	v_cvt_i32_f32_e32 v3, v3
.LBB55_611:
	s_mov_b64 s[0:1], 0
.LBB55_612:
	s_andn2_b64 vcc, exec, s[0:1]
	s_cbranch_vccnz .LBB55_614
; %bb.613:
	global_load_ubyte v3, v[1:2], off
	s_movk_i32 s0, 0x7f00
	s_brev_b32 s1, 16
	s_waitcnt vmcnt(0)
	v_lshlrev_b16_e32 v4, 8, v3
	v_lshlrev_b32_e32 v3, 25, v3
	v_lshrrev_b32_e32 v5, 4, v3
	v_and_or_b32 v6, v4, s0, 0.5
	v_or_b32_e32 v5, 0x70000000, v5
	v_add_f32_e32 v6, -0.5, v6
	v_mul_f32_e32 v5, 0x7800000, v5
	v_cmp_gt_u32_e32 vcc, s1, v3
	v_bfe_i32 v4, v4, 0, 16
	v_cndmask_b32_e32 v3, v5, v6, vcc
	s_brev_b32 s0, 1
	v_and_or_b32 v3, v4, s0, v3
	v_cvt_i32_f32_e32 v3, v3
.LBB55_614:
	s_mov_b64 s[8:9], 0
	s_mov_b64 s[0:1], -1
.LBB55_615:
	s_andn2_b64 vcc, exec, s[8:9]
	s_cbranch_vccnz .LBB55_628
; %bb.616:
	s_cmp_gt_i32 s10, 14
	s_cbranch_scc0 .LBB55_619
; %bb.617:
	s_cmp_eq_u32 s10, 15
	s_cbranch_scc0 .LBB55_622
; %bb.618:
	global_load_ushort v3, v[1:2], off
	s_mov_b64 s[0:1], -1
	s_mov_b64 s[2:3], 0
	s_waitcnt vmcnt(0)
	v_lshlrev_b32_e32 v3, 16, v3
	v_cvt_i32_f32_e32 v3, v3
	s_branch .LBB55_623
.LBB55_619:
	s_mov_b64 s[8:9], -1
                                        ; implicit-def: $vgpr3
	s_branch .LBB55_624
.LBB55_620:
	s_andn2_saveexec_b64 s[0:1], s[0:1]
	s_cbranch_execz .LBB55_601
.LBB55_621:
	v_cmp_ne_u16_e32 vcc, 0, v4
	s_andn2_b64 s[8:9], s[8:9], exec
	s_and_b64 s[12:13], vcc, exec
	s_or_b64 s[8:9], s[8:9], s[12:13]
	s_or_b64 exec, exec, s[0:1]
	v_mov_b32_e32 v3, 0
	s_and_saveexec_b64 s[0:1], s[8:9]
	s_cbranch_execnz .LBB55_602
	s_branch .LBB55_603
.LBB55_622:
	s_mov_b64 s[2:3], -1
                                        ; implicit-def: $vgpr3
.LBB55_623:
	s_mov_b64 s[8:9], 0
.LBB55_624:
	s_and_b64 vcc, exec, s[8:9]
	s_cbranch_vccz .LBB55_628
; %bb.625:
	s_cmp_eq_u32 s10, 11
	s_cbranch_scc0 .LBB55_627
; %bb.626:
	global_load_ubyte v3, v[1:2], off
	s_mov_b64 s[0:1], -1
	s_mov_b64 s[2:3], 0
	s_waitcnt vmcnt(0)
	v_cmp_ne_u16_e32 vcc, 0, v3
	v_cndmask_b32_e64 v3, 0, 1, vcc
	s_branch .LBB55_628
.LBB55_627:
	s_mov_b64 s[2:3], -1
                                        ; implicit-def: $vgpr3
.LBB55_628:
	s_mov_b64 s[8:9], 0
.LBB55_629:
	s_and_b64 vcc, exec, s[8:9]
	s_cbranch_vccz .LBB55_678
; %bb.630:
	s_cmp_lt_i32 s10, 5
	s_cbranch_scc1 .LBB55_635
; %bb.631:
	s_cmp_lt_i32 s10, 8
	s_cbranch_scc1 .LBB55_636
	;; [unrolled: 3-line block ×3, first 2 shown]
; %bb.633:
	s_cmp_gt_i32 s10, 9
	s_cbranch_scc0 .LBB55_638
; %bb.634:
	global_load_dwordx2 v[3:4], v[1:2], off
	s_mov_b64 s[0:1], 0
	s_waitcnt vmcnt(0)
	v_cvt_i32_f64_e32 v3, v[3:4]
	s_branch .LBB55_639
.LBB55_635:
	s_mov_b64 s[0:1], -1
                                        ; implicit-def: $vgpr3
	s_branch .LBB55_657
.LBB55_636:
	s_mov_b64 s[0:1], -1
                                        ; implicit-def: $vgpr3
	s_branch .LBB55_645
.LBB55_637:
	s_mov_b64 s[0:1], -1
                                        ; implicit-def: $vgpr3
	s_branch .LBB55_642
.LBB55_638:
	s_mov_b64 s[0:1], -1
                                        ; implicit-def: $vgpr3
.LBB55_639:
	s_andn2_b64 vcc, exec, s[0:1]
	s_cbranch_vccnz .LBB55_641
; %bb.640:
	global_load_dword v3, v[1:2], off
	s_waitcnt vmcnt(0)
	v_cvt_i32_f32_e32 v3, v3
.LBB55_641:
	s_mov_b64 s[0:1], 0
.LBB55_642:
	s_andn2_b64 vcc, exec, s[0:1]
	s_cbranch_vccnz .LBB55_644
; %bb.643:
	global_load_dword v3, v[1:2], off
	s_waitcnt vmcnt(0)
	v_cvt_f32_f16_e32 v3, v3
	v_cvt_i32_f32_e32 v3, v3
.LBB55_644:
	s_mov_b64 s[0:1], 0
.LBB55_645:
	s_andn2_b64 vcc, exec, s[0:1]
	s_cbranch_vccnz .LBB55_656
; %bb.646:
	s_cmp_lt_i32 s10, 6
	s_cbranch_scc1 .LBB55_649
; %bb.647:
	s_cmp_gt_i32 s10, 6
	s_cbranch_scc0 .LBB55_650
; %bb.648:
	global_load_dwordx2 v[3:4], v[1:2], off
	s_mov_b64 s[0:1], 0
	s_waitcnt vmcnt(0)
	v_cvt_i32_f64_e32 v3, v[3:4]
	s_branch .LBB55_651
.LBB55_649:
	s_mov_b64 s[0:1], -1
                                        ; implicit-def: $vgpr3
	s_branch .LBB55_654
.LBB55_650:
	s_mov_b64 s[0:1], -1
                                        ; implicit-def: $vgpr3
.LBB55_651:
	s_andn2_b64 vcc, exec, s[0:1]
	s_cbranch_vccnz .LBB55_653
; %bb.652:
	global_load_dword v3, v[1:2], off
	s_waitcnt vmcnt(0)
	v_cvt_i32_f32_e32 v3, v3
.LBB55_653:
	s_mov_b64 s[0:1], 0
.LBB55_654:
	s_andn2_b64 vcc, exec, s[0:1]
	s_cbranch_vccnz .LBB55_656
; %bb.655:
	global_load_ushort v3, v[1:2], off
	s_waitcnt vmcnt(0)
	v_cvt_f32_f16_e32 v3, v3
	v_cvt_i32_f32_e32 v3, v3
.LBB55_656:
	s_mov_b64 s[0:1], 0
.LBB55_657:
	s_andn2_b64 vcc, exec, s[0:1]
	s_cbranch_vccnz .LBB55_677
; %bb.658:
	s_cmp_lt_i32 s10, 2
	s_cbranch_scc1 .LBB55_662
; %bb.659:
	s_cmp_lt_i32 s10, 3
	s_cbranch_scc1 .LBB55_663
; %bb.660:
	s_cmp_gt_i32 s10, 3
	s_cbranch_scc0 .LBB55_664
; %bb.661:
	global_load_dword v3, v[1:2], off
	s_mov_b64 s[0:1], 0
	s_branch .LBB55_665
.LBB55_662:
	s_mov_b64 s[0:1], -1
                                        ; implicit-def: $vgpr3
	s_branch .LBB55_671
.LBB55_663:
	s_mov_b64 s[0:1], -1
                                        ; implicit-def: $vgpr3
	s_branch .LBB55_668
.LBB55_664:
	s_mov_b64 s[0:1], -1
                                        ; implicit-def: $vgpr3
.LBB55_665:
	s_andn2_b64 vcc, exec, s[0:1]
	s_cbranch_vccnz .LBB55_667
; %bb.666:
	global_load_dword v3, v[1:2], off
.LBB55_667:
	s_mov_b64 s[0:1], 0
.LBB55_668:
	s_andn2_b64 vcc, exec, s[0:1]
	s_cbranch_vccnz .LBB55_670
; %bb.669:
	global_load_sshort v3, v[1:2], off
.LBB55_670:
	s_mov_b64 s[0:1], 0
.LBB55_671:
	s_andn2_b64 vcc, exec, s[0:1]
	s_cbranch_vccnz .LBB55_677
; %bb.672:
	s_cmp_gt_i32 s10, 0
	s_cbranch_scc0 .LBB55_674
; %bb.673:
	global_load_sbyte v3, v[1:2], off
	s_mov_b64 s[0:1], 0
	s_branch .LBB55_675
.LBB55_674:
	s_mov_b64 s[0:1], -1
                                        ; implicit-def: $vgpr3
.LBB55_675:
	s_andn2_b64 vcc, exec, s[0:1]
	s_cbranch_vccnz .LBB55_677
; %bb.676:
	global_load_ubyte v3, v[1:2], off
.LBB55_677:
	s_mov_b64 s[0:1], -1
.LBB55_678:
	s_andn2_b64 vcc, exec, s[0:1]
	s_cbranch_vccnz .LBB55_686
; %bb.679:
	s_waitcnt vmcnt(0)
	v_lshlrev_b32_e64 v1, v3, s44
	v_cmp_gt_u32_e32 vcc, 32, v3
	v_cndmask_b32_e32 v1, 0, v1, vcc
	v_mov_b32_e32 v2, s25
	s_and_b32 s14, s45, 0xff
	v_add_co_u32_e32 v3, vcc, s24, v0
	s_cmp_lt_i32 s14, 11
	v_addc_co_u32_e32 v4, vcc, 0, v2, vcc
	s_cbranch_scc1 .LBB55_687
; %bb.680:
	s_and_b32 s15, 0xffff, s14
	s_cmp_gt_i32 s15, 25
	s_cbranch_scc0 .LBB55_688
; %bb.681:
	s_cmp_gt_i32 s15, 28
	s_cbranch_scc0 .LBB55_689
; %bb.682:
	;; [unrolled: 3-line block ×4, first 2 shown]
	s_mov_b64 s[10:11], 0
	s_mov_b64 s[0:1], -1
	s_cmp_eq_u32 s15, 46
	s_mov_b64 s[8:9], 0
	s_cbranch_scc0 .LBB55_692
; %bb.685:
	v_cvt_f32_i32_e32 v0, v1
	s_movk_i32 s0, 0x7fff
	s_mov_b64 s[8:9], -1
	v_bfe_u32 v2, v0, 16, 1
	v_add3_u32 v0, v0, v2, s0
	v_lshrrev_b32_e32 v0, 16, v0
	global_store_dword v[3:4], v0, off
	s_mov_b64 s[0:1], 0
	s_branch .LBB55_692
.LBB55_686:
	s_mov_b64 s[8:9], 0
	s_mov_b64 s[0:1], s[62:63]
	s_branch .LBB55_803
.LBB55_687:
	s_mov_b64 s[10:11], -1
	s_mov_b64 s[8:9], 0
	s_mov_b64 s[0:1], s[62:63]
	s_branch .LBB55_761
.LBB55_688:
	s_mov_b64 s[10:11], -1
	s_mov_b64 s[8:9], 0
	s_mov_b64 s[0:1], s[62:63]
	s_branch .LBB55_719
.LBB55_689:
	s_mov_b64 s[10:11], -1
	s_mov_b64 s[8:9], 0
	s_mov_b64 s[0:1], s[62:63]
	s_branch .LBB55_702
.LBB55_690:
	s_mov_b64 s[10:11], -1
	s_mov_b64 s[8:9], 0
	s_mov_b64 s[0:1], s[62:63]
	s_branch .LBB55_698
.LBB55_691:
	s_mov_b64 s[10:11], -1
	s_mov_b64 s[8:9], 0
	s_mov_b64 s[0:1], s[62:63]
.LBB55_692:
	s_and_b64 vcc, exec, s[10:11]
	s_cbranch_vccz .LBB55_697
; %bb.693:
	s_cmp_eq_u32 s15, 44
	s_mov_b64 s[0:1], -1
	s_cbranch_scc0 .LBB55_697
; %bb.694:
	v_cvt_f32_i32_e32 v0, v1
	s_movk_i32 s0, 0xff
	v_mov_b32_e32 v5, 0xff
	v_bfe_u32 v2, v0, 23, 8
	v_cmp_ne_u32_e32 vcc, s0, v2
	s_and_saveexec_b64 s[8:9], vcc
; %bb.695:
	s_mov_b32 s0, 0x3fffff
	v_lshrrev_b32_e32 v5, 23, v0
	v_and_b32_e32 v6, 0x400000, v0
	v_and_or_b32 v0, v0, s0, v2
	v_cmp_ne_u32_e32 vcc, 0, v6
	v_cmp_ne_u32_e64 s[0:1], 0, v0
	s_and_b64 s[0:1], vcc, s[0:1]
	v_cndmask_b32_e64 v0, 0, 1, s[0:1]
	v_add_u32_e32 v5, v5, v0
; %bb.696:
	s_or_b64 exec, exec, s[8:9]
	s_mov_b64 s[8:9], -1
	s_mov_b64 s[0:1], 0
	global_store_byte v[3:4], v5, off
.LBB55_697:
	s_mov_b64 s[10:11], 0
.LBB55_698:
	s_and_b64 vcc, exec, s[10:11]
	s_cbranch_vccz .LBB55_701
; %bb.699:
	s_cmp_eq_u32 s15, 29
	s_mov_b64 s[0:1], -1
	s_cbranch_scc0 .LBB55_701
; %bb.700:
	v_ashrrev_i32_e32 v2, 31, v1
	global_store_dwordx2 v[3:4], v[1:2], off
	s_mov_b64 s[8:9], -1
	s_mov_b64 s[0:1], 0
.LBB55_701:
	s_mov_b64 s[10:11], 0
.LBB55_702:
	s_and_b64 vcc, exec, s[10:11]
	s_cbranch_vccz .LBB55_718
; %bb.703:
	s_cmp_lt_i32 s15, 27
	s_mov_b64 s[8:9], -1
	s_cbranch_scc1 .LBB55_709
; %bb.704:
	s_cmp_gt_i32 s15, 27
	s_cbranch_scc0 .LBB55_706
; %bb.705:
	s_mov_b64 s[8:9], 0
	global_store_dword v[3:4], v1, off
.LBB55_706:
	s_andn2_b64 vcc, exec, s[8:9]
	s_cbranch_vccnz .LBB55_708
; %bb.707:
	global_store_short v[3:4], v1, off
.LBB55_708:
	s_mov_b64 s[8:9], 0
.LBB55_709:
	s_andn2_b64 vcc, exec, s[8:9]
	s_cbranch_vccnz .LBB55_717
; %bb.710:
	v_cvt_f32_i32_e32 v0, v1
	s_mov_b32 s8, 0x43800000
	v_mov_b32_e32 v5, 0x80
	v_and_b32_e32 v2, 0x7fffffff, v0
	v_cmp_gt_u32_e32 vcc, s8, v2
	s_and_saveexec_b64 s[8:9], vcc
	s_cbranch_execz .LBB55_716
; %bb.711:
	s_mov_b32 s10, 0x3bffffff
	v_cmp_lt_u32_e32 vcc, s10, v2
	s_mov_b64 s[10:11], 0
                                        ; implicit-def: $vgpr2
	s_and_saveexec_b64 s[12:13], vcc
	s_xor_b64 s[12:13], exec, s[12:13]
	s_cbranch_execz .LBB55_833
; %bb.712:
	v_bfe_u32 v2, v0, 20, 1
	s_mov_b32 s16, 0x487ffff
	v_add3_u32 v2, v0, v2, s16
	s_mov_b64 s[10:11], exec
	v_lshrrev_b32_e32 v2, 20, v2
	s_andn2_saveexec_b64 s[12:13], s[12:13]
	s_cbranch_execnz .LBB55_834
.LBB55_713:
	s_or_b64 exec, exec, s[12:13]
	v_mov_b32_e32 v5, 0
	s_and_saveexec_b64 s[12:13], s[10:11]
.LBB55_714:
	v_lshrrev_b32_e32 v0, 24, v0
	s_movk_i32 s10, 0x80
	v_and_or_b32 v5, v0, s10, v2
.LBB55_715:
	s_or_b64 exec, exec, s[12:13]
.LBB55_716:
	s_or_b64 exec, exec, s[8:9]
	global_store_byte v[3:4], v5, off
.LBB55_717:
	s_mov_b64 s[8:9], -1
.LBB55_718:
	s_mov_b64 s[10:11], 0
.LBB55_719:
	s_and_b64 vcc, exec, s[10:11]
	s_cbranch_vccz .LBB55_760
; %bb.720:
	s_cmp_gt_i32 s15, 22
	s_mov_b64 s[10:11], -1
	s_cbranch_scc0 .LBB55_752
; %bb.721:
	s_cmp_lt_i32 s15, 24
	s_mov_b64 s[8:9], -1
	s_cbranch_scc1 .LBB55_741
; %bb.722:
	s_cmp_gt_i32 s15, 24
	s_cbranch_scc0 .LBB55_730
; %bb.723:
	v_cvt_f32_i32_e32 v0, v1
	s_mov_b32 s8, 0x47800000
	v_mov_b32_e32 v5, 0x80
	v_and_b32_e32 v2, 0x7fffffff, v0
	v_cmp_gt_u32_e32 vcc, s8, v2
	s_and_saveexec_b64 s[8:9], vcc
	s_cbranch_execz .LBB55_729
; %bb.724:
	s_mov_b32 s10, 0x37ffffff
	v_cmp_lt_u32_e32 vcc, s10, v2
	s_mov_b64 s[10:11], 0
                                        ; implicit-def: $vgpr2
	s_and_saveexec_b64 s[12:13], vcc
	s_xor_b64 s[12:13], exec, s[12:13]
	s_cbranch_execz .LBB55_836
; %bb.725:
	v_bfe_u32 v2, v0, 21, 1
	s_mov_b32 s16, 0x88fffff
	v_add3_u32 v2, v0, v2, s16
	s_mov_b64 s[10:11], exec
	v_lshrrev_b32_e32 v2, 21, v2
	s_andn2_saveexec_b64 s[12:13], s[12:13]
	s_cbranch_execnz .LBB55_837
.LBB55_726:
	s_or_b64 exec, exec, s[12:13]
	v_mov_b32_e32 v5, 0
	s_and_saveexec_b64 s[12:13], s[10:11]
.LBB55_727:
	v_lshrrev_b32_e32 v0, 24, v0
	s_movk_i32 s10, 0x80
	v_and_or_b32 v5, v0, s10, v2
.LBB55_728:
	s_or_b64 exec, exec, s[12:13]
.LBB55_729:
	s_or_b64 exec, exec, s[8:9]
	s_mov_b64 s[8:9], 0
	global_store_byte v[3:4], v5, off
.LBB55_730:
	s_and_b64 vcc, exec, s[8:9]
	s_cbranch_vccz .LBB55_740
; %bb.731:
	v_cvt_f32_i32_e32 v0, v1
	s_mov_b32 s8, 0x43f00000
                                        ; implicit-def: $vgpr2
	v_and_b32_e32 v5, 0x7fffffff, v0
	v_cmp_gt_u32_e32 vcc, s8, v5
	s_and_saveexec_b64 s[8:9], vcc
	s_xor_b64 s[8:9], exec, s[8:9]
	s_cbranch_execz .LBB55_737
; %bb.732:
	s_mov_b32 s10, 0x3c7fffff
	v_cmp_lt_u32_e32 vcc, s10, v5
                                        ; implicit-def: $vgpr2
	s_and_saveexec_b64 s[10:11], vcc
	s_xor_b64 s[10:11], exec, s[10:11]
; %bb.733:
	v_bfe_u32 v2, v0, 20, 1
	s_mov_b32 s12, 0x407ffff
	v_add3_u32 v2, v0, v2, s12
	v_lshrrev_b32_e32 v5, 20, v2
	v_and_b32_e32 v2, 0xff00000, v2
	s_mov_b32 s12, 0x7f00000
	v_mov_b32_e32 v6, 0x7e
	v_cmp_ne_u32_e32 vcc, s12, v2
	v_cndmask_b32_e32 v2, v6, v5, vcc
; %bb.734:
	s_andn2_saveexec_b64 s[10:11], s[10:11]
; %bb.735:
	s_mov_b32 s12, 0x46800000
	v_add_f32_e64 v2, |v0|, s12
; %bb.736:
	s_or_b64 exec, exec, s[10:11]
                                        ; implicit-def: $vgpr5
.LBB55_737:
	s_andn2_saveexec_b64 s[8:9], s[8:9]
; %bb.738:
	s_mov_b32 s10, 0x7f800000
	v_mov_b32_e32 v2, 0x7e
	v_mov_b32_e32 v6, 0x7f
	v_cmp_lt_u32_e32 vcc, s10, v5
	v_cndmask_b32_e32 v2, v2, v6, vcc
; %bb.739:
	s_or_b64 exec, exec, s[8:9]
	v_lshrrev_b32_e32 v0, 24, v0
	s_movk_i32 s8, 0x80
	v_and_or_b32 v0, v0, s8, v2
	global_store_byte v[3:4], v0, off
.LBB55_740:
	s_mov_b64 s[8:9], 0
.LBB55_741:
	s_andn2_b64 vcc, exec, s[8:9]
	s_cbranch_vccnz .LBB55_751
; %bb.742:
	v_cvt_f32_i32_e32 v0, v1
	s_mov_b32 s8, 0x47800000
                                        ; implicit-def: $vgpr2
	v_and_b32_e32 v5, 0x7fffffff, v0
	v_cmp_gt_u32_e32 vcc, s8, v5
	s_and_saveexec_b64 s[8:9], vcc
	s_xor_b64 s[8:9], exec, s[8:9]
	s_cbranch_execz .LBB55_748
; %bb.743:
	s_mov_b32 s10, 0x387fffff
	v_cmp_lt_u32_e32 vcc, s10, v5
                                        ; implicit-def: $vgpr2
	s_and_saveexec_b64 s[10:11], vcc
	s_xor_b64 s[10:11], exec, s[10:11]
; %bb.744:
	v_bfe_u32 v2, v0, 21, 1
	s_mov_b32 s12, 0x80fffff
	v_add3_u32 v2, v0, v2, s12
	v_lshrrev_b32_e32 v2, 21, v2
; %bb.745:
	s_andn2_saveexec_b64 s[10:11], s[10:11]
; %bb.746:
	s_mov_b32 s12, 0x43000000
	v_add_f32_e64 v2, |v0|, s12
; %bb.747:
	s_or_b64 exec, exec, s[10:11]
                                        ; implicit-def: $vgpr5
.LBB55_748:
	s_andn2_saveexec_b64 s[8:9], s[8:9]
; %bb.749:
	s_mov_b32 s10, 0x7f800000
	v_mov_b32_e32 v2, 0x7c
	v_mov_b32_e32 v6, 0x7f
	v_cmp_lt_u32_e32 vcc, s10, v5
	v_cndmask_b32_e32 v2, v2, v6, vcc
; %bb.750:
	s_or_b64 exec, exec, s[8:9]
	v_lshrrev_b32_e32 v0, 24, v0
	s_movk_i32 s8, 0x80
	v_and_or_b32 v0, v0, s8, v2
	global_store_byte v[3:4], v0, off
.LBB55_751:
	s_mov_b64 s[10:11], 0
	s_mov_b64 s[8:9], -1
.LBB55_752:
	s_andn2_b64 vcc, exec, s[10:11]
	s_cbranch_vccnz .LBB55_760
; %bb.753:
	s_cmp_gt_i32 s15, 14
	s_mov_b64 s[10:11], -1
	s_cbranch_scc0 .LBB55_757
; %bb.754:
	s_cmp_eq_u32 s15, 15
	s_mov_b64 s[0:1], -1
	s_cbranch_scc0 .LBB55_756
; %bb.755:
	v_cvt_f32_i32_e32 v0, v1
	s_movk_i32 s0, 0x7fff
	s_mov_b64 s[8:9], -1
	v_bfe_u32 v2, v0, 16, 1
	v_add3_u32 v0, v0, v2, s0
	global_store_short_d16_hi v[3:4], v0, off
	s_mov_b64 s[0:1], 0
.LBB55_756:
	s_mov_b64 s[10:11], 0
.LBB55_757:
	s_and_b64 vcc, exec, s[10:11]
	s_cbranch_vccz .LBB55_760
; %bb.758:
	s_cmp_eq_u32 s15, 11
	s_mov_b64 s[0:1], -1
	s_cbranch_scc0 .LBB55_760
; %bb.759:
	v_cmp_ne_u32_e32 vcc, 0, v1
	v_cndmask_b32_e64 v0, 0, 1, vcc
	s_mov_b64 s[8:9], -1
	s_mov_b64 s[0:1], 0
	global_store_byte v[3:4], v0, off
.LBB55_760:
	s_mov_b64 s[10:11], 0
.LBB55_761:
	s_and_b64 vcc, exec, s[10:11]
	s_cbranch_vccz .LBB55_800
; %bb.762:
	s_and_b32 s10, 0xffff, s14
	s_cmp_lt_i32 s10, 5
	s_mov_b64 s[8:9], -1
	s_cbranch_scc1 .LBB55_783
; %bb.763:
	s_cmp_lt_i32 s10, 8
	s_cbranch_scc1 .LBB55_773
; %bb.764:
	s_cmp_lt_i32 s10, 9
	s_cbranch_scc1 .LBB55_770
; %bb.765:
	s_cmp_gt_i32 s10, 9
	s_cbranch_scc0 .LBB55_767
; %bb.766:
	v_cvt_f64_i32_e32 v[9:10], v1
	v_mov_b32_e32 v11, 0
	v_mov_b32_e32 v12, v11
	s_mov_b64 s[8:9], 0
	global_store_dwordx4 v[3:4], v[9:12], off
.LBB55_767:
	s_andn2_b64 vcc, exec, s[8:9]
	s_cbranch_vccnz .LBB55_769
; %bb.768:
	v_cvt_f32_i32_e32 v5, v1
	v_mov_b32_e32 v6, 0
	global_store_dwordx2 v[3:4], v[5:6], off
.LBB55_769:
	s_mov_b64 s[8:9], 0
.LBB55_770:
	s_andn2_b64 vcc, exec, s[8:9]
	s_cbranch_vccnz .LBB55_772
; %bb.771:
	v_cvt_f32_i32_e32 v0, v1
	v_cvt_f16_f32_e32 v0, v0
	global_store_dword v[3:4], v0, off
.LBB55_772:
	s_mov_b64 s[8:9], 0
.LBB55_773:
	s_andn2_b64 vcc, exec, s[8:9]
	s_cbranch_vccnz .LBB55_782
; %bb.774:
	s_cmp_lt_i32 s10, 6
	s_mov_b64 s[8:9], -1
	s_cbranch_scc1 .LBB55_780
; %bb.775:
	s_cmp_gt_i32 s10, 6
	s_cbranch_scc0 .LBB55_777
; %bb.776:
	v_cvt_f64_i32_e32 v[5:6], v1
	s_mov_b64 s[8:9], 0
	global_store_dwordx2 v[3:4], v[5:6], off
.LBB55_777:
	s_andn2_b64 vcc, exec, s[8:9]
	s_cbranch_vccnz .LBB55_779
; %bb.778:
	v_cvt_f32_i32_e32 v0, v1
	global_store_dword v[3:4], v0, off
.LBB55_779:
	s_mov_b64 s[8:9], 0
.LBB55_780:
	s_andn2_b64 vcc, exec, s[8:9]
	s_cbranch_vccnz .LBB55_782
; %bb.781:
	v_cvt_f32_i32_e32 v0, v1
	v_cvt_f16_f32_e32 v0, v0
	global_store_short v[3:4], v0, off
.LBB55_782:
	s_mov_b64 s[8:9], 0
.LBB55_783:
	s_andn2_b64 vcc, exec, s[8:9]
	s_cbranch_vccnz .LBB55_799
; %bb.784:
	s_cmp_lt_i32 s10, 2
	s_mov_b64 s[8:9], -1
	s_cbranch_scc1 .LBB55_794
; %bb.785:
	s_cmp_lt_i32 s10, 3
	s_cbranch_scc1 .LBB55_791
; %bb.786:
	s_cmp_gt_i32 s10, 3
	s_cbranch_scc0 .LBB55_788
; %bb.787:
	v_ashrrev_i32_e32 v2, 31, v1
	s_mov_b64 s[8:9], 0
	global_store_dwordx2 v[3:4], v[1:2], off
.LBB55_788:
	s_andn2_b64 vcc, exec, s[8:9]
	s_cbranch_vccnz .LBB55_790
; %bb.789:
	global_store_dword v[3:4], v1, off
.LBB55_790:
	s_mov_b64 s[8:9], 0
.LBB55_791:
	s_andn2_b64 vcc, exec, s[8:9]
	s_cbranch_vccnz .LBB55_793
; %bb.792:
	global_store_short v[3:4], v1, off
.LBB55_793:
	s_mov_b64 s[8:9], 0
.LBB55_794:
	s_andn2_b64 vcc, exec, s[8:9]
	s_cbranch_vccnz .LBB55_799
; %bb.795:
	s_cmp_gt_i32 s10, 0
	s_mov_b64 s[8:9], -1
	s_cbranch_scc0 .LBB55_797
; %bb.796:
	s_mov_b64 s[8:9], 0
	global_store_byte v[3:4], v1, off
.LBB55_797:
	s_andn2_b64 vcc, exec, s[8:9]
	s_cbranch_vccnz .LBB55_799
; %bb.798:
	global_store_byte v[3:4], v1, off
.LBB55_799:
	s_mov_b64 s[8:9], -1
.LBB55_800:
	s_andn2_b64 vcc, exec, s[8:9]
	s_cbranch_vccnz .LBB55_802
; %bb.801:
	v_add_u32_e32 v8, 0x80, v8
	s_mov_b64 s[8:9], -1
	s_branch .LBB55_804
.LBB55_802:
	s_mov_b64 s[8:9], 0
.LBB55_803:
                                        ; implicit-def: $vgpr8
.LBB55_804:
	s_andn2_b64 s[10:11], s[62:63], exec
	s_and_b64 s[0:1], s[0:1], exec
	s_or_b64 s[70:71], s[10:11], s[0:1]
	s_andn2_b64 s[0:1], s[60:61], exec
	s_and_b64 s[2:3], s[2:3], exec
	s_or_b64 s[68:69], s[0:1], s[2:3]
	s_orn2_b64 s[2:3], s[8:9], exec
.LBB55_805:
	s_or_b64 exec, exec, s[66:67]
	s_mov_b64 s[0:1], 0
	s_mov_b64 s[8:9], 0
	;; [unrolled: 1-line block ×3, first 2 shown]
                                        ; implicit-def: $vgpr1_vgpr2
                                        ; implicit-def: $vgpr0
                                        ; implicit-def: $vgpr5
	s_and_saveexec_b64 s[66:67], s[2:3]
	s_cbranch_execz .LBB55_900
; %bb.806:
	v_cmp_gt_i32_e32 vcc, s72, v8
	s_mov_b64 s[2:3], 0
	s_mov_b64 s[12:13], s[68:69]
                                        ; implicit-def: $vgpr1_vgpr2
                                        ; implicit-def: $vgpr0
                                        ; implicit-def: $vgpr5
	s_and_saveexec_b64 s[72:73], vcc
	s_cbranch_execz .LBB55_899
; %bb.807:
	s_andn2_b64 vcc, exec, s[40:41]
	s_cbranch_vccnz .LBB55_812
; %bb.808:
	s_andn2_b64 vcc, exec, s[52:53]
	s_cbranch_vccnz .LBB55_813
; %bb.809:
	s_add_i32 s77, s76, 1
	s_cmp_eq_u32 s74, 2
	s_cbranch_scc1 .LBB55_814
; %bb.810:
	s_and_b32 s76, s77, 28
	v_mov_b32_e32 v2, 0
	s_mov_b32 s78, 0
	s_mov_b64 s[52:53], s[34:35]
	v_mov_b32_e32 v0, 0
	v_mov_b32_e32 v1, v8
.LBB55_811:                             ; =>This Inner Loop Header: Depth=1
	s_load_dwordx8 s[16:23], s[52:53], 0x4
	s_load_dwordx4 s[0:3], s[52:53], 0x24
	s_load_dwordx8 s[8:15], s[50:51], 0x0
	s_add_u32 s52, s52, 48
	s_addc_u32 s53, s53, 0
	s_waitcnt vmcnt(0) lgkmcnt(0)
	v_mul_hi_u32 v3, s17, v1
	s_add_i32 s78, s78, 4
	s_add_u32 s50, s50, 32
	s_addc_u32 s51, s51, 0
	v_add_u32_e32 v3, v1, v3
	v_lshrrev_b32_e32 v3, s18, v3
	v_mul_lo_u32 v4, v3, s16
	v_mul_hi_u32 v5, s20, v3
	s_cmp_eq_u32 s76, s78
	v_sub_u32_e32 v1, v1, v4
	v_add_u32_e32 v4, v3, v5
	v_mul_lo_u32 v5, v1, s8
	v_mul_lo_u32 v6, v1, s9
	v_lshrrev_b32_e32 v1, s21, v4
	v_mul_lo_u32 v4, v1, s19
	v_mul_hi_u32 v7, s23, v1
	v_sub_u32_e32 v3, v3, v4
	v_add_u32_e32 v4, v1, v7
	v_lshrrev_b32_e32 v4, s0, v4
	v_mul_hi_u32 v9, s2, v4
	v_mul_lo_u32 v10, v4, s22
	v_mul_lo_u32 v7, v3, s10
	;; [unrolled: 1-line block ×3, first 2 shown]
	v_sub_u32_e32 v10, v1, v10
	v_add_u32_e32 v1, v4, v9
	v_lshrrev_b32_e32 v1, s3, v1
	v_mul_lo_u32 v9, v1, s1
	v_mul_lo_u32 v11, v10, s12
	;; [unrolled: 1-line block ×3, first 2 shown]
	v_add3_u32 v0, v5, v0, v7
	v_sub_u32_e32 v4, v4, v9
	v_mul_lo_u32 v9, v4, s14
	v_mul_lo_u32 v4, v4, s15
	v_add3_u32 v2, v6, v2, v3
	v_add3_u32 v0, v11, v0, v9
	;; [unrolled: 1-line block ×3, first 2 shown]
	s_cbranch_scc0 .LBB55_811
	s_branch .LBB55_815
.LBB55_812:
	s_mov_b64 s[0:1], -1
                                        ; implicit-def: $vgpr0
                                        ; implicit-def: $vgpr2
	s_branch .LBB55_819
.LBB55_813:
	v_mov_b32_e32 v0, 0
	v_mov_b32_e32 v2, 0
	s_branch .LBB55_818
.LBB55_814:
	s_mov_b32 s76, 0
	v_mov_b32_e32 v0, 0
	v_mov_b32_e32 v2, 0
	;; [unrolled: 1-line block ×3, first 2 shown]
.LBB55_815:
	s_and_b32 s8, s77, 3
	s_cmp_eq_u32 s8, 0
	s_cbranch_scc1 .LBB55_818
; %bb.816:
	s_lshl_b32 s0, s76, 3
	s_add_u32 s0, s34, s0
	s_addc_u32 s1, s35, 0
	s_add_u32 s0, s0, 0xc4
	s_addc_u32 s1, s1, 0
	s_mul_i32 s2, s76, 12
	s_add_u32 s2, s34, s2
	s_addc_u32 s3, s35, 0
.LBB55_817:                             ; =>This Inner Loop Header: Depth=1
	s_load_dwordx2 s[10:11], s[2:3], 0x4
	s_load_dword s9, s[2:3], 0xc
	s_load_dwordx2 s[12:13], s[0:1], 0x0
	s_add_u32 s2, s2, 12
	s_addc_u32 s3, s3, 0
	s_waitcnt vmcnt(0) lgkmcnt(0)
	v_mul_hi_u32 v3, s11, v1
	s_add_u32 s0, s0, 8
	s_addc_u32 s1, s1, 0
	s_add_i32 s8, s8, -1
	v_add_u32_e32 v3, v1, v3
	v_lshrrev_b32_e32 v4, s9, v3
	v_mul_lo_u32 v3, v4, s10
	s_cmp_lg_u32 s8, 0
	v_sub_u32_e32 v3, v1, v3
	v_mad_u64_u32 v[0:1], s[10:11], v3, s12, v[0:1]
	v_mad_u64_u32 v[2:3], s[10:11], v3, s13, v[2:3]
	v_mov_b32_e32 v1, v4
	s_cbranch_scc1 .LBB55_817
.LBB55_818:
	s_mov_b64 s[0:1], 0
.LBB55_819:
	s_andn2_b64 vcc, exec, s[0:1]
	s_cbranch_vccnz .LBB55_822
; %bb.820:
	v_mul_hi_u32 v0, s29, v8
	s_andn2_b64 vcc, exec, s[48:49]
	v_add_u32_e32 v0, v8, v0
	v_lshrrev_b32_e32 v1, s30, v0
	v_mul_lo_u32 v0, v1, s28
	v_sub_u32_e32 v2, v8, v0
	v_mul_lo_u32 v0, v2, s36
	v_mul_lo_u32 v2, v2, s37
	s_cbranch_vccnz .LBB55_822
; %bb.821:
	s_waitcnt vmcnt(0)
	v_mul_hi_u32 v3, s46, v1
	v_add_u32_e32 v3, v1, v3
	v_lshrrev_b32_e32 v3, s47, v3
	v_mul_lo_u32 v3, v3, s31
	v_sub_u32_e32 v3, v1, v3
	v_mad_u64_u32 v[0:1], s[0:1], v3, s38, v[0:1]
	v_mad_u64_u32 v[2:3], s[0:1], v3, s39, v[2:3]
.LBB55_822:
	s_waitcnt vmcnt(0)
	v_mov_b32_e32 v3, s27
	s_and_b32 s12, 0xffff, s75
	v_add_co_u32_e32 v1, vcc, s26, v2
	s_cmp_lt_i32 s12, 11
	v_addc_co_u32_e32 v2, vcc, 0, v3, vcc
	s_cbranch_scc1 .LBB55_829
; %bb.823:
	s_cmp_gt_i32 s12, 25
	s_mov_b64 s[2:3], 0
	s_cbranch_scc0 .LBB55_830
; %bb.824:
	s_cmp_gt_i32 s12, 28
	s_cbranch_scc0 .LBB55_831
; %bb.825:
	s_cmp_gt_i32 s12, 43
	;; [unrolled: 3-line block ×3, first 2 shown]
	s_cbranch_scc0 .LBB55_835
; %bb.827:
	s_cmp_eq_u32 s12, 46
	s_mov_b64 s[10:11], 0
	s_cbranch_scc0 .LBB55_838
; %bb.828:
	global_load_dword v3, v[1:2], off
	s_mov_b64 s[0:1], 0
	s_mov_b64 s[8:9], -1
	s_waitcnt vmcnt(0)
	v_lshlrev_b32_e32 v3, 16, v3
	v_cvt_i32_f32_e32 v5, v3
	s_branch .LBB55_839
.LBB55_829:
	s_mov_b64 s[12:13], -1
	s_mov_b64 s[8:9], 0
	s_mov_b64 s[2:3], 0
	;; [unrolled: 1-line block ×3, first 2 shown]
                                        ; implicit-def: $vgpr5
	s_branch .LBB55_898
.LBB55_830:
	s_mov_b64 s[10:11], -1
	s_mov_b64 s[8:9], 0
	s_mov_b64 s[0:1], s[68:69]
                                        ; implicit-def: $vgpr5
	s_branch .LBB55_866
.LBB55_831:
	s_mov_b64 s[10:11], -1
	s_mov_b64 s[8:9], 0
	s_mov_b64 s[0:1], s[68:69]
                                        ; implicit-def: $vgpr5
	s_branch .LBB55_849
.LBB55_832:
	s_mov_b64 s[10:11], -1
	s_mov_b64 s[8:9], 0
	s_mov_b64 s[0:1], s[68:69]
                                        ; implicit-def: $vgpr5
	s_branch .LBB55_844
.LBB55_833:
	s_andn2_saveexec_b64 s[12:13], s[12:13]
	s_cbranch_execz .LBB55_713
.LBB55_834:
	s_mov_b32 s16, 0x46000000
	v_add_f32_e64 v2, |v0|, s16
	v_and_b32_e32 v2, 0xff, v2
	v_cmp_ne_u32_e32 vcc, 0, v2
	s_andn2_b64 s[10:11], s[10:11], exec
	s_and_b64 s[16:17], vcc, exec
	s_or_b64 s[10:11], s[10:11], s[16:17]
	s_or_b64 exec, exec, s[12:13]
	v_mov_b32_e32 v5, 0
	s_and_saveexec_b64 s[12:13], s[10:11]
	s_cbranch_execnz .LBB55_714
	s_branch .LBB55_715
.LBB55_835:
	s_mov_b64 s[10:11], -1
	s_mov_b64 s[8:9], 0
	s_mov_b64 s[0:1], s[68:69]
                                        ; implicit-def: $vgpr5
	s_branch .LBB55_839
.LBB55_836:
	s_andn2_saveexec_b64 s[12:13], s[12:13]
	s_cbranch_execz .LBB55_726
.LBB55_837:
	s_mov_b32 s16, 0x42800000
	v_add_f32_e64 v2, |v0|, s16
	v_and_b32_e32 v2, 0xff, v2
	v_cmp_ne_u32_e32 vcc, 0, v2
	s_andn2_b64 s[10:11], s[10:11], exec
	s_and_b64 s[16:17], vcc, exec
	s_or_b64 s[10:11], s[10:11], s[16:17]
	s_or_b64 exec, exec, s[12:13]
	v_mov_b32_e32 v5, 0
	s_and_saveexec_b64 s[12:13], s[10:11]
	s_cbranch_execnz .LBB55_727
	s_branch .LBB55_728
.LBB55_838:
	s_mov_b64 s[0:1], -1
                                        ; implicit-def: $vgpr5
	s_mov_b64 s[8:9], 0
.LBB55_839:
	s_and_b64 vcc, exec, s[10:11]
	s_cbranch_vccz .LBB55_843
; %bb.840:
	s_cmp_eq_u32 s12, 44
	s_cbranch_scc0 .LBB55_842
; %bb.841:
	global_load_ubyte v3, v[1:2], off
	s_mov_b64 s[0:1], 0
	s_mov_b64 s[8:9], -1
	s_waitcnt vmcnt(0)
	v_lshlrev_b32_e32 v4, 23, v3
	v_cvt_i32_f32_e32 v4, v4
	v_cmp_ne_u32_e32 vcc, 0, v3
	v_cndmask_b32_e32 v5, 0, v4, vcc
	s_branch .LBB55_843
.LBB55_842:
	s_mov_b64 s[0:1], -1
                                        ; implicit-def: $vgpr5
.LBB55_843:
	s_mov_b64 s[10:11], 0
.LBB55_844:
	s_and_b64 vcc, exec, s[10:11]
	s_cbranch_vccz .LBB55_848
; %bb.845:
	s_cmp_eq_u32 s12, 29
	s_cbranch_scc0 .LBB55_847
; %bb.846:
	global_load_dword v5, v[1:2], off
	s_mov_b64 s[0:1], 0
	s_mov_b64 s[8:9], -1
	s_branch .LBB55_848
.LBB55_847:
	s_mov_b64 s[0:1], -1
                                        ; implicit-def: $vgpr5
.LBB55_848:
	s_mov_b64 s[10:11], 0
.LBB55_849:
	s_and_b64 vcc, exec, s[10:11]
	s_cbranch_vccz .LBB55_865
; %bb.850:
	s_cmp_lt_i32 s12, 27
	s_cbranch_scc1 .LBB55_853
; %bb.851:
	s_cmp_gt_i32 s12, 27
	s_cbranch_scc0 .LBB55_854
; %bb.852:
	global_load_dword v5, v[1:2], off
	s_mov_b64 s[8:9], 0
	s_branch .LBB55_855
.LBB55_853:
	s_mov_b64 s[8:9], -1
                                        ; implicit-def: $vgpr5
	s_branch .LBB55_858
.LBB55_854:
	s_mov_b64 s[8:9], -1
                                        ; implicit-def: $vgpr5
.LBB55_855:
	s_andn2_b64 vcc, exec, s[8:9]
	s_cbranch_vccnz .LBB55_857
; %bb.856:
	global_load_ushort v5, v[1:2], off
.LBB55_857:
	s_mov_b64 s[8:9], 0
.LBB55_858:
	s_andn2_b64 vcc, exec, s[8:9]
	s_cbranch_vccnz .LBB55_864
; %bb.859:
	global_load_ubyte v3, v[1:2], off
	s_movk_i32 s8, 0x7f
	s_mov_b64 s[10:11], 0
	s_waitcnt vmcnt(0)
	v_cmp_lt_i16_e32 vcc, s8, v3
	s_and_saveexec_b64 s[8:9], vcc
	s_xor_b64 s[8:9], exec, s[8:9]
	s_cbranch_execz .LBB55_876
; %bb.860:
	s_movk_i32 s10, 0x80
	v_cmp_ne_u16_e32 vcc, s10, v3
	s_and_b64 s[10:11], vcc, exec
	s_andn2_saveexec_b64 s[8:9], s[8:9]
	s_cbranch_execnz .LBB55_877
.LBB55_861:
	s_or_b64 exec, exec, s[8:9]
	v_mov_b32_e32 v5, 0
	s_and_saveexec_b64 s[8:9], s[10:11]
	s_cbranch_execz .LBB55_863
.LBB55_862:
	v_lshlrev_b32_e32 v4, 24, v3
	v_and_b32_e32 v3, 0xffff, v3
	v_and_b32_e32 v5, 7, v3
	v_ffbh_u32_e32 v7, v5
	v_min_u32_e32 v7, 32, v7
	v_subrev_u32_e32 v8, 28, v7
	v_bfe_u32 v6, v3, 3, 4
	v_lshlrev_b32_e32 v3, v8, v3
	v_sub_u32_e32 v7, 29, v7
	v_and_b32_e32 v3, 7, v3
	v_cmp_eq_u32_e32 vcc, 0, v6
	v_cndmask_b32_e32 v6, v6, v7, vcc
	v_cndmask_b32_e32 v3, v5, v3, vcc
	v_mov_b32_e32 v5, 0x3b800000
	v_lshlrev_b32_e32 v3, 20, v3
	v_and_b32_e32 v4, 0x80000000, v4
	v_lshl_add_u32 v5, v6, 23, v5
	v_or3_b32 v3, v4, v5, v3
	v_cvt_i32_f32_e32 v5, v3
.LBB55_863:
	s_or_b64 exec, exec, s[8:9]
.LBB55_864:
	s_mov_b64 s[8:9], -1
.LBB55_865:
	s_mov_b64 s[10:11], 0
.LBB55_866:
	s_and_b64 vcc, exec, s[10:11]
	s_cbranch_vccz .LBB55_897
; %bb.867:
	s_cmp_gt_i32 s12, 22
	s_cbranch_scc0 .LBB55_875
; %bb.868:
	s_cmp_lt_i32 s12, 24
	s_cbranch_scc1 .LBB55_878
; %bb.869:
	s_cmp_gt_i32 s12, 24
	s_cbranch_scc0 .LBB55_879
; %bb.870:
	global_load_ubyte v3, v[1:2], off
	s_movk_i32 s2, 0x7f
	s_mov_b64 s[8:9], 0
	s_waitcnt vmcnt(0)
	v_cmp_lt_i16_e32 vcc, s2, v3
	s_and_saveexec_b64 s[2:3], vcc
	s_xor_b64 s[2:3], exec, s[2:3]
	s_cbranch_execz .LBB55_891
; %bb.871:
	s_movk_i32 s8, 0x80
	v_cmp_ne_u16_e32 vcc, s8, v3
	s_and_b64 s[8:9], vcc, exec
	s_andn2_saveexec_b64 s[2:3], s[2:3]
	s_cbranch_execnz .LBB55_892
.LBB55_872:
	s_or_b64 exec, exec, s[2:3]
	v_mov_b32_e32 v5, 0
	s_and_saveexec_b64 s[2:3], s[8:9]
	s_cbranch_execz .LBB55_874
.LBB55_873:
	v_lshlrev_b32_e32 v4, 24, v3
	v_and_b32_e32 v3, 0xffff, v3
	v_and_b32_e32 v5, 3, v3
	v_ffbh_u32_e32 v7, v5
	v_min_u32_e32 v7, 32, v7
	v_subrev_u32_e32 v8, 29, v7
	v_bfe_u32 v6, v3, 2, 5
	v_lshlrev_b32_e32 v3, v8, v3
	v_sub_u32_e32 v7, 30, v7
	v_and_b32_e32 v3, 3, v3
	v_cmp_eq_u32_e32 vcc, 0, v6
	v_cndmask_b32_e32 v6, v6, v7, vcc
	v_cndmask_b32_e32 v3, v5, v3, vcc
	v_mov_b32_e32 v5, 0x37800000
	v_lshlrev_b32_e32 v3, 21, v3
	v_and_b32_e32 v4, 0x80000000, v4
	v_lshl_add_u32 v5, v6, 23, v5
	v_or3_b32 v3, v4, v5, v3
	v_cvt_i32_f32_e32 v5, v3
.LBB55_874:
	s_or_b64 exec, exec, s[2:3]
	s_mov_b64 s[2:3], 0
	s_branch .LBB55_880
.LBB55_875:
	s_mov_b64 s[2:3], -1
                                        ; implicit-def: $vgpr5
	s_branch .LBB55_886
.LBB55_876:
	s_andn2_saveexec_b64 s[8:9], s[8:9]
	s_cbranch_execz .LBB55_861
.LBB55_877:
	v_cmp_ne_u16_e32 vcc, 0, v3
	s_andn2_b64 s[10:11], s[10:11], exec
	s_and_b64 s[14:15], vcc, exec
	s_or_b64 s[10:11], s[10:11], s[14:15]
	s_or_b64 exec, exec, s[8:9]
	v_mov_b32_e32 v5, 0
	s_and_saveexec_b64 s[8:9], s[10:11]
	s_cbranch_execnz .LBB55_862
	s_branch .LBB55_863
.LBB55_878:
	s_mov_b64 s[2:3], -1
                                        ; implicit-def: $vgpr5
	s_branch .LBB55_883
.LBB55_879:
	s_mov_b64 s[2:3], -1
                                        ; implicit-def: $vgpr5
.LBB55_880:
	s_and_b64 vcc, exec, s[2:3]
	s_cbranch_vccz .LBB55_882
; %bb.881:
	global_load_ubyte v3, v[1:2], off
	s_mov_b32 s2, 0x7f800000
	s_waitcnt vmcnt(0)
	v_lshlrev_b32_e32 v3, 24, v3
	v_and_b32_e32 v4, 0x7f000000, v3
	v_ffbh_u32_e32 v5, v4
	v_min_u32_e32 v5, 32, v5
	v_sub_u32_e64 v5, v5, 4 clamp
	v_lshlrev_b32_e32 v7, v5, v4
	v_lshlrev_b32_e32 v5, 23, v5
	v_lshrrev_b32_e32 v7, 4, v7
	v_add_u32_e32 v6, 0x1000000, v4
	v_sub_u32_e32 v5, v7, v5
	v_ashrrev_i32_e32 v6, 8, v6
	v_add_u32_e32 v5, 0x3c000000, v5
	v_and_or_b32 v5, v6, s2, v5
	v_cmp_ne_u32_e32 vcc, 0, v4
	v_cndmask_b32_e32 v4, 0, v5, vcc
	s_brev_b32 s2, 1
	v_and_or_b32 v3, v3, s2, v4
	v_cvt_i32_f32_e32 v5, v3
.LBB55_882:
	s_mov_b64 s[2:3], 0
.LBB55_883:
	s_andn2_b64 vcc, exec, s[2:3]
	s_cbranch_vccnz .LBB55_885
; %bb.884:
	global_load_ubyte v3, v[1:2], off
	s_movk_i32 s2, 0x7f00
	s_brev_b32 s3, 16
	s_waitcnt vmcnt(0)
	v_lshlrev_b16_e32 v4, 8, v3
	v_lshlrev_b32_e32 v3, 25, v3
	v_lshrrev_b32_e32 v5, 4, v3
	v_and_or_b32 v6, v4, s2, 0.5
	v_or_b32_e32 v5, 0x70000000, v5
	v_add_f32_e32 v6, -0.5, v6
	v_mul_f32_e32 v5, 0x7800000, v5
	v_cmp_gt_u32_e32 vcc, s3, v3
	v_bfe_i32 v4, v4, 0, 16
	v_cndmask_b32_e32 v3, v5, v6, vcc
	s_brev_b32 s2, 1
	v_and_or_b32 v3, v4, s2, v3
	v_cvt_i32_f32_e32 v5, v3
.LBB55_885:
	s_mov_b64 s[2:3], 0
	s_mov_b64 s[8:9], -1
.LBB55_886:
	s_andn2_b64 vcc, exec, s[2:3]
	s_mov_b64 s[2:3], 0
	s_cbranch_vccnz .LBB55_897
; %bb.887:
	s_cmp_gt_i32 s12, 14
	s_cbranch_scc0 .LBB55_890
; %bb.888:
	s_cmp_eq_u32 s12, 15
	s_cbranch_scc0 .LBB55_893
; %bb.889:
	global_load_ushort v3, v[1:2], off
	s_mov_b64 s[0:1], 0
	s_mov_b64 s[8:9], -1
	s_waitcnt vmcnt(0)
	v_lshlrev_b32_e32 v3, 16, v3
	v_cvt_i32_f32_e32 v5, v3
	s_branch .LBB55_894
.LBB55_890:
	s_mov_b64 s[10:11], -1
                                        ; implicit-def: $vgpr5
	s_branch .LBB55_895
.LBB55_891:
	s_andn2_saveexec_b64 s[2:3], s[2:3]
	s_cbranch_execz .LBB55_872
.LBB55_892:
	v_cmp_ne_u16_e32 vcc, 0, v3
	s_andn2_b64 s[8:9], s[8:9], exec
	s_and_b64 s[10:11], vcc, exec
	s_or_b64 s[8:9], s[8:9], s[10:11]
	s_or_b64 exec, exec, s[2:3]
	v_mov_b32_e32 v5, 0
	s_and_saveexec_b64 s[2:3], s[8:9]
	s_cbranch_execnz .LBB55_873
	s_branch .LBB55_874
.LBB55_893:
	s_mov_b64 s[0:1], -1
                                        ; implicit-def: $vgpr5
.LBB55_894:
	s_mov_b64 s[10:11], 0
.LBB55_895:
	s_and_b64 vcc, exec, s[10:11]
	s_cbranch_vccz .LBB55_897
; %bb.896:
	s_cmp_lg_u32 s12, 11
	s_cselect_b64 s[10:11], -1, 0
	s_andn2_b64 s[0:1], s[0:1], exec
	s_and_b64 s[10:11], s[10:11], exec
	s_mov_b64 s[2:3], -1
	s_or_b64 s[0:1], s[0:1], s[10:11]
.LBB55_897:
	s_mov_b64 s[12:13], 0
.LBB55_898:
	s_and_b64 s[10:11], s[8:9], exec
	s_and_b64 s[8:9], s[12:13], exec
	s_andn2_b64 s[12:13], s[68:69], exec
	s_and_b64 s[0:1], s[0:1], exec
	s_and_b64 s[2:3], s[2:3], exec
	s_or_b64 s[12:13], s[12:13], s[0:1]
.LBB55_899:
	s_or_b64 exec, exec, s[72:73]
	s_and_b64 s[0:1], s[2:3], exec
	s_andn2_b64 s[2:3], s[68:69], exec
	s_and_b64 s[12:13], s[12:13], exec
	s_and_b64 s[10:11], s[10:11], exec
	;; [unrolled: 1-line block ×3, first 2 shown]
	s_or_b64 s[68:69], s[2:3], s[12:13]
.LBB55_900:
	s_or_b64 exec, exec, s[66:67]
	s_andn2_b64 s[2:3], s[62:63], exec
	s_and_b64 s[12:13], s[70:71], exec
	s_or_b64 s[62:63], s[2:3], s[12:13]
	s_and_b64 s[2:3], s[0:1], exec
	s_andn2_b64 s[0:1], s[60:61], exec
	s_and_b64 s[12:13], s[68:69], exec
	s_and_b64 s[10:11], s[10:11], exec
	;; [unrolled: 1-line block ×3, first 2 shown]
	s_or_b64 s[60:61], s[0:1], s[12:13]
.LBB55_901:
	s_or_b64 exec, exec, s[64:65]
	s_andn2_b64 s[0:1], s[54:55], exec
	s_and_b64 s[12:13], s[62:63], exec
	s_or_b64 s[54:55], s[0:1], s[12:13]
	s_and_b64 s[0:1], s[10:11], exec
	s_and_b64 s[10:11], s[8:9], exec
	;; [unrolled: 1-line block ×3, first 2 shown]
	s_andn2_b64 s[2:3], s[56:57], exec
	s_and_b64 s[8:9], s[60:61], exec
	s_or_b64 s[56:57], s[2:3], s[8:9]
	s_or_b64 exec, exec, s[58:59]
	s_mov_b64 s[2:3], 0
	s_and_saveexec_b64 s[8:9], s[56:57]
	s_cbranch_execz .LBB55_270
.LBB55_902:
	s_mov_b64 s[2:3], exec
	s_andn2_b64 s[62:63], s[62:63], exec
	s_trap 2
	s_or_b64 exec, exec, s[8:9]
	s_and_saveexec_b64 s[8:9], s[62:63]
	s_xor_b64 s[8:9], exec, s[8:9]
	s_cbranch_execnz .LBB55_271
.LBB55_903:
	s_or_b64 exec, exec, s[8:9]
	s_and_saveexec_b64 s[8:9], s[10:11]
	s_cbranch_execz .LBB55_949
.LBB55_904:
	s_sext_i32_i16 s10, s75
	s_cmp_lt_i32 s10, 5
	s_cbranch_scc1 .LBB55_909
; %bb.905:
	s_cmp_lt_i32 s10, 8
	s_cbranch_scc1 .LBB55_910
; %bb.906:
	s_cmp_lt_i32 s10, 9
	s_cbranch_scc1 .LBB55_911
; %bb.907:
	s_cmp_gt_i32 s10, 9
	s_cbranch_scc0 .LBB55_912
; %bb.908:
	global_load_dwordx2 v[3:4], v[1:2], off
	s_mov_b64 s[10:11], 0
	s_waitcnt vmcnt(0)
	v_cvt_i32_f64_e32 v5, v[3:4]
	s_branch .LBB55_913
.LBB55_909:
                                        ; implicit-def: $vgpr5
	s_branch .LBB55_930
.LBB55_910:
                                        ; implicit-def: $vgpr5
	s_branch .LBB55_919
.LBB55_911:
	s_mov_b64 s[10:11], -1
                                        ; implicit-def: $vgpr5
	s_branch .LBB55_916
.LBB55_912:
	s_mov_b64 s[10:11], -1
                                        ; implicit-def: $vgpr5
.LBB55_913:
	s_andn2_b64 vcc, exec, s[10:11]
	s_cbranch_vccnz .LBB55_915
; %bb.914:
	global_load_dword v3, v[1:2], off
	s_waitcnt vmcnt(0)
	v_cvt_i32_f32_e32 v5, v3
.LBB55_915:
	s_mov_b64 s[10:11], 0
.LBB55_916:
	s_andn2_b64 vcc, exec, s[10:11]
	s_cbranch_vccnz .LBB55_918
; %bb.917:
	global_load_dword v3, v[1:2], off
	s_waitcnt vmcnt(0)
	v_cvt_f32_f16_e32 v3, v3
	v_cvt_i32_f32_e32 v5, v3
.LBB55_918:
	s_cbranch_execnz .LBB55_929
.LBB55_919:
	s_sext_i32_i16 s10, s75
	s_cmp_lt_i32 s10, 6
	s_cbranch_scc1 .LBB55_922
; %bb.920:
	s_cmp_gt_i32 s10, 6
	s_cbranch_scc0 .LBB55_923
; %bb.921:
	global_load_dwordx2 v[3:4], v[1:2], off
	s_mov_b64 s[10:11], 0
	s_waitcnt vmcnt(0)
	v_cvt_i32_f64_e32 v5, v[3:4]
	s_branch .LBB55_924
.LBB55_922:
	s_mov_b64 s[10:11], -1
                                        ; implicit-def: $vgpr5
	s_branch .LBB55_927
.LBB55_923:
	s_mov_b64 s[10:11], -1
                                        ; implicit-def: $vgpr5
.LBB55_924:
	s_andn2_b64 vcc, exec, s[10:11]
	s_cbranch_vccnz .LBB55_926
; %bb.925:
	global_load_dword v3, v[1:2], off
	s_waitcnt vmcnt(0)
	v_cvt_i32_f32_e32 v5, v3
.LBB55_926:
	s_mov_b64 s[10:11], 0
.LBB55_927:
	s_andn2_b64 vcc, exec, s[10:11]
	s_cbranch_vccnz .LBB55_929
; %bb.928:
	global_load_ushort v3, v[1:2], off
	s_waitcnt vmcnt(0)
	v_cvt_f32_f16_e32 v3, v3
	v_cvt_i32_f32_e32 v5, v3
.LBB55_929:
	s_cbranch_execnz .LBB55_948
.LBB55_930:
	s_sext_i32_i16 s10, s75
	s_cmp_lt_i32 s10, 2
	s_cbranch_scc1 .LBB55_934
; %bb.931:
	s_cmp_lt_i32 s10, 3
	s_cbranch_scc1 .LBB55_935
; %bb.932:
	s_cmp_gt_i32 s10, 3
	s_cbranch_scc0 .LBB55_936
; %bb.933:
	global_load_dword v5, v[1:2], off
	s_mov_b64 s[10:11], 0
	s_branch .LBB55_937
.LBB55_934:
                                        ; implicit-def: $vgpr5
	s_branch .LBB55_943
.LBB55_935:
	s_mov_b64 s[10:11], -1
                                        ; implicit-def: $vgpr5
	s_branch .LBB55_940
.LBB55_936:
	s_mov_b64 s[10:11], -1
                                        ; implicit-def: $vgpr5
.LBB55_937:
	s_andn2_b64 vcc, exec, s[10:11]
	s_cbranch_vccnz .LBB55_939
; %bb.938:
	global_load_dword v5, v[1:2], off
.LBB55_939:
	s_mov_b64 s[10:11], 0
.LBB55_940:
	s_andn2_b64 vcc, exec, s[10:11]
	s_cbranch_vccnz .LBB55_942
; %bb.941:
	global_load_sshort v5, v[1:2], off
.LBB55_942:
	s_cbranch_execnz .LBB55_948
.LBB55_943:
	s_sext_i32_i16 s10, s75
	s_cmp_gt_i32 s10, 0
	s_cbranch_scc0 .LBB55_945
; %bb.944:
	global_load_sbyte v5, v[1:2], off
	s_mov_b64 s[10:11], 0
	s_branch .LBB55_946
.LBB55_945:
	s_mov_b64 s[10:11], -1
                                        ; implicit-def: $vgpr5
.LBB55_946:
	s_andn2_b64 vcc, exec, s[10:11]
	s_cbranch_vccnz .LBB55_948
; %bb.947:
	global_load_ubyte v5, v[1:2], off
.LBB55_948:
	s_or_b64 s[0:1], s[0:1], exec
.LBB55_949:
	s_or_b64 exec, exec, s[8:9]
	s_mov_b64 s[12:13], 0
	s_mov_b64 s[10:11], 0
                                        ; implicit-def: $sgpr18
                                        ; implicit-def: $vgpr3_vgpr4
                                        ; implicit-def: $vgpr1
	s_and_saveexec_b64 s[8:9], s[0:1]
	s_cbranch_execz .LBB55_957
; %bb.950:
	s_waitcnt vmcnt(0)
	v_lshlrev_b32_e64 v1, v5, s44
	v_cmp_gt_u32_e32 vcc, 32, v5
	v_cndmask_b32_e32 v1, 0, v1, vcc
	v_mov_b32_e32 v2, s25
	s_and_b32 s18, s45, 0xff
	v_add_co_u32_e32 v3, vcc, s24, v0
	s_cmp_lt_i32 s18, 11
	v_addc_co_u32_e32 v4, vcc, 0, v2, vcc
	s_cbranch_scc1 .LBB55_960
; %bb.951:
	s_and_b32 s19, 0xffff, s18
	s_mov_b64 s[12:13], -1
	s_cmp_gt_i32 s19, 25
	s_mov_b64 s[0:1], s[54:55]
	s_cbranch_scc0 .LBB55_988
; %bb.952:
	s_mov_b64 s[10:11], -1
	s_cmp_gt_i32 s19, 28
	s_mov_b64 s[0:1], s[54:55]
	s_cbranch_scc0 .LBB55_972
; %bb.953:
	s_cmp_gt_i32 s19, 43
	s_mov_b64 s[0:1], s[54:55]
	s_cbranch_scc0 .LBB55_968
; %bb.954:
	;; [unrolled: 4-line block ×3, first 2 shown]
	s_cmp_eq_u32 s19, 46
	s_mov_b64 s[0:1], -1
	s_cbranch_scc0 .LBB55_961
; %bb.956:
	v_cvt_f32_i32_e32 v0, v1
	s_movk_i32 s0, 0x7fff
	s_mov_b64 s[10:11], 0
	v_bfe_u32 v2, v0, 16, 1
	v_add3_u32 v0, v0, v2, s0
	v_lshrrev_b32_e32 v0, 16, v0
	global_store_dword v[3:4], v0, off
	s_mov_b64 s[0:1], 0
	s_branch .LBB55_962
.LBB55_957:
	s_or_b64 exec, exec, s[8:9]
	s_and_saveexec_b64 s[0:1], s[54:55]
	s_cbranch_execnz .LBB55_1030
.LBB55_958:
	s_or_b64 exec, exec, s[0:1]
	s_and_saveexec_b64 s[0:1], s[12:13]
	s_xor_b64 s[0:1], exec, s[0:1]
	s_cbranch_execz .LBB55_1031
.LBB55_959:
	v_cmp_ne_u32_e32 vcc, 0, v1
	v_cndmask_b32_e64 v0, 0, 1, vcc
	s_waitcnt vmcnt(0)
	global_store_byte v[3:4], v0, off
	s_or_b64 exec, exec, s[0:1]
	s_and_saveexec_b64 s[0:1], s[10:11]
	s_xor_b64 s[0:1], exec, s[0:1]
	s_cbranch_execz .LBB55_1069
	s_branch .LBB55_1032
.LBB55_960:
	s_mov_b64 s[10:11], -1
	s_mov_b64 s[0:1], s[54:55]
	s_branch .LBB55_1029
.LBB55_961:
	s_mov_b64 s[10:11], 0
.LBB55_962:
	s_and_b64 vcc, exec, s[10:11]
	s_cbranch_vccz .LBB55_967
; %bb.963:
	s_cmp_eq_u32 s19, 44
	s_mov_b64 s[0:1], -1
	s_cbranch_scc0 .LBB55_967
; %bb.964:
	v_cvt_f32_i32_e32 v0, v1
	s_movk_i32 s0, 0xff
	v_mov_b32_e32 v5, 0xff
	v_bfe_u32 v2, v0, 23, 8
	v_cmp_ne_u32_e32 vcc, s0, v2
	s_and_saveexec_b64 s[10:11], vcc
; %bb.965:
	s_mov_b32 s0, 0x3fffff
	v_lshrrev_b32_e32 v5, 23, v0
	v_and_b32_e32 v6, 0x400000, v0
	v_and_or_b32 v0, v0, s0, v2
	v_cmp_ne_u32_e32 vcc, 0, v6
	v_cmp_ne_u32_e64 s[0:1], 0, v0
	s_and_b64 s[0:1], vcc, s[0:1]
	v_cndmask_b32_e64 v0, 0, 1, s[0:1]
	v_add_u32_e32 v5, v5, v0
; %bb.966:
	s_or_b64 exec, exec, s[10:11]
	s_mov_b64 s[0:1], 0
	global_store_byte v[3:4], v5, off
.LBB55_967:
	s_mov_b64 s[10:11], 0
.LBB55_968:
	s_and_b64 vcc, exec, s[10:11]
	s_cbranch_vccz .LBB55_971
; %bb.969:
	s_cmp_eq_u32 s19, 29
	s_mov_b64 s[0:1], -1
	s_cbranch_scc0 .LBB55_971
; %bb.970:
	v_ashrrev_i32_e32 v2, 31, v1
	global_store_dwordx2 v[3:4], v[1:2], off
	s_mov_b64 s[0:1], 0
.LBB55_971:
	s_mov_b64 s[10:11], 0
.LBB55_972:
	s_and_b64 vcc, exec, s[10:11]
	s_cbranch_vccz .LBB55_987
; %bb.973:
	s_cmp_lt_i32 s19, 27
	s_mov_b64 s[10:11], -1
	s_cbranch_scc1 .LBB55_979
; %bb.974:
	s_cmp_gt_i32 s19, 27
	s_cbranch_scc0 .LBB55_976
; %bb.975:
	s_mov_b64 s[10:11], 0
	global_store_dword v[3:4], v1, off
.LBB55_976:
	s_andn2_b64 vcc, exec, s[10:11]
	s_cbranch_vccnz .LBB55_978
; %bb.977:
	global_store_short v[3:4], v1, off
.LBB55_978:
	s_mov_b64 s[10:11], 0
.LBB55_979:
	s_andn2_b64 vcc, exec, s[10:11]
	s_cbranch_vccnz .LBB55_987
; %bb.980:
	v_cvt_f32_i32_e32 v0, v1
	s_mov_b32 s10, 0x43800000
	v_mov_b32_e32 v5, 0x80
	v_and_b32_e32 v2, 0x7fffffff, v0
	v_cmp_gt_u32_e32 vcc, s10, v2
	s_and_saveexec_b64 s[10:11], vcc
	s_cbranch_execz .LBB55_986
; %bb.981:
	s_mov_b32 s12, 0x3bffffff
	v_cmp_lt_u32_e32 vcc, s12, v2
	s_mov_b64 s[12:13], 0
                                        ; implicit-def: $vgpr2
	s_and_saveexec_b64 s[14:15], vcc
	s_xor_b64 s[14:15], exec, s[14:15]
	s_cbranch_execz .LBB55_1140
; %bb.982:
	v_bfe_u32 v2, v0, 20, 1
	s_mov_b32 s16, 0x487ffff
	v_add3_u32 v2, v0, v2, s16
	s_mov_b64 s[12:13], exec
	v_lshrrev_b32_e32 v2, 20, v2
	s_andn2_saveexec_b64 s[14:15], s[14:15]
	s_cbranch_execnz .LBB55_1141
.LBB55_983:
	s_or_b64 exec, exec, s[14:15]
	v_mov_b32_e32 v5, 0
	s_and_saveexec_b64 s[14:15], s[12:13]
.LBB55_984:
	v_lshrrev_b32_e32 v0, 24, v0
	s_movk_i32 s12, 0x80
	v_and_or_b32 v5, v0, s12, v2
.LBB55_985:
	s_or_b64 exec, exec, s[14:15]
.LBB55_986:
	s_or_b64 exec, exec, s[10:11]
	global_store_byte v[3:4], v5, off
.LBB55_987:
	s_mov_b64 s[12:13], 0
.LBB55_988:
	s_mov_b64 s[10:11], 0
	s_and_b64 vcc, exec, s[12:13]
	s_cbranch_vccz .LBB55_1028
; %bb.989:
	s_cmp_gt_i32 s19, 22
	s_mov_b64 s[12:13], -1
	s_cbranch_scc0 .LBB55_1021
; %bb.990:
	s_cmp_lt_i32 s19, 24
	s_cbranch_scc1 .LBB55_1010
; %bb.991:
	s_cmp_gt_i32 s19, 24
	s_cbranch_scc0 .LBB55_999
; %bb.992:
	v_cvt_f32_i32_e32 v0, v1
	s_mov_b32 s12, 0x47800000
	v_mov_b32_e32 v5, 0x80
	v_and_b32_e32 v2, 0x7fffffff, v0
	v_cmp_gt_u32_e32 vcc, s12, v2
	s_and_saveexec_b64 s[12:13], vcc
	s_cbranch_execz .LBB55_998
; %bb.993:
	s_mov_b32 s14, 0x37ffffff
	v_cmp_lt_u32_e32 vcc, s14, v2
	s_mov_b64 s[14:15], 0
                                        ; implicit-def: $vgpr2
	s_and_saveexec_b64 s[16:17], vcc
	s_xor_b64 s[16:17], exec, s[16:17]
	s_cbranch_execz .LBB55_1260
; %bb.994:
	v_bfe_u32 v2, v0, 21, 1
	s_mov_b32 s20, 0x88fffff
	v_add3_u32 v2, v0, v2, s20
	s_mov_b64 s[14:15], exec
	v_lshrrev_b32_e32 v2, 21, v2
	s_andn2_saveexec_b64 s[16:17], s[16:17]
	s_cbranch_execnz .LBB55_1261
.LBB55_995:
	s_or_b64 exec, exec, s[16:17]
	v_mov_b32_e32 v5, 0
	s_and_saveexec_b64 s[16:17], s[14:15]
.LBB55_996:
	v_lshrrev_b32_e32 v0, 24, v0
	s_movk_i32 s14, 0x80
	v_and_or_b32 v5, v0, s14, v2
.LBB55_997:
	s_or_b64 exec, exec, s[16:17]
.LBB55_998:
	s_or_b64 exec, exec, s[12:13]
	s_mov_b64 s[12:13], 0
	global_store_byte v[3:4], v5, off
.LBB55_999:
	s_and_b64 vcc, exec, s[12:13]
	s_cbranch_vccz .LBB55_1009
; %bb.1000:
	v_cvt_f32_i32_e32 v0, v1
	s_mov_b32 s12, 0x43f00000
                                        ; implicit-def: $vgpr2
	v_and_b32_e32 v5, 0x7fffffff, v0
	v_cmp_gt_u32_e32 vcc, s12, v5
	s_and_saveexec_b64 s[12:13], vcc
	s_xor_b64 s[12:13], exec, s[12:13]
	s_cbranch_execz .LBB55_1006
; %bb.1001:
	s_mov_b32 s14, 0x3c7fffff
	v_cmp_lt_u32_e32 vcc, s14, v5
                                        ; implicit-def: $vgpr2
	s_and_saveexec_b64 s[14:15], vcc
	s_xor_b64 s[14:15], exec, s[14:15]
; %bb.1002:
	v_bfe_u32 v2, v0, 20, 1
	s_mov_b32 s16, 0x407ffff
	v_add3_u32 v2, v0, v2, s16
	v_lshrrev_b32_e32 v5, 20, v2
	v_and_b32_e32 v2, 0xff00000, v2
	s_mov_b32 s16, 0x7f00000
	v_mov_b32_e32 v6, 0x7e
	v_cmp_ne_u32_e32 vcc, s16, v2
	v_cndmask_b32_e32 v2, v6, v5, vcc
; %bb.1003:
	s_andn2_saveexec_b64 s[14:15], s[14:15]
; %bb.1004:
	s_mov_b32 s16, 0x46800000
	v_add_f32_e64 v2, |v0|, s16
; %bb.1005:
	s_or_b64 exec, exec, s[14:15]
                                        ; implicit-def: $vgpr5
.LBB55_1006:
	s_andn2_saveexec_b64 s[12:13], s[12:13]
; %bb.1007:
	s_mov_b32 s14, 0x7f800000
	v_mov_b32_e32 v2, 0x7e
	v_mov_b32_e32 v6, 0x7f
	v_cmp_lt_u32_e32 vcc, s14, v5
	v_cndmask_b32_e32 v2, v2, v6, vcc
; %bb.1008:
	s_or_b64 exec, exec, s[12:13]
	v_lshrrev_b32_e32 v0, 24, v0
	s_movk_i32 s12, 0x80
	v_and_or_b32 v0, v0, s12, v2
	global_store_byte v[3:4], v0, off
.LBB55_1009:
	s_mov_b64 s[12:13], 0
.LBB55_1010:
	s_andn2_b64 vcc, exec, s[12:13]
	s_cbranch_vccnz .LBB55_1020
; %bb.1011:
	v_cvt_f32_i32_e32 v0, v1
	s_mov_b32 s12, 0x47800000
                                        ; implicit-def: $vgpr2
	v_and_b32_e32 v5, 0x7fffffff, v0
	v_cmp_gt_u32_e32 vcc, s12, v5
	s_and_saveexec_b64 s[12:13], vcc
	s_xor_b64 s[12:13], exec, s[12:13]
	s_cbranch_execz .LBB55_1017
; %bb.1012:
	s_mov_b32 s14, 0x387fffff
	v_cmp_lt_u32_e32 vcc, s14, v5
                                        ; implicit-def: $vgpr2
	s_and_saveexec_b64 s[14:15], vcc
	s_xor_b64 s[14:15], exec, s[14:15]
; %bb.1013:
	v_bfe_u32 v2, v0, 21, 1
	s_mov_b32 s16, 0x80fffff
	v_add3_u32 v2, v0, v2, s16
	v_lshrrev_b32_e32 v2, 21, v2
; %bb.1014:
	s_andn2_saveexec_b64 s[14:15], s[14:15]
; %bb.1015:
	s_mov_b32 s16, 0x43000000
	v_add_f32_e64 v2, |v0|, s16
; %bb.1016:
	s_or_b64 exec, exec, s[14:15]
                                        ; implicit-def: $vgpr5
.LBB55_1017:
	s_andn2_saveexec_b64 s[12:13], s[12:13]
; %bb.1018:
	s_mov_b32 s14, 0x7f800000
	v_mov_b32_e32 v2, 0x7c
	v_mov_b32_e32 v6, 0x7f
	v_cmp_lt_u32_e32 vcc, s14, v5
	v_cndmask_b32_e32 v2, v2, v6, vcc
; %bb.1019:
	s_or_b64 exec, exec, s[12:13]
	v_lshrrev_b32_e32 v0, 24, v0
	s_movk_i32 s12, 0x80
	v_and_or_b32 v0, v0, s12, v2
	global_store_byte v[3:4], v0, off
.LBB55_1020:
	s_mov_b64 s[12:13], 0
.LBB55_1021:
	s_andn2_b64 vcc, exec, s[12:13]
	s_mov_b64 s[12:13], 0
	s_cbranch_vccnz .LBB55_1029
; %bb.1022:
	s_cmp_gt_i32 s19, 14
	s_mov_b64 s[14:15], -1
	s_cbranch_scc0 .LBB55_1026
; %bb.1023:
	s_cmp_eq_u32 s19, 15
	s_mov_b64 s[0:1], -1
	s_cbranch_scc0 .LBB55_1025
; %bb.1024:
	v_cvt_f32_i32_e32 v0, v1
	s_movk_i32 s0, 0x7fff
	v_bfe_u32 v2, v0, 16, 1
	v_add3_u32 v0, v0, v2, s0
	global_store_short_d16_hi v[3:4], v0, off
	s_mov_b64 s[0:1], 0
.LBB55_1025:
	s_mov_b64 s[14:15], 0
.LBB55_1026:
	s_and_b64 vcc, exec, s[14:15]
	s_cbranch_vccz .LBB55_1029
; %bb.1027:
	s_cmp_lg_u32 s19, 11
	s_cselect_b64 s[14:15], -1, 0
	s_andn2_b64 s[0:1], s[0:1], exec
	s_and_b64 s[14:15], s[14:15], exec
	s_mov_b64 s[12:13], -1
	s_or_b64 s[0:1], s[0:1], s[14:15]
	s_branch .LBB55_1029
.LBB55_1028:
	s_mov_b64 s[12:13], 0
.LBB55_1029:
	s_andn2_b64 s[14:15], s[54:55], exec
	s_and_b64 s[0:1], s[0:1], exec
	s_and_b64 s[10:11], s[10:11], exec
	s_and_b64 s[12:13], s[12:13], exec
	s_or_b64 s[54:55], s[14:15], s[0:1]
	s_or_b64 exec, exec, s[8:9]
	s_and_saveexec_b64 s[0:1], s[54:55]
	s_cbranch_execz .LBB55_958
.LBB55_1030:
	s_or_b64 s[2:3], s[2:3], exec
	s_andn2_b64 s[12:13], s[12:13], exec
	s_trap 2
	s_or_b64 exec, exec, s[0:1]
	s_and_saveexec_b64 s[0:1], s[12:13]
	s_xor_b64 s[0:1], exec, s[0:1]
	s_cbranch_execnz .LBB55_959
.LBB55_1031:
	s_or_b64 exec, exec, s[0:1]
	s_and_saveexec_b64 s[0:1], s[10:11]
	s_xor_b64 s[0:1], exec, s[0:1]
	s_cbranch_execz .LBB55_1069
.LBB55_1032:
	s_sext_i32_i16 s10, s18
	s_cmp_lt_i32 s10, 5
	s_mov_b64 s[8:9], -1
	s_cbranch_scc1 .LBB55_1053
; %bb.1033:
	s_cmp_lt_i32 s10, 8
	s_cbranch_scc1 .LBB55_1043
; %bb.1034:
	s_cmp_lt_i32 s10, 9
	s_cbranch_scc1 .LBB55_1040
; %bb.1035:
	s_cmp_gt_i32 s10, 9
	s_cbranch_scc0 .LBB55_1037
; %bb.1036:
	s_waitcnt vmcnt(0)
	v_cvt_f64_i32_e32 v[5:6], v1
	v_mov_b32_e32 v7, 0
	v_mov_b32_e32 v8, v7
	s_mov_b64 s[8:9], 0
	global_store_dwordx4 v[3:4], v[5:8], off
.LBB55_1037:
	s_andn2_b64 vcc, exec, s[8:9]
	s_cbranch_vccnz .LBB55_1039
; %bb.1038:
	s_waitcnt vmcnt(0)
	v_cvt_f32_i32_e32 v5, v1
	v_mov_b32_e32 v6, 0
	global_store_dwordx2 v[3:4], v[5:6], off
.LBB55_1039:
	s_mov_b64 s[8:9], 0
.LBB55_1040:
	s_andn2_b64 vcc, exec, s[8:9]
	s_cbranch_vccnz .LBB55_1042
; %bb.1041:
	v_cvt_f32_i32_e32 v0, v1
	v_cvt_f16_f32_e32 v0, v0
	s_waitcnt vmcnt(0)
	global_store_dword v[3:4], v0, off
.LBB55_1042:
	s_mov_b64 s[8:9], 0
.LBB55_1043:
	s_andn2_b64 vcc, exec, s[8:9]
	s_cbranch_vccnz .LBB55_1052
; %bb.1044:
	s_sext_i32_i16 s10, s18
	s_cmp_lt_i32 s10, 6
	s_mov_b64 s[8:9], -1
	s_cbranch_scc1 .LBB55_1050
; %bb.1045:
	s_cmp_gt_i32 s10, 6
	s_cbranch_scc0 .LBB55_1047
; %bb.1046:
	s_waitcnt vmcnt(0)
	v_cvt_f64_i32_e32 v[5:6], v1
	s_mov_b64 s[8:9], 0
	global_store_dwordx2 v[3:4], v[5:6], off
.LBB55_1047:
	s_andn2_b64 vcc, exec, s[8:9]
	s_cbranch_vccnz .LBB55_1049
; %bb.1048:
	v_cvt_f32_i32_e32 v0, v1
	s_waitcnt vmcnt(0)
	global_store_dword v[3:4], v0, off
.LBB55_1049:
	s_mov_b64 s[8:9], 0
.LBB55_1050:
	s_andn2_b64 vcc, exec, s[8:9]
	s_cbranch_vccnz .LBB55_1052
; %bb.1051:
	v_cvt_f32_i32_e32 v0, v1
	v_cvt_f16_f32_e32 v0, v0
	s_waitcnt vmcnt(0)
	global_store_short v[3:4], v0, off
.LBB55_1052:
	s_mov_b64 s[8:9], 0
.LBB55_1053:
	s_andn2_b64 vcc, exec, s[8:9]
	s_cbranch_vccnz .LBB55_1069
; %bb.1054:
	s_sext_i32_i16 s10, s18
	s_cmp_lt_i32 s10, 2
	s_mov_b64 s[8:9], -1
	s_cbranch_scc1 .LBB55_1064
; %bb.1055:
	s_cmp_lt_i32 s10, 3
	s_cbranch_scc1 .LBB55_1061
; %bb.1056:
	s_cmp_gt_i32 s10, 3
	s_cbranch_scc0 .LBB55_1058
; %bb.1057:
	v_ashrrev_i32_e32 v2, 31, v1
	s_mov_b64 s[8:9], 0
	s_waitcnt vmcnt(0)
	global_store_dwordx2 v[3:4], v[1:2], off
.LBB55_1058:
	s_andn2_b64 vcc, exec, s[8:9]
	s_cbranch_vccnz .LBB55_1060
; %bb.1059:
	s_waitcnt vmcnt(0)
	global_store_dword v[3:4], v1, off
.LBB55_1060:
	s_mov_b64 s[8:9], 0
.LBB55_1061:
	s_andn2_b64 vcc, exec, s[8:9]
	s_cbranch_vccnz .LBB55_1063
; %bb.1062:
	s_waitcnt vmcnt(0)
	global_store_short v[3:4], v1, off
.LBB55_1063:
	s_mov_b64 s[8:9], 0
.LBB55_1064:
	s_andn2_b64 vcc, exec, s[8:9]
	s_cbranch_vccnz .LBB55_1069
; %bb.1065:
	s_sext_i32_i16 s8, s18
	s_cmp_gt_i32 s8, 0
	s_mov_b64 s[8:9], -1
	s_cbranch_scc0 .LBB55_1067
; %bb.1066:
	s_mov_b64 s[8:9], 0
	s_waitcnt vmcnt(0)
	global_store_byte v[3:4], v1, off
.LBB55_1067:
	s_andn2_b64 vcc, exec, s[8:9]
	s_cbranch_vccnz .LBB55_1069
; %bb.1068:
	s_waitcnt vmcnt(0)
	global_store_byte v[3:4], v1, off
.LBB55_1069:
	s_or_b64 exec, exec, s[0:1]
	s_and_b64 s[28:29], s[2:3], exec
                                        ; implicit-def: $vgpr15
                                        ; implicit-def: $vgpr8
.LBB55_1070:
	s_or_saveexec_b64 s[30:31], s[42:43]
	s_mov_b64 s[0:1], 0
                                        ; implicit-def: $vgpr0_vgpr1
                                        ; implicit-def: $sgpr16
                                        ; implicit-def: $vgpr2
	s_xor_b64 exec, exec, s[30:31]
	s_cbranch_execz .LBB55_2057
; %bb.1071:
	v_cndmask_b32_e64 v0, 0, 1, s[40:41]
	v_cmp_ne_u32_e64 s[0:1], 1, v0
	s_andn2_b64 vcc, exec, s[40:41]
	s_cbranch_vccnz .LBB55_1077
; %bb.1072:
	s_cmp_lg_u32 s33, 0
	s_mov_b32 s36, 0
	s_cbranch_scc0 .LBB55_1078
; %bb.1073:
	s_min_u32 s37, s74, 15
	s_add_i32 s37, s37, 1
	s_cmp_eq_u32 s74, 2
	s_cbranch_scc1 .LBB55_1079
; %bb.1074:
	s_and_b32 s36, s37, 28
	s_add_u32 s2, s34, 0xc4
	s_addc_u32 s3, s35, 0
	v_mov_b32_e32 v13, 0
	s_mov_b32 s38, 0
	s_mov_b64 s[6:7], s[34:35]
	v_mov_b32_e32 v6, 0
	v_mov_b32_e32 v0, v8
.LBB55_1075:                            ; =>This Inner Loop Header: Depth=1
	s_load_dwordx8 s[16:23], s[6:7], 0x4
	s_load_dwordx4 s[24:27], s[6:7], 0x24
	s_load_dwordx8 s[8:15], s[2:3], 0x0
	s_add_u32 s6, s6, 48
	s_addc_u32 s7, s7, 0
	s_waitcnt lgkmcnt(0)
	v_mul_hi_u32 v1, s17, v0
	s_add_i32 s38, s38, 4
	s_add_u32 s2, s2, 32
	s_addc_u32 s3, s3, 0
	v_add_u32_e32 v1, v0, v1
	v_lshrrev_b32_e32 v1, s18, v1
	v_mul_lo_u32 v2, v1, s16
	s_waitcnt vmcnt(0)
	v_mul_hi_u32 v3, s20, v1
	s_cmp_lg_u32 s36, s38
	v_sub_u32_e32 v0, v0, v2
	v_add_u32_e32 v2, v1, v3
	v_mul_lo_u32 v3, v0, s8
	v_mul_lo_u32 v4, v0, s9
	v_lshrrev_b32_e32 v0, s21, v2
	v_mul_lo_u32 v2, v0, s19
	v_mul_hi_u32 v5, s23, v0
	v_sub_u32_e32 v1, v1, v2
	v_add_u32_e32 v2, v0, v5
	v_lshrrev_b32_e32 v2, s24, v2
	v_mul_hi_u32 v7, s26, v2
	v_mul_lo_u32 v9, v2, s22
	v_mul_lo_u32 v5, v1, s10
	;; [unrolled: 1-line block ×3, first 2 shown]
	v_sub_u32_e32 v9, v0, v9
	v_add_u32_e32 v0, v2, v7
	v_lshrrev_b32_e32 v0, s27, v0
	v_mul_lo_u32 v7, v0, s25
	v_mul_lo_u32 v10, v9, s12
	;; [unrolled: 1-line block ×3, first 2 shown]
	v_add3_u32 v3, v3, v6, v5
	v_sub_u32_e32 v2, v2, v7
	v_mul_lo_u32 v7, v2, s14
	v_mul_lo_u32 v2, v2, s15
	v_add3_u32 v1, v4, v13, v1
	v_add3_u32 v6, v10, v3, v7
	v_add3_u32 v13, v9, v1, v2
	s_cbranch_scc1 .LBB55_1075
; %bb.1076:
	s_and_b32 s8, s37, 3
	s_cmp_eq_u32 s8, 0
	s_cbranch_scc0 .LBB55_1080
	s_branch .LBB55_1082
.LBB55_1077:
                                        ; implicit-def: $vgpr6
                                        ; implicit-def: $vgpr13
	s_branch .LBB55_1083
.LBB55_1078:
	v_mov_b32_e32 v6, 0
	v_mov_b32_e32 v13, 0
	s_branch .LBB55_1082
.LBB55_1079:
	v_mov_b32_e32 v6, 0
	v_mov_b32_e32 v13, 0
	;; [unrolled: 1-line block ×3, first 2 shown]
	s_and_b32 s8, s37, 3
	s_cmp_eq_u32 s8, 0
	s_cbranch_scc1 .LBB55_1082
.LBB55_1080:
	s_lshl_b32 s2, s36, 3
	s_add_u32 s2, s34, s2
	s_addc_u32 s3, s35, 0
	s_add_u32 s2, s2, 0xc4
	s_addc_u32 s3, s3, 0
	s_mul_i32 s6, s36, 12
	s_add_u32 s6, s34, s6
	s_addc_u32 s7, s35, 0
.LBB55_1081:                            ; =>This Inner Loop Header: Depth=1
	s_load_dwordx2 s[10:11], s[6:7], 0x4
	s_load_dword s9, s[6:7], 0xc
	s_load_dwordx2 s[12:13], s[2:3], 0x0
	s_add_u32 s6, s6, 12
	s_addc_u32 s7, s7, 0
	s_waitcnt lgkmcnt(0)
	v_mul_hi_u32 v1, s11, v0
	s_add_u32 s2, s2, 8
	s_addc_u32 s3, s3, 0
	s_add_i32 s8, s8, -1
	v_add_u32_e32 v1, v0, v1
	v_lshrrev_b32_e32 v1, s9, v1
	v_mul_lo_u32 v2, v1, s10
	s_cmp_lg_u32 s8, 0
	v_sub_u32_e32 v0, v0, v2
	v_mad_u64_u32 v[6:7], s[10:11], v0, s12, v[6:7]
	v_mad_u64_u32 v[13:14], s[10:11], v0, s13, v[13:14]
	v_mov_b32_e32 v0, v1
	s_cbranch_scc1 .LBB55_1081
.LBB55_1082:
	s_cbranch_execnz .LBB55_1085
.LBB55_1083:
	s_load_dwordx4 s[8:11], s[34:35], 0x4
	s_load_dwordx2 s[2:3], s[34:35], 0xc4
	s_cmp_lt_u32 s33, 2
	s_waitcnt lgkmcnt(0)
	v_mul_hi_u32 v0, s9, v8
	v_add_u32_e32 v0, v8, v0
	v_lshrrev_b32_e32 v0, s10, v0
	v_mul_lo_u32 v1, v0, s8
	v_sub_u32_e32 v1, v8, v1
	v_mul_lo_u32 v6, v1, s2
	v_mul_lo_u32 v13, v1, s3
	s_cbranch_scc1 .LBB55_1085
; %bb.1084:
	s_load_dwordx4 s[8:11], s[34:35], 0x10
	s_load_dwordx2 s[2:3], s[34:35], 0xcc
	s_waitcnt lgkmcnt(0)
	v_mul_hi_u32 v1, s9, v0
	v_add_u32_e32 v1, v0, v1
	v_lshrrev_b32_e32 v1, s10, v1
	v_mul_lo_u32 v1, v1, s8
	v_sub_u32_e32 v0, v0, v1
	v_mad_u64_u32 v[6:7], s[6:7], v0, s2, v[6:7]
	v_mad_u64_u32 v[13:14], s[2:3], v0, s3, v[13:14]
.LBB55_1085:
	s_and_b64 vcc, exec, s[0:1]
	v_add_u32_e32 v0, 0x80, v8
	s_cbranch_vccnz .LBB55_1091
; %bb.1086:
	s_cmp_lg_u32 s33, 0
	s_mov_b32 s36, 0
	s_cbranch_scc0 .LBB55_1092
; %bb.1087:
	s_min_u32 s37, s74, 15
	s_add_i32 s37, s37, 1
	s_cmp_eq_u32 s74, 2
	s_cbranch_scc1 .LBB55_1093
; %bb.1088:
	s_and_b32 s36, s37, 28
	s_add_u32 s2, s34, 0xc4
	s_addc_u32 s3, s35, 0
	v_mov_b32_e32 v11, 0
	s_mov_b32 s38, 0
	s_mov_b64 s[6:7], s[34:35]
	v_mov_b32_e32 v4, 0
	v_mov_b32_e32 v1, v0
.LBB55_1089:                            ; =>This Inner Loop Header: Depth=1
	s_load_dwordx8 s[16:23], s[6:7], 0x4
	s_load_dwordx4 s[24:27], s[6:7], 0x24
	s_load_dwordx8 s[8:15], s[2:3], 0x0
	s_add_u32 s6, s6, 48
	s_addc_u32 s7, s7, 0
	s_waitcnt lgkmcnt(0)
	v_mul_hi_u32 v2, s17, v1
	s_add_i32 s38, s38, 4
	s_add_u32 s2, s2, 32
	s_addc_u32 s3, s3, 0
	v_add_u32_e32 v2, v1, v2
	v_lshrrev_b32_e32 v2, s18, v2
	s_waitcnt vmcnt(0)
	v_mul_lo_u32 v3, v2, s16
	v_mul_hi_u32 v5, s20, v2
	s_cmp_lg_u32 s36, s38
	v_sub_u32_e32 v1, v1, v3
	v_add_u32_e32 v3, v2, v5
	v_mul_lo_u32 v5, v1, s8
	v_mul_lo_u32 v7, v1, s9
	v_lshrrev_b32_e32 v1, s21, v3
	v_mul_lo_u32 v3, v1, s19
	v_mul_hi_u32 v9, s23, v1
	v_sub_u32_e32 v2, v2, v3
	v_add_u32_e32 v3, v1, v9
	v_lshrrev_b32_e32 v3, s24, v3
	v_mul_hi_u32 v10, s26, v3
	v_mul_lo_u32 v12, v3, s22
	v_mul_lo_u32 v9, v2, s10
	;; [unrolled: 1-line block ×3, first 2 shown]
	v_sub_u32_e32 v12, v1, v12
	v_add_u32_e32 v1, v3, v10
	v_lshrrev_b32_e32 v1, s27, v1
	v_mul_lo_u32 v10, v1, s25
	v_mul_lo_u32 v14, v12, s12
	;; [unrolled: 1-line block ×3, first 2 shown]
	v_add3_u32 v4, v5, v4, v9
	v_sub_u32_e32 v3, v3, v10
	v_mul_lo_u32 v10, v3, s14
	v_mul_lo_u32 v3, v3, s15
	v_add3_u32 v2, v7, v11, v2
	v_add3_u32 v4, v14, v4, v10
	;; [unrolled: 1-line block ×3, first 2 shown]
	s_cbranch_scc1 .LBB55_1089
; %bb.1090:
	s_and_b32 s8, s37, 3
	s_cmp_eq_u32 s8, 0
	s_cbranch_scc0 .LBB55_1094
	s_branch .LBB55_1096
.LBB55_1091:
                                        ; implicit-def: $vgpr4
                                        ; implicit-def: $vgpr11
	s_branch .LBB55_1097
.LBB55_1092:
	v_mov_b32_e32 v4, 0
	v_mov_b32_e32 v11, 0
	s_branch .LBB55_1096
.LBB55_1093:
	v_mov_b32_e32 v4, 0
	v_mov_b32_e32 v11, 0
	v_mov_b32_e32 v1, v0
	s_and_b32 s8, s37, 3
	s_cmp_eq_u32 s8, 0
	s_cbranch_scc1 .LBB55_1096
.LBB55_1094:
	s_lshl_b32 s2, s36, 3
	s_add_u32 s2, s34, s2
	s_addc_u32 s3, s35, 0
	s_add_u32 s2, s2, 0xc4
	s_addc_u32 s3, s3, 0
	s_mul_i32 s6, s36, 12
	s_add_u32 s6, s34, s6
	s_addc_u32 s7, s35, 0
.LBB55_1095:                            ; =>This Inner Loop Header: Depth=1
	s_load_dwordx2 s[10:11], s[6:7], 0x4
	s_load_dword s9, s[6:7], 0xc
	s_load_dwordx2 s[12:13], s[2:3], 0x0
	s_add_u32 s6, s6, 12
	s_addc_u32 s7, s7, 0
	s_waitcnt lgkmcnt(0)
	v_mul_hi_u32 v2, s11, v1
	s_add_u32 s2, s2, 8
	s_addc_u32 s3, s3, 0
	s_add_i32 s8, s8, -1
	v_add_u32_e32 v2, v1, v2
	v_lshrrev_b32_e32 v2, s9, v2
	s_waitcnt vmcnt(0)
	v_mul_lo_u32 v3, v2, s10
	s_cmp_lg_u32 s8, 0
	v_sub_u32_e32 v1, v1, v3
	v_mad_u64_u32 v[4:5], s[10:11], v1, s12, v[4:5]
	v_mad_u64_u32 v[11:12], s[10:11], v1, s13, v[11:12]
	v_mov_b32_e32 v1, v2
	s_cbranch_scc1 .LBB55_1095
.LBB55_1096:
	s_cbranch_execnz .LBB55_1099
.LBB55_1097:
	s_load_dwordx4 s[8:11], s[34:35], 0x4
	s_load_dwordx2 s[2:3], s[34:35], 0xc4
	s_cmp_lt_u32 s33, 2
	s_waitcnt lgkmcnt(0)
	v_mul_hi_u32 v1, s9, v0
	v_add_u32_e32 v1, v0, v1
	v_lshrrev_b32_e32 v1, s10, v1
	v_mul_lo_u32 v2, v1, s8
	v_sub_u32_e32 v0, v0, v2
	v_mul_lo_u32 v4, v0, s2
	v_mul_lo_u32 v11, v0, s3
	s_cbranch_scc1 .LBB55_1099
; %bb.1098:
	s_load_dwordx4 s[8:11], s[34:35], 0x10
	s_load_dwordx2 s[2:3], s[34:35], 0xcc
	s_waitcnt lgkmcnt(0)
	v_mul_hi_u32 v0, s9, v1
	v_add_u32_e32 v0, v1, v0
	v_lshrrev_b32_e32 v0, s10, v0
	v_mul_lo_u32 v0, v0, s8
	v_sub_u32_e32 v0, v1, v0
	s_waitcnt vmcnt(0)
	v_mad_u64_u32 v[4:5], s[6:7], v0, s2, v[4:5]
	v_mad_u64_u32 v[11:12], s[2:3], v0, s3, v[11:12]
.LBB55_1099:
	s_and_b64 vcc, exec, s[0:1]
	v_add_u32_e32 v0, 0x100, v8
	s_cbranch_vccnz .LBB55_1105
; %bb.1100:
	s_cmp_lg_u32 s33, 0
	s_mov_b32 s36, 0
	s_cbranch_scc0 .LBB55_1106
; %bb.1101:
	s_min_u32 s37, s74, 15
	s_add_i32 s37, s37, 1
	s_cmp_eq_u32 s74, 2
	s_cbranch_scc1 .LBB55_1107
; %bb.1102:
	s_and_b32 s36, s37, 28
	s_add_u32 s2, s34, 0xc4
	s_addc_u32 s3, s35, 0
	v_mov_b32_e32 v9, 0
	s_mov_b32 s38, 0
	s_mov_b64 s[6:7], s[34:35]
	v_mov_b32_e32 v2, 0
	v_mov_b32_e32 v1, v0
.LBB55_1103:                            ; =>This Inner Loop Header: Depth=1
	s_load_dwordx8 s[16:23], s[6:7], 0x4
	s_load_dwordx4 s[24:27], s[6:7], 0x24
	s_load_dwordx8 s[8:15], s[2:3], 0x0
	s_add_u32 s6, s6, 48
	s_addc_u32 s7, s7, 0
	s_waitcnt vmcnt(0) lgkmcnt(0)
	v_mul_hi_u32 v3, s17, v1
	s_add_i32 s38, s38, 4
	s_add_u32 s2, s2, 32
	s_addc_u32 s3, s3, 0
	v_add_u32_e32 v3, v1, v3
	v_lshrrev_b32_e32 v3, s18, v3
	v_mul_lo_u32 v5, v3, s16
	v_mul_hi_u32 v7, s20, v3
	s_cmp_lg_u32 s36, s38
	v_sub_u32_e32 v1, v1, v5
	v_add_u32_e32 v5, v3, v7
	v_mul_lo_u32 v7, v1, s8
	v_mul_lo_u32 v8, v1, s9
	v_lshrrev_b32_e32 v1, s21, v5
	v_mul_lo_u32 v5, v1, s19
	v_mul_hi_u32 v10, s23, v1
	v_sub_u32_e32 v3, v3, v5
	v_add_u32_e32 v5, v1, v10
	v_lshrrev_b32_e32 v5, s24, v5
	v_mul_hi_u32 v12, s26, v5
	v_mul_lo_u32 v14, v5, s22
	v_mul_lo_u32 v10, v3, s10
	;; [unrolled: 1-line block ×3, first 2 shown]
	v_sub_u32_e32 v14, v1, v14
	v_add_u32_e32 v1, v5, v12
	v_lshrrev_b32_e32 v1, s27, v1
	v_mul_lo_u32 v12, v1, s25
	v_mul_lo_u32 v16, v14, s12
	;; [unrolled: 1-line block ×3, first 2 shown]
	v_add3_u32 v2, v7, v2, v10
	v_sub_u32_e32 v5, v5, v12
	v_mul_lo_u32 v12, v5, s14
	v_mul_lo_u32 v5, v5, s15
	v_add3_u32 v3, v8, v9, v3
	v_add3_u32 v2, v16, v2, v12
	;; [unrolled: 1-line block ×3, first 2 shown]
	s_cbranch_scc1 .LBB55_1103
; %bb.1104:
	s_and_b32 s8, s37, 3
	s_cmp_eq_u32 s8, 0
	s_cbranch_scc0 .LBB55_1108
	s_branch .LBB55_1110
.LBB55_1105:
                                        ; implicit-def: $vgpr2
                                        ; implicit-def: $vgpr9
	s_branch .LBB55_1111
.LBB55_1106:
	v_mov_b32_e32 v2, 0
	v_mov_b32_e32 v9, 0
	s_branch .LBB55_1110
.LBB55_1107:
	v_mov_b32_e32 v2, 0
	v_mov_b32_e32 v9, 0
	;; [unrolled: 1-line block ×3, first 2 shown]
	s_and_b32 s8, s37, 3
	s_cmp_eq_u32 s8, 0
	s_cbranch_scc1 .LBB55_1110
.LBB55_1108:
	s_lshl_b32 s2, s36, 3
	s_add_u32 s2, s34, s2
	s_addc_u32 s3, s35, 0
	s_add_u32 s2, s2, 0xc4
	s_addc_u32 s3, s3, 0
	s_mul_i32 s6, s36, 12
	s_add_u32 s6, s34, s6
	s_addc_u32 s7, s35, 0
.LBB55_1109:                            ; =>This Inner Loop Header: Depth=1
	s_load_dwordx2 s[10:11], s[6:7], 0x4
	s_load_dword s9, s[6:7], 0xc
	s_load_dwordx2 s[12:13], s[2:3], 0x0
	s_add_u32 s6, s6, 12
	s_addc_u32 s7, s7, 0
	s_waitcnt vmcnt(0) lgkmcnt(0)
	v_mul_hi_u32 v3, s11, v1
	s_add_u32 s2, s2, 8
	s_addc_u32 s3, s3, 0
	s_add_i32 s8, s8, -1
	v_add_u32_e32 v3, v1, v3
	v_lshrrev_b32_e32 v5, s9, v3
	v_mul_lo_u32 v3, v5, s10
	s_cmp_lg_u32 s8, 0
	v_sub_u32_e32 v1, v1, v3
	v_mad_u64_u32 v[2:3], s[10:11], v1, s12, v[2:3]
	v_mad_u64_u32 v[9:10], s[10:11], v1, s13, v[9:10]
	v_mov_b32_e32 v1, v5
	s_cbranch_scc1 .LBB55_1109
.LBB55_1110:
	s_cbranch_execnz .LBB55_1113
.LBB55_1111:
	s_load_dwordx4 s[8:11], s[34:35], 0x4
	s_load_dwordx2 s[2:3], s[34:35], 0xc4
	s_cmp_lt_u32 s33, 2
	s_waitcnt lgkmcnt(0)
	v_mul_hi_u32 v1, s9, v0
	v_add_u32_e32 v1, v0, v1
	v_lshrrev_b32_e32 v1, s10, v1
	v_mul_lo_u32 v2, v1, s8
	v_sub_u32_e32 v0, v0, v2
	v_mul_lo_u32 v2, v0, s2
	v_mul_lo_u32 v9, v0, s3
	s_cbranch_scc1 .LBB55_1113
; %bb.1112:
	s_load_dwordx4 s[8:11], s[34:35], 0x10
	s_load_dwordx2 s[2:3], s[34:35], 0xcc
	s_waitcnt lgkmcnt(0)
	v_mul_hi_u32 v0, s9, v1
	v_add_u32_e32 v0, v1, v0
	v_lshrrev_b32_e32 v0, s10, v0
	v_mul_lo_u32 v0, v0, s8
	v_sub_u32_e32 v0, v1, v0
	s_waitcnt vmcnt(0)
	v_mad_u64_u32 v[2:3], s[6:7], v0, s2, v[2:3]
	v_mad_u64_u32 v[9:10], s[2:3], v0, s3, v[9:10]
.LBB55_1113:
	s_and_b64 vcc, exec, s[0:1]
	s_cbranch_vccnz .LBB55_1119
; %bb.1114:
	s_cmp_lg_u32 s33, 0
	s_mov_b32 s26, 0
	s_cbranch_scc0 .LBB55_1120
; %bb.1115:
	s_min_u32 s27, s74, 15
	s_add_i32 s27, s27, 1
	s_cmp_eq_u32 s74, 2
	s_cbranch_scc1 .LBB55_1121
; %bb.1116:
	s_and_b32 s26, s27, 28
	s_add_u32 s6, s34, 0xc4
	s_addc_u32 s7, s35, 0
	v_mov_b32_e32 v7, 0
	s_mov_b32 s36, 0
	s_mov_b64 s[24:25], s[34:35]
	v_mov_b32_e32 v0, 0
	v_mov_b32_e32 v1, v15
.LBB55_1117:                            ; =>This Inner Loop Header: Depth=1
	s_load_dwordx8 s[16:23], s[24:25], 0x4
	s_load_dwordx4 s[0:3], s[24:25], 0x24
	s_load_dwordx8 s[8:15], s[6:7], 0x0
	s_add_u32 s24, s24, 48
	s_addc_u32 s25, s25, 0
	s_waitcnt vmcnt(0) lgkmcnt(0)
	v_mul_hi_u32 v3, s17, v1
	s_add_i32 s36, s36, 4
	s_add_u32 s6, s6, 32
	s_addc_u32 s7, s7, 0
	v_add_u32_e32 v3, v1, v3
	v_lshrrev_b32_e32 v3, s18, v3
	v_mul_lo_u32 v5, v3, s16
	v_mul_hi_u32 v8, s20, v3
	s_cmp_lg_u32 s26, s36
	v_sub_u32_e32 v1, v1, v5
	v_add_u32_e32 v5, v3, v8
	v_mul_lo_u32 v8, v1, s8
	v_mul_lo_u32 v10, v1, s9
	v_lshrrev_b32_e32 v1, s21, v5
	v_mul_lo_u32 v5, v1, s19
	v_mul_hi_u32 v12, s23, v1
	v_sub_u32_e32 v3, v3, v5
	v_add_u32_e32 v5, v1, v12
	v_lshrrev_b32_e32 v5, s0, v5
	v_mul_hi_u32 v14, s2, v5
	v_mul_lo_u32 v16, v5, s22
	v_mul_lo_u32 v12, v3, s10
	;; [unrolled: 1-line block ×3, first 2 shown]
	v_sub_u32_e32 v16, v1, v16
	v_add_u32_e32 v1, v5, v14
	v_lshrrev_b32_e32 v1, s3, v1
	v_mul_lo_u32 v14, v1, s1
	v_mul_lo_u32 v17, v16, s12
	;; [unrolled: 1-line block ×3, first 2 shown]
	v_add3_u32 v0, v8, v0, v12
	v_sub_u32_e32 v5, v5, v14
	v_mul_lo_u32 v14, v5, s14
	v_mul_lo_u32 v5, v5, s15
	v_add3_u32 v3, v10, v7, v3
	v_add3_u32 v0, v17, v0, v14
	;; [unrolled: 1-line block ×3, first 2 shown]
	s_cbranch_scc1 .LBB55_1117
; %bb.1118:
	s_and_b32 s6, s27, 3
	s_cmp_eq_u32 s6, 0
	s_cbranch_scc0 .LBB55_1122
	s_branch .LBB55_1124
.LBB55_1119:
                                        ; implicit-def: $vgpr0
                                        ; implicit-def: $vgpr7
	s_branch .LBB55_1125
.LBB55_1120:
	v_mov_b32_e32 v0, 0
	v_mov_b32_e32 v7, 0
	s_branch .LBB55_1124
.LBB55_1121:
	v_mov_b32_e32 v0, 0
	v_mov_b32_e32 v7, 0
	;; [unrolled: 1-line block ×3, first 2 shown]
	s_and_b32 s6, s27, 3
	s_cmp_eq_u32 s6, 0
	s_cbranch_scc1 .LBB55_1124
.LBB55_1122:
	s_lshl_b32 s0, s26, 3
	s_add_u32 s0, s34, s0
	s_addc_u32 s1, s35, 0
	s_add_u32 s0, s0, 0xc4
	s_addc_u32 s1, s1, 0
	s_mul_i32 s2, s26, 12
	s_add_u32 s2, s34, s2
	s_addc_u32 s3, s35, 0
.LBB55_1123:                            ; =>This Inner Loop Header: Depth=1
	s_load_dwordx2 s[8:9], s[2:3], 0x4
	s_load_dword s7, s[2:3], 0xc
	s_load_dwordx2 s[10:11], s[0:1], 0x0
	s_add_u32 s2, s2, 12
	s_addc_u32 s3, s3, 0
	s_waitcnt vmcnt(0) lgkmcnt(0)
	v_mul_hi_u32 v3, s9, v1
	s_add_u32 s0, s0, 8
	s_addc_u32 s1, s1, 0
	s_add_i32 s6, s6, -1
	v_add_u32_e32 v3, v1, v3
	v_lshrrev_b32_e32 v3, s7, v3
	v_mul_lo_u32 v5, v3, s8
	s_cmp_lg_u32 s6, 0
	v_sub_u32_e32 v5, v1, v5
	v_mad_u64_u32 v[0:1], s[8:9], v5, s10, v[0:1]
	v_mad_u64_u32 v[7:8], s[8:9], v5, s11, v[7:8]
	v_mov_b32_e32 v1, v3
	s_cbranch_scc1 .LBB55_1123
.LBB55_1124:
	s_cbranch_execnz .LBB55_1127
.LBB55_1125:
	s_load_dwordx4 s[0:3], s[34:35], 0x4
	s_load_dwordx2 s[6:7], s[34:35], 0xc4
	s_cmp_lt_u32 s33, 2
	s_waitcnt lgkmcnt(0)
	v_mul_hi_u32 v0, s1, v15
	v_add_u32_e32 v0, v15, v0
	v_lshrrev_b32_e32 v1, s2, v0
	v_mul_lo_u32 v0, v1, s0
	s_waitcnt vmcnt(0)
	v_sub_u32_e32 v3, v15, v0
	v_mul_lo_u32 v0, v3, s6
	v_mul_lo_u32 v7, v3, s7
	s_cbranch_scc1 .LBB55_1127
; %bb.1126:
	s_load_dwordx4 s[0:3], s[34:35], 0x10
	s_load_dwordx2 s[6:7], s[34:35], 0xcc
	s_waitcnt lgkmcnt(0)
	v_mul_hi_u32 v3, s1, v1
	v_add_u32_e32 v3, v1, v3
	v_lshrrev_b32_e32 v3, s2, v3
	v_mul_lo_u32 v3, v3, s0
	v_sub_u32_e32 v3, v1, v3
	v_mad_u64_u32 v[0:1], s[0:1], v3, s6, v[0:1]
	v_mad_u64_u32 v[7:8], s[0:1], v3, s7, v[7:8]
.LBB55_1127:
	s_load_dwordx4 s[8:11], s[34:35], 0x148
	s_load_dword s12, s[4:5], 0x168
	s_waitcnt lgkmcnt(0)
	v_mov_b32_e32 v1, s11
	s_bfe_u32 s13, s12, 0x80008
	v_add_co_u32_e32 v12, vcc, s10, v13
	s_cmp_lt_i32 s13, 11
	v_addc_co_u32_e32 v13, vcc, 0, v1, vcc
	s_cbranch_scc1 .LBB55_1134
; %bb.1128:
	s_and_b32 s14, 0xffff, s13
	s_cmp_gt_i32 s14, 25
	s_mov_b64 s[4:5], 0
	s_cbranch_scc0 .LBB55_1136
; %bb.1129:
	s_cmp_gt_i32 s14, 28
	s_cbranch_scc0 .LBB55_1137
; %bb.1130:
	s_cmp_gt_i32 s14, 43
	s_cbranch_scc0 .LBB55_1138
; %bb.1131:
	s_cmp_gt_i32 s14, 45
	s_cbranch_scc0 .LBB55_1139
; %bb.1132:
	s_cmp_eq_u32 s14, 46
	s_mov_b64 s[2:3], 0
	s_cbranch_scc0 .LBB55_1142
; %bb.1133:
	global_load_dword v1, v[12:13], off
	s_mov_b64 s[0:1], 0
	s_mov_b64 s[6:7], -1
	s_waitcnt vmcnt(0)
	v_lshlrev_b32_e32 v1, 16, v1
	v_cvt_i32_f32_e32 v5, v1
	s_branch .LBB55_1143
.LBB55_1134:
	s_mov_b64 s[6:7], 0
                                        ; implicit-def: $vgpr5
	s_mov_b64 s[2:3], s[28:29]
	s_cbranch_execnz .LBB55_1201
.LBB55_1135:
	s_andn2_b64 vcc, exec, s[6:7]
	s_cbranch_vccz .LBB55_1246
	s_branch .LBB55_2055
.LBB55_1136:
	s_mov_b64 s[6:7], 0
	s_mov_b64 s[0:1], 0
                                        ; implicit-def: $vgpr5
	s_cbranch_execnz .LBB55_1168
	s_branch .LBB55_1197
.LBB55_1137:
	s_mov_b64 s[6:7], 0
	s_mov_b64 s[0:1], 0
                                        ; implicit-def: $vgpr5
	s_cbranch_execz .LBB55_1167
	s_branch .LBB55_1152
.LBB55_1138:
	s_mov_b64 s[6:7], 0
	s_mov_b64 s[0:1], 0
                                        ; implicit-def: $vgpr5
	s_cbranch_execnz .LBB55_1148
	s_branch .LBB55_1151
.LBB55_1139:
	s_mov_b64 s[2:3], -1
	s_mov_b64 s[6:7], 0
	s_mov_b64 s[0:1], 0
                                        ; implicit-def: $vgpr5
	s_branch .LBB55_1143
.LBB55_1140:
	s_andn2_saveexec_b64 s[14:15], s[14:15]
	s_cbranch_execz .LBB55_983
.LBB55_1141:
	s_mov_b32 s16, 0x46000000
	v_add_f32_e64 v2, |v0|, s16
	v_and_b32_e32 v2, 0xff, v2
	v_cmp_ne_u32_e32 vcc, 0, v2
	s_andn2_b64 s[12:13], s[12:13], exec
	s_and_b64 s[16:17], vcc, exec
	s_or_b64 s[12:13], s[12:13], s[16:17]
	s_or_b64 exec, exec, s[14:15]
	v_mov_b32_e32 v5, 0
	s_and_saveexec_b64 s[14:15], s[12:13]
	s_cbranch_execnz .LBB55_984
	s_branch .LBB55_985
.LBB55_1142:
	s_mov_b64 s[0:1], -1
                                        ; implicit-def: $vgpr5
	s_mov_b64 s[6:7], 0
.LBB55_1143:
	s_and_b64 vcc, exec, s[2:3]
	s_cbranch_vccz .LBB55_1146
; %bb.1144:
	s_cmp_eq_u32 s14, 44
	s_cbranch_scc0 .LBB55_1147
; %bb.1145:
	global_load_ubyte v1, v[12:13], off
	s_mov_b64 s[0:1], 0
	s_mov_b64 s[6:7], -1
	s_waitcnt vmcnt(0)
	v_lshlrev_b32_e32 v3, 23, v1
	v_cvt_i32_f32_e32 v3, v3
	v_cmp_ne_u32_e32 vcc, 0, v1
	v_cndmask_b32_e32 v5, 0, v3, vcc
.LBB55_1146:
	s_branch .LBB55_1151
.LBB55_1147:
	s_mov_b64 s[0:1], -1
                                        ; implicit-def: $vgpr5
	s_branch .LBB55_1151
.LBB55_1148:
	s_cmp_eq_u32 s14, 29
	s_cbranch_scc0 .LBB55_1150
; %bb.1149:
	global_load_dword v5, v[12:13], off
	s_mov_b64 s[0:1], 0
	s_mov_b64 s[6:7], -1
	s_branch .LBB55_1151
.LBB55_1150:
	s_mov_b64 s[0:1], -1
                                        ; implicit-def: $vgpr5
.LBB55_1151:
	s_branch .LBB55_1167
.LBB55_1152:
	s_cmp_lt_i32 s14, 27
	s_cbranch_scc1 .LBB55_1155
; %bb.1153:
	s_cmp_gt_i32 s14, 27
	s_cbranch_scc0 .LBB55_1156
; %bb.1154:
	global_load_dword v5, v[12:13], off
	s_mov_b64 s[2:3], 0
	s_branch .LBB55_1157
.LBB55_1155:
	s_mov_b64 s[2:3], -1
                                        ; implicit-def: $vgpr5
	s_branch .LBB55_1160
.LBB55_1156:
	s_mov_b64 s[2:3], -1
                                        ; implicit-def: $vgpr5
.LBB55_1157:
	s_andn2_b64 vcc, exec, s[2:3]
	s_cbranch_vccnz .LBB55_1159
; %bb.1158:
	global_load_ushort v5, v[12:13], off
.LBB55_1159:
	s_mov_b64 s[2:3], 0
.LBB55_1160:
	s_andn2_b64 vcc, exec, s[2:3]
	s_cbranch_vccnz .LBB55_1166
; %bb.1161:
	global_load_ubyte v1, v[12:13], off
	s_movk_i32 s2, 0x7f
	s_mov_b64 s[6:7], 0
	s_waitcnt vmcnt(0)
	v_cmp_lt_i16_e32 vcc, s2, v1
	s_and_saveexec_b64 s[2:3], vcc
	s_xor_b64 s[2:3], exec, s[2:3]
	s_cbranch_execz .LBB55_1177
; %bb.1162:
	s_movk_i32 s6, 0x80
	v_cmp_ne_u16_e32 vcc, s6, v1
	s_and_b64 s[6:7], vcc, exec
	s_andn2_saveexec_b64 s[2:3], s[2:3]
	s_cbranch_execnz .LBB55_1178
.LBB55_1163:
	s_or_b64 exec, exec, s[2:3]
	v_mov_b32_e32 v5, 0
	s_and_saveexec_b64 s[2:3], s[6:7]
	s_cbranch_execz .LBB55_1165
.LBB55_1164:
	v_lshlrev_b32_e32 v3, 24, v1
	v_and_b32_e32 v1, 0xffff, v1
	v_and_b32_e32 v5, 7, v1
	v_ffbh_u32_e32 v10, v5
	v_min_u32_e32 v10, 32, v10
	v_subrev_u32_e32 v14, 28, v10
	v_bfe_u32 v8, v1, 3, 4
	v_lshlrev_b32_e32 v1, v14, v1
	v_sub_u32_e32 v10, 29, v10
	v_and_b32_e32 v1, 7, v1
	v_cmp_eq_u32_e32 vcc, 0, v8
	v_cndmask_b32_e32 v8, v8, v10, vcc
	v_cndmask_b32_e32 v1, v5, v1, vcc
	v_mov_b32_e32 v5, 0x3b800000
	v_lshlrev_b32_e32 v1, 20, v1
	v_and_b32_e32 v3, 0x80000000, v3
	v_lshl_add_u32 v5, v8, 23, v5
	v_or3_b32 v1, v3, v5, v1
	v_cvt_i32_f32_e32 v5, v1
.LBB55_1165:
	s_or_b64 exec, exec, s[2:3]
.LBB55_1166:
	s_mov_b64 s[6:7], -1
.LBB55_1167:
	s_branch .LBB55_1197
.LBB55_1168:
	s_cmp_gt_i32 s14, 22
	s_cbranch_scc0 .LBB55_1176
; %bb.1169:
	s_cmp_lt_i32 s14, 24
	s_cbranch_scc1 .LBB55_1179
; %bb.1170:
	s_cmp_gt_i32 s14, 24
	s_cbranch_scc0 .LBB55_1180
; %bb.1171:
	global_load_ubyte v1, v[12:13], off
	s_movk_i32 s2, 0x7f
	s_waitcnt vmcnt(0)
	v_cmp_lt_i16_e32 vcc, s2, v1
	s_and_saveexec_b64 s[2:3], vcc
	s_xor_b64 s[2:3], exec, s[2:3]
	s_cbranch_execz .LBB55_1191
; %bb.1172:
	s_movk_i32 s4, 0x80
	v_cmp_ne_u16_e32 vcc, s4, v1
	s_and_b64 s[4:5], vcc, exec
	s_andn2_saveexec_b64 s[2:3], s[2:3]
	s_cbranch_execnz .LBB55_1192
.LBB55_1173:
	s_or_b64 exec, exec, s[2:3]
	v_mov_b32_e32 v5, 0
	s_and_saveexec_b64 s[2:3], s[4:5]
	s_cbranch_execz .LBB55_1175
.LBB55_1174:
	v_lshlrev_b32_e32 v3, 24, v1
	v_and_b32_e32 v1, 0xffff, v1
	v_and_b32_e32 v5, 3, v1
	v_ffbh_u32_e32 v10, v5
	v_min_u32_e32 v10, 32, v10
	v_subrev_u32_e32 v14, 29, v10
	v_bfe_u32 v8, v1, 2, 5
	v_lshlrev_b32_e32 v1, v14, v1
	v_sub_u32_e32 v10, 30, v10
	v_and_b32_e32 v1, 3, v1
	v_cmp_eq_u32_e32 vcc, 0, v8
	v_cndmask_b32_e32 v8, v8, v10, vcc
	v_cndmask_b32_e32 v1, v5, v1, vcc
	v_mov_b32_e32 v5, 0x37800000
	v_lshlrev_b32_e32 v1, 21, v1
	v_and_b32_e32 v3, 0x80000000, v3
	v_lshl_add_u32 v5, v8, 23, v5
	v_or3_b32 v1, v3, v5, v1
	v_cvt_i32_f32_e32 v5, v1
.LBB55_1175:
	s_or_b64 exec, exec, s[2:3]
	s_mov_b64 s[2:3], 0
	s_branch .LBB55_1181
.LBB55_1176:
                                        ; implicit-def: $vgpr5
	s_mov_b64 s[4:5], 0
	s_branch .LBB55_1187
.LBB55_1177:
	s_andn2_saveexec_b64 s[2:3], s[2:3]
	s_cbranch_execz .LBB55_1163
.LBB55_1178:
	v_cmp_ne_u16_e32 vcc, 0, v1
	s_andn2_b64 s[6:7], s[6:7], exec
	s_and_b64 s[16:17], vcc, exec
	s_or_b64 s[6:7], s[6:7], s[16:17]
	s_or_b64 exec, exec, s[2:3]
	v_mov_b32_e32 v5, 0
	s_and_saveexec_b64 s[2:3], s[6:7]
	s_cbranch_execnz .LBB55_1164
	s_branch .LBB55_1165
.LBB55_1179:
	s_mov_b64 s[2:3], -1
                                        ; implicit-def: $vgpr5
	s_branch .LBB55_1184
.LBB55_1180:
	s_mov_b64 s[2:3], -1
                                        ; implicit-def: $vgpr5
.LBB55_1181:
	s_and_b64 vcc, exec, s[2:3]
	s_cbranch_vccz .LBB55_1183
; %bb.1182:
	global_load_ubyte v1, v[12:13], off
	s_mov_b32 s2, 0x7f800000
	s_waitcnt vmcnt(0)
	v_lshlrev_b32_e32 v1, 24, v1
	v_and_b32_e32 v3, 0x7f000000, v1
	v_ffbh_u32_e32 v5, v3
	v_min_u32_e32 v5, 32, v5
	v_sub_u32_e64 v5, v5, 4 clamp
	v_lshlrev_b32_e32 v10, v5, v3
	v_lshlrev_b32_e32 v5, 23, v5
	v_lshrrev_b32_e32 v10, 4, v10
	v_add_u32_e32 v8, 0x1000000, v3
	v_sub_u32_e32 v5, v10, v5
	v_ashrrev_i32_e32 v8, 8, v8
	v_add_u32_e32 v5, 0x3c000000, v5
	v_and_or_b32 v5, v8, s2, v5
	v_cmp_ne_u32_e32 vcc, 0, v3
	v_cndmask_b32_e32 v3, 0, v5, vcc
	s_brev_b32 s2, 1
	v_and_or_b32 v1, v1, s2, v3
	v_cvt_i32_f32_e32 v5, v1
.LBB55_1183:
	s_mov_b64 s[2:3], 0
.LBB55_1184:
	s_andn2_b64 vcc, exec, s[2:3]
	s_cbranch_vccnz .LBB55_1186
; %bb.1185:
	global_load_ubyte v1, v[12:13], off
	s_movk_i32 s2, 0x7f00
	s_brev_b32 s3, 16
	s_waitcnt vmcnt(0)
	v_lshlrev_b16_e32 v3, 8, v1
	v_lshlrev_b32_e32 v1, 25, v1
	v_lshrrev_b32_e32 v5, 4, v1
	v_and_or_b32 v8, v3, s2, 0.5
	v_or_b32_e32 v5, 0x70000000, v5
	v_add_f32_e32 v8, -0.5, v8
	v_mul_f32_e32 v5, 0x7800000, v5
	v_cmp_gt_u32_e32 vcc, s3, v1
	v_bfe_i32 v3, v3, 0, 16
	v_cndmask_b32_e32 v1, v5, v8, vcc
	s_brev_b32 s2, 1
	v_and_or_b32 v1, v3, s2, v1
	v_cvt_i32_f32_e32 v5, v1
.LBB55_1186:
	s_mov_b64 s[6:7], -1
	s_mov_b64 s[4:5], 0
	s_cbranch_execnz .LBB55_1197
.LBB55_1187:
	s_cmp_gt_i32 s14, 14
	s_cbranch_scc0 .LBB55_1190
; %bb.1188:
	s_cmp_eq_u32 s14, 15
	s_cbranch_scc0 .LBB55_1193
; %bb.1189:
	global_load_ushort v1, v[12:13], off
	s_mov_b64 s[0:1], 0
	s_mov_b64 s[6:7], -1
	s_waitcnt vmcnt(0)
	v_lshlrev_b32_e32 v1, 16, v1
	v_cvt_i32_f32_e32 v5, v1
	s_branch .LBB55_1194
.LBB55_1190:
	s_mov_b64 s[2:3], -1
                                        ; implicit-def: $vgpr5
	s_branch .LBB55_1195
.LBB55_1191:
	s_andn2_saveexec_b64 s[2:3], s[2:3]
	s_cbranch_execz .LBB55_1173
.LBB55_1192:
	v_cmp_ne_u16_e32 vcc, 0, v1
	s_andn2_b64 s[4:5], s[4:5], exec
	s_and_b64 s[6:7], vcc, exec
	s_or_b64 s[4:5], s[4:5], s[6:7]
	s_or_b64 exec, exec, s[2:3]
	v_mov_b32_e32 v5, 0
	s_and_saveexec_b64 s[2:3], s[4:5]
	s_cbranch_execnz .LBB55_1174
	s_branch .LBB55_1175
.LBB55_1193:
	s_mov_b64 s[0:1], -1
                                        ; implicit-def: $vgpr5
.LBB55_1194:
	s_mov_b64 s[2:3], 0
.LBB55_1195:
	s_and_b64 vcc, exec, s[2:3]
	s_cbranch_vccz .LBB55_1197
; %bb.1196:
	s_cmp_lg_u32 s14, 11
	s_mov_b64 s[4:5], -1
	s_cselect_b64 s[0:1], -1, 0
.LBB55_1197:
	s_and_b64 vcc, exec, s[0:1]
	s_mov_b64 s[2:3], s[28:29]
	s_cbranch_vccnz .LBB55_1258
; %bb.1198:
	s_andn2_b64 vcc, exec, s[4:5]
	s_cbranch_vccnz .LBB55_1200
.LBB55_1199:
	global_load_ubyte v1, v[12:13], off
	s_mov_b64 s[6:7], -1
	s_waitcnt vmcnt(0)
	v_cmp_ne_u16_e32 vcc, 0, v1
	v_cndmask_b32_e64 v5, 0, 1, vcc
.LBB55_1200:
	s_branch .LBB55_1135
.LBB55_1201:
	s_and_b32 s4, 0xffff, s13
	s_cmp_lt_i32 s4, 5
	s_cbranch_scc1 .LBB55_1206
; %bb.1202:
	s_cmp_lt_i32 s4, 8
	s_cbranch_scc1 .LBB55_1207
; %bb.1203:
	;; [unrolled: 3-line block ×3, first 2 shown]
	s_cmp_gt_i32 s4, 9
	s_cbranch_scc0 .LBB55_1209
; %bb.1205:
	global_load_dwordx2 v[14:15], v[12:13], off
	s_mov_b64 s[0:1], 0
	s_waitcnt vmcnt(0)
	v_cvt_i32_f64_e32 v5, v[14:15]
	s_branch .LBB55_1210
.LBB55_1206:
                                        ; implicit-def: $vgpr5
	s_branch .LBB55_1227
.LBB55_1207:
                                        ; implicit-def: $vgpr5
	s_branch .LBB55_1216
.LBB55_1208:
	s_mov_b64 s[0:1], -1
                                        ; implicit-def: $vgpr5
	s_branch .LBB55_1213
.LBB55_1209:
	s_mov_b64 s[0:1], -1
                                        ; implicit-def: $vgpr5
.LBB55_1210:
	s_andn2_b64 vcc, exec, s[0:1]
	s_cbranch_vccnz .LBB55_1212
; %bb.1211:
	global_load_dword v1, v[12:13], off
	s_waitcnt vmcnt(0)
	v_cvt_i32_f32_e32 v5, v1
.LBB55_1212:
	s_mov_b64 s[0:1], 0
.LBB55_1213:
	s_andn2_b64 vcc, exec, s[0:1]
	s_cbranch_vccnz .LBB55_1215
; %bb.1214:
	global_load_dword v1, v[12:13], off
	s_waitcnt vmcnt(0)
	v_cvt_f32_f16_e32 v1, v1
	v_cvt_i32_f32_e32 v5, v1
.LBB55_1215:
	s_cbranch_execnz .LBB55_1226
.LBB55_1216:
	s_cmp_lt_i32 s4, 6
	s_cbranch_scc1 .LBB55_1219
; %bb.1217:
	s_cmp_gt_i32 s4, 6
	s_cbranch_scc0 .LBB55_1220
; %bb.1218:
	global_load_dwordx2 v[14:15], v[12:13], off
	s_mov_b64 s[0:1], 0
	s_waitcnt vmcnt(0)
	v_cvt_i32_f64_e32 v5, v[14:15]
	s_branch .LBB55_1221
.LBB55_1219:
	s_mov_b64 s[0:1], -1
                                        ; implicit-def: $vgpr5
	s_branch .LBB55_1224
.LBB55_1220:
	s_mov_b64 s[0:1], -1
                                        ; implicit-def: $vgpr5
.LBB55_1221:
	s_andn2_b64 vcc, exec, s[0:1]
	s_cbranch_vccnz .LBB55_1223
; %bb.1222:
	global_load_dword v1, v[12:13], off
	s_waitcnt vmcnt(0)
	v_cvt_i32_f32_e32 v5, v1
.LBB55_1223:
	s_mov_b64 s[0:1], 0
.LBB55_1224:
	s_andn2_b64 vcc, exec, s[0:1]
	s_cbranch_vccnz .LBB55_1226
; %bb.1225:
	global_load_ushort v1, v[12:13], off
	s_waitcnt vmcnt(0)
	v_cvt_f32_f16_e32 v1, v1
	v_cvt_i32_f32_e32 v5, v1
.LBB55_1226:
	s_cbranch_execnz .LBB55_1245
.LBB55_1227:
	s_cmp_lt_i32 s4, 2
	s_cbranch_scc1 .LBB55_1231
; %bb.1228:
	s_cmp_lt_i32 s4, 3
	s_cbranch_scc1 .LBB55_1232
; %bb.1229:
	s_cmp_gt_i32 s4, 3
	s_cbranch_scc0 .LBB55_1233
; %bb.1230:
	global_load_dword v5, v[12:13], off
	s_mov_b64 s[0:1], 0
	s_branch .LBB55_1234
.LBB55_1231:
                                        ; implicit-def: $vgpr5
	s_branch .LBB55_1240
.LBB55_1232:
	s_mov_b64 s[0:1], -1
                                        ; implicit-def: $vgpr5
	s_branch .LBB55_1237
.LBB55_1233:
	s_mov_b64 s[0:1], -1
                                        ; implicit-def: $vgpr5
.LBB55_1234:
	s_andn2_b64 vcc, exec, s[0:1]
	s_cbranch_vccnz .LBB55_1236
; %bb.1235:
	global_load_dword v5, v[12:13], off
.LBB55_1236:
	s_mov_b64 s[0:1], 0
.LBB55_1237:
	s_andn2_b64 vcc, exec, s[0:1]
	s_cbranch_vccnz .LBB55_1239
; %bb.1238:
	global_load_sshort v5, v[12:13], off
.LBB55_1239:
	s_cbranch_execnz .LBB55_1245
.LBB55_1240:
	s_cmp_gt_i32 s4, 0
	s_cbranch_scc0 .LBB55_1242
; %bb.1241:
	global_load_sbyte v5, v[12:13], off
	s_mov_b64 s[0:1], 0
	s_branch .LBB55_1243
.LBB55_1242:
	s_mov_b64 s[0:1], -1
                                        ; implicit-def: $vgpr5
.LBB55_1243:
	s_andn2_b64 vcc, exec, s[0:1]
	s_cbranch_vccnz .LBB55_1245
; %bb.1244:
	global_load_ubyte v5, v[12:13], off
.LBB55_1245:
.LBB55_1246:
	s_lshr_b32 s0, s12, 8
	v_mov_b32_e32 v1, s11
	s_and_b32 s14, s0, 0xff
	v_add_co_u32_e32 v10, vcc, s10, v11
	s_cmp_lt_i32 s14, 11
	v_addc_co_u32_e32 v11, vcc, 0, v1, vcc
	s_cbranch_scc1 .LBB55_1253
; %bb.1247:
	s_and_b32 s15, 0xffff, s14
	s_cmp_gt_i32 s15, 25
	s_mov_b64 s[4:5], 0
	s_cbranch_scc0 .LBB55_1255
; %bb.1248:
	s_cmp_gt_i32 s15, 28
	s_cbranch_scc0 .LBB55_1256
; %bb.1249:
	s_cmp_gt_i32 s15, 43
	s_cbranch_scc0 .LBB55_1257
; %bb.1250:
	s_cmp_gt_i32 s15, 45
	s_cbranch_scc0 .LBB55_1259
; %bb.1251:
	s_cmp_eq_u32 s15, 46
	s_mov_b64 s[12:13], 0
	s_cbranch_scc0 .LBB55_1262
; %bb.1252:
	global_load_dword v1, v[10:11], off
	s_mov_b64 s[0:1], 0
	s_mov_b64 s[6:7], -1
	s_waitcnt vmcnt(0)
	v_lshlrev_b32_e32 v1, 16, v1
	v_cvt_i32_f32_e32 v3, v1
	s_branch .LBB55_1263
.LBB55_1253:
	s_mov_b64 s[6:7], 0
                                        ; implicit-def: $vgpr3
	s_cbranch_execnz .LBB55_1324
.LBB55_1254:
	s_andn2_b64 vcc, exec, s[6:7]
	s_cbranch_vccnz .LBB55_2055
	s_branch .LBB55_1371
.LBB55_1255:
	s_mov_b64 s[6:7], 0
	s_mov_b64 s[0:1], 0
                                        ; implicit-def: $vgpr3
	s_cbranch_execnz .LBB55_1290
	s_branch .LBB55_1320
.LBB55_1256:
	s_mov_b64 s[12:13], -1
	s_mov_b64 s[6:7], 0
	s_mov_b64 s[0:1], 0
                                        ; implicit-def: $vgpr3
	s_branch .LBB55_1273
.LBB55_1257:
	s_mov_b64 s[12:13], -1
	s_mov_b64 s[6:7], 0
	s_mov_b64 s[0:1], 0
                                        ; implicit-def: $vgpr3
	s_branch .LBB55_1268
.LBB55_1258:
	s_or_b64 s[2:3], s[28:29], exec
	s_trap 2
	s_cbranch_execz .LBB55_1199
	s_branch .LBB55_1200
.LBB55_1259:
	s_mov_b64 s[12:13], -1
	s_mov_b64 s[6:7], 0
	s_mov_b64 s[0:1], 0
                                        ; implicit-def: $vgpr3
	s_branch .LBB55_1263
.LBB55_1260:
	s_andn2_saveexec_b64 s[16:17], s[16:17]
	s_cbranch_execz .LBB55_995
.LBB55_1261:
	s_mov_b32 s20, 0x42800000
	v_add_f32_e64 v2, |v0|, s20
	v_and_b32_e32 v2, 0xff, v2
	v_cmp_ne_u32_e32 vcc, 0, v2
	s_andn2_b64 s[14:15], s[14:15], exec
	s_and_b64 s[20:21], vcc, exec
	s_or_b64 s[14:15], s[14:15], s[20:21]
	s_or_b64 exec, exec, s[16:17]
	v_mov_b32_e32 v5, 0
	s_and_saveexec_b64 s[16:17], s[14:15]
	s_cbranch_execnz .LBB55_996
	s_branch .LBB55_997
.LBB55_1262:
	s_mov_b64 s[0:1], -1
                                        ; implicit-def: $vgpr3
	s_mov_b64 s[6:7], 0
.LBB55_1263:
	s_and_b64 vcc, exec, s[12:13]
	s_cbranch_vccz .LBB55_1267
; %bb.1264:
	s_cmp_eq_u32 s15, 44
	s_cbranch_scc0 .LBB55_1266
; %bb.1265:
	global_load_ubyte v1, v[10:11], off
	s_mov_b64 s[0:1], 0
	s_mov_b64 s[6:7], -1
	s_waitcnt vmcnt(0)
	v_lshlrev_b32_e32 v3, 23, v1
	v_cvt_i32_f32_e32 v3, v3
	v_cmp_ne_u32_e32 vcc, 0, v1
	v_cndmask_b32_e32 v3, 0, v3, vcc
	s_branch .LBB55_1267
.LBB55_1266:
	s_mov_b64 s[0:1], -1
                                        ; implicit-def: $vgpr3
.LBB55_1267:
	s_mov_b64 s[12:13], 0
.LBB55_1268:
	s_and_b64 vcc, exec, s[12:13]
	s_cbranch_vccz .LBB55_1272
; %bb.1269:
	s_cmp_eq_u32 s15, 29
	s_cbranch_scc0 .LBB55_1271
; %bb.1270:
	global_load_dword v3, v[10:11], off
	s_mov_b64 s[0:1], 0
	s_mov_b64 s[6:7], -1
	s_branch .LBB55_1272
.LBB55_1271:
	s_mov_b64 s[0:1], -1
                                        ; implicit-def: $vgpr3
.LBB55_1272:
	s_mov_b64 s[12:13], 0
.LBB55_1273:
	s_and_b64 vcc, exec, s[12:13]
	s_cbranch_vccz .LBB55_1289
; %bb.1274:
	s_cmp_lt_i32 s15, 27
	s_cbranch_scc1 .LBB55_1277
; %bb.1275:
	s_cmp_gt_i32 s15, 27
	s_cbranch_scc0 .LBB55_1278
; %bb.1276:
	global_load_dword v3, v[10:11], off
	s_mov_b64 s[6:7], 0
	s_branch .LBB55_1279
.LBB55_1277:
	s_mov_b64 s[6:7], -1
                                        ; implicit-def: $vgpr3
	s_branch .LBB55_1282
.LBB55_1278:
	s_mov_b64 s[6:7], -1
                                        ; implicit-def: $vgpr3
.LBB55_1279:
	s_andn2_b64 vcc, exec, s[6:7]
	s_cbranch_vccnz .LBB55_1281
; %bb.1280:
	global_load_ushort v3, v[10:11], off
.LBB55_1281:
	s_mov_b64 s[6:7], 0
.LBB55_1282:
	s_andn2_b64 vcc, exec, s[6:7]
	s_cbranch_vccnz .LBB55_1288
; %bb.1283:
	global_load_ubyte v1, v[10:11], off
	s_movk_i32 s6, 0x7f
	s_mov_b64 s[12:13], 0
	s_waitcnt vmcnt(0)
	v_cmp_lt_i16_e32 vcc, s6, v1
	s_and_saveexec_b64 s[6:7], vcc
	s_xor_b64 s[6:7], exec, s[6:7]
	s_cbranch_execz .LBB55_1299
; %bb.1284:
	s_movk_i32 s12, 0x80
	v_cmp_ne_u16_e32 vcc, s12, v1
	s_and_b64 s[12:13], vcc, exec
	s_andn2_saveexec_b64 s[6:7], s[6:7]
	s_cbranch_execnz .LBB55_1300
.LBB55_1285:
	s_or_b64 exec, exec, s[6:7]
	v_mov_b32_e32 v3, 0
	s_and_saveexec_b64 s[6:7], s[12:13]
	s_cbranch_execz .LBB55_1287
.LBB55_1286:
	v_lshlrev_b32_e32 v3, 24, v1
	v_and_b32_e32 v1, 0xffff, v1
	v_and_b32_e32 v8, 7, v1
	v_ffbh_u32_e32 v13, v8
	v_min_u32_e32 v13, 32, v13
	v_subrev_u32_e32 v14, 28, v13
	v_bfe_u32 v12, v1, 3, 4
	v_lshlrev_b32_e32 v1, v14, v1
	v_sub_u32_e32 v13, 29, v13
	v_and_b32_e32 v1, 7, v1
	v_cmp_eq_u32_e32 vcc, 0, v12
	v_cndmask_b32_e32 v12, v12, v13, vcc
	v_cndmask_b32_e32 v1, v8, v1, vcc
	v_mov_b32_e32 v8, 0x3b800000
	v_lshlrev_b32_e32 v1, 20, v1
	v_and_b32_e32 v3, 0x80000000, v3
	v_lshl_add_u32 v8, v12, 23, v8
	v_or3_b32 v1, v3, v8, v1
	v_cvt_i32_f32_e32 v3, v1
.LBB55_1287:
	s_or_b64 exec, exec, s[6:7]
.LBB55_1288:
	s_mov_b64 s[6:7], -1
.LBB55_1289:
	s_branch .LBB55_1320
.LBB55_1290:
	s_cmp_gt_i32 s15, 22
	s_cbranch_scc0 .LBB55_1298
; %bb.1291:
	s_cmp_lt_i32 s15, 24
	s_cbranch_scc1 .LBB55_1301
; %bb.1292:
	s_cmp_gt_i32 s15, 24
	s_cbranch_scc0 .LBB55_1302
; %bb.1293:
	global_load_ubyte v1, v[10:11], off
	s_movk_i32 s4, 0x7f
	s_mov_b64 s[6:7], 0
	s_waitcnt vmcnt(0)
	v_cmp_lt_i16_e32 vcc, s4, v1
	s_and_saveexec_b64 s[4:5], vcc
	s_xor_b64 s[4:5], exec, s[4:5]
	s_cbranch_execz .LBB55_1314
; %bb.1294:
	s_movk_i32 s6, 0x80
	v_cmp_ne_u16_e32 vcc, s6, v1
	s_and_b64 s[6:7], vcc, exec
	s_andn2_saveexec_b64 s[4:5], s[4:5]
	s_cbranch_execnz .LBB55_1315
.LBB55_1295:
	s_or_b64 exec, exec, s[4:5]
	v_mov_b32_e32 v3, 0
	s_and_saveexec_b64 s[4:5], s[6:7]
	s_cbranch_execz .LBB55_1297
.LBB55_1296:
	v_lshlrev_b32_e32 v3, 24, v1
	v_and_b32_e32 v1, 0xffff, v1
	v_and_b32_e32 v8, 3, v1
	v_ffbh_u32_e32 v13, v8
	v_min_u32_e32 v13, 32, v13
	v_subrev_u32_e32 v14, 29, v13
	v_bfe_u32 v12, v1, 2, 5
	v_lshlrev_b32_e32 v1, v14, v1
	v_sub_u32_e32 v13, 30, v13
	v_and_b32_e32 v1, 3, v1
	v_cmp_eq_u32_e32 vcc, 0, v12
	v_cndmask_b32_e32 v12, v12, v13, vcc
	v_cndmask_b32_e32 v1, v8, v1, vcc
	v_mov_b32_e32 v8, 0x37800000
	v_lshlrev_b32_e32 v1, 21, v1
	v_and_b32_e32 v3, 0x80000000, v3
	v_lshl_add_u32 v8, v12, 23, v8
	v_or3_b32 v1, v3, v8, v1
	v_cvt_i32_f32_e32 v3, v1
.LBB55_1297:
	s_or_b64 exec, exec, s[4:5]
	s_mov_b64 s[4:5], 0
	s_branch .LBB55_1303
.LBB55_1298:
	s_mov_b64 s[4:5], -1
                                        ; implicit-def: $vgpr3
	s_branch .LBB55_1309
.LBB55_1299:
	s_andn2_saveexec_b64 s[6:7], s[6:7]
	s_cbranch_execz .LBB55_1285
.LBB55_1300:
	v_cmp_ne_u16_e32 vcc, 0, v1
	s_andn2_b64 s[12:13], s[12:13], exec
	s_and_b64 s[16:17], vcc, exec
	s_or_b64 s[12:13], s[12:13], s[16:17]
	s_or_b64 exec, exec, s[6:7]
	v_mov_b32_e32 v3, 0
	s_and_saveexec_b64 s[6:7], s[12:13]
	s_cbranch_execnz .LBB55_1286
	s_branch .LBB55_1287
.LBB55_1301:
	s_mov_b64 s[4:5], -1
                                        ; implicit-def: $vgpr3
	s_branch .LBB55_1306
.LBB55_1302:
	s_mov_b64 s[4:5], -1
                                        ; implicit-def: $vgpr3
.LBB55_1303:
	s_and_b64 vcc, exec, s[4:5]
	s_cbranch_vccz .LBB55_1305
; %bb.1304:
	global_load_ubyte v1, v[10:11], off
	s_mov_b32 s4, 0x7f800000
	s_waitcnt vmcnt(0)
	v_lshlrev_b32_e32 v1, 24, v1
	v_and_b32_e32 v3, 0x7f000000, v1
	v_ffbh_u32_e32 v8, v3
	v_min_u32_e32 v8, 32, v8
	v_sub_u32_e64 v8, v8, 4 clamp
	v_lshlrev_b32_e32 v13, v8, v3
	v_lshlrev_b32_e32 v8, 23, v8
	v_lshrrev_b32_e32 v13, 4, v13
	v_add_u32_e32 v12, 0x1000000, v3
	v_sub_u32_e32 v8, v13, v8
	v_ashrrev_i32_e32 v12, 8, v12
	v_add_u32_e32 v8, 0x3c000000, v8
	v_and_or_b32 v8, v12, s4, v8
	v_cmp_ne_u32_e32 vcc, 0, v3
	v_cndmask_b32_e32 v3, 0, v8, vcc
	s_brev_b32 s4, 1
	v_and_or_b32 v1, v1, s4, v3
	v_cvt_i32_f32_e32 v3, v1
.LBB55_1305:
	s_mov_b64 s[4:5], 0
.LBB55_1306:
	s_andn2_b64 vcc, exec, s[4:5]
	s_cbranch_vccnz .LBB55_1308
; %bb.1307:
	global_load_ubyte v1, v[10:11], off
	s_movk_i32 s4, 0x7f00
	s_brev_b32 s5, 16
	s_waitcnt vmcnt(0)
	v_lshlrev_b16_e32 v3, 8, v1
	v_lshlrev_b32_e32 v1, 25, v1
	v_lshrrev_b32_e32 v8, 4, v1
	v_and_or_b32 v12, v3, s4, 0.5
	v_or_b32_e32 v8, 0x70000000, v8
	v_add_f32_e32 v12, -0.5, v12
	v_mul_f32_e32 v8, 0x7800000, v8
	v_cmp_gt_u32_e32 vcc, s5, v1
	v_bfe_i32 v3, v3, 0, 16
	v_cndmask_b32_e32 v1, v8, v12, vcc
	s_brev_b32 s4, 1
	v_and_or_b32 v1, v3, s4, v1
	v_cvt_i32_f32_e32 v3, v1
.LBB55_1308:
	s_mov_b64 s[4:5], 0
	s_mov_b64 s[6:7], -1
.LBB55_1309:
	s_andn2_b64 vcc, exec, s[4:5]
	s_mov_b64 s[4:5], 0
	s_cbranch_vccnz .LBB55_1320
; %bb.1310:
	s_cmp_gt_i32 s15, 14
	s_cbranch_scc0 .LBB55_1313
; %bb.1311:
	s_cmp_eq_u32 s15, 15
	s_cbranch_scc0 .LBB55_1316
; %bb.1312:
	global_load_ushort v1, v[10:11], off
	s_mov_b64 s[0:1], 0
	s_mov_b64 s[6:7], -1
	s_waitcnt vmcnt(0)
	v_lshlrev_b32_e32 v1, 16, v1
	v_cvt_i32_f32_e32 v3, v1
	s_branch .LBB55_1317
.LBB55_1313:
	s_mov_b64 s[12:13], -1
                                        ; implicit-def: $vgpr3
	s_branch .LBB55_1318
.LBB55_1314:
	s_andn2_saveexec_b64 s[4:5], s[4:5]
	s_cbranch_execz .LBB55_1295
.LBB55_1315:
	v_cmp_ne_u16_e32 vcc, 0, v1
	s_andn2_b64 s[6:7], s[6:7], exec
	s_and_b64 s[12:13], vcc, exec
	s_or_b64 s[6:7], s[6:7], s[12:13]
	s_or_b64 exec, exec, s[4:5]
	v_mov_b32_e32 v3, 0
	s_and_saveexec_b64 s[4:5], s[6:7]
	s_cbranch_execnz .LBB55_1296
	s_branch .LBB55_1297
.LBB55_1316:
	s_mov_b64 s[0:1], -1
                                        ; implicit-def: $vgpr3
.LBB55_1317:
	s_mov_b64 s[12:13], 0
.LBB55_1318:
	s_and_b64 vcc, exec, s[12:13]
	s_cbranch_vccz .LBB55_1320
; %bb.1319:
	s_cmp_lg_u32 s15, 11
	s_mov_b64 s[4:5], -1
	s_cselect_b64 s[0:1], -1, 0
.LBB55_1320:
	s_and_b64 vcc, exec, s[0:1]
	s_cbranch_vccnz .LBB55_1383
; %bb.1321:
	s_andn2_b64 vcc, exec, s[4:5]
	s_cbranch_vccnz .LBB55_1323
.LBB55_1322:
	global_load_ubyte v1, v[10:11], off
	s_mov_b64 s[6:7], -1
	s_waitcnt vmcnt(0)
	v_cmp_ne_u16_e32 vcc, 0, v1
	v_cndmask_b32_e64 v3, 0, 1, vcc
.LBB55_1323:
	s_branch .LBB55_1254
.LBB55_1324:
	s_and_b32 s4, 0xffff, s14
	s_cmp_lt_i32 s4, 5
	s_cbranch_scc1 .LBB55_1329
; %bb.1325:
	s_cmp_lt_i32 s4, 8
	s_cbranch_scc1 .LBB55_1330
; %bb.1326:
	;; [unrolled: 3-line block ×3, first 2 shown]
	s_cmp_gt_i32 s4, 9
	s_cbranch_scc0 .LBB55_1332
; %bb.1328:
	global_load_dwordx2 v[12:13], v[10:11], off
	s_mov_b64 s[0:1], 0
	s_waitcnt vmcnt(0)
	v_cvt_i32_f64_e32 v3, v[12:13]
	s_branch .LBB55_1333
.LBB55_1329:
                                        ; implicit-def: $vgpr3
	s_branch .LBB55_1351
.LBB55_1330:
	s_mov_b64 s[0:1], -1
                                        ; implicit-def: $vgpr3
	s_branch .LBB55_1339
.LBB55_1331:
	s_mov_b64 s[0:1], -1
                                        ; implicit-def: $vgpr3
	s_branch .LBB55_1336
.LBB55_1332:
	s_mov_b64 s[0:1], -1
                                        ; implicit-def: $vgpr3
.LBB55_1333:
	s_andn2_b64 vcc, exec, s[0:1]
	s_cbranch_vccnz .LBB55_1335
; %bb.1334:
	global_load_dword v1, v[10:11], off
	s_waitcnt vmcnt(0)
	v_cvt_i32_f32_e32 v3, v1
.LBB55_1335:
	s_mov_b64 s[0:1], 0
.LBB55_1336:
	s_andn2_b64 vcc, exec, s[0:1]
	s_cbranch_vccnz .LBB55_1338
; %bb.1337:
	global_load_dword v1, v[10:11], off
	s_waitcnt vmcnt(0)
	v_cvt_f32_f16_e32 v1, v1
	v_cvt_i32_f32_e32 v3, v1
.LBB55_1338:
	s_mov_b64 s[0:1], 0
.LBB55_1339:
	s_andn2_b64 vcc, exec, s[0:1]
	s_cbranch_vccnz .LBB55_1350
; %bb.1340:
	s_cmp_lt_i32 s4, 6
	s_cbranch_scc1 .LBB55_1343
; %bb.1341:
	s_cmp_gt_i32 s4, 6
	s_cbranch_scc0 .LBB55_1344
; %bb.1342:
	global_load_dwordx2 v[12:13], v[10:11], off
	s_mov_b64 s[0:1], 0
	s_waitcnt vmcnt(0)
	v_cvt_i32_f64_e32 v3, v[12:13]
	s_branch .LBB55_1345
.LBB55_1343:
	s_mov_b64 s[0:1], -1
                                        ; implicit-def: $vgpr3
	s_branch .LBB55_1348
.LBB55_1344:
	s_mov_b64 s[0:1], -1
                                        ; implicit-def: $vgpr3
.LBB55_1345:
	s_andn2_b64 vcc, exec, s[0:1]
	s_cbranch_vccnz .LBB55_1347
; %bb.1346:
	global_load_dword v1, v[10:11], off
	s_waitcnt vmcnt(0)
	v_cvt_i32_f32_e32 v3, v1
.LBB55_1347:
	s_mov_b64 s[0:1], 0
.LBB55_1348:
	s_andn2_b64 vcc, exec, s[0:1]
	s_cbranch_vccnz .LBB55_1350
; %bb.1349:
	global_load_ushort v1, v[10:11], off
	s_waitcnt vmcnt(0)
	v_cvt_f32_f16_e32 v1, v1
	v_cvt_i32_f32_e32 v3, v1
.LBB55_1350:
	s_cbranch_execnz .LBB55_1370
.LBB55_1351:
	s_cmp_lt_i32 s4, 2
	s_cbranch_scc1 .LBB55_1355
; %bb.1352:
	s_cmp_lt_i32 s4, 3
	s_cbranch_scc1 .LBB55_1356
; %bb.1353:
	s_cmp_gt_i32 s4, 3
	s_cbranch_scc0 .LBB55_1357
; %bb.1354:
	global_load_dword v3, v[10:11], off
	s_mov_b64 s[0:1], 0
	s_branch .LBB55_1358
.LBB55_1355:
	s_mov_b64 s[0:1], -1
                                        ; implicit-def: $vgpr3
	s_branch .LBB55_1364
.LBB55_1356:
	s_mov_b64 s[0:1], -1
                                        ; implicit-def: $vgpr3
	s_branch .LBB55_1361
.LBB55_1357:
	s_mov_b64 s[0:1], -1
                                        ; implicit-def: $vgpr3
.LBB55_1358:
	s_andn2_b64 vcc, exec, s[0:1]
	s_cbranch_vccnz .LBB55_1360
; %bb.1359:
	global_load_dword v3, v[10:11], off
.LBB55_1360:
	s_mov_b64 s[0:1], 0
.LBB55_1361:
	s_andn2_b64 vcc, exec, s[0:1]
	s_cbranch_vccnz .LBB55_1363
; %bb.1362:
	global_load_sshort v3, v[10:11], off
.LBB55_1363:
	s_mov_b64 s[0:1], 0
.LBB55_1364:
	s_andn2_b64 vcc, exec, s[0:1]
	s_cbranch_vccnz .LBB55_1370
; %bb.1365:
	s_cmp_gt_i32 s4, 0
	s_cbranch_scc0 .LBB55_1367
; %bb.1366:
	global_load_sbyte v3, v[10:11], off
	s_mov_b64 s[0:1], 0
	s_branch .LBB55_1368
.LBB55_1367:
	s_mov_b64 s[0:1], -1
                                        ; implicit-def: $vgpr3
.LBB55_1368:
	s_andn2_b64 vcc, exec, s[0:1]
	s_cbranch_vccnz .LBB55_1370
; %bb.1369:
	global_load_ubyte v3, v[10:11], off
.LBB55_1370:
.LBB55_1371:
	v_mov_b32_e32 v1, s11
	v_add_co_u32_e32 v8, vcc, s10, v9
	s_cmp_lt_i32 s14, 11
	v_addc_co_u32_e32 v9, vcc, 0, v1, vcc
	s_cbranch_scc1 .LBB55_1378
; %bb.1372:
	s_and_b32 s15, 0xffff, s14
	s_cmp_gt_i32 s15, 25
	s_mov_b64 s[4:5], 0
	s_cbranch_scc0 .LBB55_1380
; %bb.1373:
	s_cmp_gt_i32 s15, 28
	s_cbranch_scc0 .LBB55_1381
; %bb.1374:
	s_cmp_gt_i32 s15, 43
	;; [unrolled: 3-line block ×3, first 2 shown]
	s_cbranch_scc0 .LBB55_1384
; %bb.1376:
	s_cmp_eq_u32 s15, 46
	s_mov_b64 s[12:13], 0
	s_cbranch_scc0 .LBB55_1385
; %bb.1377:
	global_load_dword v1, v[8:9], off
	s_mov_b64 s[0:1], 0
	s_mov_b64 s[6:7], -1
	s_waitcnt vmcnt(0)
	v_lshlrev_b32_e32 v1, 16, v1
	v_cvt_i32_f32_e32 v1, v1
	s_branch .LBB55_1386
.LBB55_1378:
	s_mov_b64 s[6:7], 0
                                        ; implicit-def: $vgpr1
	s_cbranch_execnz .LBB55_1448
.LBB55_1379:
	s_andn2_b64 vcc, exec, s[6:7]
	s_cbranch_vccnz .LBB55_2055
	s_branch .LBB55_1496
.LBB55_1380:
	s_mov_b64 s[12:13], -1
	s_mov_b64 s[6:7], 0
	s_mov_b64 s[0:1], 0
                                        ; implicit-def: $vgpr1
	s_branch .LBB55_1413
.LBB55_1381:
	s_mov_b64 s[12:13], -1
	s_mov_b64 s[6:7], 0
	s_mov_b64 s[0:1], 0
                                        ; implicit-def: $vgpr1
	s_branch .LBB55_1396
.LBB55_1382:
	s_mov_b64 s[12:13], -1
	s_mov_b64 s[6:7], 0
	s_mov_b64 s[0:1], 0
                                        ; implicit-def: $vgpr1
	s_branch .LBB55_1391
.LBB55_1383:
	s_trap 2
	s_or_b64 s[2:3], s[2:3], exec
	s_cbranch_execz .LBB55_1322
	s_branch .LBB55_1323
.LBB55_1384:
	s_mov_b64 s[12:13], -1
	s_mov_b64 s[6:7], 0
	s_mov_b64 s[0:1], 0
                                        ; implicit-def: $vgpr1
	s_branch .LBB55_1386
.LBB55_1385:
	s_mov_b64 s[0:1], -1
                                        ; implicit-def: $vgpr1
	s_mov_b64 s[6:7], 0
.LBB55_1386:
	s_and_b64 vcc, exec, s[12:13]
	s_cbranch_vccz .LBB55_1390
; %bb.1387:
	s_cmp_eq_u32 s15, 44
	s_cbranch_scc0 .LBB55_1389
; %bb.1388:
	global_load_ubyte v1, v[8:9], off
	s_mov_b64 s[0:1], 0
	s_mov_b64 s[6:7], -1
	s_waitcnt vmcnt(0)
	v_lshlrev_b32_e32 v10, 23, v1
	v_cvt_i32_f32_e32 v10, v10
	v_cmp_ne_u32_e32 vcc, 0, v1
	v_cndmask_b32_e32 v1, 0, v10, vcc
	s_branch .LBB55_1390
.LBB55_1389:
	s_mov_b64 s[0:1], -1
                                        ; implicit-def: $vgpr1
.LBB55_1390:
	s_mov_b64 s[12:13], 0
.LBB55_1391:
	s_and_b64 vcc, exec, s[12:13]
	s_cbranch_vccz .LBB55_1395
; %bb.1392:
	s_cmp_eq_u32 s15, 29
	s_cbranch_scc0 .LBB55_1394
; %bb.1393:
	global_load_dword v1, v[8:9], off
	s_mov_b64 s[0:1], 0
	s_mov_b64 s[6:7], -1
	s_branch .LBB55_1395
.LBB55_1394:
	s_mov_b64 s[0:1], -1
                                        ; implicit-def: $vgpr1
.LBB55_1395:
	s_mov_b64 s[12:13], 0
.LBB55_1396:
	s_and_b64 vcc, exec, s[12:13]
	s_cbranch_vccz .LBB55_1412
; %bb.1397:
	s_cmp_lt_i32 s15, 27
	s_cbranch_scc1 .LBB55_1400
; %bb.1398:
	s_cmp_gt_i32 s15, 27
	s_cbranch_scc0 .LBB55_1401
; %bb.1399:
	global_load_dword v1, v[8:9], off
	s_mov_b64 s[6:7], 0
	s_branch .LBB55_1402
.LBB55_1400:
	s_mov_b64 s[6:7], -1
                                        ; implicit-def: $vgpr1
	s_branch .LBB55_1405
.LBB55_1401:
	s_mov_b64 s[6:7], -1
                                        ; implicit-def: $vgpr1
.LBB55_1402:
	s_andn2_b64 vcc, exec, s[6:7]
	s_cbranch_vccnz .LBB55_1404
; %bb.1403:
	global_load_ushort v1, v[8:9], off
.LBB55_1404:
	s_mov_b64 s[6:7], 0
.LBB55_1405:
	s_andn2_b64 vcc, exec, s[6:7]
	s_cbranch_vccnz .LBB55_1411
; %bb.1406:
	global_load_ubyte v10, v[8:9], off
	s_movk_i32 s6, 0x7f
	s_mov_b64 s[12:13], 0
	s_waitcnt vmcnt(0)
	v_cmp_lt_i16_e32 vcc, s6, v10
	s_and_saveexec_b64 s[6:7], vcc
	s_xor_b64 s[6:7], exec, s[6:7]
	s_cbranch_execz .LBB55_1423
; %bb.1407:
	s_movk_i32 s12, 0x80
	v_cmp_ne_u16_e32 vcc, s12, v10
	s_and_b64 s[12:13], vcc, exec
	s_andn2_saveexec_b64 s[6:7], s[6:7]
	s_cbranch_execnz .LBB55_1424
.LBB55_1408:
	s_or_b64 exec, exec, s[6:7]
	v_mov_b32_e32 v1, 0
	s_and_saveexec_b64 s[6:7], s[12:13]
	s_cbranch_execz .LBB55_1410
.LBB55_1409:
	v_lshlrev_b32_e32 v1, 24, v10
	v_and_b32_e32 v10, 0xffff, v10
	v_and_b32_e32 v11, 7, v10
	v_ffbh_u32_e32 v13, v11
	v_min_u32_e32 v13, 32, v13
	v_subrev_u32_e32 v14, 28, v13
	v_bfe_u32 v12, v10, 3, 4
	v_lshlrev_b32_e32 v10, v14, v10
	v_sub_u32_e32 v13, 29, v13
	v_and_b32_e32 v10, 7, v10
	v_cmp_eq_u32_e32 vcc, 0, v12
	v_cndmask_b32_e32 v12, v12, v13, vcc
	v_cndmask_b32_e32 v10, v11, v10, vcc
	v_mov_b32_e32 v11, 0x3b800000
	v_lshlrev_b32_e32 v10, 20, v10
	v_and_b32_e32 v1, 0x80000000, v1
	v_lshl_add_u32 v11, v12, 23, v11
	v_or3_b32 v1, v1, v11, v10
	v_cvt_i32_f32_e32 v1, v1
.LBB55_1410:
	s_or_b64 exec, exec, s[6:7]
.LBB55_1411:
	s_mov_b64 s[6:7], -1
.LBB55_1412:
	s_mov_b64 s[12:13], 0
.LBB55_1413:
	s_and_b64 vcc, exec, s[12:13]
	s_cbranch_vccz .LBB55_1444
; %bb.1414:
	s_cmp_gt_i32 s15, 22
	s_cbranch_scc0 .LBB55_1422
; %bb.1415:
	s_cmp_lt_i32 s15, 24
	s_cbranch_scc1 .LBB55_1425
; %bb.1416:
	s_cmp_gt_i32 s15, 24
	s_cbranch_scc0 .LBB55_1426
; %bb.1417:
	global_load_ubyte v10, v[8:9], off
	s_movk_i32 s4, 0x7f
	s_mov_b64 s[6:7], 0
	s_waitcnt vmcnt(0)
	v_cmp_lt_i16_e32 vcc, s4, v10
	s_and_saveexec_b64 s[4:5], vcc
	s_xor_b64 s[4:5], exec, s[4:5]
	s_cbranch_execz .LBB55_1438
; %bb.1418:
	s_movk_i32 s6, 0x80
	v_cmp_ne_u16_e32 vcc, s6, v10
	s_and_b64 s[6:7], vcc, exec
	s_andn2_saveexec_b64 s[4:5], s[4:5]
	s_cbranch_execnz .LBB55_1439
.LBB55_1419:
	s_or_b64 exec, exec, s[4:5]
	v_mov_b32_e32 v1, 0
	s_and_saveexec_b64 s[4:5], s[6:7]
	s_cbranch_execz .LBB55_1421
.LBB55_1420:
	v_lshlrev_b32_e32 v1, 24, v10
	v_and_b32_e32 v10, 0xffff, v10
	v_and_b32_e32 v11, 3, v10
	v_ffbh_u32_e32 v13, v11
	v_min_u32_e32 v13, 32, v13
	v_subrev_u32_e32 v14, 29, v13
	v_bfe_u32 v12, v10, 2, 5
	v_lshlrev_b32_e32 v10, v14, v10
	v_sub_u32_e32 v13, 30, v13
	v_and_b32_e32 v10, 3, v10
	v_cmp_eq_u32_e32 vcc, 0, v12
	v_cndmask_b32_e32 v12, v12, v13, vcc
	v_cndmask_b32_e32 v10, v11, v10, vcc
	v_mov_b32_e32 v11, 0x37800000
	v_lshlrev_b32_e32 v10, 21, v10
	v_and_b32_e32 v1, 0x80000000, v1
	v_lshl_add_u32 v11, v12, 23, v11
	v_or3_b32 v1, v1, v11, v10
	v_cvt_i32_f32_e32 v1, v1
.LBB55_1421:
	s_or_b64 exec, exec, s[4:5]
	s_mov_b64 s[4:5], 0
	s_branch .LBB55_1427
.LBB55_1422:
	s_mov_b64 s[4:5], -1
                                        ; implicit-def: $vgpr1
	s_branch .LBB55_1433
.LBB55_1423:
	s_andn2_saveexec_b64 s[6:7], s[6:7]
	s_cbranch_execz .LBB55_1408
.LBB55_1424:
	v_cmp_ne_u16_e32 vcc, 0, v10
	s_andn2_b64 s[12:13], s[12:13], exec
	s_and_b64 s[16:17], vcc, exec
	s_or_b64 s[12:13], s[12:13], s[16:17]
	s_or_b64 exec, exec, s[6:7]
	v_mov_b32_e32 v1, 0
	s_and_saveexec_b64 s[6:7], s[12:13]
	s_cbranch_execnz .LBB55_1409
	s_branch .LBB55_1410
.LBB55_1425:
	s_mov_b64 s[4:5], -1
                                        ; implicit-def: $vgpr1
	s_branch .LBB55_1430
.LBB55_1426:
	s_mov_b64 s[4:5], -1
                                        ; implicit-def: $vgpr1
.LBB55_1427:
	s_and_b64 vcc, exec, s[4:5]
	s_cbranch_vccz .LBB55_1429
; %bb.1428:
	global_load_ubyte v1, v[8:9], off
	s_mov_b32 s4, 0x7f800000
	s_waitcnt vmcnt(0)
	v_lshlrev_b32_e32 v1, 24, v1
	v_and_b32_e32 v10, 0x7f000000, v1
	v_ffbh_u32_e32 v11, v10
	v_min_u32_e32 v11, 32, v11
	v_sub_u32_e64 v11, v11, 4 clamp
	v_lshlrev_b32_e32 v13, v11, v10
	v_lshlrev_b32_e32 v11, 23, v11
	v_lshrrev_b32_e32 v13, 4, v13
	v_add_u32_e32 v12, 0x1000000, v10
	v_sub_u32_e32 v11, v13, v11
	v_ashrrev_i32_e32 v12, 8, v12
	v_add_u32_e32 v11, 0x3c000000, v11
	v_and_or_b32 v11, v12, s4, v11
	v_cmp_ne_u32_e32 vcc, 0, v10
	v_cndmask_b32_e32 v10, 0, v11, vcc
	s_brev_b32 s4, 1
	v_and_or_b32 v1, v1, s4, v10
	v_cvt_i32_f32_e32 v1, v1
.LBB55_1429:
	s_mov_b64 s[4:5], 0
.LBB55_1430:
	s_andn2_b64 vcc, exec, s[4:5]
	s_cbranch_vccnz .LBB55_1432
; %bb.1431:
	global_load_ubyte v1, v[8:9], off
	s_movk_i32 s4, 0x7f00
	s_brev_b32 s5, 16
	s_waitcnt vmcnt(0)
	v_lshlrev_b16_e32 v10, 8, v1
	v_lshlrev_b32_e32 v1, 25, v1
	v_lshrrev_b32_e32 v11, 4, v1
	v_and_or_b32 v12, v10, s4, 0.5
	v_or_b32_e32 v11, 0x70000000, v11
	v_add_f32_e32 v12, -0.5, v12
	v_mul_f32_e32 v11, 0x7800000, v11
	v_cmp_gt_u32_e32 vcc, s5, v1
	v_bfe_i32 v10, v10, 0, 16
	v_cndmask_b32_e32 v1, v11, v12, vcc
	s_brev_b32 s4, 1
	v_and_or_b32 v1, v10, s4, v1
	v_cvt_i32_f32_e32 v1, v1
.LBB55_1432:
	s_mov_b64 s[4:5], 0
	s_mov_b64 s[6:7], -1
.LBB55_1433:
	s_andn2_b64 vcc, exec, s[4:5]
	s_mov_b64 s[4:5], 0
	s_cbranch_vccnz .LBB55_1444
; %bb.1434:
	s_cmp_gt_i32 s15, 14
	s_cbranch_scc0 .LBB55_1437
; %bb.1435:
	s_cmp_eq_u32 s15, 15
	s_cbranch_scc0 .LBB55_1440
; %bb.1436:
	global_load_ushort v1, v[8:9], off
	s_mov_b64 s[0:1], 0
	s_mov_b64 s[6:7], -1
	s_waitcnt vmcnt(0)
	v_lshlrev_b32_e32 v1, 16, v1
	v_cvt_i32_f32_e32 v1, v1
	s_branch .LBB55_1441
.LBB55_1437:
	s_mov_b64 s[12:13], -1
                                        ; implicit-def: $vgpr1
	s_branch .LBB55_1442
.LBB55_1438:
	s_andn2_saveexec_b64 s[4:5], s[4:5]
	s_cbranch_execz .LBB55_1419
.LBB55_1439:
	v_cmp_ne_u16_e32 vcc, 0, v10
	s_andn2_b64 s[6:7], s[6:7], exec
	s_and_b64 s[12:13], vcc, exec
	s_or_b64 s[6:7], s[6:7], s[12:13]
	s_or_b64 exec, exec, s[4:5]
	v_mov_b32_e32 v1, 0
	s_and_saveexec_b64 s[4:5], s[6:7]
	s_cbranch_execnz .LBB55_1420
	s_branch .LBB55_1421
.LBB55_1440:
	s_mov_b64 s[0:1], -1
                                        ; implicit-def: $vgpr1
.LBB55_1441:
	s_mov_b64 s[12:13], 0
.LBB55_1442:
	s_and_b64 vcc, exec, s[12:13]
	s_cbranch_vccz .LBB55_1444
; %bb.1443:
	s_cmp_lg_u32 s15, 11
	s_mov_b64 s[4:5], -1
	s_cselect_b64 s[0:1], -1, 0
.LBB55_1444:
	s_and_b64 vcc, exec, s[0:1]
	s_cbranch_vccnz .LBB55_1507
; %bb.1445:
	s_andn2_b64 vcc, exec, s[4:5]
	s_cbranch_vccnz .LBB55_1447
.LBB55_1446:
	global_load_ubyte v1, v[8:9], off
	s_mov_b64 s[6:7], -1
	s_waitcnt vmcnt(0)
	v_cmp_ne_u16_e32 vcc, 0, v1
	v_cndmask_b32_e64 v1, 0, 1, vcc
.LBB55_1447:
	s_branch .LBB55_1379
.LBB55_1448:
	s_and_b32 s4, 0xffff, s14
	s_cmp_lt_i32 s4, 5
	s_cbranch_scc1 .LBB55_1453
; %bb.1449:
	s_cmp_lt_i32 s4, 8
	s_cbranch_scc1 .LBB55_1454
; %bb.1450:
	;; [unrolled: 3-line block ×3, first 2 shown]
	s_cmp_gt_i32 s4, 9
	s_cbranch_scc0 .LBB55_1456
; %bb.1452:
	global_load_dwordx2 v[10:11], v[8:9], off
	s_mov_b64 s[0:1], 0
	s_waitcnt vmcnt(0)
	v_cvt_i32_f64_e32 v1, v[10:11]
	s_branch .LBB55_1457
.LBB55_1453:
	s_mov_b64 s[0:1], -1
                                        ; implicit-def: $vgpr1
	s_branch .LBB55_1475
.LBB55_1454:
	s_mov_b64 s[0:1], -1
                                        ; implicit-def: $vgpr1
	s_branch .LBB55_1463
.LBB55_1455:
	s_mov_b64 s[0:1], -1
                                        ; implicit-def: $vgpr1
	s_branch .LBB55_1460
.LBB55_1456:
	s_mov_b64 s[0:1], -1
                                        ; implicit-def: $vgpr1
.LBB55_1457:
	s_andn2_b64 vcc, exec, s[0:1]
	s_cbranch_vccnz .LBB55_1459
; %bb.1458:
	global_load_dword v1, v[8:9], off
	s_waitcnt vmcnt(0)
	v_cvt_i32_f32_e32 v1, v1
.LBB55_1459:
	s_mov_b64 s[0:1], 0
.LBB55_1460:
	s_andn2_b64 vcc, exec, s[0:1]
	s_cbranch_vccnz .LBB55_1462
; %bb.1461:
	global_load_dword v1, v[8:9], off
	s_waitcnt vmcnt(0)
	v_cvt_f32_f16_e32 v1, v1
	v_cvt_i32_f32_e32 v1, v1
.LBB55_1462:
	s_mov_b64 s[0:1], 0
.LBB55_1463:
	s_andn2_b64 vcc, exec, s[0:1]
	s_cbranch_vccnz .LBB55_1474
; %bb.1464:
	s_cmp_lt_i32 s4, 6
	s_cbranch_scc1 .LBB55_1467
; %bb.1465:
	s_cmp_gt_i32 s4, 6
	s_cbranch_scc0 .LBB55_1468
; %bb.1466:
	global_load_dwordx2 v[10:11], v[8:9], off
	s_mov_b64 s[0:1], 0
	s_waitcnt vmcnt(0)
	v_cvt_i32_f64_e32 v1, v[10:11]
	s_branch .LBB55_1469
.LBB55_1467:
	s_mov_b64 s[0:1], -1
                                        ; implicit-def: $vgpr1
	s_branch .LBB55_1472
.LBB55_1468:
	s_mov_b64 s[0:1], -1
                                        ; implicit-def: $vgpr1
.LBB55_1469:
	s_andn2_b64 vcc, exec, s[0:1]
	s_cbranch_vccnz .LBB55_1471
; %bb.1470:
	global_load_dword v1, v[8:9], off
	s_waitcnt vmcnt(0)
	v_cvt_i32_f32_e32 v1, v1
.LBB55_1471:
	s_mov_b64 s[0:1], 0
.LBB55_1472:
	s_andn2_b64 vcc, exec, s[0:1]
	s_cbranch_vccnz .LBB55_1474
; %bb.1473:
	global_load_ushort v1, v[8:9], off
	s_waitcnt vmcnt(0)
	v_cvt_f32_f16_e32 v1, v1
	v_cvt_i32_f32_e32 v1, v1
.LBB55_1474:
	s_mov_b64 s[0:1], 0
.LBB55_1475:
	s_andn2_b64 vcc, exec, s[0:1]
	s_cbranch_vccnz .LBB55_1495
; %bb.1476:
	s_cmp_lt_i32 s4, 2
	s_cbranch_scc1 .LBB55_1480
; %bb.1477:
	s_cmp_lt_i32 s4, 3
	s_cbranch_scc1 .LBB55_1481
; %bb.1478:
	s_cmp_gt_i32 s4, 3
	s_cbranch_scc0 .LBB55_1482
; %bb.1479:
	global_load_dword v1, v[8:9], off
	s_mov_b64 s[0:1], 0
	s_branch .LBB55_1483
.LBB55_1480:
	s_mov_b64 s[0:1], -1
                                        ; implicit-def: $vgpr1
	s_branch .LBB55_1489
.LBB55_1481:
	s_mov_b64 s[0:1], -1
                                        ; implicit-def: $vgpr1
	s_branch .LBB55_1486
.LBB55_1482:
	s_mov_b64 s[0:1], -1
                                        ; implicit-def: $vgpr1
.LBB55_1483:
	s_andn2_b64 vcc, exec, s[0:1]
	s_cbranch_vccnz .LBB55_1485
; %bb.1484:
	global_load_dword v1, v[8:9], off
.LBB55_1485:
	s_mov_b64 s[0:1], 0
.LBB55_1486:
	s_andn2_b64 vcc, exec, s[0:1]
	s_cbranch_vccnz .LBB55_1488
; %bb.1487:
	global_load_sshort v1, v[8:9], off
.LBB55_1488:
	s_mov_b64 s[0:1], 0
.LBB55_1489:
	s_andn2_b64 vcc, exec, s[0:1]
	s_cbranch_vccnz .LBB55_1495
; %bb.1490:
	s_cmp_gt_i32 s4, 0
	s_cbranch_scc0 .LBB55_1492
; %bb.1491:
	global_load_sbyte v1, v[8:9], off
	s_mov_b64 s[0:1], 0
	s_branch .LBB55_1493
.LBB55_1492:
	s_mov_b64 s[0:1], -1
                                        ; implicit-def: $vgpr1
.LBB55_1493:
	s_andn2_b64 vcc, exec, s[0:1]
	s_cbranch_vccnz .LBB55_1495
; %bb.1494:
	global_load_ubyte v1, v[8:9], off
.LBB55_1495:
.LBB55_1496:
	v_mov_b32_e32 v8, s11
	v_add_co_u32_e32 v7, vcc, s10, v7
	s_cmp_lt_i32 s14, 11
	v_addc_co_u32_e32 v8, vcc, 0, v8, vcc
	s_cbranch_scc1 .LBB55_1503
; %bb.1497:
	s_and_b32 s12, 0xffff, s14
	s_cmp_gt_i32 s12, 25
	s_mov_b64 s[4:5], 0
	s_cbranch_scc0 .LBB55_1504
; %bb.1498:
	s_cmp_gt_i32 s12, 28
	s_cbranch_scc0 .LBB55_1505
; %bb.1499:
	s_cmp_gt_i32 s12, 43
	;; [unrolled: 3-line block ×3, first 2 shown]
	s_cbranch_scc0 .LBB55_1508
; %bb.1501:
	s_cmp_eq_u32 s12, 46
	s_mov_b64 s[10:11], 0
	s_cbranch_scc0 .LBB55_1509
; %bb.1502:
	global_load_dword v9, v[7:8], off
	s_mov_b64 s[0:1], 0
	s_mov_b64 s[6:7], -1
	s_waitcnt vmcnt(0)
	v_lshlrev_b32_e32 v9, 16, v9
	v_cvt_i32_f32_e32 v9, v9
	s_branch .LBB55_1510
.LBB55_1503:
	s_mov_b64 s[0:1], -1
	s_mov_b64 s[6:7], 0
                                        ; implicit-def: $vgpr9
	s_branch .LBB55_1572
.LBB55_1504:
	s_mov_b64 s[10:11], -1
	s_mov_b64 s[6:7], 0
	s_mov_b64 s[0:1], 0
                                        ; implicit-def: $vgpr9
	s_branch .LBB55_1537
.LBB55_1505:
	s_mov_b64 s[10:11], -1
	s_mov_b64 s[6:7], 0
	s_mov_b64 s[0:1], 0
                                        ; implicit-def: $vgpr9
	s_branch .LBB55_1520
.LBB55_1506:
	s_mov_b64 s[10:11], -1
	s_mov_b64 s[6:7], 0
	s_mov_b64 s[0:1], 0
                                        ; implicit-def: $vgpr9
	s_branch .LBB55_1515
.LBB55_1507:
	s_trap 2
	s_or_b64 s[2:3], s[2:3], exec
	s_cbranch_execz .LBB55_1446
	s_branch .LBB55_1447
.LBB55_1508:
	s_mov_b64 s[10:11], -1
	s_mov_b64 s[6:7], 0
	s_mov_b64 s[0:1], 0
                                        ; implicit-def: $vgpr9
	s_branch .LBB55_1510
.LBB55_1509:
	s_mov_b64 s[0:1], -1
                                        ; implicit-def: $vgpr9
	s_mov_b64 s[6:7], 0
.LBB55_1510:
	s_and_b64 vcc, exec, s[10:11]
	s_cbranch_vccz .LBB55_1514
; %bb.1511:
	s_cmp_eq_u32 s12, 44
	s_cbranch_scc0 .LBB55_1513
; %bb.1512:
	global_load_ubyte v9, v[7:8], off
	s_mov_b64 s[0:1], 0
	s_mov_b64 s[6:7], -1
	s_waitcnt vmcnt(0)
	v_lshlrev_b32_e32 v10, 23, v9
	v_cvt_i32_f32_e32 v10, v10
	v_cmp_ne_u32_e32 vcc, 0, v9
	v_cndmask_b32_e32 v9, 0, v10, vcc
	s_branch .LBB55_1514
.LBB55_1513:
	s_mov_b64 s[0:1], -1
                                        ; implicit-def: $vgpr9
.LBB55_1514:
	s_mov_b64 s[10:11], 0
.LBB55_1515:
	s_and_b64 vcc, exec, s[10:11]
	s_cbranch_vccz .LBB55_1519
; %bb.1516:
	s_cmp_eq_u32 s12, 29
	s_cbranch_scc0 .LBB55_1518
; %bb.1517:
	global_load_dword v9, v[7:8], off
	s_mov_b64 s[0:1], 0
	s_mov_b64 s[6:7], -1
	s_branch .LBB55_1519
.LBB55_1518:
	s_mov_b64 s[0:1], -1
                                        ; implicit-def: $vgpr9
.LBB55_1519:
	s_mov_b64 s[10:11], 0
.LBB55_1520:
	s_and_b64 vcc, exec, s[10:11]
	s_cbranch_vccz .LBB55_1536
; %bb.1521:
	s_cmp_lt_i32 s12, 27
	s_cbranch_scc1 .LBB55_1524
; %bb.1522:
	s_cmp_gt_i32 s12, 27
	s_cbranch_scc0 .LBB55_1525
; %bb.1523:
	global_load_dword v9, v[7:8], off
	s_mov_b64 s[6:7], 0
	s_branch .LBB55_1526
.LBB55_1524:
	s_mov_b64 s[6:7], -1
                                        ; implicit-def: $vgpr9
	s_branch .LBB55_1529
.LBB55_1525:
	s_mov_b64 s[6:7], -1
                                        ; implicit-def: $vgpr9
.LBB55_1526:
	s_andn2_b64 vcc, exec, s[6:7]
	s_cbranch_vccnz .LBB55_1528
; %bb.1527:
	global_load_ushort v9, v[7:8], off
.LBB55_1528:
	s_mov_b64 s[6:7], 0
.LBB55_1529:
	s_andn2_b64 vcc, exec, s[6:7]
	s_cbranch_vccnz .LBB55_1535
; %bb.1530:
	global_load_ubyte v10, v[7:8], off
	s_movk_i32 s6, 0x7f
	s_mov_b64 s[10:11], 0
	s_waitcnt vmcnt(0)
	v_cmp_lt_i16_e32 vcc, s6, v10
	s_and_saveexec_b64 s[6:7], vcc
	s_xor_b64 s[6:7], exec, s[6:7]
	s_cbranch_execz .LBB55_1547
; %bb.1531:
	s_movk_i32 s10, 0x80
	v_cmp_ne_u16_e32 vcc, s10, v10
	s_and_b64 s[10:11], vcc, exec
	s_andn2_saveexec_b64 s[6:7], s[6:7]
	s_cbranch_execnz .LBB55_1548
.LBB55_1532:
	s_or_b64 exec, exec, s[6:7]
	v_mov_b32_e32 v9, 0
	s_and_saveexec_b64 s[6:7], s[10:11]
	s_cbranch_execz .LBB55_1534
.LBB55_1533:
	v_lshlrev_b32_e32 v9, 24, v10
	v_and_b32_e32 v10, 0xffff, v10
	v_and_b32_e32 v11, 7, v10
	v_ffbh_u32_e32 v13, v11
	v_min_u32_e32 v13, 32, v13
	v_subrev_u32_e32 v14, 28, v13
	v_bfe_u32 v12, v10, 3, 4
	v_lshlrev_b32_e32 v10, v14, v10
	v_sub_u32_e32 v13, 29, v13
	v_and_b32_e32 v10, 7, v10
	v_cmp_eq_u32_e32 vcc, 0, v12
	v_cndmask_b32_e32 v12, v12, v13, vcc
	v_cndmask_b32_e32 v10, v11, v10, vcc
	v_mov_b32_e32 v11, 0x3b800000
	v_lshlrev_b32_e32 v10, 20, v10
	v_and_b32_e32 v9, 0x80000000, v9
	v_lshl_add_u32 v11, v12, 23, v11
	v_or3_b32 v9, v9, v11, v10
	v_cvt_i32_f32_e32 v9, v9
.LBB55_1534:
	s_or_b64 exec, exec, s[6:7]
.LBB55_1535:
	s_mov_b64 s[6:7], -1
.LBB55_1536:
	s_mov_b64 s[10:11], 0
.LBB55_1537:
	s_and_b64 vcc, exec, s[10:11]
	s_cbranch_vccz .LBB55_1568
; %bb.1538:
	s_cmp_gt_i32 s12, 22
	s_cbranch_scc0 .LBB55_1546
; %bb.1539:
	s_cmp_lt_i32 s12, 24
	s_cbranch_scc1 .LBB55_1549
; %bb.1540:
	s_cmp_gt_i32 s12, 24
	s_cbranch_scc0 .LBB55_1550
; %bb.1541:
	global_load_ubyte v10, v[7:8], off
	s_movk_i32 s4, 0x7f
	s_mov_b64 s[6:7], 0
	s_waitcnt vmcnt(0)
	v_cmp_lt_i16_e32 vcc, s4, v10
	s_and_saveexec_b64 s[4:5], vcc
	s_xor_b64 s[4:5], exec, s[4:5]
	s_cbranch_execz .LBB55_1562
; %bb.1542:
	s_movk_i32 s6, 0x80
	v_cmp_ne_u16_e32 vcc, s6, v10
	s_and_b64 s[6:7], vcc, exec
	s_andn2_saveexec_b64 s[4:5], s[4:5]
	s_cbranch_execnz .LBB55_1563
.LBB55_1543:
	s_or_b64 exec, exec, s[4:5]
	v_mov_b32_e32 v9, 0
	s_and_saveexec_b64 s[4:5], s[6:7]
	s_cbranch_execz .LBB55_1545
.LBB55_1544:
	v_lshlrev_b32_e32 v9, 24, v10
	v_and_b32_e32 v10, 0xffff, v10
	v_and_b32_e32 v11, 3, v10
	v_ffbh_u32_e32 v13, v11
	v_min_u32_e32 v13, 32, v13
	v_subrev_u32_e32 v14, 29, v13
	v_bfe_u32 v12, v10, 2, 5
	v_lshlrev_b32_e32 v10, v14, v10
	v_sub_u32_e32 v13, 30, v13
	v_and_b32_e32 v10, 3, v10
	v_cmp_eq_u32_e32 vcc, 0, v12
	v_cndmask_b32_e32 v12, v12, v13, vcc
	v_cndmask_b32_e32 v10, v11, v10, vcc
	v_mov_b32_e32 v11, 0x37800000
	v_lshlrev_b32_e32 v10, 21, v10
	v_and_b32_e32 v9, 0x80000000, v9
	v_lshl_add_u32 v11, v12, 23, v11
	v_or3_b32 v9, v9, v11, v10
	v_cvt_i32_f32_e32 v9, v9
.LBB55_1545:
	s_or_b64 exec, exec, s[4:5]
	s_mov_b64 s[4:5], 0
	s_branch .LBB55_1551
.LBB55_1546:
	s_mov_b64 s[4:5], -1
                                        ; implicit-def: $vgpr9
	s_branch .LBB55_1557
.LBB55_1547:
	s_andn2_saveexec_b64 s[6:7], s[6:7]
	s_cbranch_execz .LBB55_1532
.LBB55_1548:
	v_cmp_ne_u16_e32 vcc, 0, v10
	s_andn2_b64 s[10:11], s[10:11], exec
	s_and_b64 s[16:17], vcc, exec
	s_or_b64 s[10:11], s[10:11], s[16:17]
	s_or_b64 exec, exec, s[6:7]
	v_mov_b32_e32 v9, 0
	s_and_saveexec_b64 s[6:7], s[10:11]
	s_cbranch_execnz .LBB55_1533
	s_branch .LBB55_1534
.LBB55_1549:
	s_mov_b64 s[4:5], -1
                                        ; implicit-def: $vgpr9
	s_branch .LBB55_1554
.LBB55_1550:
	s_mov_b64 s[4:5], -1
                                        ; implicit-def: $vgpr9
.LBB55_1551:
	s_and_b64 vcc, exec, s[4:5]
	s_cbranch_vccz .LBB55_1553
; %bb.1552:
	global_load_ubyte v9, v[7:8], off
	s_mov_b32 s4, 0x7f800000
	s_waitcnt vmcnt(0)
	v_lshlrev_b32_e32 v9, 24, v9
	v_and_b32_e32 v10, 0x7f000000, v9
	v_ffbh_u32_e32 v11, v10
	v_min_u32_e32 v11, 32, v11
	v_sub_u32_e64 v11, v11, 4 clamp
	v_lshlrev_b32_e32 v13, v11, v10
	v_lshlrev_b32_e32 v11, 23, v11
	v_lshrrev_b32_e32 v13, 4, v13
	v_add_u32_e32 v12, 0x1000000, v10
	v_sub_u32_e32 v11, v13, v11
	v_ashrrev_i32_e32 v12, 8, v12
	v_add_u32_e32 v11, 0x3c000000, v11
	v_and_or_b32 v11, v12, s4, v11
	v_cmp_ne_u32_e32 vcc, 0, v10
	v_cndmask_b32_e32 v10, 0, v11, vcc
	s_brev_b32 s4, 1
	v_and_or_b32 v9, v9, s4, v10
	v_cvt_i32_f32_e32 v9, v9
.LBB55_1553:
	s_mov_b64 s[4:5], 0
.LBB55_1554:
	s_andn2_b64 vcc, exec, s[4:5]
	s_cbranch_vccnz .LBB55_1556
; %bb.1555:
	global_load_ubyte v9, v[7:8], off
	s_movk_i32 s4, 0x7f00
	s_brev_b32 s5, 16
	s_waitcnt vmcnt(0)
	v_lshlrev_b16_e32 v10, 8, v9
	v_lshlrev_b32_e32 v9, 25, v9
	v_lshrrev_b32_e32 v11, 4, v9
	v_and_or_b32 v12, v10, s4, 0.5
	v_or_b32_e32 v11, 0x70000000, v11
	v_add_f32_e32 v12, -0.5, v12
	v_mul_f32_e32 v11, 0x7800000, v11
	v_cmp_gt_u32_e32 vcc, s5, v9
	v_bfe_i32 v10, v10, 0, 16
	v_cndmask_b32_e32 v9, v11, v12, vcc
	s_brev_b32 s4, 1
	v_and_or_b32 v9, v10, s4, v9
	v_cvt_i32_f32_e32 v9, v9
.LBB55_1556:
	s_mov_b64 s[4:5], 0
	s_mov_b64 s[6:7], -1
.LBB55_1557:
	s_andn2_b64 vcc, exec, s[4:5]
	s_mov_b64 s[4:5], 0
	s_cbranch_vccnz .LBB55_1568
; %bb.1558:
	s_cmp_gt_i32 s12, 14
	s_cbranch_scc0 .LBB55_1561
; %bb.1559:
	s_cmp_eq_u32 s12, 15
	s_cbranch_scc0 .LBB55_1564
; %bb.1560:
	global_load_ushort v9, v[7:8], off
	s_mov_b64 s[0:1], 0
	s_mov_b64 s[6:7], -1
	s_waitcnt vmcnt(0)
	v_lshlrev_b32_e32 v9, 16, v9
	v_cvt_i32_f32_e32 v9, v9
	s_branch .LBB55_1565
.LBB55_1561:
	s_mov_b64 s[10:11], -1
                                        ; implicit-def: $vgpr9
	s_branch .LBB55_1566
.LBB55_1562:
	s_andn2_saveexec_b64 s[4:5], s[4:5]
	s_cbranch_execz .LBB55_1543
.LBB55_1563:
	v_cmp_ne_u16_e32 vcc, 0, v10
	s_andn2_b64 s[6:7], s[6:7], exec
	s_and_b64 s[10:11], vcc, exec
	s_or_b64 s[6:7], s[6:7], s[10:11]
	s_or_b64 exec, exec, s[4:5]
	v_mov_b32_e32 v9, 0
	s_and_saveexec_b64 s[4:5], s[6:7]
	s_cbranch_execnz .LBB55_1544
	s_branch .LBB55_1545
.LBB55_1564:
	s_mov_b64 s[0:1], -1
                                        ; implicit-def: $vgpr9
.LBB55_1565:
	s_mov_b64 s[10:11], 0
.LBB55_1566:
	s_and_b64 vcc, exec, s[10:11]
	s_cbranch_vccz .LBB55_1568
; %bb.1567:
	s_cmp_lg_u32 s12, 11
	s_mov_b64 s[4:5], -1
	s_cselect_b64 s[0:1], -1, 0
.LBB55_1568:
	s_and_b64 vcc, exec, s[0:1]
	s_cbranch_vccnz .LBB55_2101
; %bb.1569:
	s_andn2_b64 vcc, exec, s[4:5]
	s_cbranch_vccnz .LBB55_1571
.LBB55_1570:
	global_load_ubyte v9, v[7:8], off
	s_mov_b64 s[6:7], -1
	s_waitcnt vmcnt(0)
	v_cmp_ne_u16_e32 vcc, 0, v9
	v_cndmask_b32_e64 v9, 0, 1, vcc
.LBB55_1571:
	s_mov_b64 s[0:1], 0
.LBB55_1572:
	s_and_b64 vcc, exec, s[0:1]
	s_cbranch_vccz .LBB55_1621
; %bb.1573:
	s_and_b32 s4, 0xffff, s14
	s_cmp_lt_i32 s4, 5
	s_cbranch_scc1 .LBB55_1578
; %bb.1574:
	s_cmp_lt_i32 s4, 8
	s_cbranch_scc1 .LBB55_1579
; %bb.1575:
	;; [unrolled: 3-line block ×3, first 2 shown]
	s_cmp_gt_i32 s4, 9
	s_cbranch_scc0 .LBB55_1581
; %bb.1577:
	global_load_dwordx2 v[9:10], v[7:8], off
	s_mov_b64 s[0:1], 0
	s_waitcnt vmcnt(0)
	v_cvt_i32_f64_e32 v9, v[9:10]
	s_branch .LBB55_1582
.LBB55_1578:
	s_mov_b64 s[0:1], -1
                                        ; implicit-def: $vgpr9
	s_branch .LBB55_1600
.LBB55_1579:
	s_mov_b64 s[0:1], -1
                                        ; implicit-def: $vgpr9
	s_branch .LBB55_1588
.LBB55_1580:
	s_mov_b64 s[0:1], -1
                                        ; implicit-def: $vgpr9
	s_branch .LBB55_1585
.LBB55_1581:
	s_mov_b64 s[0:1], -1
                                        ; implicit-def: $vgpr9
.LBB55_1582:
	s_andn2_b64 vcc, exec, s[0:1]
	s_cbranch_vccnz .LBB55_1584
; %bb.1583:
	global_load_dword v9, v[7:8], off
	s_waitcnt vmcnt(0)
	v_cvt_i32_f32_e32 v9, v9
.LBB55_1584:
	s_mov_b64 s[0:1], 0
.LBB55_1585:
	s_andn2_b64 vcc, exec, s[0:1]
	s_cbranch_vccnz .LBB55_1587
; %bb.1586:
	global_load_dword v9, v[7:8], off
	s_waitcnt vmcnt(0)
	v_cvt_f32_f16_e32 v9, v9
	v_cvt_i32_f32_e32 v9, v9
.LBB55_1587:
	s_mov_b64 s[0:1], 0
.LBB55_1588:
	s_andn2_b64 vcc, exec, s[0:1]
	s_cbranch_vccnz .LBB55_1599
; %bb.1589:
	s_cmp_lt_i32 s4, 6
	s_cbranch_scc1 .LBB55_1592
; %bb.1590:
	s_cmp_gt_i32 s4, 6
	s_cbranch_scc0 .LBB55_1593
; %bb.1591:
	global_load_dwordx2 v[9:10], v[7:8], off
	s_mov_b64 s[0:1], 0
	s_waitcnt vmcnt(0)
	v_cvt_i32_f64_e32 v9, v[9:10]
	s_branch .LBB55_1594
.LBB55_1592:
	s_mov_b64 s[0:1], -1
                                        ; implicit-def: $vgpr9
	s_branch .LBB55_1597
.LBB55_1593:
	s_mov_b64 s[0:1], -1
                                        ; implicit-def: $vgpr9
.LBB55_1594:
	s_andn2_b64 vcc, exec, s[0:1]
	s_cbranch_vccnz .LBB55_1596
; %bb.1595:
	global_load_dword v9, v[7:8], off
	s_waitcnt vmcnt(0)
	v_cvt_i32_f32_e32 v9, v9
.LBB55_1596:
	s_mov_b64 s[0:1], 0
.LBB55_1597:
	s_andn2_b64 vcc, exec, s[0:1]
	s_cbranch_vccnz .LBB55_1599
; %bb.1598:
	global_load_ushort v9, v[7:8], off
	s_waitcnt vmcnt(0)
	v_cvt_f32_f16_e32 v9, v9
	v_cvt_i32_f32_e32 v9, v9
.LBB55_1599:
	s_mov_b64 s[0:1], 0
.LBB55_1600:
	s_andn2_b64 vcc, exec, s[0:1]
	s_cbranch_vccnz .LBB55_1620
; %bb.1601:
	s_cmp_lt_i32 s4, 2
	s_cbranch_scc1 .LBB55_1605
; %bb.1602:
	s_cmp_lt_i32 s4, 3
	s_cbranch_scc1 .LBB55_1606
; %bb.1603:
	s_cmp_gt_i32 s4, 3
	s_cbranch_scc0 .LBB55_1607
; %bb.1604:
	global_load_dword v9, v[7:8], off
	s_mov_b64 s[0:1], 0
	s_branch .LBB55_1608
.LBB55_1605:
	s_mov_b64 s[0:1], -1
                                        ; implicit-def: $vgpr9
	s_branch .LBB55_1614
.LBB55_1606:
	s_mov_b64 s[0:1], -1
                                        ; implicit-def: $vgpr9
	s_branch .LBB55_1611
.LBB55_1607:
	s_mov_b64 s[0:1], -1
                                        ; implicit-def: $vgpr9
.LBB55_1608:
	s_andn2_b64 vcc, exec, s[0:1]
	s_cbranch_vccnz .LBB55_1610
; %bb.1609:
	global_load_dword v9, v[7:8], off
.LBB55_1610:
	s_mov_b64 s[0:1], 0
.LBB55_1611:
	s_andn2_b64 vcc, exec, s[0:1]
	s_cbranch_vccnz .LBB55_1613
; %bb.1612:
	global_load_sshort v9, v[7:8], off
.LBB55_1613:
	s_mov_b64 s[0:1], 0
.LBB55_1614:
	s_andn2_b64 vcc, exec, s[0:1]
	s_cbranch_vccnz .LBB55_1620
; %bb.1615:
	s_cmp_gt_i32 s4, 0
	s_cbranch_scc0 .LBB55_1617
; %bb.1616:
	global_load_sbyte v9, v[7:8], off
	s_mov_b64 s[0:1], 0
	s_branch .LBB55_1618
.LBB55_1617:
	s_mov_b64 s[0:1], -1
                                        ; implicit-def: $vgpr9
.LBB55_1618:
	s_andn2_b64 vcc, exec, s[0:1]
	s_cbranch_vccnz .LBB55_1620
; %bb.1619:
	global_load_ubyte v9, v[7:8], off
.LBB55_1620:
	s_mov_b64 s[6:7], -1
.LBB55_1621:
	s_andn2_b64 vcc, exec, s[6:7]
	s_cbranch_vccnz .LBB55_2055
; %bb.1622:
	s_load_dwordx2 s[4:5], s[34:35], 0x15c
	s_waitcnt vmcnt(0)
	v_cmp_gt_u32_e32 vcc, 32, v5
	v_mov_b32_e32 v8, s9
	s_waitcnt lgkmcnt(0)
	v_lshlrev_b32_e64 v7, v5, s4
	s_and_b32 s16, s5, 0xff
	v_cndmask_b32_e32 v5, 0, v7, vcc
	v_add_co_u32_e32 v7, vcc, s8, v6
	s_cmp_lt_i32 s16, 11
	v_addc_co_u32_e32 v8, vcc, 0, v8, vcc
	s_cbranch_scc1 .LBB55_1700
; %bb.1623:
	s_and_b32 s5, 0xffff, s16
	s_mov_b64 s[12:13], -1
	s_mov_b64 s[6:7], 0
	s_cmp_gt_i32 s5, 25
	s_mov_b64 s[10:11], 0
	s_mov_b64 s[0:1], 0
	s_cbranch_scc0 .LBB55_1656
; %bb.1624:
	s_cmp_gt_i32 s5, 28
	s_cbranch_scc0 .LBB55_1639
; %bb.1625:
	s_cmp_gt_i32 s5, 43
	;; [unrolled: 3-line block ×3, first 2 shown]
	s_cbranch_scc0 .LBB55_1629
; %bb.1627:
	s_mov_b64 s[0:1], -1
	s_mov_b64 s[12:13], 0
	s_cmp_eq_u32 s5, 46
	s_cbranch_scc0 .LBB55_1629
; %bb.1628:
	v_cvt_f32_i32_e32 v6, v5
	s_movk_i32 s10, 0x7fff
	s_mov_b64 s[0:1], 0
	v_bfe_u32 v10, v6, 16, 1
	v_add3_u32 v6, v6, v10, s10
	v_lshrrev_b32_e32 v6, 16, v6
	global_store_dword v[7:8], v6, off
	s_mov_b64 s[10:11], -1
.LBB55_1629:
	s_and_b64 vcc, exec, s[12:13]
	s_cbranch_vccz .LBB55_1634
; %bb.1630:
	s_cmp_eq_u32 s5, 44
	s_mov_b64 s[0:1], -1
	s_cbranch_scc0 .LBB55_1634
; %bb.1631:
	v_cvt_f32_i32_e32 v6, v5
	s_movk_i32 s0, 0xff
	v_mov_b32_e32 v11, 0xff
	v_bfe_u32 v10, v6, 23, 8
	v_cmp_ne_u32_e32 vcc, s0, v10
	s_and_saveexec_b64 s[10:11], vcc
; %bb.1632:
	s_mov_b32 s0, 0x3fffff
	v_lshrrev_b32_e32 v11, 23, v6
	v_and_b32_e32 v12, 0x400000, v6
	v_and_or_b32 v6, v6, s0, v10
	v_cmp_ne_u32_e32 vcc, 0, v12
	v_cmp_ne_u32_e64 s[0:1], 0, v6
	s_and_b64 s[0:1], vcc, s[0:1]
	v_cndmask_b32_e64 v6, 0, 1, s[0:1]
	v_add_u32_e32 v11, v11, v6
; %bb.1633:
	s_or_b64 exec, exec, s[10:11]
	s_mov_b64 s[0:1], 0
	s_mov_b64 s[10:11], -1
	global_store_byte v[7:8], v11, off
.LBB55_1634:
	s_mov_b64 s[12:13], 0
.LBB55_1635:
	s_and_b64 vcc, exec, s[12:13]
	s_cbranch_vccz .LBB55_1638
; %bb.1636:
	s_cmp_eq_u32 s5, 29
	s_mov_b64 s[0:1], -1
	s_cbranch_scc0 .LBB55_1638
; %bb.1637:
	v_ashrrev_i32_e32 v6, 31, v5
	global_store_dwordx2 v[7:8], v[5:6], off
	s_mov_b64 s[0:1], 0
	s_mov_b64 s[10:11], -1
.LBB55_1638:
	s_mov_b64 s[12:13], 0
.LBB55_1639:
	s_and_b64 vcc, exec, s[12:13]
	s_cbranch_vccz .LBB55_1655
; %bb.1640:
	s_cmp_lt_i32 s5, 27
	s_mov_b64 s[10:11], -1
	s_cbranch_scc1 .LBB55_1646
; %bb.1641:
	s_cmp_gt_i32 s5, 27
	s_cbranch_scc0 .LBB55_1643
; %bb.1642:
	s_mov_b64 s[10:11], 0
	global_store_dword v[7:8], v5, off
.LBB55_1643:
	s_andn2_b64 vcc, exec, s[10:11]
	s_cbranch_vccnz .LBB55_1645
; %bb.1644:
	global_store_short v[7:8], v5, off
.LBB55_1645:
	s_mov_b64 s[10:11], 0
.LBB55_1646:
	s_andn2_b64 vcc, exec, s[10:11]
	s_cbranch_vccnz .LBB55_1654
; %bb.1647:
	v_cvt_f32_i32_e32 v6, v5
	s_mov_b32 s10, 0x43800000
	v_mov_b32_e32 v11, 0x80
	v_and_b32_e32 v10, 0x7fffffff, v6
	v_cmp_gt_u32_e32 vcc, s10, v10
	s_and_saveexec_b64 s[10:11], vcc
	s_cbranch_execz .LBB55_1653
; %bb.1648:
	s_mov_b32 s12, 0x3bffffff
	v_cmp_lt_u32_e32 vcc, s12, v10
	s_mov_b64 s[12:13], 0
                                        ; implicit-def: $vgpr10
	s_and_saveexec_b64 s[14:15], vcc
	s_xor_b64 s[14:15], exec, s[14:15]
	s_cbranch_execz .LBB55_2102
; %bb.1649:
	v_bfe_u32 v10, v6, 20, 1
	s_mov_b32 s17, 0x487ffff
	v_add3_u32 v10, v6, v10, s17
	s_mov_b64 s[12:13], exec
	v_lshrrev_b32_e32 v10, 20, v10
	s_andn2_saveexec_b64 s[14:15], s[14:15]
	s_cbranch_execnz .LBB55_2103
.LBB55_1650:
	s_or_b64 exec, exec, s[14:15]
	v_mov_b32_e32 v11, 0
	s_and_saveexec_b64 s[14:15], s[12:13]
.LBB55_1651:
	v_lshrrev_b32_e32 v6, 24, v6
	s_movk_i32 s12, 0x80
	v_and_or_b32 v11, v6, s12, v10
.LBB55_1652:
	s_or_b64 exec, exec, s[14:15]
.LBB55_1653:
	s_or_b64 exec, exec, s[10:11]
	global_store_byte v[7:8], v11, off
.LBB55_1654:
	s_mov_b64 s[10:11], -1
.LBB55_1655:
	s_mov_b64 s[12:13], 0
.LBB55_1656:
	s_and_b64 vcc, exec, s[12:13]
	s_cbranch_vccz .LBB55_1696
; %bb.1657:
	s_cmp_gt_i32 s5, 22
	s_mov_b64 s[6:7], -1
	s_cbranch_scc0 .LBB55_1689
; %bb.1658:
	s_cmp_lt_i32 s5, 24
	s_cbranch_scc1 .LBB55_1678
; %bb.1659:
	s_cmp_gt_i32 s5, 24
	s_cbranch_scc0 .LBB55_1667
; %bb.1660:
	v_cvt_f32_i32_e32 v6, v5
	s_mov_b32 s6, 0x47800000
	v_mov_b32_e32 v11, 0x80
	v_and_b32_e32 v10, 0x7fffffff, v6
	v_cmp_gt_u32_e32 vcc, s6, v10
	s_and_saveexec_b64 s[6:7], vcc
	s_cbranch_execz .LBB55_1666
; %bb.1661:
	s_mov_b32 s10, 0x37ffffff
	v_cmp_lt_u32_e32 vcc, s10, v10
	s_mov_b64 s[10:11], 0
                                        ; implicit-def: $vgpr10
	s_and_saveexec_b64 s[12:13], vcc
	s_xor_b64 s[12:13], exec, s[12:13]
	s_cbranch_execz .LBB55_2105
; %bb.1662:
	v_bfe_u32 v10, v6, 21, 1
	s_mov_b32 s14, 0x88fffff
	v_add3_u32 v10, v6, v10, s14
	s_mov_b64 s[10:11], exec
	v_lshrrev_b32_e32 v10, 21, v10
	s_andn2_saveexec_b64 s[12:13], s[12:13]
	s_cbranch_execnz .LBB55_2106
.LBB55_1663:
	s_or_b64 exec, exec, s[12:13]
	v_mov_b32_e32 v11, 0
	s_and_saveexec_b64 s[12:13], s[10:11]
.LBB55_1664:
	v_lshrrev_b32_e32 v6, 24, v6
	s_movk_i32 s10, 0x80
	v_and_or_b32 v11, v6, s10, v10
.LBB55_1665:
	s_or_b64 exec, exec, s[12:13]
.LBB55_1666:
	s_or_b64 exec, exec, s[6:7]
	s_mov_b64 s[6:7], 0
	global_store_byte v[7:8], v11, off
.LBB55_1667:
	s_and_b64 vcc, exec, s[6:7]
	s_cbranch_vccz .LBB55_1677
; %bb.1668:
	v_cvt_f32_i32_e32 v6, v5
	s_mov_b32 s6, 0x43f00000
                                        ; implicit-def: $vgpr10
	v_and_b32_e32 v11, 0x7fffffff, v6
	v_cmp_gt_u32_e32 vcc, s6, v11
	s_and_saveexec_b64 s[6:7], vcc
	s_xor_b64 s[6:7], exec, s[6:7]
	s_cbranch_execz .LBB55_1674
; %bb.1669:
	s_mov_b32 s10, 0x3c7fffff
	v_cmp_lt_u32_e32 vcc, s10, v11
                                        ; implicit-def: $vgpr10
	s_and_saveexec_b64 s[10:11], vcc
	s_xor_b64 s[10:11], exec, s[10:11]
; %bb.1670:
	v_bfe_u32 v10, v6, 20, 1
	s_mov_b32 s12, 0x407ffff
	v_add3_u32 v10, v6, v10, s12
	v_lshrrev_b32_e32 v11, 20, v10
	v_and_b32_e32 v10, 0xff00000, v10
	s_mov_b32 s12, 0x7f00000
	v_mov_b32_e32 v12, 0x7e
	v_cmp_ne_u32_e32 vcc, s12, v10
	v_cndmask_b32_e32 v10, v12, v11, vcc
; %bb.1671:
	s_andn2_saveexec_b64 s[10:11], s[10:11]
; %bb.1672:
	s_mov_b32 s12, 0x46800000
	v_add_f32_e64 v10, |v6|, s12
; %bb.1673:
	s_or_b64 exec, exec, s[10:11]
                                        ; implicit-def: $vgpr11
.LBB55_1674:
	s_andn2_saveexec_b64 s[6:7], s[6:7]
; %bb.1675:
	s_mov_b32 s10, 0x7f800000
	v_mov_b32_e32 v10, 0x7e
	v_mov_b32_e32 v12, 0x7f
	v_cmp_lt_u32_e32 vcc, s10, v11
	v_cndmask_b32_e32 v10, v10, v12, vcc
; %bb.1676:
	s_or_b64 exec, exec, s[6:7]
	v_lshrrev_b32_e32 v6, 24, v6
	s_movk_i32 s6, 0x80
	v_and_or_b32 v6, v6, s6, v10
	global_store_byte v[7:8], v6, off
.LBB55_1677:
	s_mov_b64 s[6:7], 0
.LBB55_1678:
	s_andn2_b64 vcc, exec, s[6:7]
	s_cbranch_vccnz .LBB55_1688
; %bb.1679:
	v_cvt_f32_i32_e32 v6, v5
	s_mov_b32 s6, 0x47800000
                                        ; implicit-def: $vgpr10
	v_and_b32_e32 v11, 0x7fffffff, v6
	v_cmp_gt_u32_e32 vcc, s6, v11
	s_and_saveexec_b64 s[6:7], vcc
	s_xor_b64 s[6:7], exec, s[6:7]
	s_cbranch_execz .LBB55_1685
; %bb.1680:
	s_mov_b32 s10, 0x387fffff
	v_cmp_lt_u32_e32 vcc, s10, v11
                                        ; implicit-def: $vgpr10
	s_and_saveexec_b64 s[10:11], vcc
	s_xor_b64 s[10:11], exec, s[10:11]
; %bb.1681:
	v_bfe_u32 v10, v6, 21, 1
	s_mov_b32 s12, 0x80fffff
	v_add3_u32 v10, v6, v10, s12
	v_lshrrev_b32_e32 v10, 21, v10
; %bb.1682:
	s_andn2_saveexec_b64 s[10:11], s[10:11]
; %bb.1683:
	s_mov_b32 s12, 0x43000000
	v_add_f32_e64 v10, |v6|, s12
; %bb.1684:
	s_or_b64 exec, exec, s[10:11]
                                        ; implicit-def: $vgpr11
.LBB55_1685:
	s_andn2_saveexec_b64 s[6:7], s[6:7]
; %bb.1686:
	s_mov_b32 s10, 0x7f800000
	v_mov_b32_e32 v10, 0x7c
	v_mov_b32_e32 v12, 0x7f
	v_cmp_lt_u32_e32 vcc, s10, v11
	v_cndmask_b32_e32 v10, v10, v12, vcc
; %bb.1687:
	s_or_b64 exec, exec, s[6:7]
	v_lshrrev_b32_e32 v6, 24, v6
	s_movk_i32 s6, 0x80
	v_and_or_b32 v6, v6, s6, v10
	global_store_byte v[7:8], v6, off
.LBB55_1688:
	s_mov_b64 s[6:7], 0
	s_mov_b64 s[10:11], -1
.LBB55_1689:
	s_andn2_b64 vcc, exec, s[6:7]
	s_mov_b64 s[6:7], 0
	s_cbranch_vccnz .LBB55_1696
; %bb.1690:
	s_cmp_gt_i32 s5, 14
	s_mov_b64 s[12:13], -1
	s_cbranch_scc0 .LBB55_1694
; %bb.1691:
	s_cmp_eq_u32 s5, 15
	s_mov_b64 s[0:1], -1
	s_cbranch_scc0 .LBB55_1693
; %bb.1692:
	v_cvt_f32_i32_e32 v6, v5
	s_movk_i32 s6, 0x7fff
	s_mov_b64 s[0:1], 0
	s_mov_b64 s[10:11], -1
	v_bfe_u32 v10, v6, 16, 1
	v_add3_u32 v6, v6, v10, s6
	global_store_short_d16_hi v[7:8], v6, off
.LBB55_1693:
	s_mov_b64 s[12:13], 0
.LBB55_1694:
	s_mov_b64 s[6:7], 0
	s_and_b64 vcc, exec, s[12:13]
	s_cbranch_vccz .LBB55_1696
; %bb.1695:
	s_cmp_lg_u32 s5, 11
	s_mov_b64 s[6:7], -1
	s_cselect_b64 s[0:1], -1, 0
.LBB55_1696:
	s_and_b64 vcc, exec, s[0:1]
	s_cbranch_vccnz .LBB55_2104
; %bb.1697:
	s_andn2_b64 vcc, exec, s[6:7]
	s_cbranch_vccnz .LBB55_1699
.LBB55_1698:
	v_cmp_ne_u32_e32 vcc, 0, v5
	v_cndmask_b32_e64 v6, 0, 1, vcc
	s_mov_b64 s[10:11], -1
	global_store_byte v[7:8], v6, off
.LBB55_1699:
	s_mov_b64 s[0:1], 0
	s_branch .LBB55_1701
.LBB55_1700:
	s_mov_b64 s[0:1], -1
	s_mov_b64 s[10:11], 0
.LBB55_1701:
	s_and_b64 vcc, exec, s[0:1]
	s_cbranch_vccz .LBB55_1740
; %bb.1702:
	s_and_b32 s5, 0xffff, s16
	s_cmp_lt_i32 s5, 5
	s_mov_b64 s[0:1], -1
	s_cbranch_scc1 .LBB55_1723
; %bb.1703:
	s_cmp_lt_i32 s5, 8
	s_cbranch_scc1 .LBB55_1713
; %bb.1704:
	s_cmp_lt_i32 s5, 9
	s_cbranch_scc1 .LBB55_1710
; %bb.1705:
	s_cmp_gt_i32 s5, 9
	s_cbranch_scc0 .LBB55_1707
; %bb.1706:
	v_cvt_f64_i32_e32 v[10:11], v5
	v_mov_b32_e32 v12, 0
	v_mov_b32_e32 v13, v12
	s_mov_b64 s[0:1], 0
	global_store_dwordx4 v[7:8], v[10:13], off
.LBB55_1707:
	s_andn2_b64 vcc, exec, s[0:1]
	s_cbranch_vccnz .LBB55_1709
; %bb.1708:
	v_cvt_f32_i32_e32 v10, v5
	v_mov_b32_e32 v11, 0
	global_store_dwordx2 v[7:8], v[10:11], off
.LBB55_1709:
	s_mov_b64 s[0:1], 0
.LBB55_1710:
	s_andn2_b64 vcc, exec, s[0:1]
	s_cbranch_vccnz .LBB55_1712
; %bb.1711:
	v_cvt_f32_i32_e32 v6, v5
	v_cvt_f16_f32_e32 v6, v6
	global_store_dword v[7:8], v6, off
.LBB55_1712:
	s_mov_b64 s[0:1], 0
.LBB55_1713:
	s_andn2_b64 vcc, exec, s[0:1]
	s_cbranch_vccnz .LBB55_1722
; %bb.1714:
	s_cmp_lt_i32 s5, 6
	s_mov_b64 s[0:1], -1
	s_cbranch_scc1 .LBB55_1720
; %bb.1715:
	s_cmp_gt_i32 s5, 6
	s_cbranch_scc0 .LBB55_1717
; %bb.1716:
	v_cvt_f64_i32_e32 v[10:11], v5
	s_mov_b64 s[0:1], 0
	global_store_dwordx2 v[7:8], v[10:11], off
.LBB55_1717:
	s_andn2_b64 vcc, exec, s[0:1]
	s_cbranch_vccnz .LBB55_1719
; %bb.1718:
	v_cvt_f32_i32_e32 v6, v5
	global_store_dword v[7:8], v6, off
.LBB55_1719:
	s_mov_b64 s[0:1], 0
.LBB55_1720:
	s_andn2_b64 vcc, exec, s[0:1]
	s_cbranch_vccnz .LBB55_1722
; %bb.1721:
	v_cvt_f32_i32_e32 v6, v5
	v_cvt_f16_f32_e32 v6, v6
	global_store_short v[7:8], v6, off
.LBB55_1722:
	s_mov_b64 s[0:1], 0
.LBB55_1723:
	s_andn2_b64 vcc, exec, s[0:1]
	s_cbranch_vccnz .LBB55_1739
; %bb.1724:
	s_cmp_lt_i32 s5, 2
	s_mov_b64 s[0:1], -1
	s_cbranch_scc1 .LBB55_1734
; %bb.1725:
	s_cmp_lt_i32 s5, 3
	s_cbranch_scc1 .LBB55_1731
; %bb.1726:
	s_cmp_gt_i32 s5, 3
	s_cbranch_scc0 .LBB55_1728
; %bb.1727:
	v_ashrrev_i32_e32 v6, 31, v5
	global_store_dwordx2 v[7:8], v[5:6], off
	s_mov_b64 s[0:1], 0
.LBB55_1728:
	s_andn2_b64 vcc, exec, s[0:1]
	s_cbranch_vccnz .LBB55_1730
; %bb.1729:
	global_store_dword v[7:8], v5, off
.LBB55_1730:
	s_mov_b64 s[0:1], 0
.LBB55_1731:
	s_andn2_b64 vcc, exec, s[0:1]
	s_cbranch_vccnz .LBB55_1733
; %bb.1732:
	global_store_short v[7:8], v5, off
.LBB55_1733:
	s_mov_b64 s[0:1], 0
.LBB55_1734:
	s_andn2_b64 vcc, exec, s[0:1]
	s_cbranch_vccnz .LBB55_1739
; %bb.1735:
	s_cmp_gt_i32 s5, 0
	s_mov_b64 s[0:1], -1
	s_cbranch_scc0 .LBB55_1737
; %bb.1736:
	global_store_byte v[7:8], v5, off
	s_mov_b64 s[0:1], 0
.LBB55_1737:
	s_andn2_b64 vcc, exec, s[0:1]
	s_cbranch_vccnz .LBB55_1739
; %bb.1738:
	global_store_byte v[7:8], v5, off
.LBB55_1739:
	s_mov_b64 s[10:11], -1
.LBB55_1740:
	s_andn2_b64 vcc, exec, s[10:11]
	s_cbranch_vccnz .LBB55_2055
; %bb.1741:
	v_lshlrev_b32_e64 v5, v3, s4
	v_cmp_gt_u32_e32 vcc, 32, v3
	v_cndmask_b32_e32 v3, 0, v5, vcc
	v_mov_b32_e32 v6, s9
	s_and_b32 s17, 0xffff, s16
	v_add_co_u32_e32 v5, vcc, s8, v4
	s_cmp_lt_i32 s17, 11
	v_addc_co_u32_e32 v6, vcc, 0, v6, vcc
	s_cbranch_scc1 .LBB55_1819
; %bb.1742:
	s_mov_b64 s[12:13], -1
	s_mov_b64 s[6:7], 0
	s_cmp_gt_i32 s17, 25
	s_mov_b64 s[10:11], 0
	s_mov_b64 s[0:1], 0
	s_cbranch_scc0 .LBB55_1775
; %bb.1743:
	s_cmp_gt_i32 s17, 28
	s_cbranch_scc0 .LBB55_1758
; %bb.1744:
	s_cmp_gt_i32 s17, 43
	;; [unrolled: 3-line block ×3, first 2 shown]
	s_cbranch_scc0 .LBB55_1748
; %bb.1746:
	s_mov_b64 s[0:1], -1
	s_mov_b64 s[12:13], 0
	s_cmp_eq_u32 s17, 46
	s_cbranch_scc0 .LBB55_1748
; %bb.1747:
	v_cvt_f32_i32_e32 v4, v3
	s_movk_i32 s5, 0x7fff
	s_mov_b64 s[0:1], 0
	s_mov_b64 s[10:11], -1
	v_bfe_u32 v7, v4, 16, 1
	v_add3_u32 v4, v4, v7, s5
	v_lshrrev_b32_e32 v4, 16, v4
	global_store_dword v[5:6], v4, off
.LBB55_1748:
	s_and_b64 vcc, exec, s[12:13]
	s_cbranch_vccz .LBB55_1753
; %bb.1749:
	s_cmp_eq_u32 s17, 44
	s_mov_b64 s[0:1], -1
	s_cbranch_scc0 .LBB55_1753
; %bb.1750:
	v_cvt_f32_i32_e32 v4, v3
	s_movk_i32 s0, 0xff
	v_mov_b32_e32 v8, 0xff
	v_bfe_u32 v7, v4, 23, 8
	v_cmp_ne_u32_e32 vcc, s0, v7
	s_and_saveexec_b64 s[10:11], vcc
; %bb.1751:
	s_mov_b32 s0, 0x3fffff
	v_lshrrev_b32_e32 v8, 23, v4
	v_and_b32_e32 v10, 0x400000, v4
	v_and_or_b32 v4, v4, s0, v7
	v_cmp_ne_u32_e32 vcc, 0, v10
	v_cmp_ne_u32_e64 s[0:1], 0, v4
	s_and_b64 s[0:1], vcc, s[0:1]
	v_cndmask_b32_e64 v4, 0, 1, s[0:1]
	v_add_u32_e32 v8, v8, v4
; %bb.1752:
	s_or_b64 exec, exec, s[10:11]
	s_mov_b64 s[0:1], 0
	s_mov_b64 s[10:11], -1
	global_store_byte v[5:6], v8, off
.LBB55_1753:
	s_mov_b64 s[12:13], 0
.LBB55_1754:
	s_and_b64 vcc, exec, s[12:13]
	s_cbranch_vccz .LBB55_1757
; %bb.1755:
	s_cmp_eq_u32 s17, 29
	s_mov_b64 s[0:1], -1
	s_cbranch_scc0 .LBB55_1757
; %bb.1756:
	v_ashrrev_i32_e32 v4, 31, v3
	global_store_dwordx2 v[5:6], v[3:4], off
	s_mov_b64 s[0:1], 0
	s_mov_b64 s[10:11], -1
.LBB55_1757:
	s_mov_b64 s[12:13], 0
.LBB55_1758:
	s_and_b64 vcc, exec, s[12:13]
	s_cbranch_vccz .LBB55_1774
; %bb.1759:
	s_cmp_lt_i32 s17, 27
	s_mov_b64 s[10:11], -1
	s_cbranch_scc1 .LBB55_1765
; %bb.1760:
	s_cmp_gt_i32 s17, 27
	s_cbranch_scc0 .LBB55_1762
; %bb.1761:
	s_mov_b64 s[10:11], 0
	global_store_dword v[5:6], v3, off
.LBB55_1762:
	s_andn2_b64 vcc, exec, s[10:11]
	s_cbranch_vccnz .LBB55_1764
; %bb.1763:
	global_store_short v[5:6], v3, off
.LBB55_1764:
	s_mov_b64 s[10:11], 0
.LBB55_1765:
	s_andn2_b64 vcc, exec, s[10:11]
	s_cbranch_vccnz .LBB55_1773
; %bb.1766:
	v_cvt_f32_i32_e32 v4, v3
	s_mov_b32 s5, 0x43800000
	v_mov_b32_e32 v8, 0x80
	v_and_b32_e32 v7, 0x7fffffff, v4
	v_cmp_gt_u32_e32 vcc, s5, v7
	s_and_saveexec_b64 s[10:11], vcc
	s_cbranch_execz .LBB55_1772
; %bb.1767:
	s_mov_b32 s5, 0x3bffffff
	v_cmp_lt_u32_e32 vcc, s5, v7
	s_mov_b64 s[12:13], 0
                                        ; implicit-def: $vgpr7
	s_and_saveexec_b64 s[14:15], vcc
	s_xor_b64 s[14:15], exec, s[14:15]
	s_cbranch_execz .LBB55_2107
; %bb.1768:
	v_bfe_u32 v7, v4, 20, 1
	s_mov_b32 s5, 0x487ffff
	v_add3_u32 v7, v4, v7, s5
	s_mov_b64 s[12:13], exec
	v_lshrrev_b32_e32 v7, 20, v7
	s_andn2_saveexec_b64 s[14:15], s[14:15]
	s_cbranch_execnz .LBB55_2108
.LBB55_1769:
	s_or_b64 exec, exec, s[14:15]
	v_mov_b32_e32 v8, 0
	s_and_saveexec_b64 s[14:15], s[12:13]
.LBB55_1770:
	v_lshrrev_b32_e32 v4, 24, v4
	s_movk_i32 s5, 0x80
	v_and_or_b32 v8, v4, s5, v7
.LBB55_1771:
	s_or_b64 exec, exec, s[14:15]
.LBB55_1772:
	s_or_b64 exec, exec, s[10:11]
	global_store_byte v[5:6], v8, off
.LBB55_1773:
	s_mov_b64 s[10:11], -1
.LBB55_1774:
	s_mov_b64 s[12:13], 0
.LBB55_1775:
	s_and_b64 vcc, exec, s[12:13]
	s_cbranch_vccz .LBB55_1815
; %bb.1776:
	s_cmp_gt_i32 s17, 22
	s_mov_b64 s[6:7], -1
	s_cbranch_scc0 .LBB55_1808
; %bb.1777:
	s_cmp_lt_i32 s17, 24
	s_cbranch_scc1 .LBB55_1797
; %bb.1778:
	s_cmp_gt_i32 s17, 24
	s_cbranch_scc0 .LBB55_1786
; %bb.1779:
	v_cvt_f32_i32_e32 v4, v3
	s_mov_b32 s5, 0x47800000
	v_mov_b32_e32 v8, 0x80
	v_and_b32_e32 v7, 0x7fffffff, v4
	v_cmp_gt_u32_e32 vcc, s5, v7
	s_and_saveexec_b64 s[6:7], vcc
	s_cbranch_execz .LBB55_1785
; %bb.1780:
	s_mov_b32 s5, 0x37ffffff
	v_cmp_lt_u32_e32 vcc, s5, v7
	s_mov_b64 s[10:11], 0
                                        ; implicit-def: $vgpr7
	s_and_saveexec_b64 s[12:13], vcc
	s_xor_b64 s[12:13], exec, s[12:13]
	s_cbranch_execz .LBB55_2110
; %bb.1781:
	v_bfe_u32 v7, v4, 21, 1
	s_mov_b32 s5, 0x88fffff
	v_add3_u32 v7, v4, v7, s5
	s_mov_b64 s[10:11], exec
	v_lshrrev_b32_e32 v7, 21, v7
	s_andn2_saveexec_b64 s[12:13], s[12:13]
	s_cbranch_execnz .LBB55_2111
.LBB55_1782:
	s_or_b64 exec, exec, s[12:13]
	v_mov_b32_e32 v8, 0
	s_and_saveexec_b64 s[12:13], s[10:11]
.LBB55_1783:
	v_lshrrev_b32_e32 v4, 24, v4
	s_movk_i32 s5, 0x80
	v_and_or_b32 v8, v4, s5, v7
.LBB55_1784:
	s_or_b64 exec, exec, s[12:13]
.LBB55_1785:
	s_or_b64 exec, exec, s[6:7]
	s_mov_b64 s[6:7], 0
	global_store_byte v[5:6], v8, off
.LBB55_1786:
	s_and_b64 vcc, exec, s[6:7]
	s_cbranch_vccz .LBB55_1796
; %bb.1787:
	v_cvt_f32_i32_e32 v4, v3
	s_mov_b32 s5, 0x43f00000
                                        ; implicit-def: $vgpr7
	v_and_b32_e32 v8, 0x7fffffff, v4
	v_cmp_gt_u32_e32 vcc, s5, v8
	s_and_saveexec_b64 s[6:7], vcc
	s_xor_b64 s[6:7], exec, s[6:7]
	s_cbranch_execz .LBB55_1793
; %bb.1788:
	s_mov_b32 s5, 0x3c7fffff
	v_cmp_lt_u32_e32 vcc, s5, v8
                                        ; implicit-def: $vgpr7
	s_and_saveexec_b64 s[10:11], vcc
	s_xor_b64 s[10:11], exec, s[10:11]
; %bb.1789:
	v_bfe_u32 v7, v4, 20, 1
	s_mov_b32 s5, 0x407ffff
	v_add3_u32 v7, v4, v7, s5
	v_lshrrev_b32_e32 v8, 20, v7
	v_and_b32_e32 v7, 0xff00000, v7
	s_mov_b32 s5, 0x7f00000
	v_mov_b32_e32 v10, 0x7e
	v_cmp_ne_u32_e32 vcc, s5, v7
	v_cndmask_b32_e32 v7, v10, v8, vcc
; %bb.1790:
	s_andn2_saveexec_b64 s[10:11], s[10:11]
; %bb.1791:
	s_mov_b32 s5, 0x46800000
	v_add_f32_e64 v7, |v4|, s5
; %bb.1792:
	s_or_b64 exec, exec, s[10:11]
                                        ; implicit-def: $vgpr8
.LBB55_1793:
	s_andn2_saveexec_b64 s[6:7], s[6:7]
; %bb.1794:
	s_mov_b32 s5, 0x7f800000
	v_mov_b32_e32 v7, 0x7e
	v_mov_b32_e32 v10, 0x7f
	v_cmp_lt_u32_e32 vcc, s5, v8
	v_cndmask_b32_e32 v7, v7, v10, vcc
; %bb.1795:
	s_or_b64 exec, exec, s[6:7]
	v_lshrrev_b32_e32 v4, 24, v4
	s_movk_i32 s5, 0x80
	v_and_or_b32 v4, v4, s5, v7
	global_store_byte v[5:6], v4, off
.LBB55_1796:
	s_mov_b64 s[6:7], 0
.LBB55_1797:
	s_andn2_b64 vcc, exec, s[6:7]
	s_cbranch_vccnz .LBB55_1807
; %bb.1798:
	v_cvt_f32_i32_e32 v4, v3
	s_mov_b32 s5, 0x47800000
                                        ; implicit-def: $vgpr7
	v_and_b32_e32 v8, 0x7fffffff, v4
	v_cmp_gt_u32_e32 vcc, s5, v8
	s_and_saveexec_b64 s[6:7], vcc
	s_xor_b64 s[6:7], exec, s[6:7]
	s_cbranch_execz .LBB55_1804
; %bb.1799:
	s_mov_b32 s5, 0x387fffff
	v_cmp_lt_u32_e32 vcc, s5, v8
                                        ; implicit-def: $vgpr7
	s_and_saveexec_b64 s[10:11], vcc
	s_xor_b64 s[10:11], exec, s[10:11]
; %bb.1800:
	v_bfe_u32 v7, v4, 21, 1
	s_mov_b32 s5, 0x80fffff
	v_add3_u32 v7, v4, v7, s5
	v_lshrrev_b32_e32 v7, 21, v7
; %bb.1801:
	s_andn2_saveexec_b64 s[10:11], s[10:11]
; %bb.1802:
	s_mov_b32 s5, 0x43000000
	v_add_f32_e64 v7, |v4|, s5
; %bb.1803:
	s_or_b64 exec, exec, s[10:11]
                                        ; implicit-def: $vgpr8
.LBB55_1804:
	s_andn2_saveexec_b64 s[6:7], s[6:7]
; %bb.1805:
	s_mov_b32 s5, 0x7f800000
	v_mov_b32_e32 v7, 0x7c
	v_mov_b32_e32 v10, 0x7f
	v_cmp_lt_u32_e32 vcc, s5, v8
	v_cndmask_b32_e32 v7, v7, v10, vcc
; %bb.1806:
	s_or_b64 exec, exec, s[6:7]
	v_lshrrev_b32_e32 v4, 24, v4
	s_movk_i32 s5, 0x80
	v_and_or_b32 v4, v4, s5, v7
	global_store_byte v[5:6], v4, off
.LBB55_1807:
	s_mov_b64 s[6:7], 0
	s_mov_b64 s[10:11], -1
.LBB55_1808:
	s_andn2_b64 vcc, exec, s[6:7]
	s_mov_b64 s[6:7], 0
	s_cbranch_vccnz .LBB55_1815
; %bb.1809:
	s_cmp_gt_i32 s17, 14
	s_mov_b64 s[12:13], -1
	s_cbranch_scc0 .LBB55_1813
; %bb.1810:
	s_cmp_eq_u32 s17, 15
	s_mov_b64 s[0:1], -1
	s_cbranch_scc0 .LBB55_1812
; %bb.1811:
	v_cvt_f32_i32_e32 v4, v3
	s_movk_i32 s5, 0x7fff
	s_mov_b64 s[0:1], 0
	s_mov_b64 s[10:11], -1
	v_bfe_u32 v7, v4, 16, 1
	v_add3_u32 v4, v4, v7, s5
	global_store_short_d16_hi v[5:6], v4, off
.LBB55_1812:
	s_mov_b64 s[12:13], 0
.LBB55_1813:
	s_and_b64 vcc, exec, s[12:13]
	s_cbranch_vccz .LBB55_1815
; %bb.1814:
	s_cmp_lg_u32 s17, 11
	s_mov_b64 s[6:7], -1
	s_cselect_b64 s[0:1], -1, 0
.LBB55_1815:
	s_and_b64 vcc, exec, s[0:1]
	s_cbranch_vccnz .LBB55_2109
; %bb.1816:
	s_andn2_b64 vcc, exec, s[6:7]
	s_cbranch_vccnz .LBB55_1818
.LBB55_1817:
	v_cmp_ne_u32_e32 vcc, 0, v3
	v_cndmask_b32_e64 v4, 0, 1, vcc
	s_mov_b64 s[10:11], -1
	global_store_byte v[5:6], v4, off
.LBB55_1818:
	s_mov_b64 s[0:1], 0
	s_branch .LBB55_1820
.LBB55_1819:
	s_mov_b64 s[0:1], -1
	s_mov_b64 s[10:11], 0
.LBB55_1820:
	s_and_b64 vcc, exec, s[0:1]
	s_cbranch_vccz .LBB55_1859
; %bb.1821:
	s_cmp_lt_i32 s17, 5
	s_mov_b64 s[0:1], -1
	s_cbranch_scc1 .LBB55_1842
; %bb.1822:
	s_cmp_lt_i32 s17, 8
	s_cbranch_scc1 .LBB55_1832
; %bb.1823:
	s_cmp_lt_i32 s17, 9
	s_cbranch_scc1 .LBB55_1829
; %bb.1824:
	s_cmp_gt_i32 s17, 9
	s_cbranch_scc0 .LBB55_1826
; %bb.1825:
	v_cvt_f64_i32_e32 v[10:11], v3
	v_mov_b32_e32 v12, 0
	v_mov_b32_e32 v13, v12
	s_mov_b64 s[0:1], 0
	global_store_dwordx4 v[5:6], v[10:13], off
.LBB55_1826:
	s_andn2_b64 vcc, exec, s[0:1]
	s_cbranch_vccnz .LBB55_1828
; %bb.1827:
	v_cvt_f32_i32_e32 v7, v3
	v_mov_b32_e32 v8, 0
	global_store_dwordx2 v[5:6], v[7:8], off
.LBB55_1828:
	s_mov_b64 s[0:1], 0
.LBB55_1829:
	s_andn2_b64 vcc, exec, s[0:1]
	s_cbranch_vccnz .LBB55_1831
; %bb.1830:
	v_cvt_f32_i32_e32 v4, v3
	v_cvt_f16_f32_e32 v4, v4
	global_store_dword v[5:6], v4, off
.LBB55_1831:
	s_mov_b64 s[0:1], 0
.LBB55_1832:
	s_andn2_b64 vcc, exec, s[0:1]
	s_cbranch_vccnz .LBB55_1841
; %bb.1833:
	s_cmp_lt_i32 s17, 6
	s_mov_b64 s[0:1], -1
	s_cbranch_scc1 .LBB55_1839
; %bb.1834:
	s_cmp_gt_i32 s17, 6
	s_cbranch_scc0 .LBB55_1836
; %bb.1835:
	v_cvt_f64_i32_e32 v[7:8], v3
	s_mov_b64 s[0:1], 0
	global_store_dwordx2 v[5:6], v[7:8], off
.LBB55_1836:
	s_andn2_b64 vcc, exec, s[0:1]
	s_cbranch_vccnz .LBB55_1838
; %bb.1837:
	v_cvt_f32_i32_e32 v4, v3
	global_store_dword v[5:6], v4, off
.LBB55_1838:
	s_mov_b64 s[0:1], 0
.LBB55_1839:
	s_andn2_b64 vcc, exec, s[0:1]
	s_cbranch_vccnz .LBB55_1841
; %bb.1840:
	v_cvt_f32_i32_e32 v4, v3
	v_cvt_f16_f32_e32 v4, v4
	global_store_short v[5:6], v4, off
.LBB55_1841:
	s_mov_b64 s[0:1], 0
.LBB55_1842:
	s_andn2_b64 vcc, exec, s[0:1]
	s_cbranch_vccnz .LBB55_1858
; %bb.1843:
	s_cmp_lt_i32 s17, 2
	s_mov_b64 s[0:1], -1
	s_cbranch_scc1 .LBB55_1853
; %bb.1844:
	s_cmp_lt_i32 s17, 3
	s_cbranch_scc1 .LBB55_1850
; %bb.1845:
	s_cmp_gt_i32 s17, 3
	s_cbranch_scc0 .LBB55_1847
; %bb.1846:
	v_ashrrev_i32_e32 v4, 31, v3
	global_store_dwordx2 v[5:6], v[3:4], off
	s_mov_b64 s[0:1], 0
.LBB55_1847:
	s_andn2_b64 vcc, exec, s[0:1]
	s_cbranch_vccnz .LBB55_1849
; %bb.1848:
	global_store_dword v[5:6], v3, off
.LBB55_1849:
	s_mov_b64 s[0:1], 0
.LBB55_1850:
	s_andn2_b64 vcc, exec, s[0:1]
	s_cbranch_vccnz .LBB55_1852
; %bb.1851:
	global_store_short v[5:6], v3, off
.LBB55_1852:
	s_mov_b64 s[0:1], 0
.LBB55_1853:
	s_andn2_b64 vcc, exec, s[0:1]
	s_cbranch_vccnz .LBB55_1858
; %bb.1854:
	s_cmp_gt_i32 s17, 0
	s_mov_b64 s[0:1], -1
	s_cbranch_scc0 .LBB55_1856
; %bb.1855:
	global_store_byte v[5:6], v3, off
	s_mov_b64 s[0:1], 0
.LBB55_1856:
	s_andn2_b64 vcc, exec, s[0:1]
	s_cbranch_vccnz .LBB55_1858
; %bb.1857:
	global_store_byte v[5:6], v3, off
.LBB55_1858:
	s_mov_b64 s[10:11], -1
.LBB55_1859:
	s_andn2_b64 vcc, exec, s[10:11]
	s_cbranch_vccnz .LBB55_2055
; %bb.1860:
	v_lshlrev_b32_e64 v3, v1, s4
	v_cmp_gt_u32_e32 vcc, 32, v1
	v_cndmask_b32_e32 v1, 0, v3, vcc
	v_mov_b32_e32 v4, s9
	v_add_co_u32_e32 v3, vcc, s8, v2
	s_cmp_lt_i32 s17, 11
	v_addc_co_u32_e32 v4, vcc, 0, v4, vcc
	s_cbranch_scc1 .LBB55_1938
; %bb.1861:
	s_mov_b64 s[12:13], -1
	s_mov_b64 s[6:7], 0
	s_cmp_gt_i32 s17, 25
	s_mov_b64 s[10:11], 0
	s_mov_b64 s[0:1], 0
	s_cbranch_scc0 .LBB55_1894
; %bb.1862:
	s_cmp_gt_i32 s17, 28
	s_cbranch_scc0 .LBB55_1877
; %bb.1863:
	s_cmp_gt_i32 s17, 43
	;; [unrolled: 3-line block ×3, first 2 shown]
	s_cbranch_scc0 .LBB55_1867
; %bb.1865:
	s_mov_b64 s[0:1], -1
	s_mov_b64 s[12:13], 0
	s_cmp_eq_u32 s17, 46
	s_cbranch_scc0 .LBB55_1867
; %bb.1866:
	v_cvt_f32_i32_e32 v2, v1
	s_movk_i32 s5, 0x7fff
	s_mov_b64 s[0:1], 0
	s_mov_b64 s[10:11], -1
	v_bfe_u32 v5, v2, 16, 1
	v_add3_u32 v2, v2, v5, s5
	v_lshrrev_b32_e32 v2, 16, v2
	global_store_dword v[3:4], v2, off
.LBB55_1867:
	s_and_b64 vcc, exec, s[12:13]
	s_cbranch_vccz .LBB55_1872
; %bb.1868:
	s_cmp_eq_u32 s17, 44
	s_mov_b64 s[0:1], -1
	s_cbranch_scc0 .LBB55_1872
; %bb.1869:
	v_cvt_f32_i32_e32 v2, v1
	s_movk_i32 s0, 0xff
	v_mov_b32_e32 v6, 0xff
	v_bfe_u32 v5, v2, 23, 8
	v_cmp_ne_u32_e32 vcc, s0, v5
	s_and_saveexec_b64 s[10:11], vcc
; %bb.1870:
	s_mov_b32 s0, 0x3fffff
	v_lshrrev_b32_e32 v6, 23, v2
	v_and_b32_e32 v7, 0x400000, v2
	v_and_or_b32 v2, v2, s0, v5
	v_cmp_ne_u32_e32 vcc, 0, v7
	v_cmp_ne_u32_e64 s[0:1], 0, v2
	s_and_b64 s[0:1], vcc, s[0:1]
	v_cndmask_b32_e64 v2, 0, 1, s[0:1]
	v_add_u32_e32 v6, v6, v2
; %bb.1871:
	s_or_b64 exec, exec, s[10:11]
	s_mov_b64 s[0:1], 0
	s_mov_b64 s[10:11], -1
	global_store_byte v[3:4], v6, off
.LBB55_1872:
	s_mov_b64 s[12:13], 0
.LBB55_1873:
	s_and_b64 vcc, exec, s[12:13]
	s_cbranch_vccz .LBB55_1876
; %bb.1874:
	s_cmp_eq_u32 s17, 29
	s_mov_b64 s[0:1], -1
	s_cbranch_scc0 .LBB55_1876
; %bb.1875:
	v_ashrrev_i32_e32 v2, 31, v1
	global_store_dwordx2 v[3:4], v[1:2], off
	s_mov_b64 s[0:1], 0
	s_mov_b64 s[10:11], -1
.LBB55_1876:
	s_mov_b64 s[12:13], 0
.LBB55_1877:
	s_and_b64 vcc, exec, s[12:13]
	s_cbranch_vccz .LBB55_1893
; %bb.1878:
	s_cmp_lt_i32 s17, 27
	s_mov_b64 s[10:11], -1
	s_cbranch_scc1 .LBB55_1884
; %bb.1879:
	s_cmp_gt_i32 s17, 27
	s_cbranch_scc0 .LBB55_1881
; %bb.1880:
	s_mov_b64 s[10:11], 0
	global_store_dword v[3:4], v1, off
.LBB55_1881:
	s_andn2_b64 vcc, exec, s[10:11]
	s_cbranch_vccnz .LBB55_1883
; %bb.1882:
	global_store_short v[3:4], v1, off
.LBB55_1883:
	s_mov_b64 s[10:11], 0
.LBB55_1884:
	s_andn2_b64 vcc, exec, s[10:11]
	s_cbranch_vccnz .LBB55_1892
; %bb.1885:
	v_cvt_f32_i32_e32 v2, v1
	s_mov_b32 s5, 0x43800000
	v_mov_b32_e32 v6, 0x80
	v_and_b32_e32 v5, 0x7fffffff, v2
	v_cmp_gt_u32_e32 vcc, s5, v5
	s_and_saveexec_b64 s[10:11], vcc
	s_cbranch_execz .LBB55_1891
; %bb.1886:
	s_mov_b32 s5, 0x3bffffff
	v_cmp_lt_u32_e32 vcc, s5, v5
	s_mov_b64 s[12:13], 0
                                        ; implicit-def: $vgpr5
	s_and_saveexec_b64 s[14:15], vcc
	s_xor_b64 s[14:15], exec, s[14:15]
	s_cbranch_execz .LBB55_2112
; %bb.1887:
	v_bfe_u32 v5, v2, 20, 1
	s_mov_b32 s5, 0x487ffff
	v_add3_u32 v5, v2, v5, s5
	s_mov_b64 s[12:13], exec
	v_lshrrev_b32_e32 v5, 20, v5
	s_andn2_saveexec_b64 s[14:15], s[14:15]
	s_cbranch_execnz .LBB55_2113
.LBB55_1888:
	s_or_b64 exec, exec, s[14:15]
	v_mov_b32_e32 v6, 0
	s_and_saveexec_b64 s[14:15], s[12:13]
.LBB55_1889:
	v_lshrrev_b32_e32 v2, 24, v2
	s_movk_i32 s5, 0x80
	v_and_or_b32 v6, v2, s5, v5
.LBB55_1890:
	s_or_b64 exec, exec, s[14:15]
.LBB55_1891:
	s_or_b64 exec, exec, s[10:11]
	global_store_byte v[3:4], v6, off
.LBB55_1892:
	s_mov_b64 s[10:11], -1
.LBB55_1893:
	s_mov_b64 s[12:13], 0
.LBB55_1894:
	s_and_b64 vcc, exec, s[12:13]
	s_cbranch_vccz .LBB55_1934
; %bb.1895:
	s_cmp_gt_i32 s17, 22
	s_mov_b64 s[6:7], -1
	s_cbranch_scc0 .LBB55_1927
; %bb.1896:
	s_cmp_lt_i32 s17, 24
	s_cbranch_scc1 .LBB55_1916
; %bb.1897:
	s_cmp_gt_i32 s17, 24
	s_cbranch_scc0 .LBB55_1905
; %bb.1898:
	v_cvt_f32_i32_e32 v2, v1
	s_mov_b32 s5, 0x47800000
	v_mov_b32_e32 v6, 0x80
	v_and_b32_e32 v5, 0x7fffffff, v2
	v_cmp_gt_u32_e32 vcc, s5, v5
	s_and_saveexec_b64 s[6:7], vcc
	s_cbranch_execz .LBB55_1904
; %bb.1899:
	s_mov_b32 s5, 0x37ffffff
	v_cmp_lt_u32_e32 vcc, s5, v5
	s_mov_b64 s[10:11], 0
                                        ; implicit-def: $vgpr5
	s_and_saveexec_b64 s[12:13], vcc
	s_xor_b64 s[12:13], exec, s[12:13]
	s_cbranch_execz .LBB55_2115
; %bb.1900:
	v_bfe_u32 v5, v2, 21, 1
	s_mov_b32 s5, 0x88fffff
	v_add3_u32 v5, v2, v5, s5
	s_mov_b64 s[10:11], exec
	v_lshrrev_b32_e32 v5, 21, v5
	s_andn2_saveexec_b64 s[12:13], s[12:13]
	s_cbranch_execnz .LBB55_2116
.LBB55_1901:
	s_or_b64 exec, exec, s[12:13]
	v_mov_b32_e32 v6, 0
	s_and_saveexec_b64 s[12:13], s[10:11]
.LBB55_1902:
	v_lshrrev_b32_e32 v2, 24, v2
	s_movk_i32 s5, 0x80
	v_and_or_b32 v6, v2, s5, v5
.LBB55_1903:
	s_or_b64 exec, exec, s[12:13]
.LBB55_1904:
	s_or_b64 exec, exec, s[6:7]
	s_mov_b64 s[6:7], 0
	global_store_byte v[3:4], v6, off
.LBB55_1905:
	s_and_b64 vcc, exec, s[6:7]
	s_cbranch_vccz .LBB55_1915
; %bb.1906:
	v_cvt_f32_i32_e32 v2, v1
	s_mov_b32 s5, 0x43f00000
                                        ; implicit-def: $vgpr5
	v_and_b32_e32 v6, 0x7fffffff, v2
	v_cmp_gt_u32_e32 vcc, s5, v6
	s_and_saveexec_b64 s[6:7], vcc
	s_xor_b64 s[6:7], exec, s[6:7]
	s_cbranch_execz .LBB55_1912
; %bb.1907:
	s_mov_b32 s5, 0x3c7fffff
	v_cmp_lt_u32_e32 vcc, s5, v6
                                        ; implicit-def: $vgpr5
	s_and_saveexec_b64 s[10:11], vcc
	s_xor_b64 s[10:11], exec, s[10:11]
; %bb.1908:
	v_bfe_u32 v5, v2, 20, 1
	s_mov_b32 s5, 0x407ffff
	v_add3_u32 v5, v2, v5, s5
	v_lshrrev_b32_e32 v6, 20, v5
	v_and_b32_e32 v5, 0xff00000, v5
	s_mov_b32 s5, 0x7f00000
	v_mov_b32_e32 v7, 0x7e
	v_cmp_ne_u32_e32 vcc, s5, v5
	v_cndmask_b32_e32 v5, v7, v6, vcc
; %bb.1909:
	s_andn2_saveexec_b64 s[10:11], s[10:11]
; %bb.1910:
	s_mov_b32 s5, 0x46800000
	v_add_f32_e64 v5, |v2|, s5
; %bb.1911:
	s_or_b64 exec, exec, s[10:11]
                                        ; implicit-def: $vgpr6
.LBB55_1912:
	s_andn2_saveexec_b64 s[6:7], s[6:7]
; %bb.1913:
	s_mov_b32 s5, 0x7f800000
	v_mov_b32_e32 v5, 0x7e
	v_mov_b32_e32 v7, 0x7f
	v_cmp_lt_u32_e32 vcc, s5, v6
	v_cndmask_b32_e32 v5, v5, v7, vcc
; %bb.1914:
	s_or_b64 exec, exec, s[6:7]
	v_lshrrev_b32_e32 v2, 24, v2
	s_movk_i32 s5, 0x80
	v_and_or_b32 v2, v2, s5, v5
	global_store_byte v[3:4], v2, off
.LBB55_1915:
	s_mov_b64 s[6:7], 0
.LBB55_1916:
	s_andn2_b64 vcc, exec, s[6:7]
	s_cbranch_vccnz .LBB55_1926
; %bb.1917:
	v_cvt_f32_i32_e32 v2, v1
	s_mov_b32 s5, 0x47800000
                                        ; implicit-def: $vgpr5
	v_and_b32_e32 v6, 0x7fffffff, v2
	v_cmp_gt_u32_e32 vcc, s5, v6
	s_and_saveexec_b64 s[6:7], vcc
	s_xor_b64 s[6:7], exec, s[6:7]
	s_cbranch_execz .LBB55_1923
; %bb.1918:
	s_mov_b32 s5, 0x387fffff
	v_cmp_lt_u32_e32 vcc, s5, v6
                                        ; implicit-def: $vgpr5
	s_and_saveexec_b64 s[10:11], vcc
	s_xor_b64 s[10:11], exec, s[10:11]
; %bb.1919:
	v_bfe_u32 v5, v2, 21, 1
	s_mov_b32 s5, 0x80fffff
	v_add3_u32 v5, v2, v5, s5
	v_lshrrev_b32_e32 v5, 21, v5
; %bb.1920:
	s_andn2_saveexec_b64 s[10:11], s[10:11]
; %bb.1921:
	s_mov_b32 s5, 0x43000000
	v_add_f32_e64 v5, |v2|, s5
; %bb.1922:
	s_or_b64 exec, exec, s[10:11]
                                        ; implicit-def: $vgpr6
.LBB55_1923:
	s_andn2_saveexec_b64 s[6:7], s[6:7]
; %bb.1924:
	s_mov_b32 s5, 0x7f800000
	v_mov_b32_e32 v5, 0x7c
	v_mov_b32_e32 v7, 0x7f
	v_cmp_lt_u32_e32 vcc, s5, v6
	v_cndmask_b32_e32 v5, v5, v7, vcc
; %bb.1925:
	s_or_b64 exec, exec, s[6:7]
	v_lshrrev_b32_e32 v2, 24, v2
	s_movk_i32 s5, 0x80
	v_and_or_b32 v2, v2, s5, v5
	global_store_byte v[3:4], v2, off
.LBB55_1926:
	s_mov_b64 s[6:7], 0
	s_mov_b64 s[10:11], -1
.LBB55_1927:
	s_andn2_b64 vcc, exec, s[6:7]
	s_mov_b64 s[6:7], 0
	s_cbranch_vccnz .LBB55_1934
; %bb.1928:
	s_cmp_gt_i32 s17, 14
	s_mov_b64 s[12:13], -1
	s_cbranch_scc0 .LBB55_1932
; %bb.1929:
	s_cmp_eq_u32 s17, 15
	s_mov_b64 s[0:1], -1
	s_cbranch_scc0 .LBB55_1931
; %bb.1930:
	v_cvt_f32_i32_e32 v2, v1
	s_movk_i32 s5, 0x7fff
	s_mov_b64 s[0:1], 0
	s_mov_b64 s[10:11], -1
	v_bfe_u32 v5, v2, 16, 1
	v_add3_u32 v2, v2, v5, s5
	global_store_short_d16_hi v[3:4], v2, off
.LBB55_1931:
	s_mov_b64 s[12:13], 0
.LBB55_1932:
	s_and_b64 vcc, exec, s[12:13]
	s_cbranch_vccz .LBB55_1934
; %bb.1933:
	s_cmp_lg_u32 s17, 11
	s_mov_b64 s[6:7], -1
	s_cselect_b64 s[0:1], -1, 0
.LBB55_1934:
	s_and_b64 vcc, exec, s[0:1]
	s_cbranch_vccnz .LBB55_2114
; %bb.1935:
	s_andn2_b64 vcc, exec, s[6:7]
	s_cbranch_vccnz .LBB55_1937
.LBB55_1936:
	v_cmp_ne_u32_e32 vcc, 0, v1
	v_cndmask_b32_e64 v2, 0, 1, vcc
	s_mov_b64 s[10:11], -1
	global_store_byte v[3:4], v2, off
.LBB55_1937:
	s_mov_b64 s[0:1], 0
	s_branch .LBB55_1939
.LBB55_1938:
	s_mov_b64 s[0:1], -1
	s_mov_b64 s[10:11], 0
.LBB55_1939:
	s_and_b64 vcc, exec, s[0:1]
	s_cbranch_vccz .LBB55_1978
; %bb.1940:
	s_cmp_lt_i32 s17, 5
	s_mov_b64 s[0:1], -1
	s_cbranch_scc1 .LBB55_1961
; %bb.1941:
	s_cmp_lt_i32 s17, 8
	s_cbranch_scc1 .LBB55_1951
; %bb.1942:
	s_cmp_lt_i32 s17, 9
	s_cbranch_scc1 .LBB55_1948
; %bb.1943:
	s_cmp_gt_i32 s17, 9
	s_cbranch_scc0 .LBB55_1945
; %bb.1944:
	v_cvt_f64_i32_e32 v[5:6], v1
	v_mov_b32_e32 v7, 0
	v_mov_b32_e32 v8, v7
	s_mov_b64 s[0:1], 0
	global_store_dwordx4 v[3:4], v[5:8], off
.LBB55_1945:
	s_andn2_b64 vcc, exec, s[0:1]
	s_cbranch_vccnz .LBB55_1947
; %bb.1946:
	v_cvt_f32_i32_e32 v5, v1
	v_mov_b32_e32 v6, 0
	global_store_dwordx2 v[3:4], v[5:6], off
.LBB55_1947:
	s_mov_b64 s[0:1], 0
.LBB55_1948:
	s_andn2_b64 vcc, exec, s[0:1]
	s_cbranch_vccnz .LBB55_1950
; %bb.1949:
	v_cvt_f32_i32_e32 v2, v1
	v_cvt_f16_f32_e32 v2, v2
	global_store_dword v[3:4], v2, off
.LBB55_1950:
	s_mov_b64 s[0:1], 0
.LBB55_1951:
	s_andn2_b64 vcc, exec, s[0:1]
	s_cbranch_vccnz .LBB55_1960
; %bb.1952:
	s_cmp_lt_i32 s17, 6
	s_mov_b64 s[0:1], -1
	s_cbranch_scc1 .LBB55_1958
; %bb.1953:
	s_cmp_gt_i32 s17, 6
	s_cbranch_scc0 .LBB55_1955
; %bb.1954:
	v_cvt_f64_i32_e32 v[5:6], v1
	s_mov_b64 s[0:1], 0
	global_store_dwordx2 v[3:4], v[5:6], off
.LBB55_1955:
	s_andn2_b64 vcc, exec, s[0:1]
	s_cbranch_vccnz .LBB55_1957
; %bb.1956:
	v_cvt_f32_i32_e32 v2, v1
	global_store_dword v[3:4], v2, off
.LBB55_1957:
	s_mov_b64 s[0:1], 0
.LBB55_1958:
	s_andn2_b64 vcc, exec, s[0:1]
	s_cbranch_vccnz .LBB55_1960
; %bb.1959:
	v_cvt_f32_i32_e32 v2, v1
	v_cvt_f16_f32_e32 v2, v2
	global_store_short v[3:4], v2, off
.LBB55_1960:
	s_mov_b64 s[0:1], 0
.LBB55_1961:
	s_andn2_b64 vcc, exec, s[0:1]
	s_cbranch_vccnz .LBB55_1977
; %bb.1962:
	s_cmp_lt_i32 s17, 2
	s_mov_b64 s[0:1], -1
	s_cbranch_scc1 .LBB55_1972
; %bb.1963:
	s_cmp_lt_i32 s17, 3
	s_cbranch_scc1 .LBB55_1969
; %bb.1964:
	s_cmp_gt_i32 s17, 3
	s_cbranch_scc0 .LBB55_1966
; %bb.1965:
	v_ashrrev_i32_e32 v2, 31, v1
	global_store_dwordx2 v[3:4], v[1:2], off
	s_mov_b64 s[0:1], 0
.LBB55_1966:
	s_andn2_b64 vcc, exec, s[0:1]
	s_cbranch_vccnz .LBB55_1968
; %bb.1967:
	global_store_dword v[3:4], v1, off
.LBB55_1968:
	s_mov_b64 s[0:1], 0
.LBB55_1969:
	s_andn2_b64 vcc, exec, s[0:1]
	s_cbranch_vccnz .LBB55_1971
; %bb.1970:
	global_store_short v[3:4], v1, off
.LBB55_1971:
	s_mov_b64 s[0:1], 0
.LBB55_1972:
	s_andn2_b64 vcc, exec, s[0:1]
	s_cbranch_vccnz .LBB55_1977
; %bb.1973:
	s_cmp_gt_i32 s17, 0
	s_mov_b64 s[0:1], -1
	s_cbranch_scc0 .LBB55_1975
; %bb.1974:
	global_store_byte v[3:4], v1, off
	s_mov_b64 s[0:1], 0
.LBB55_1975:
	s_andn2_b64 vcc, exec, s[0:1]
	s_cbranch_vccnz .LBB55_1977
; %bb.1976:
	global_store_byte v[3:4], v1, off
.LBB55_1977:
	s_mov_b64 s[10:11], -1
.LBB55_1978:
	s_andn2_b64 vcc, exec, s[10:11]
	s_cbranch_vccnz .LBB55_2055
; %bb.1979:
	v_lshlrev_b32_e64 v1, v9, s4
	v_cmp_gt_u32_e32 vcc, 32, v9
	v_cndmask_b32_e32 v2, 0, v1, vcc
	v_mov_b32_e32 v1, s9
	v_add_co_u32_e32 v0, vcc, s8, v0
	s_cmp_lt_i32 s17, 11
	v_addc_co_u32_e32 v1, vcc, 0, v1, vcc
	s_cbranch_scc1 .LBB55_2100
; %bb.1980:
	s_mov_b64 s[6:7], -1
	s_mov_b64 s[4:5], 0
	s_cmp_gt_i32 s17, 25
	s_mov_b64 s[0:1], 0
	s_cbranch_scc0 .LBB55_2013
; %bb.1981:
	s_cmp_gt_i32 s17, 28
	s_cbranch_scc0 .LBB55_1997
; %bb.1982:
	s_cmp_gt_i32 s17, 43
	;; [unrolled: 3-line block ×3, first 2 shown]
	s_cbranch_scc0 .LBB55_1987
; %bb.1984:
	s_cmp_eq_u32 s17, 46
	s_mov_b64 s[0:1], -1
	s_cbranch_scc0 .LBB55_1986
; %bb.1985:
	v_cvt_f32_i32_e32 v3, v2
	s_movk_i32 s0, 0x7fff
	v_bfe_u32 v4, v3, 16, 1
	v_add3_u32 v3, v3, v4, s0
	v_lshrrev_b32_e32 v3, 16, v3
	global_store_dword v[0:1], v3, off
	s_mov_b64 s[0:1], 0
.LBB55_1986:
	s_mov_b64 s[6:7], 0
.LBB55_1987:
	s_and_b64 vcc, exec, s[6:7]
	s_cbranch_vccz .LBB55_1992
; %bb.1988:
	s_cmp_eq_u32 s17, 44
	s_mov_b64 s[0:1], -1
	s_cbranch_scc0 .LBB55_1992
; %bb.1989:
	v_cvt_f32_i32_e32 v3, v2
	s_movk_i32 s0, 0xff
	v_mov_b32_e32 v5, 0xff
	v_bfe_u32 v4, v3, 23, 8
	v_cmp_ne_u32_e32 vcc, s0, v4
	s_and_saveexec_b64 s[6:7], vcc
; %bb.1990:
	s_mov_b32 s0, 0x3fffff
	v_lshrrev_b32_e32 v5, 23, v3
	v_and_b32_e32 v6, 0x400000, v3
	v_and_or_b32 v3, v3, s0, v4
	v_cmp_ne_u32_e32 vcc, 0, v6
	v_cmp_ne_u32_e64 s[0:1], 0, v3
	s_and_b64 s[0:1], vcc, s[0:1]
	v_cndmask_b32_e64 v3, 0, 1, s[0:1]
	v_add_u32_e32 v5, v5, v3
; %bb.1991:
	s_or_b64 exec, exec, s[6:7]
	s_mov_b64 s[0:1], 0
	global_store_byte v[0:1], v5, off
.LBB55_1992:
	s_mov_b64 s[6:7], 0
.LBB55_1993:
	s_and_b64 vcc, exec, s[6:7]
	s_cbranch_vccz .LBB55_1996
; %bb.1994:
	s_cmp_eq_u32 s17, 29
	s_mov_b64 s[0:1], -1
	s_cbranch_scc0 .LBB55_1996
; %bb.1995:
	v_ashrrev_i32_e32 v3, 31, v2
	global_store_dwordx2 v[0:1], v[2:3], off
	s_mov_b64 s[0:1], 0
.LBB55_1996:
	s_mov_b64 s[6:7], 0
.LBB55_1997:
	s_and_b64 vcc, exec, s[6:7]
	s_cbranch_vccz .LBB55_2012
; %bb.1998:
	s_cmp_lt_i32 s17, 27
	s_mov_b64 s[6:7], -1
	s_cbranch_scc1 .LBB55_2004
; %bb.1999:
	s_cmp_gt_i32 s17, 27
	s_cbranch_scc0 .LBB55_2001
; %bb.2000:
	global_store_dword v[0:1], v2, off
	s_mov_b64 s[6:7], 0
.LBB55_2001:
	s_andn2_b64 vcc, exec, s[6:7]
	s_cbranch_vccnz .LBB55_2003
; %bb.2002:
	global_store_short v[0:1], v2, off
.LBB55_2003:
	s_mov_b64 s[6:7], 0
.LBB55_2004:
	s_andn2_b64 vcc, exec, s[6:7]
	s_cbranch_vccnz .LBB55_2012
; %bb.2005:
	v_cvt_f32_i32_e32 v3, v2
	s_mov_b32 s6, 0x43800000
	v_mov_b32_e32 v5, 0x80
	v_and_b32_e32 v4, 0x7fffffff, v3
	v_cmp_gt_u32_e32 vcc, s6, v4
	s_and_saveexec_b64 s[6:7], vcc
	s_cbranch_execz .LBB55_2011
; %bb.2006:
	s_mov_b32 s8, 0x3bffffff
	v_cmp_lt_u32_e32 vcc, s8, v4
	s_mov_b64 s[8:9], 0
                                        ; implicit-def: $vgpr4
	s_and_saveexec_b64 s[10:11], vcc
	s_xor_b64 s[10:11], exec, s[10:11]
	s_cbranch_execz .LBB55_2117
; %bb.2007:
	v_bfe_u32 v4, v3, 20, 1
	s_mov_b32 s12, 0x487ffff
	v_add3_u32 v4, v3, v4, s12
	s_mov_b64 s[8:9], exec
	v_lshrrev_b32_e32 v4, 20, v4
	s_andn2_saveexec_b64 s[10:11], s[10:11]
	s_cbranch_execnz .LBB55_2118
.LBB55_2008:
	s_or_b64 exec, exec, s[10:11]
	v_mov_b32_e32 v5, 0
	s_and_saveexec_b64 s[10:11], s[8:9]
.LBB55_2009:
	v_lshrrev_b32_e32 v3, 24, v3
	s_movk_i32 s8, 0x80
	v_and_or_b32 v5, v3, s8, v4
.LBB55_2010:
	s_or_b64 exec, exec, s[10:11]
.LBB55_2011:
	s_or_b64 exec, exec, s[6:7]
	global_store_byte v[0:1], v5, off
.LBB55_2012:
	s_mov_b64 s[6:7], 0
.LBB55_2013:
	s_and_b64 vcc, exec, s[6:7]
	s_cbranch_vccz .LBB55_2053
; %bb.2014:
	s_cmp_gt_i32 s17, 22
	s_mov_b64 s[4:5], -1
	s_cbranch_scc0 .LBB55_2046
; %bb.2015:
	s_cmp_lt_i32 s17, 24
	s_cbranch_scc1 .LBB55_2035
; %bb.2016:
	s_cmp_gt_i32 s17, 24
	s_cbranch_scc0 .LBB55_2024
; %bb.2017:
	v_cvt_f32_i32_e32 v3, v2
	s_mov_b32 s4, 0x47800000
	v_mov_b32_e32 v5, 0x80
	v_and_b32_e32 v4, 0x7fffffff, v3
	v_cmp_gt_u32_e32 vcc, s4, v4
	s_and_saveexec_b64 s[4:5], vcc
	s_cbranch_execz .LBB55_2023
; %bb.2018:
	s_mov_b32 s6, 0x37ffffff
	v_cmp_lt_u32_e32 vcc, s6, v4
	s_mov_b64 s[6:7], 0
                                        ; implicit-def: $vgpr4
	s_and_saveexec_b64 s[8:9], vcc
	s_xor_b64 s[8:9], exec, s[8:9]
	s_cbranch_execz .LBB55_2120
; %bb.2019:
	v_bfe_u32 v4, v3, 21, 1
	s_mov_b32 s10, 0x88fffff
	v_add3_u32 v4, v3, v4, s10
	s_mov_b64 s[6:7], exec
	v_lshrrev_b32_e32 v4, 21, v4
	s_andn2_saveexec_b64 s[8:9], s[8:9]
	s_cbranch_execnz .LBB55_2121
.LBB55_2020:
	s_or_b64 exec, exec, s[8:9]
	v_mov_b32_e32 v5, 0
	s_and_saveexec_b64 s[8:9], s[6:7]
.LBB55_2021:
	v_lshrrev_b32_e32 v3, 24, v3
	s_movk_i32 s6, 0x80
	v_and_or_b32 v5, v3, s6, v4
.LBB55_2022:
	s_or_b64 exec, exec, s[8:9]
.LBB55_2023:
	s_or_b64 exec, exec, s[4:5]
	s_mov_b64 s[4:5], 0
	global_store_byte v[0:1], v5, off
.LBB55_2024:
	s_and_b64 vcc, exec, s[4:5]
	s_cbranch_vccz .LBB55_2034
; %bb.2025:
	v_cvt_f32_i32_e32 v3, v2
	s_mov_b32 s4, 0x43f00000
                                        ; implicit-def: $vgpr4
	v_and_b32_e32 v5, 0x7fffffff, v3
	v_cmp_gt_u32_e32 vcc, s4, v5
	s_and_saveexec_b64 s[4:5], vcc
	s_xor_b64 s[4:5], exec, s[4:5]
	s_cbranch_execz .LBB55_2031
; %bb.2026:
	s_mov_b32 s6, 0x3c7fffff
	v_cmp_lt_u32_e32 vcc, s6, v5
                                        ; implicit-def: $vgpr4
	s_and_saveexec_b64 s[6:7], vcc
	s_xor_b64 s[6:7], exec, s[6:7]
; %bb.2027:
	v_bfe_u32 v4, v3, 20, 1
	s_mov_b32 s8, 0x407ffff
	v_add3_u32 v4, v3, v4, s8
	v_lshrrev_b32_e32 v5, 20, v4
	v_and_b32_e32 v4, 0xff00000, v4
	s_mov_b32 s8, 0x7f00000
	v_mov_b32_e32 v6, 0x7e
	v_cmp_ne_u32_e32 vcc, s8, v4
	v_cndmask_b32_e32 v4, v6, v5, vcc
; %bb.2028:
	s_andn2_saveexec_b64 s[6:7], s[6:7]
; %bb.2029:
	s_mov_b32 s8, 0x46800000
	v_add_f32_e64 v4, |v3|, s8
; %bb.2030:
	s_or_b64 exec, exec, s[6:7]
                                        ; implicit-def: $vgpr5
.LBB55_2031:
	s_andn2_saveexec_b64 s[4:5], s[4:5]
; %bb.2032:
	s_mov_b32 s6, 0x7f800000
	v_mov_b32_e32 v4, 0x7e
	v_mov_b32_e32 v6, 0x7f
	v_cmp_lt_u32_e32 vcc, s6, v5
	v_cndmask_b32_e32 v4, v4, v6, vcc
; %bb.2033:
	s_or_b64 exec, exec, s[4:5]
	v_lshrrev_b32_e32 v3, 24, v3
	s_movk_i32 s4, 0x80
	v_and_or_b32 v3, v3, s4, v4
	global_store_byte v[0:1], v3, off
.LBB55_2034:
	s_mov_b64 s[4:5], 0
.LBB55_2035:
	s_andn2_b64 vcc, exec, s[4:5]
	s_cbranch_vccnz .LBB55_2045
; %bb.2036:
	v_cvt_f32_i32_e32 v3, v2
	s_mov_b32 s4, 0x47800000
                                        ; implicit-def: $vgpr4
	v_and_b32_e32 v5, 0x7fffffff, v3
	v_cmp_gt_u32_e32 vcc, s4, v5
	s_and_saveexec_b64 s[4:5], vcc
	s_xor_b64 s[4:5], exec, s[4:5]
	s_cbranch_execz .LBB55_2042
; %bb.2037:
	s_mov_b32 s6, 0x387fffff
	v_cmp_lt_u32_e32 vcc, s6, v5
                                        ; implicit-def: $vgpr4
	s_and_saveexec_b64 s[6:7], vcc
	s_xor_b64 s[6:7], exec, s[6:7]
; %bb.2038:
	v_bfe_u32 v4, v3, 21, 1
	s_mov_b32 s8, 0x80fffff
	v_add3_u32 v4, v3, v4, s8
	v_lshrrev_b32_e32 v4, 21, v4
; %bb.2039:
	s_andn2_saveexec_b64 s[6:7], s[6:7]
; %bb.2040:
	s_mov_b32 s8, 0x43000000
	v_add_f32_e64 v4, |v3|, s8
; %bb.2041:
	s_or_b64 exec, exec, s[6:7]
                                        ; implicit-def: $vgpr5
.LBB55_2042:
	s_andn2_saveexec_b64 s[4:5], s[4:5]
; %bb.2043:
	s_mov_b32 s6, 0x7f800000
	v_mov_b32_e32 v4, 0x7c
	v_mov_b32_e32 v6, 0x7f
	v_cmp_lt_u32_e32 vcc, s6, v5
	v_cndmask_b32_e32 v4, v4, v6, vcc
; %bb.2044:
	s_or_b64 exec, exec, s[4:5]
	v_lshrrev_b32_e32 v3, 24, v3
	s_movk_i32 s4, 0x80
	v_and_or_b32 v3, v3, s4, v4
	global_store_byte v[0:1], v3, off
.LBB55_2045:
	s_mov_b64 s[4:5], 0
.LBB55_2046:
	s_andn2_b64 vcc, exec, s[4:5]
	s_mov_b64 s[4:5], 0
	s_cbranch_vccnz .LBB55_2053
; %bb.2047:
	s_cmp_gt_i32 s17, 14
	s_mov_b64 s[6:7], -1
	s_cbranch_scc0 .LBB55_2051
; %bb.2048:
	s_cmp_eq_u32 s17, 15
	s_mov_b64 s[0:1], -1
	s_cbranch_scc0 .LBB55_2050
; %bb.2049:
	v_cvt_f32_i32_e32 v3, v2
	s_movk_i32 s0, 0x7fff
	v_bfe_u32 v4, v3, 16, 1
	v_add3_u32 v3, v3, v4, s0
	global_store_short_d16_hi v[0:1], v3, off
	s_mov_b64 s[0:1], 0
.LBB55_2050:
	s_mov_b64 s[6:7], 0
.LBB55_2051:
	s_and_b64 vcc, exec, s[6:7]
	s_cbranch_vccz .LBB55_2053
; %bb.2052:
	s_cmp_lg_u32 s17, 11
	s_mov_b64 s[4:5], -1
	s_cselect_b64 s[0:1], -1, 0
.LBB55_2053:
	s_and_b64 vcc, exec, s[0:1]
	s_cbranch_vccnz .LBB55_2119
.LBB55_2054:
	s_mov_b64 s[0:1], 0
	s_branch .LBB55_2056
.LBB55_2055:
	s_mov_b64 s[0:1], 0
	s_mov_b64 s[4:5], 0
                                        ; implicit-def: $vgpr0_vgpr1
                                        ; implicit-def: $sgpr16
                                        ; implicit-def: $vgpr2
.LBB55_2056:
	s_and_b64 s[6:7], s[4:5], exec
	s_andn2_b64 s[4:5], s[28:29], exec
	s_and_b64 s[2:3], s[2:3], exec
	s_and_b64 s[0:1], s[0:1], exec
	s_or_b64 s[28:29], s[4:5], s[2:3]
.LBB55_2057:
	s_or_b64 exec, exec, s[30:31]
	s_and_saveexec_b64 s[2:3], s[28:29]
	s_cbranch_execz .LBB55_2060
; %bb.2058:
	; divergent unreachable
	s_or_b64 exec, exec, s[2:3]
	s_and_saveexec_b64 s[2:3], s[6:7]
	s_xor_b64 s[2:3], exec, s[2:3]
	s_cbranch_execnz .LBB55_2061
.LBB55_2059:
	s_or_b64 exec, exec, s[2:3]
	s_and_saveexec_b64 s[2:3], s[0:1]
	s_cbranch_execnz .LBB55_2062
	s_branch .LBB55_2099
.LBB55_2060:
	s_or_b64 exec, exec, s[2:3]
	s_and_saveexec_b64 s[2:3], s[6:7]
	s_xor_b64 s[2:3], exec, s[2:3]
	s_cbranch_execz .LBB55_2059
.LBB55_2061:
	v_cmp_ne_u32_e32 vcc, 0, v2
	s_waitcnt vmcnt(0)
	v_cndmask_b32_e64 v3, 0, 1, vcc
	global_store_byte v[0:1], v3, off
	s_or_b64 exec, exec, s[2:3]
	s_and_saveexec_b64 s[2:3], s[0:1]
	s_cbranch_execz .LBB55_2099
.LBB55_2062:
	s_sext_i32_i16 s2, s16
	s_cmp_lt_i32 s2, 5
	s_mov_b64 s[0:1], -1
	s_cbranch_scc1 .LBB55_2083
; %bb.2063:
	s_cmp_lt_i32 s2, 8
	s_cbranch_scc1 .LBB55_2073
; %bb.2064:
	s_cmp_lt_i32 s2, 9
	s_cbranch_scc1 .LBB55_2070
; %bb.2065:
	s_cmp_gt_i32 s2, 9
	s_cbranch_scc0 .LBB55_2067
; %bb.2066:
	s_waitcnt vmcnt(0)
	v_cvt_f64_i32_e32 v[3:4], v2
	v_mov_b32_e32 v5, 0
	v_mov_b32_e32 v6, v5
	s_mov_b64 s[0:1], 0
	global_store_dwordx4 v[0:1], v[3:6], off
.LBB55_2067:
	s_andn2_b64 vcc, exec, s[0:1]
	s_cbranch_vccnz .LBB55_2069
; %bb.2068:
	s_waitcnt vmcnt(0)
	v_cvt_f32_i32_e32 v3, v2
	v_mov_b32_e32 v4, 0
	global_store_dwordx2 v[0:1], v[3:4], off
.LBB55_2069:
	s_mov_b64 s[0:1], 0
.LBB55_2070:
	s_andn2_b64 vcc, exec, s[0:1]
	s_cbranch_vccnz .LBB55_2072
; %bb.2071:
	s_waitcnt vmcnt(0)
	v_cvt_f32_i32_e32 v3, v2
	v_cvt_f16_f32_e32 v3, v3
	global_store_dword v[0:1], v3, off
.LBB55_2072:
	s_mov_b64 s[0:1], 0
.LBB55_2073:
	s_andn2_b64 vcc, exec, s[0:1]
	s_cbranch_vccnz .LBB55_2082
; %bb.2074:
	s_sext_i32_i16 s2, s16
	s_cmp_lt_i32 s2, 6
	s_mov_b64 s[0:1], -1
	s_cbranch_scc1 .LBB55_2080
; %bb.2075:
	s_cmp_gt_i32 s2, 6
	s_cbranch_scc0 .LBB55_2077
; %bb.2076:
	s_waitcnt vmcnt(0)
	v_cvt_f64_i32_e32 v[3:4], v2
	s_mov_b64 s[0:1], 0
	global_store_dwordx2 v[0:1], v[3:4], off
.LBB55_2077:
	s_andn2_b64 vcc, exec, s[0:1]
	s_cbranch_vccnz .LBB55_2079
; %bb.2078:
	s_waitcnt vmcnt(0)
	v_cvt_f32_i32_e32 v3, v2
	global_store_dword v[0:1], v3, off
.LBB55_2079:
	s_mov_b64 s[0:1], 0
.LBB55_2080:
	s_andn2_b64 vcc, exec, s[0:1]
	s_cbranch_vccnz .LBB55_2082
; %bb.2081:
	s_waitcnt vmcnt(0)
	v_cvt_f32_i32_e32 v3, v2
	v_cvt_f16_f32_e32 v3, v3
	global_store_short v[0:1], v3, off
.LBB55_2082:
	s_mov_b64 s[0:1], 0
.LBB55_2083:
	s_andn2_b64 vcc, exec, s[0:1]
	s_cbranch_vccnz .LBB55_2099
; %bb.2084:
	s_sext_i32_i16 s2, s16
	s_cmp_lt_i32 s2, 2
	s_mov_b64 s[0:1], -1
	s_cbranch_scc1 .LBB55_2094
; %bb.2085:
	s_cmp_lt_i32 s2, 3
	s_cbranch_scc1 .LBB55_2091
; %bb.2086:
	s_cmp_gt_i32 s2, 3
	s_cbranch_scc0 .LBB55_2088
; %bb.2087:
	s_waitcnt vmcnt(0)
	v_ashrrev_i32_e32 v3, 31, v2
	global_store_dwordx2 v[0:1], v[2:3], off
	s_mov_b64 s[0:1], 0
.LBB55_2088:
	s_andn2_b64 vcc, exec, s[0:1]
	s_cbranch_vccnz .LBB55_2090
; %bb.2089:
	s_waitcnt vmcnt(0)
	global_store_dword v[0:1], v2, off
.LBB55_2090:
	s_mov_b64 s[0:1], 0
.LBB55_2091:
	s_andn2_b64 vcc, exec, s[0:1]
	s_cbranch_vccnz .LBB55_2093
; %bb.2092:
	s_waitcnt vmcnt(0)
	global_store_short v[0:1], v2, off
.LBB55_2093:
	s_mov_b64 s[0:1], 0
.LBB55_2094:
	s_andn2_b64 vcc, exec, s[0:1]
	s_cbranch_vccnz .LBB55_2099
; %bb.2095:
	s_sext_i32_i16 s0, s16
	s_cmp_gt_i32 s0, 0
	s_mov_b64 s[0:1], -1
	s_cbranch_scc0 .LBB55_2097
; %bb.2096:
	s_waitcnt vmcnt(0)
	global_store_byte v[0:1], v2, off
	s_mov_b64 s[0:1], 0
.LBB55_2097:
	s_andn2_b64 vcc, exec, s[0:1]
	s_cbranch_vccnz .LBB55_2099
; %bb.2098:
	s_waitcnt vmcnt(0)
	global_store_byte v[0:1], v2, off
	s_endpgm
.LBB55_2099:
	s_endpgm
.LBB55_2100:
	s_mov_b64 s[4:5], 0
	s_mov_b64 s[0:1], -1
	s_branch .LBB55_2056
.LBB55_2101:
	s_trap 2
	s_or_b64 s[2:3], s[2:3], exec
	s_cbranch_execz .LBB55_1570
	s_branch .LBB55_1571
.LBB55_2102:
	s_andn2_saveexec_b64 s[14:15], s[14:15]
	s_cbranch_execz .LBB55_1650
.LBB55_2103:
	s_mov_b32 s17, 0x46000000
	v_add_f32_e64 v10, |v6|, s17
	v_and_b32_e32 v10, 0xff, v10
	v_cmp_ne_u32_e32 vcc, 0, v10
	s_andn2_b64 s[12:13], s[12:13], exec
	s_and_b64 s[18:19], vcc, exec
	s_or_b64 s[12:13], s[12:13], s[18:19]
	s_or_b64 exec, exec, s[14:15]
	v_mov_b32_e32 v11, 0
	s_and_saveexec_b64 s[14:15], s[12:13]
	s_cbranch_execnz .LBB55_1651
	s_branch .LBB55_1652
.LBB55_2104:
	s_trap 2
	s_or_b64 s[2:3], s[2:3], exec
	s_cbranch_execz .LBB55_1698
	s_branch .LBB55_1699
.LBB55_2105:
	s_andn2_saveexec_b64 s[12:13], s[12:13]
	s_cbranch_execz .LBB55_1663
.LBB55_2106:
	s_mov_b32 s14, 0x42800000
	v_add_f32_e64 v10, |v6|, s14
	v_and_b32_e32 v10, 0xff, v10
	v_cmp_ne_u32_e32 vcc, 0, v10
	s_andn2_b64 s[10:11], s[10:11], exec
	s_and_b64 s[14:15], vcc, exec
	s_or_b64 s[10:11], s[10:11], s[14:15]
	s_or_b64 exec, exec, s[12:13]
	v_mov_b32_e32 v11, 0
	s_and_saveexec_b64 s[12:13], s[10:11]
	s_cbranch_execnz .LBB55_1664
	s_branch .LBB55_1665
.LBB55_2107:
	s_andn2_saveexec_b64 s[14:15], s[14:15]
	s_cbranch_execz .LBB55_1769
.LBB55_2108:
	s_mov_b32 s5, 0x46000000
	v_add_f32_e64 v7, |v4|, s5
	v_and_b32_e32 v7, 0xff, v7
	v_cmp_ne_u32_e32 vcc, 0, v7
	s_andn2_b64 s[12:13], s[12:13], exec
	s_and_b64 s[18:19], vcc, exec
	s_or_b64 s[12:13], s[12:13], s[18:19]
	s_or_b64 exec, exec, s[14:15]
	v_mov_b32_e32 v8, 0
	s_and_saveexec_b64 s[14:15], s[12:13]
	s_cbranch_execnz .LBB55_1770
	s_branch .LBB55_1771
.LBB55_2109:
	s_trap 2
	s_or_b64 s[2:3], s[2:3], exec
	s_cbranch_execz .LBB55_1817
	s_branch .LBB55_1818
.LBB55_2110:
	s_andn2_saveexec_b64 s[12:13], s[12:13]
	s_cbranch_execz .LBB55_1782
.LBB55_2111:
	s_mov_b32 s5, 0x42800000
	v_add_f32_e64 v7, |v4|, s5
	v_and_b32_e32 v7, 0xff, v7
	v_cmp_ne_u32_e32 vcc, 0, v7
	s_andn2_b64 s[10:11], s[10:11], exec
	s_and_b64 s[14:15], vcc, exec
	s_or_b64 s[10:11], s[10:11], s[14:15]
	s_or_b64 exec, exec, s[12:13]
	v_mov_b32_e32 v8, 0
	s_and_saveexec_b64 s[12:13], s[10:11]
	s_cbranch_execnz .LBB55_1783
	s_branch .LBB55_1784
.LBB55_2112:
	s_andn2_saveexec_b64 s[14:15], s[14:15]
	s_cbranch_execz .LBB55_1888
.LBB55_2113:
	s_mov_b32 s5, 0x46000000
	v_add_f32_e64 v5, |v2|, s5
	v_and_b32_e32 v5, 0xff, v5
	v_cmp_ne_u32_e32 vcc, 0, v5
	s_andn2_b64 s[12:13], s[12:13], exec
	s_and_b64 s[18:19], vcc, exec
	s_or_b64 s[12:13], s[12:13], s[18:19]
	s_or_b64 exec, exec, s[14:15]
	v_mov_b32_e32 v6, 0
	s_and_saveexec_b64 s[14:15], s[12:13]
	s_cbranch_execnz .LBB55_1889
	s_branch .LBB55_1890
.LBB55_2114:
	s_trap 2
	s_or_b64 s[2:3], s[2:3], exec
	s_cbranch_execz .LBB55_1936
	s_branch .LBB55_1937
.LBB55_2115:
	s_andn2_saveexec_b64 s[12:13], s[12:13]
	s_cbranch_execz .LBB55_1901
.LBB55_2116:
	s_mov_b32 s5, 0x42800000
	v_add_f32_e64 v5, |v2|, s5
	v_and_b32_e32 v5, 0xff, v5
	v_cmp_ne_u32_e32 vcc, 0, v5
	s_andn2_b64 s[10:11], s[10:11], exec
	s_and_b64 s[14:15], vcc, exec
	s_or_b64 s[10:11], s[10:11], s[14:15]
	s_or_b64 exec, exec, s[12:13]
	v_mov_b32_e32 v6, 0
	s_and_saveexec_b64 s[12:13], s[10:11]
	s_cbranch_execnz .LBB55_1902
	s_branch .LBB55_1903
.LBB55_2117:
	s_andn2_saveexec_b64 s[10:11], s[10:11]
	s_cbranch_execz .LBB55_2008
.LBB55_2118:
	s_mov_b32 s12, 0x46000000
	v_add_f32_e64 v4, |v3|, s12
	v_and_b32_e32 v4, 0xff, v4
	v_cmp_ne_u32_e32 vcc, 0, v4
	s_andn2_b64 s[8:9], s[8:9], exec
	s_and_b64 s[12:13], vcc, exec
	s_or_b64 s[8:9], s[8:9], s[12:13]
	s_or_b64 exec, exec, s[10:11]
	v_mov_b32_e32 v5, 0
	s_and_saveexec_b64 s[10:11], s[8:9]
	s_cbranch_execnz .LBB55_2009
	s_branch .LBB55_2010
.LBB55_2119:
	s_mov_b64 s[4:5], 0
	s_or_b64 s[2:3], s[2:3], exec
	s_trap 2
	s_branch .LBB55_2054
.LBB55_2120:
	s_andn2_saveexec_b64 s[8:9], s[8:9]
	s_cbranch_execz .LBB55_2020
.LBB55_2121:
	s_mov_b32 s10, 0x42800000
	v_add_f32_e64 v4, |v3|, s10
	v_and_b32_e32 v4, 0xff, v4
	v_cmp_ne_u32_e32 vcc, 0, v4
	s_andn2_b64 s[6:7], s[6:7], exec
	s_and_b64 s[10:11], vcc, exec
	s_or_b64 s[6:7], s[6:7], s[10:11]
	s_or_b64 exec, exec, s[8:9]
	v_mov_b32_e32 v5, 0
	s_and_saveexec_b64 s[8:9], s[6:7]
	s_cbranch_execnz .LBB55_2021
	s_branch .LBB55_2022
	.section	.rodata,"a",@progbits
	.p2align	6, 0x0
	.amdhsa_kernel _ZN2at6native32elementwise_kernel_manual_unrollILi128ELi4EZNS0_15gpu_kernel_implINS0_13AUnaryFunctorIiiiZZZNS0_18lshift_kernel_cudaERNS_18TensorIteratorBaseEENKUlvE_clEvENKUlvE1_clEvEUliiE_EEEEvS5_RKT_EUlibE0_EEviT1_
		.amdhsa_group_segment_fixed_size 0
		.amdhsa_private_segment_fixed_size 0
		.amdhsa_kernarg_size 368
		.amdhsa_user_sgpr_count 6
		.amdhsa_user_sgpr_private_segment_buffer 1
		.amdhsa_user_sgpr_dispatch_ptr 0
		.amdhsa_user_sgpr_queue_ptr 0
		.amdhsa_user_sgpr_kernarg_segment_ptr 1
		.amdhsa_user_sgpr_dispatch_id 0
		.amdhsa_user_sgpr_flat_scratch_init 0
		.amdhsa_user_sgpr_private_segment_size 0
		.amdhsa_uses_dynamic_stack 0
		.amdhsa_system_sgpr_private_segment_wavefront_offset 0
		.amdhsa_system_sgpr_workgroup_id_x 1
		.amdhsa_system_sgpr_workgroup_id_y 0
		.amdhsa_system_sgpr_workgroup_id_z 0
		.amdhsa_system_sgpr_workgroup_info 0
		.amdhsa_system_vgpr_workitem_id 0
		.amdhsa_next_free_vgpr 18
		.amdhsa_next_free_sgpr 79
		.amdhsa_reserve_vcc 1
		.amdhsa_reserve_flat_scratch 0
		.amdhsa_float_round_mode_32 0
		.amdhsa_float_round_mode_16_64 0
		.amdhsa_float_denorm_mode_32 3
		.amdhsa_float_denorm_mode_16_64 3
		.amdhsa_dx10_clamp 1
		.amdhsa_ieee_mode 1
		.amdhsa_fp16_overflow 0
		.amdhsa_exception_fp_ieee_invalid_op 0
		.amdhsa_exception_fp_denorm_src 0
		.amdhsa_exception_fp_ieee_div_zero 0
		.amdhsa_exception_fp_ieee_overflow 0
		.amdhsa_exception_fp_ieee_underflow 0
		.amdhsa_exception_fp_ieee_inexact 0
		.amdhsa_exception_int_div_zero 0
	.end_amdhsa_kernel
	.section	.text._ZN2at6native32elementwise_kernel_manual_unrollILi128ELi4EZNS0_15gpu_kernel_implINS0_13AUnaryFunctorIiiiZZZNS0_18lshift_kernel_cudaERNS_18TensorIteratorBaseEENKUlvE_clEvENKUlvE1_clEvEUliiE_EEEEvS5_RKT_EUlibE0_EEviT1_,"axG",@progbits,_ZN2at6native32elementwise_kernel_manual_unrollILi128ELi4EZNS0_15gpu_kernel_implINS0_13AUnaryFunctorIiiiZZZNS0_18lshift_kernel_cudaERNS_18TensorIteratorBaseEENKUlvE_clEvENKUlvE1_clEvEUliiE_EEEEvS5_RKT_EUlibE0_EEviT1_,comdat
.Lfunc_end55:
	.size	_ZN2at6native32elementwise_kernel_manual_unrollILi128ELi4EZNS0_15gpu_kernel_implINS0_13AUnaryFunctorIiiiZZZNS0_18lshift_kernel_cudaERNS_18TensorIteratorBaseEENKUlvE_clEvENKUlvE1_clEvEUliiE_EEEEvS5_RKT_EUlibE0_EEviT1_, .Lfunc_end55-_ZN2at6native32elementwise_kernel_manual_unrollILi128ELi4EZNS0_15gpu_kernel_implINS0_13AUnaryFunctorIiiiZZZNS0_18lshift_kernel_cudaERNS_18TensorIteratorBaseEENKUlvE_clEvENKUlvE1_clEvEUliiE_EEEEvS5_RKT_EUlibE0_EEviT1_
                                        ; -- End function
	.set _ZN2at6native32elementwise_kernel_manual_unrollILi128ELi4EZNS0_15gpu_kernel_implINS0_13AUnaryFunctorIiiiZZZNS0_18lshift_kernel_cudaERNS_18TensorIteratorBaseEENKUlvE_clEvENKUlvE1_clEvEUliiE_EEEEvS5_RKT_EUlibE0_EEviT1_.num_vgpr, 18
	.set _ZN2at6native32elementwise_kernel_manual_unrollILi128ELi4EZNS0_15gpu_kernel_implINS0_13AUnaryFunctorIiiiZZZNS0_18lshift_kernel_cudaERNS_18TensorIteratorBaseEENKUlvE_clEvENKUlvE1_clEvEUliiE_EEEEvS5_RKT_EUlibE0_EEviT1_.num_agpr, 0
	.set _ZN2at6native32elementwise_kernel_manual_unrollILi128ELi4EZNS0_15gpu_kernel_implINS0_13AUnaryFunctorIiiiZZZNS0_18lshift_kernel_cudaERNS_18TensorIteratorBaseEENKUlvE_clEvENKUlvE1_clEvEUliiE_EEEEvS5_RKT_EUlibE0_EEviT1_.numbered_sgpr, 79
	.set _ZN2at6native32elementwise_kernel_manual_unrollILi128ELi4EZNS0_15gpu_kernel_implINS0_13AUnaryFunctorIiiiZZZNS0_18lshift_kernel_cudaERNS_18TensorIteratorBaseEENKUlvE_clEvENKUlvE1_clEvEUliiE_EEEEvS5_RKT_EUlibE0_EEviT1_.num_named_barrier, 0
	.set _ZN2at6native32elementwise_kernel_manual_unrollILi128ELi4EZNS0_15gpu_kernel_implINS0_13AUnaryFunctorIiiiZZZNS0_18lshift_kernel_cudaERNS_18TensorIteratorBaseEENKUlvE_clEvENKUlvE1_clEvEUliiE_EEEEvS5_RKT_EUlibE0_EEviT1_.private_seg_size, 0
	.set _ZN2at6native32elementwise_kernel_manual_unrollILi128ELi4EZNS0_15gpu_kernel_implINS0_13AUnaryFunctorIiiiZZZNS0_18lshift_kernel_cudaERNS_18TensorIteratorBaseEENKUlvE_clEvENKUlvE1_clEvEUliiE_EEEEvS5_RKT_EUlibE0_EEviT1_.uses_vcc, 1
	.set _ZN2at6native32elementwise_kernel_manual_unrollILi128ELi4EZNS0_15gpu_kernel_implINS0_13AUnaryFunctorIiiiZZZNS0_18lshift_kernel_cudaERNS_18TensorIteratorBaseEENKUlvE_clEvENKUlvE1_clEvEUliiE_EEEEvS5_RKT_EUlibE0_EEviT1_.uses_flat_scratch, 0
	.set _ZN2at6native32elementwise_kernel_manual_unrollILi128ELi4EZNS0_15gpu_kernel_implINS0_13AUnaryFunctorIiiiZZZNS0_18lshift_kernel_cudaERNS_18TensorIteratorBaseEENKUlvE_clEvENKUlvE1_clEvEUliiE_EEEEvS5_RKT_EUlibE0_EEviT1_.has_dyn_sized_stack, 0
	.set _ZN2at6native32elementwise_kernel_manual_unrollILi128ELi4EZNS0_15gpu_kernel_implINS0_13AUnaryFunctorIiiiZZZNS0_18lshift_kernel_cudaERNS_18TensorIteratorBaseEENKUlvE_clEvENKUlvE1_clEvEUliiE_EEEEvS5_RKT_EUlibE0_EEviT1_.has_recursion, 0
	.set _ZN2at6native32elementwise_kernel_manual_unrollILi128ELi4EZNS0_15gpu_kernel_implINS0_13AUnaryFunctorIiiiZZZNS0_18lshift_kernel_cudaERNS_18TensorIteratorBaseEENKUlvE_clEvENKUlvE1_clEvEUliiE_EEEEvS5_RKT_EUlibE0_EEviT1_.has_indirect_call, 0
	.section	.AMDGPU.csdata,"",@progbits
; Kernel info:
; codeLenInByte = 34668
; TotalNumSgprs: 83
; NumVgprs: 18
; ScratchSize: 0
; MemoryBound: 1
; FloatMode: 240
; IeeeMode: 1
; LDSByteSize: 0 bytes/workgroup (compile time only)
; SGPRBlocks: 10
; VGPRBlocks: 4
; NumSGPRsForWavesPerEU: 83
; NumVGPRsForWavesPerEU: 18
; Occupancy: 9
; WaveLimiterHint : 1
; COMPUTE_PGM_RSRC2:SCRATCH_EN: 0
; COMPUTE_PGM_RSRC2:USER_SGPR: 6
; COMPUTE_PGM_RSRC2:TRAP_HANDLER: 0
; COMPUTE_PGM_RSRC2:TGID_X_EN: 1
; COMPUTE_PGM_RSRC2:TGID_Y_EN: 0
; COMPUTE_PGM_RSRC2:TGID_Z_EN: 0
; COMPUTE_PGM_RSRC2:TIDIG_COMP_CNT: 0
	.section	.text._ZN2at6native29vectorized_elementwise_kernelILi16ENS0_13BUnaryFunctorIiiiZZZNS0_18lshift_kernel_cudaERNS_18TensorIteratorBaseEENKUlvE_clEvENKUlvE1_clEvEUliiE_EESt5arrayIPcLm2EEEEviT0_T1_,"axG",@progbits,_ZN2at6native29vectorized_elementwise_kernelILi16ENS0_13BUnaryFunctorIiiiZZZNS0_18lshift_kernel_cudaERNS_18TensorIteratorBaseEENKUlvE_clEvENKUlvE1_clEvEUliiE_EESt5arrayIPcLm2EEEEviT0_T1_,comdat
	.globl	_ZN2at6native29vectorized_elementwise_kernelILi16ENS0_13BUnaryFunctorIiiiZZZNS0_18lshift_kernel_cudaERNS_18TensorIteratorBaseEENKUlvE_clEvENKUlvE1_clEvEUliiE_EESt5arrayIPcLm2EEEEviT0_T1_ ; -- Begin function _ZN2at6native29vectorized_elementwise_kernelILi16ENS0_13BUnaryFunctorIiiiZZZNS0_18lshift_kernel_cudaERNS_18TensorIteratorBaseEENKUlvE_clEvENKUlvE1_clEvEUliiE_EESt5arrayIPcLm2EEEEviT0_T1_
	.p2align	8
	.type	_ZN2at6native29vectorized_elementwise_kernelILi16ENS0_13BUnaryFunctorIiiiZZZNS0_18lshift_kernel_cudaERNS_18TensorIteratorBaseEENKUlvE_clEvENKUlvE1_clEvEUliiE_EESt5arrayIPcLm2EEEEviT0_T1_,@function
_ZN2at6native29vectorized_elementwise_kernelILi16ENS0_13BUnaryFunctorIiiiZZZNS0_18lshift_kernel_cudaERNS_18TensorIteratorBaseEENKUlvE_clEvENKUlvE1_clEvEUliiE_EESt5arrayIPcLm2EEEEviT0_T1_: ; @_ZN2at6native29vectorized_elementwise_kernelILi16ENS0_13BUnaryFunctorIiiiZZZNS0_18lshift_kernel_cudaERNS_18TensorIteratorBaseEENKUlvE_clEvENKUlvE1_clEvEUliiE_EESt5arrayIPcLm2EEEEviT0_T1_
; %bb.0:
	s_load_dword s0, s[4:5], 0x0
	s_load_dword s15, s[4:5], 0x8
	s_load_dwordx4 s[8:11], s[4:5], 0x10
	s_lshl_b32 s2, s6, 10
	s_waitcnt lgkmcnt(0)
	s_sub_i32 s14, s0, s2
	s_cmpk_gt_i32 s14, 0x3ff
	s_mov_b64 s[0:1], -1
	s_cbranch_scc0 .LBB56_2
; %bb.1:
	s_ashr_i32 s3, s2, 31
	s_lshl_b64 s[0:1], s[2:3], 2
	s_add_u32 s4, s10, s0
	s_addc_u32 s5, s11, s1
	v_lshlrev_b32_e32 v5, 4, v0
	global_load_dwordx4 v[1:4], v5, s[4:5]
	s_cmp_gt_u32 s15, 31
	s_cselect_b64 s[4:5], -1, 0
	s_add_u32 s0, s8, s0
	s_addc_u32 s1, s9, s1
	s_waitcnt vmcnt(0)
	v_lshlrev_b32_e32 v1, s15, v1
	v_lshlrev_b32_e32 v2, s15, v2
	;; [unrolled: 1-line block ×4, first 2 shown]
	v_cndmask_b32_e64 v1, v1, 0, s[4:5]
	v_cndmask_b32_e64 v2, v2, 0, s[4:5]
	;; [unrolled: 1-line block ×4, first 2 shown]
	global_store_dwordx4 v5, v[1:4], s[0:1]
	s_mov_b64 s[0:1], 0
.LBB56_2:
	s_andn2_b64 vcc, exec, s[0:1]
	s_cbranch_vccnz .LBB56_16
; %bb.3:
	v_cmp_gt_i32_e32 vcc, s14, v0
	v_or_b32_e32 v6, 0x100, v0
	v_mov_b32_e32 v8, 0
	v_or_b32_e32 v1, s2, v0
	v_mov_b32_e32 v3, 0
	v_mov_b32_e32 v2, 0
	;; [unrolled: 1-line block ×3, first 2 shown]
	s_and_saveexec_b64 s[4:5], vcc
	s_cbranch_execz .LBB56_11
; %bb.4:
	v_mov_b32_e32 v2, 0
	v_lshlrev_b64 v[3:4], 2, v[1:2]
	v_mov_b32_e32 v5, s11
	v_add_co_u32_e64 v3, s[0:1], s10, v3
	v_addc_co_u32_e64 v4, s[0:1], v5, v4, s[0:1]
	global_load_dword v7, v[3:4], off
	v_cmp_gt_u32_e64 s[0:1], s14, v6
	v_mov_b32_e32 v3, v2
	v_mov_b32_e32 v8, v2
	s_and_saveexec_b64 s[6:7], s[0:1]
	s_cbranch_execz .LBB56_10
; %bb.5:
	v_add_u32_e32 v2, s2, v0
	v_mov_b32_e32 v3, 0
	v_lshlrev_b64 v[4:5], 2, v[2:3]
	v_mov_b32_e32 v2, s11
	v_add_co_u32_e64 v4, s[0:1], s10, v4
	v_addc_co_u32_e64 v5, s[0:1], v2, v5, s[0:1]
	global_load_dword v2, v[4:5], off offset:1024
	v_or_b32_e32 v8, 0x200, v0
	v_cmp_gt_u32_e64 s[0:1], s14, v8
	v_mov_b32_e32 v8, v3
	s_and_saveexec_b64 s[10:11], s[0:1]
	s_cbranch_execz .LBB56_9
; %bb.6:
	global_load_dword v3, v[4:5], off offset:2048
	v_or_b32_e32 v8, 0x300, v0
	v_cmp_gt_u32_e64 s[0:1], s14, v8
	v_mov_b32_e32 v8, 0
	s_and_saveexec_b64 s[12:13], s[0:1]
	s_cbranch_execz .LBB56_8
; %bb.7:
	global_load_dword v8, v[4:5], off offset:3072
.LBB56_8:
	s_or_b64 exec, exec, s[12:13]
.LBB56_9:
	s_or_b64 exec, exec, s[10:11]
.LBB56_10:
	s_or_b64 exec, exec, s[6:7]
.LBB56_11:
	s_or_b64 exec, exec, s[4:5]
	s_cmp_gt_u32 s15, 31
	s_cselect_b64 s[4:5], -1, 0
	s_waitcnt vmcnt(0)
	v_lshlrev_b32_e32 v2, s15, v2
	v_cndmask_b32_e64 v2, v2, 0, s[4:5]
	v_cmp_gt_i32_e64 s[0:1], s14, v6
	v_lshlrev_b32_e32 v4, s15, v7
	v_cndmask_b32_e64 v5, 0, v2, s[0:1]
	v_or_b32_e32 v2, 0x200, v0
	v_lshlrev_b32_e32 v3, s15, v3
	v_cndmask_b32_e64 v4, v4, 0, s[4:5]
	v_cndmask_b32_e64 v3, v3, 0, s[4:5]
	v_cmp_gt_i32_e64 s[0:1], s14, v2
	v_cndmask_b32_e32 v7, 0, v4, vcc
	v_cndmask_b32_e64 v4, 0, v3, s[0:1]
	v_or_b32_e32 v2, 0x300, v0
	v_lshlrev_b32_e32 v3, s15, v8
	v_cndmask_b32_e64 v3, v3, 0, s[4:5]
	v_cmp_gt_i32_e64 s[0:1], s14, v2
	v_cndmask_b32_e64 v3, 0, v3, s[0:1]
	s_and_saveexec_b64 s[0:1], vcc
	s_cbranch_execnz .LBB56_17
; %bb.12:
	s_or_b64 exec, exec, s[0:1]
	v_cmp_gt_i32_e32 vcc, s14, v0
	s_and_saveexec_b64 s[0:1], vcc
	s_cbranch_execnz .LBB56_18
.LBB56_13:
	s_or_b64 exec, exec, s[0:1]
	v_cmp_gt_i32_e32 vcc, s14, v0
	s_and_saveexec_b64 s[0:1], vcc
	s_cbranch_execnz .LBB56_19
.LBB56_14:
	s_or_b64 exec, exec, s[0:1]
	v_cmp_gt_i32_e32 vcc, s14, v0
	s_and_saveexec_b64 s[0:1], vcc
	s_cbranch_execz .LBB56_16
.LBB56_15:
	v_add_u32_e32 v0, s2, v0
	v_mov_b32_e32 v1, 0
	v_lshlrev_b64 v[0:1], 2, v[0:1]
	v_mov_b32_e32 v2, s9
	v_add_co_u32_e32 v0, vcc, s8, v0
	v_addc_co_u32_e32 v1, vcc, v2, v1, vcc
	global_store_dword v[0:1], v3, off
.LBB56_16:
	s_endpgm
.LBB56_17:
	v_mov_b32_e32 v2, 0
	v_lshlrev_b64 v[0:1], 2, v[1:2]
	v_mov_b32_e32 v2, s9
	v_add_co_u32_e32 v0, vcc, s8, v0
	v_addc_co_u32_e32 v1, vcc, v2, v1, vcc
	global_store_dword v[0:1], v7, off
	v_mov_b32_e32 v0, v6
	s_or_b64 exec, exec, s[0:1]
	v_cmp_gt_i32_e32 vcc, s14, v0
	s_and_saveexec_b64 s[0:1], vcc
	s_cbranch_execz .LBB56_13
.LBB56_18:
	v_add_u32_e32 v1, s2, v0
	v_mov_b32_e32 v2, 0
	v_lshlrev_b64 v[1:2], 2, v[1:2]
	v_mov_b32_e32 v6, s9
	v_add_co_u32_e32 v1, vcc, s8, v1
	v_addc_co_u32_e32 v2, vcc, v6, v2, vcc
	v_add_u32_e32 v0, 0x100, v0
	global_store_dword v[1:2], v5, off
	s_or_b64 exec, exec, s[0:1]
	v_cmp_gt_i32_e32 vcc, s14, v0
	s_and_saveexec_b64 s[0:1], vcc
	s_cbranch_execz .LBB56_14
.LBB56_19:
	v_add_u32_e32 v1, s2, v0
	v_mov_b32_e32 v2, 0
	v_lshlrev_b64 v[1:2], 2, v[1:2]
	v_mov_b32_e32 v5, s9
	v_add_co_u32_e32 v1, vcc, s8, v1
	v_addc_co_u32_e32 v2, vcc, v5, v2, vcc
	v_add_u32_e32 v0, 0x100, v0
	global_store_dword v[1:2], v4, off
	s_or_b64 exec, exec, s[0:1]
	v_cmp_gt_i32_e32 vcc, s14, v0
	s_and_saveexec_b64 s[0:1], vcc
	s_cbranch_execnz .LBB56_15
	s_branch .LBB56_16
	.section	.rodata,"a",@progbits
	.p2align	6, 0x0
	.amdhsa_kernel _ZN2at6native29vectorized_elementwise_kernelILi16ENS0_13BUnaryFunctorIiiiZZZNS0_18lshift_kernel_cudaERNS_18TensorIteratorBaseEENKUlvE_clEvENKUlvE1_clEvEUliiE_EESt5arrayIPcLm2EEEEviT0_T1_
		.amdhsa_group_segment_fixed_size 0
		.amdhsa_private_segment_fixed_size 0
		.amdhsa_kernarg_size 32
		.amdhsa_user_sgpr_count 6
		.amdhsa_user_sgpr_private_segment_buffer 1
		.amdhsa_user_sgpr_dispatch_ptr 0
		.amdhsa_user_sgpr_queue_ptr 0
		.amdhsa_user_sgpr_kernarg_segment_ptr 1
		.amdhsa_user_sgpr_dispatch_id 0
		.amdhsa_user_sgpr_flat_scratch_init 0
		.amdhsa_user_sgpr_private_segment_size 0
		.amdhsa_uses_dynamic_stack 0
		.amdhsa_system_sgpr_private_segment_wavefront_offset 0
		.amdhsa_system_sgpr_workgroup_id_x 1
		.amdhsa_system_sgpr_workgroup_id_y 0
		.amdhsa_system_sgpr_workgroup_id_z 0
		.amdhsa_system_sgpr_workgroup_info 0
		.amdhsa_system_vgpr_workitem_id 0
		.amdhsa_next_free_vgpr 9
		.amdhsa_next_free_sgpr 16
		.amdhsa_reserve_vcc 1
		.amdhsa_reserve_flat_scratch 0
		.amdhsa_float_round_mode_32 0
		.amdhsa_float_round_mode_16_64 0
		.amdhsa_float_denorm_mode_32 3
		.amdhsa_float_denorm_mode_16_64 3
		.amdhsa_dx10_clamp 1
		.amdhsa_ieee_mode 1
		.amdhsa_fp16_overflow 0
		.amdhsa_exception_fp_ieee_invalid_op 0
		.amdhsa_exception_fp_denorm_src 0
		.amdhsa_exception_fp_ieee_div_zero 0
		.amdhsa_exception_fp_ieee_overflow 0
		.amdhsa_exception_fp_ieee_underflow 0
		.amdhsa_exception_fp_ieee_inexact 0
		.amdhsa_exception_int_div_zero 0
	.end_amdhsa_kernel
	.section	.text._ZN2at6native29vectorized_elementwise_kernelILi16ENS0_13BUnaryFunctorIiiiZZZNS0_18lshift_kernel_cudaERNS_18TensorIteratorBaseEENKUlvE_clEvENKUlvE1_clEvEUliiE_EESt5arrayIPcLm2EEEEviT0_T1_,"axG",@progbits,_ZN2at6native29vectorized_elementwise_kernelILi16ENS0_13BUnaryFunctorIiiiZZZNS0_18lshift_kernel_cudaERNS_18TensorIteratorBaseEENKUlvE_clEvENKUlvE1_clEvEUliiE_EESt5arrayIPcLm2EEEEviT0_T1_,comdat
.Lfunc_end56:
	.size	_ZN2at6native29vectorized_elementwise_kernelILi16ENS0_13BUnaryFunctorIiiiZZZNS0_18lshift_kernel_cudaERNS_18TensorIteratorBaseEENKUlvE_clEvENKUlvE1_clEvEUliiE_EESt5arrayIPcLm2EEEEviT0_T1_, .Lfunc_end56-_ZN2at6native29vectorized_elementwise_kernelILi16ENS0_13BUnaryFunctorIiiiZZZNS0_18lshift_kernel_cudaERNS_18TensorIteratorBaseEENKUlvE_clEvENKUlvE1_clEvEUliiE_EESt5arrayIPcLm2EEEEviT0_T1_
                                        ; -- End function
	.set _ZN2at6native29vectorized_elementwise_kernelILi16ENS0_13BUnaryFunctorIiiiZZZNS0_18lshift_kernel_cudaERNS_18TensorIteratorBaseEENKUlvE_clEvENKUlvE1_clEvEUliiE_EESt5arrayIPcLm2EEEEviT0_T1_.num_vgpr, 9
	.set _ZN2at6native29vectorized_elementwise_kernelILi16ENS0_13BUnaryFunctorIiiiZZZNS0_18lshift_kernel_cudaERNS_18TensorIteratorBaseEENKUlvE_clEvENKUlvE1_clEvEUliiE_EESt5arrayIPcLm2EEEEviT0_T1_.num_agpr, 0
	.set _ZN2at6native29vectorized_elementwise_kernelILi16ENS0_13BUnaryFunctorIiiiZZZNS0_18lshift_kernel_cudaERNS_18TensorIteratorBaseEENKUlvE_clEvENKUlvE1_clEvEUliiE_EESt5arrayIPcLm2EEEEviT0_T1_.numbered_sgpr, 16
	.set _ZN2at6native29vectorized_elementwise_kernelILi16ENS0_13BUnaryFunctorIiiiZZZNS0_18lshift_kernel_cudaERNS_18TensorIteratorBaseEENKUlvE_clEvENKUlvE1_clEvEUliiE_EESt5arrayIPcLm2EEEEviT0_T1_.num_named_barrier, 0
	.set _ZN2at6native29vectorized_elementwise_kernelILi16ENS0_13BUnaryFunctorIiiiZZZNS0_18lshift_kernel_cudaERNS_18TensorIteratorBaseEENKUlvE_clEvENKUlvE1_clEvEUliiE_EESt5arrayIPcLm2EEEEviT0_T1_.private_seg_size, 0
	.set _ZN2at6native29vectorized_elementwise_kernelILi16ENS0_13BUnaryFunctorIiiiZZZNS0_18lshift_kernel_cudaERNS_18TensorIteratorBaseEENKUlvE_clEvENKUlvE1_clEvEUliiE_EESt5arrayIPcLm2EEEEviT0_T1_.uses_vcc, 1
	.set _ZN2at6native29vectorized_elementwise_kernelILi16ENS0_13BUnaryFunctorIiiiZZZNS0_18lshift_kernel_cudaERNS_18TensorIteratorBaseEENKUlvE_clEvENKUlvE1_clEvEUliiE_EESt5arrayIPcLm2EEEEviT0_T1_.uses_flat_scratch, 0
	.set _ZN2at6native29vectorized_elementwise_kernelILi16ENS0_13BUnaryFunctorIiiiZZZNS0_18lshift_kernel_cudaERNS_18TensorIteratorBaseEENKUlvE_clEvENKUlvE1_clEvEUliiE_EESt5arrayIPcLm2EEEEviT0_T1_.has_dyn_sized_stack, 0
	.set _ZN2at6native29vectorized_elementwise_kernelILi16ENS0_13BUnaryFunctorIiiiZZZNS0_18lshift_kernel_cudaERNS_18TensorIteratorBaseEENKUlvE_clEvENKUlvE1_clEvEUliiE_EESt5arrayIPcLm2EEEEviT0_T1_.has_recursion, 0
	.set _ZN2at6native29vectorized_elementwise_kernelILi16ENS0_13BUnaryFunctorIiiiZZZNS0_18lshift_kernel_cudaERNS_18TensorIteratorBaseEENKUlvE_clEvENKUlvE1_clEvEUliiE_EESt5arrayIPcLm2EEEEviT0_T1_.has_indirect_call, 0
	.section	.AMDGPU.csdata,"",@progbits
; Kernel info:
; codeLenInByte = 800
; TotalNumSgprs: 20
; NumVgprs: 9
; ScratchSize: 0
; MemoryBound: 0
; FloatMode: 240
; IeeeMode: 1
; LDSByteSize: 0 bytes/workgroup (compile time only)
; SGPRBlocks: 2
; VGPRBlocks: 2
; NumSGPRsForWavesPerEU: 20
; NumVGPRsForWavesPerEU: 9
; Occupancy: 10
; WaveLimiterHint : 0
; COMPUTE_PGM_RSRC2:SCRATCH_EN: 0
; COMPUTE_PGM_RSRC2:USER_SGPR: 6
; COMPUTE_PGM_RSRC2:TRAP_HANDLER: 0
; COMPUTE_PGM_RSRC2:TGID_X_EN: 1
; COMPUTE_PGM_RSRC2:TGID_Y_EN: 0
; COMPUTE_PGM_RSRC2:TGID_Z_EN: 0
; COMPUTE_PGM_RSRC2:TIDIG_COMP_CNT: 0
	.section	.text._ZN2at6native29vectorized_elementwise_kernelILi8ENS0_13BUnaryFunctorIiiiZZZNS0_18lshift_kernel_cudaERNS_18TensorIteratorBaseEENKUlvE_clEvENKUlvE1_clEvEUliiE_EESt5arrayIPcLm2EEEEviT0_T1_,"axG",@progbits,_ZN2at6native29vectorized_elementwise_kernelILi8ENS0_13BUnaryFunctorIiiiZZZNS0_18lshift_kernel_cudaERNS_18TensorIteratorBaseEENKUlvE_clEvENKUlvE1_clEvEUliiE_EESt5arrayIPcLm2EEEEviT0_T1_,comdat
	.globl	_ZN2at6native29vectorized_elementwise_kernelILi8ENS0_13BUnaryFunctorIiiiZZZNS0_18lshift_kernel_cudaERNS_18TensorIteratorBaseEENKUlvE_clEvENKUlvE1_clEvEUliiE_EESt5arrayIPcLm2EEEEviT0_T1_ ; -- Begin function _ZN2at6native29vectorized_elementwise_kernelILi8ENS0_13BUnaryFunctorIiiiZZZNS0_18lshift_kernel_cudaERNS_18TensorIteratorBaseEENKUlvE_clEvENKUlvE1_clEvEUliiE_EESt5arrayIPcLm2EEEEviT0_T1_
	.p2align	8
	.type	_ZN2at6native29vectorized_elementwise_kernelILi8ENS0_13BUnaryFunctorIiiiZZZNS0_18lshift_kernel_cudaERNS_18TensorIteratorBaseEENKUlvE_clEvENKUlvE1_clEvEUliiE_EESt5arrayIPcLm2EEEEviT0_T1_,@function
_ZN2at6native29vectorized_elementwise_kernelILi8ENS0_13BUnaryFunctorIiiiZZZNS0_18lshift_kernel_cudaERNS_18TensorIteratorBaseEENKUlvE_clEvENKUlvE1_clEvEUliiE_EESt5arrayIPcLm2EEEEviT0_T1_: ; @_ZN2at6native29vectorized_elementwise_kernelILi8ENS0_13BUnaryFunctorIiiiZZZNS0_18lshift_kernel_cudaERNS_18TensorIteratorBaseEENKUlvE_clEvENKUlvE1_clEvEUliiE_EESt5arrayIPcLm2EEEEviT0_T1_
; %bb.0:
	s_load_dword s0, s[4:5], 0x0
	s_load_dword s15, s[4:5], 0x8
	s_load_dwordx4 s[8:11], s[4:5], 0x10
	s_lshl_b32 s2, s6, 10
	s_waitcnt lgkmcnt(0)
	s_sub_i32 s14, s0, s2
	s_cmpk_gt_i32 s14, 0x3ff
	s_mov_b64 s[0:1], -1
	s_cbranch_scc0 .LBB57_2
; %bb.1:
	s_ashr_i32 s3, s2, 31
	s_lshl_b64 s[0:1], s[2:3], 2
	s_add_u32 s4, s10, s0
	s_addc_u32 s5, s11, s1
	v_lshlrev_b32_e32 v5, 4, v0
	global_load_dwordx4 v[1:4], v5, s[4:5]
	s_cmp_gt_u32 s15, 31
	s_cselect_b64 s[4:5], -1, 0
	s_add_u32 s0, s8, s0
	s_addc_u32 s1, s9, s1
	s_waitcnt vmcnt(0)
	v_lshlrev_b32_e32 v1, s15, v1
	v_lshlrev_b32_e32 v2, s15, v2
	;; [unrolled: 1-line block ×4, first 2 shown]
	v_cndmask_b32_e64 v1, v1, 0, s[4:5]
	v_cndmask_b32_e64 v2, v2, 0, s[4:5]
	;; [unrolled: 1-line block ×4, first 2 shown]
	global_store_dwordx4 v5, v[1:4], s[0:1]
	s_mov_b64 s[0:1], 0
.LBB57_2:
	s_andn2_b64 vcc, exec, s[0:1]
	s_cbranch_vccnz .LBB57_16
; %bb.3:
	v_cmp_gt_i32_e32 vcc, s14, v0
	v_or_b32_e32 v6, 0x100, v0
	v_mov_b32_e32 v8, 0
	v_or_b32_e32 v1, s2, v0
	v_mov_b32_e32 v3, 0
	v_mov_b32_e32 v2, 0
	;; [unrolled: 1-line block ×3, first 2 shown]
	s_and_saveexec_b64 s[4:5], vcc
	s_cbranch_execz .LBB57_11
; %bb.4:
	v_mov_b32_e32 v2, 0
	v_lshlrev_b64 v[3:4], 2, v[1:2]
	v_mov_b32_e32 v5, s11
	v_add_co_u32_e64 v3, s[0:1], s10, v3
	v_addc_co_u32_e64 v4, s[0:1], v5, v4, s[0:1]
	global_load_dword v7, v[3:4], off
	v_cmp_gt_u32_e64 s[0:1], s14, v6
	v_mov_b32_e32 v3, v2
	v_mov_b32_e32 v8, v2
	s_and_saveexec_b64 s[6:7], s[0:1]
	s_cbranch_execz .LBB57_10
; %bb.5:
	v_add_u32_e32 v2, s2, v0
	v_mov_b32_e32 v3, 0
	v_lshlrev_b64 v[4:5], 2, v[2:3]
	v_mov_b32_e32 v2, s11
	v_add_co_u32_e64 v4, s[0:1], s10, v4
	v_addc_co_u32_e64 v5, s[0:1], v2, v5, s[0:1]
	global_load_dword v2, v[4:5], off offset:1024
	v_or_b32_e32 v8, 0x200, v0
	v_cmp_gt_u32_e64 s[0:1], s14, v8
	v_mov_b32_e32 v8, v3
	s_and_saveexec_b64 s[10:11], s[0:1]
	s_cbranch_execz .LBB57_9
; %bb.6:
	global_load_dword v3, v[4:5], off offset:2048
	v_or_b32_e32 v8, 0x300, v0
	v_cmp_gt_u32_e64 s[0:1], s14, v8
	v_mov_b32_e32 v8, 0
	s_and_saveexec_b64 s[12:13], s[0:1]
	s_cbranch_execz .LBB57_8
; %bb.7:
	global_load_dword v8, v[4:5], off offset:3072
.LBB57_8:
	s_or_b64 exec, exec, s[12:13]
.LBB57_9:
	s_or_b64 exec, exec, s[10:11]
.LBB57_10:
	s_or_b64 exec, exec, s[6:7]
.LBB57_11:
	s_or_b64 exec, exec, s[4:5]
	s_cmp_gt_u32 s15, 31
	s_cselect_b64 s[4:5], -1, 0
	s_waitcnt vmcnt(0)
	v_lshlrev_b32_e32 v2, s15, v2
	v_cndmask_b32_e64 v2, v2, 0, s[4:5]
	v_cmp_gt_i32_e64 s[0:1], s14, v6
	v_lshlrev_b32_e32 v4, s15, v7
	v_cndmask_b32_e64 v5, 0, v2, s[0:1]
	v_or_b32_e32 v2, 0x200, v0
	v_lshlrev_b32_e32 v3, s15, v3
	v_cndmask_b32_e64 v4, v4, 0, s[4:5]
	v_cndmask_b32_e64 v3, v3, 0, s[4:5]
	v_cmp_gt_i32_e64 s[0:1], s14, v2
	v_cndmask_b32_e32 v7, 0, v4, vcc
	v_cndmask_b32_e64 v4, 0, v3, s[0:1]
	v_or_b32_e32 v2, 0x300, v0
	v_lshlrev_b32_e32 v3, s15, v8
	v_cndmask_b32_e64 v3, v3, 0, s[4:5]
	v_cmp_gt_i32_e64 s[0:1], s14, v2
	v_cndmask_b32_e64 v3, 0, v3, s[0:1]
	s_and_saveexec_b64 s[0:1], vcc
	s_cbranch_execnz .LBB57_17
; %bb.12:
	s_or_b64 exec, exec, s[0:1]
	v_cmp_gt_i32_e32 vcc, s14, v0
	s_and_saveexec_b64 s[0:1], vcc
	s_cbranch_execnz .LBB57_18
.LBB57_13:
	s_or_b64 exec, exec, s[0:1]
	v_cmp_gt_i32_e32 vcc, s14, v0
	s_and_saveexec_b64 s[0:1], vcc
	s_cbranch_execnz .LBB57_19
.LBB57_14:
	s_or_b64 exec, exec, s[0:1]
	v_cmp_gt_i32_e32 vcc, s14, v0
	s_and_saveexec_b64 s[0:1], vcc
	s_cbranch_execz .LBB57_16
.LBB57_15:
	v_add_u32_e32 v0, s2, v0
	v_mov_b32_e32 v1, 0
	v_lshlrev_b64 v[0:1], 2, v[0:1]
	v_mov_b32_e32 v2, s9
	v_add_co_u32_e32 v0, vcc, s8, v0
	v_addc_co_u32_e32 v1, vcc, v2, v1, vcc
	global_store_dword v[0:1], v3, off
.LBB57_16:
	s_endpgm
.LBB57_17:
	v_mov_b32_e32 v2, 0
	v_lshlrev_b64 v[0:1], 2, v[1:2]
	v_mov_b32_e32 v2, s9
	v_add_co_u32_e32 v0, vcc, s8, v0
	v_addc_co_u32_e32 v1, vcc, v2, v1, vcc
	global_store_dword v[0:1], v7, off
	v_mov_b32_e32 v0, v6
	s_or_b64 exec, exec, s[0:1]
	v_cmp_gt_i32_e32 vcc, s14, v0
	s_and_saveexec_b64 s[0:1], vcc
	s_cbranch_execz .LBB57_13
.LBB57_18:
	v_add_u32_e32 v1, s2, v0
	v_mov_b32_e32 v2, 0
	v_lshlrev_b64 v[1:2], 2, v[1:2]
	v_mov_b32_e32 v6, s9
	v_add_co_u32_e32 v1, vcc, s8, v1
	v_addc_co_u32_e32 v2, vcc, v6, v2, vcc
	v_add_u32_e32 v0, 0x100, v0
	global_store_dword v[1:2], v5, off
	s_or_b64 exec, exec, s[0:1]
	v_cmp_gt_i32_e32 vcc, s14, v0
	s_and_saveexec_b64 s[0:1], vcc
	s_cbranch_execz .LBB57_14
.LBB57_19:
	v_add_u32_e32 v1, s2, v0
	v_mov_b32_e32 v2, 0
	v_lshlrev_b64 v[1:2], 2, v[1:2]
	v_mov_b32_e32 v5, s9
	v_add_co_u32_e32 v1, vcc, s8, v1
	v_addc_co_u32_e32 v2, vcc, v5, v2, vcc
	v_add_u32_e32 v0, 0x100, v0
	global_store_dword v[1:2], v4, off
	s_or_b64 exec, exec, s[0:1]
	v_cmp_gt_i32_e32 vcc, s14, v0
	s_and_saveexec_b64 s[0:1], vcc
	s_cbranch_execnz .LBB57_15
	s_branch .LBB57_16
	.section	.rodata,"a",@progbits
	.p2align	6, 0x0
	.amdhsa_kernel _ZN2at6native29vectorized_elementwise_kernelILi8ENS0_13BUnaryFunctorIiiiZZZNS0_18lshift_kernel_cudaERNS_18TensorIteratorBaseEENKUlvE_clEvENKUlvE1_clEvEUliiE_EESt5arrayIPcLm2EEEEviT0_T1_
		.amdhsa_group_segment_fixed_size 0
		.amdhsa_private_segment_fixed_size 0
		.amdhsa_kernarg_size 32
		.amdhsa_user_sgpr_count 6
		.amdhsa_user_sgpr_private_segment_buffer 1
		.amdhsa_user_sgpr_dispatch_ptr 0
		.amdhsa_user_sgpr_queue_ptr 0
		.amdhsa_user_sgpr_kernarg_segment_ptr 1
		.amdhsa_user_sgpr_dispatch_id 0
		.amdhsa_user_sgpr_flat_scratch_init 0
		.amdhsa_user_sgpr_private_segment_size 0
		.amdhsa_uses_dynamic_stack 0
		.amdhsa_system_sgpr_private_segment_wavefront_offset 0
		.amdhsa_system_sgpr_workgroup_id_x 1
		.amdhsa_system_sgpr_workgroup_id_y 0
		.amdhsa_system_sgpr_workgroup_id_z 0
		.amdhsa_system_sgpr_workgroup_info 0
		.amdhsa_system_vgpr_workitem_id 0
		.amdhsa_next_free_vgpr 9
		.amdhsa_next_free_sgpr 16
		.amdhsa_reserve_vcc 1
		.amdhsa_reserve_flat_scratch 0
		.amdhsa_float_round_mode_32 0
		.amdhsa_float_round_mode_16_64 0
		.amdhsa_float_denorm_mode_32 3
		.amdhsa_float_denorm_mode_16_64 3
		.amdhsa_dx10_clamp 1
		.amdhsa_ieee_mode 1
		.amdhsa_fp16_overflow 0
		.amdhsa_exception_fp_ieee_invalid_op 0
		.amdhsa_exception_fp_denorm_src 0
		.amdhsa_exception_fp_ieee_div_zero 0
		.amdhsa_exception_fp_ieee_overflow 0
		.amdhsa_exception_fp_ieee_underflow 0
		.amdhsa_exception_fp_ieee_inexact 0
		.amdhsa_exception_int_div_zero 0
	.end_amdhsa_kernel
	.section	.text._ZN2at6native29vectorized_elementwise_kernelILi8ENS0_13BUnaryFunctorIiiiZZZNS0_18lshift_kernel_cudaERNS_18TensorIteratorBaseEENKUlvE_clEvENKUlvE1_clEvEUliiE_EESt5arrayIPcLm2EEEEviT0_T1_,"axG",@progbits,_ZN2at6native29vectorized_elementwise_kernelILi8ENS0_13BUnaryFunctorIiiiZZZNS0_18lshift_kernel_cudaERNS_18TensorIteratorBaseEENKUlvE_clEvENKUlvE1_clEvEUliiE_EESt5arrayIPcLm2EEEEviT0_T1_,comdat
.Lfunc_end57:
	.size	_ZN2at6native29vectorized_elementwise_kernelILi8ENS0_13BUnaryFunctorIiiiZZZNS0_18lshift_kernel_cudaERNS_18TensorIteratorBaseEENKUlvE_clEvENKUlvE1_clEvEUliiE_EESt5arrayIPcLm2EEEEviT0_T1_, .Lfunc_end57-_ZN2at6native29vectorized_elementwise_kernelILi8ENS0_13BUnaryFunctorIiiiZZZNS0_18lshift_kernel_cudaERNS_18TensorIteratorBaseEENKUlvE_clEvENKUlvE1_clEvEUliiE_EESt5arrayIPcLm2EEEEviT0_T1_
                                        ; -- End function
	.set _ZN2at6native29vectorized_elementwise_kernelILi8ENS0_13BUnaryFunctorIiiiZZZNS0_18lshift_kernel_cudaERNS_18TensorIteratorBaseEENKUlvE_clEvENKUlvE1_clEvEUliiE_EESt5arrayIPcLm2EEEEviT0_T1_.num_vgpr, 9
	.set _ZN2at6native29vectorized_elementwise_kernelILi8ENS0_13BUnaryFunctorIiiiZZZNS0_18lshift_kernel_cudaERNS_18TensorIteratorBaseEENKUlvE_clEvENKUlvE1_clEvEUliiE_EESt5arrayIPcLm2EEEEviT0_T1_.num_agpr, 0
	.set _ZN2at6native29vectorized_elementwise_kernelILi8ENS0_13BUnaryFunctorIiiiZZZNS0_18lshift_kernel_cudaERNS_18TensorIteratorBaseEENKUlvE_clEvENKUlvE1_clEvEUliiE_EESt5arrayIPcLm2EEEEviT0_T1_.numbered_sgpr, 16
	.set _ZN2at6native29vectorized_elementwise_kernelILi8ENS0_13BUnaryFunctorIiiiZZZNS0_18lshift_kernel_cudaERNS_18TensorIteratorBaseEENKUlvE_clEvENKUlvE1_clEvEUliiE_EESt5arrayIPcLm2EEEEviT0_T1_.num_named_barrier, 0
	.set _ZN2at6native29vectorized_elementwise_kernelILi8ENS0_13BUnaryFunctorIiiiZZZNS0_18lshift_kernel_cudaERNS_18TensorIteratorBaseEENKUlvE_clEvENKUlvE1_clEvEUliiE_EESt5arrayIPcLm2EEEEviT0_T1_.private_seg_size, 0
	.set _ZN2at6native29vectorized_elementwise_kernelILi8ENS0_13BUnaryFunctorIiiiZZZNS0_18lshift_kernel_cudaERNS_18TensorIteratorBaseEENKUlvE_clEvENKUlvE1_clEvEUliiE_EESt5arrayIPcLm2EEEEviT0_T1_.uses_vcc, 1
	.set _ZN2at6native29vectorized_elementwise_kernelILi8ENS0_13BUnaryFunctorIiiiZZZNS0_18lshift_kernel_cudaERNS_18TensorIteratorBaseEENKUlvE_clEvENKUlvE1_clEvEUliiE_EESt5arrayIPcLm2EEEEviT0_T1_.uses_flat_scratch, 0
	.set _ZN2at6native29vectorized_elementwise_kernelILi8ENS0_13BUnaryFunctorIiiiZZZNS0_18lshift_kernel_cudaERNS_18TensorIteratorBaseEENKUlvE_clEvENKUlvE1_clEvEUliiE_EESt5arrayIPcLm2EEEEviT0_T1_.has_dyn_sized_stack, 0
	.set _ZN2at6native29vectorized_elementwise_kernelILi8ENS0_13BUnaryFunctorIiiiZZZNS0_18lshift_kernel_cudaERNS_18TensorIteratorBaseEENKUlvE_clEvENKUlvE1_clEvEUliiE_EESt5arrayIPcLm2EEEEviT0_T1_.has_recursion, 0
	.set _ZN2at6native29vectorized_elementwise_kernelILi8ENS0_13BUnaryFunctorIiiiZZZNS0_18lshift_kernel_cudaERNS_18TensorIteratorBaseEENKUlvE_clEvENKUlvE1_clEvEUliiE_EESt5arrayIPcLm2EEEEviT0_T1_.has_indirect_call, 0
	.section	.AMDGPU.csdata,"",@progbits
; Kernel info:
; codeLenInByte = 800
; TotalNumSgprs: 20
; NumVgprs: 9
; ScratchSize: 0
; MemoryBound: 0
; FloatMode: 240
; IeeeMode: 1
; LDSByteSize: 0 bytes/workgroup (compile time only)
; SGPRBlocks: 2
; VGPRBlocks: 2
; NumSGPRsForWavesPerEU: 20
; NumVGPRsForWavesPerEU: 9
; Occupancy: 10
; WaveLimiterHint : 0
; COMPUTE_PGM_RSRC2:SCRATCH_EN: 0
; COMPUTE_PGM_RSRC2:USER_SGPR: 6
; COMPUTE_PGM_RSRC2:TRAP_HANDLER: 0
; COMPUTE_PGM_RSRC2:TGID_X_EN: 1
; COMPUTE_PGM_RSRC2:TGID_Y_EN: 0
; COMPUTE_PGM_RSRC2:TGID_Z_EN: 0
; COMPUTE_PGM_RSRC2:TIDIG_COMP_CNT: 0
	.section	.text._ZN2at6native29vectorized_elementwise_kernelILi4ENS0_13BUnaryFunctorIiiiZZZNS0_18lshift_kernel_cudaERNS_18TensorIteratorBaseEENKUlvE_clEvENKUlvE1_clEvEUliiE_EESt5arrayIPcLm2EEEEviT0_T1_,"axG",@progbits,_ZN2at6native29vectorized_elementwise_kernelILi4ENS0_13BUnaryFunctorIiiiZZZNS0_18lshift_kernel_cudaERNS_18TensorIteratorBaseEENKUlvE_clEvENKUlvE1_clEvEUliiE_EESt5arrayIPcLm2EEEEviT0_T1_,comdat
	.globl	_ZN2at6native29vectorized_elementwise_kernelILi4ENS0_13BUnaryFunctorIiiiZZZNS0_18lshift_kernel_cudaERNS_18TensorIteratorBaseEENKUlvE_clEvENKUlvE1_clEvEUliiE_EESt5arrayIPcLm2EEEEviT0_T1_ ; -- Begin function _ZN2at6native29vectorized_elementwise_kernelILi4ENS0_13BUnaryFunctorIiiiZZZNS0_18lshift_kernel_cudaERNS_18TensorIteratorBaseEENKUlvE_clEvENKUlvE1_clEvEUliiE_EESt5arrayIPcLm2EEEEviT0_T1_
	.p2align	8
	.type	_ZN2at6native29vectorized_elementwise_kernelILi4ENS0_13BUnaryFunctorIiiiZZZNS0_18lshift_kernel_cudaERNS_18TensorIteratorBaseEENKUlvE_clEvENKUlvE1_clEvEUliiE_EESt5arrayIPcLm2EEEEviT0_T1_,@function
_ZN2at6native29vectorized_elementwise_kernelILi4ENS0_13BUnaryFunctorIiiiZZZNS0_18lshift_kernel_cudaERNS_18TensorIteratorBaseEENKUlvE_clEvENKUlvE1_clEvEUliiE_EESt5arrayIPcLm2EEEEviT0_T1_: ; @_ZN2at6native29vectorized_elementwise_kernelILi4ENS0_13BUnaryFunctorIiiiZZZNS0_18lshift_kernel_cudaERNS_18TensorIteratorBaseEENKUlvE_clEvENKUlvE1_clEvEUliiE_EESt5arrayIPcLm2EEEEviT0_T1_
; %bb.0:
	s_load_dword s0, s[4:5], 0x0
	s_load_dword s15, s[4:5], 0x8
	s_load_dwordx4 s[8:11], s[4:5], 0x10
	s_lshl_b32 s2, s6, 10
	s_waitcnt lgkmcnt(0)
	s_sub_i32 s14, s0, s2
	s_cmpk_gt_i32 s14, 0x3ff
	s_mov_b64 s[0:1], -1
	s_cbranch_scc0 .LBB58_2
; %bb.1:
	s_ashr_i32 s3, s2, 31
	s_lshl_b64 s[0:1], s[2:3], 2
	s_add_u32 s4, s10, s0
	s_addc_u32 s5, s11, s1
	v_lshlrev_b32_e32 v5, 4, v0
	global_load_dwordx4 v[1:4], v5, s[4:5]
	s_cmp_gt_u32 s15, 31
	s_cselect_b64 s[4:5], -1, 0
	s_add_u32 s0, s8, s0
	s_addc_u32 s1, s9, s1
	s_waitcnt vmcnt(0)
	v_lshlrev_b32_e32 v1, s15, v1
	v_lshlrev_b32_e32 v2, s15, v2
	;; [unrolled: 1-line block ×4, first 2 shown]
	v_cndmask_b32_e64 v1, v1, 0, s[4:5]
	v_cndmask_b32_e64 v2, v2, 0, s[4:5]
	;; [unrolled: 1-line block ×4, first 2 shown]
	global_store_dwordx4 v5, v[1:4], s[0:1]
	s_mov_b64 s[0:1], 0
.LBB58_2:
	s_andn2_b64 vcc, exec, s[0:1]
	s_cbranch_vccnz .LBB58_16
; %bb.3:
	v_cmp_gt_i32_e32 vcc, s14, v0
	v_or_b32_e32 v6, 0x100, v0
	v_mov_b32_e32 v8, 0
	v_or_b32_e32 v1, s2, v0
	v_mov_b32_e32 v3, 0
	v_mov_b32_e32 v2, 0
	;; [unrolled: 1-line block ×3, first 2 shown]
	s_and_saveexec_b64 s[4:5], vcc
	s_cbranch_execz .LBB58_11
; %bb.4:
	v_mov_b32_e32 v2, 0
	v_lshlrev_b64 v[3:4], 2, v[1:2]
	v_mov_b32_e32 v5, s11
	v_add_co_u32_e64 v3, s[0:1], s10, v3
	v_addc_co_u32_e64 v4, s[0:1], v5, v4, s[0:1]
	global_load_dword v7, v[3:4], off
	v_cmp_gt_u32_e64 s[0:1], s14, v6
	v_mov_b32_e32 v3, v2
	v_mov_b32_e32 v8, v2
	s_and_saveexec_b64 s[6:7], s[0:1]
	s_cbranch_execz .LBB58_10
; %bb.5:
	v_add_u32_e32 v2, s2, v0
	v_mov_b32_e32 v3, 0
	v_lshlrev_b64 v[4:5], 2, v[2:3]
	v_mov_b32_e32 v2, s11
	v_add_co_u32_e64 v4, s[0:1], s10, v4
	v_addc_co_u32_e64 v5, s[0:1], v2, v5, s[0:1]
	global_load_dword v2, v[4:5], off offset:1024
	v_or_b32_e32 v8, 0x200, v0
	v_cmp_gt_u32_e64 s[0:1], s14, v8
	v_mov_b32_e32 v8, v3
	s_and_saveexec_b64 s[10:11], s[0:1]
	s_cbranch_execz .LBB58_9
; %bb.6:
	global_load_dword v3, v[4:5], off offset:2048
	v_or_b32_e32 v8, 0x300, v0
	v_cmp_gt_u32_e64 s[0:1], s14, v8
	v_mov_b32_e32 v8, 0
	s_and_saveexec_b64 s[12:13], s[0:1]
	s_cbranch_execz .LBB58_8
; %bb.7:
	global_load_dword v8, v[4:5], off offset:3072
.LBB58_8:
	s_or_b64 exec, exec, s[12:13]
.LBB58_9:
	s_or_b64 exec, exec, s[10:11]
.LBB58_10:
	s_or_b64 exec, exec, s[6:7]
.LBB58_11:
	s_or_b64 exec, exec, s[4:5]
	s_cmp_gt_u32 s15, 31
	s_cselect_b64 s[4:5], -1, 0
	s_waitcnt vmcnt(0)
	v_lshlrev_b32_e32 v2, s15, v2
	v_cndmask_b32_e64 v2, v2, 0, s[4:5]
	v_cmp_gt_i32_e64 s[0:1], s14, v6
	v_lshlrev_b32_e32 v4, s15, v7
	v_cndmask_b32_e64 v5, 0, v2, s[0:1]
	v_or_b32_e32 v2, 0x200, v0
	v_lshlrev_b32_e32 v3, s15, v3
	v_cndmask_b32_e64 v4, v4, 0, s[4:5]
	v_cndmask_b32_e64 v3, v3, 0, s[4:5]
	v_cmp_gt_i32_e64 s[0:1], s14, v2
	v_cndmask_b32_e32 v7, 0, v4, vcc
	v_cndmask_b32_e64 v4, 0, v3, s[0:1]
	v_or_b32_e32 v2, 0x300, v0
	v_lshlrev_b32_e32 v3, s15, v8
	v_cndmask_b32_e64 v3, v3, 0, s[4:5]
	v_cmp_gt_i32_e64 s[0:1], s14, v2
	v_cndmask_b32_e64 v3, 0, v3, s[0:1]
	s_and_saveexec_b64 s[0:1], vcc
	s_cbranch_execnz .LBB58_17
; %bb.12:
	s_or_b64 exec, exec, s[0:1]
	v_cmp_gt_i32_e32 vcc, s14, v0
	s_and_saveexec_b64 s[0:1], vcc
	s_cbranch_execnz .LBB58_18
.LBB58_13:
	s_or_b64 exec, exec, s[0:1]
	v_cmp_gt_i32_e32 vcc, s14, v0
	s_and_saveexec_b64 s[0:1], vcc
	s_cbranch_execnz .LBB58_19
.LBB58_14:
	s_or_b64 exec, exec, s[0:1]
	v_cmp_gt_i32_e32 vcc, s14, v0
	s_and_saveexec_b64 s[0:1], vcc
	s_cbranch_execz .LBB58_16
.LBB58_15:
	v_add_u32_e32 v0, s2, v0
	v_mov_b32_e32 v1, 0
	v_lshlrev_b64 v[0:1], 2, v[0:1]
	v_mov_b32_e32 v2, s9
	v_add_co_u32_e32 v0, vcc, s8, v0
	v_addc_co_u32_e32 v1, vcc, v2, v1, vcc
	global_store_dword v[0:1], v3, off
.LBB58_16:
	s_endpgm
.LBB58_17:
	v_mov_b32_e32 v2, 0
	v_lshlrev_b64 v[0:1], 2, v[1:2]
	v_mov_b32_e32 v2, s9
	v_add_co_u32_e32 v0, vcc, s8, v0
	v_addc_co_u32_e32 v1, vcc, v2, v1, vcc
	global_store_dword v[0:1], v7, off
	v_mov_b32_e32 v0, v6
	s_or_b64 exec, exec, s[0:1]
	v_cmp_gt_i32_e32 vcc, s14, v0
	s_and_saveexec_b64 s[0:1], vcc
	s_cbranch_execz .LBB58_13
.LBB58_18:
	v_add_u32_e32 v1, s2, v0
	v_mov_b32_e32 v2, 0
	v_lshlrev_b64 v[1:2], 2, v[1:2]
	v_mov_b32_e32 v6, s9
	v_add_co_u32_e32 v1, vcc, s8, v1
	v_addc_co_u32_e32 v2, vcc, v6, v2, vcc
	v_add_u32_e32 v0, 0x100, v0
	global_store_dword v[1:2], v5, off
	s_or_b64 exec, exec, s[0:1]
	v_cmp_gt_i32_e32 vcc, s14, v0
	s_and_saveexec_b64 s[0:1], vcc
	s_cbranch_execz .LBB58_14
.LBB58_19:
	v_add_u32_e32 v1, s2, v0
	v_mov_b32_e32 v2, 0
	v_lshlrev_b64 v[1:2], 2, v[1:2]
	v_mov_b32_e32 v5, s9
	v_add_co_u32_e32 v1, vcc, s8, v1
	v_addc_co_u32_e32 v2, vcc, v5, v2, vcc
	v_add_u32_e32 v0, 0x100, v0
	global_store_dword v[1:2], v4, off
	s_or_b64 exec, exec, s[0:1]
	v_cmp_gt_i32_e32 vcc, s14, v0
	s_and_saveexec_b64 s[0:1], vcc
	s_cbranch_execnz .LBB58_15
	s_branch .LBB58_16
	.section	.rodata,"a",@progbits
	.p2align	6, 0x0
	.amdhsa_kernel _ZN2at6native29vectorized_elementwise_kernelILi4ENS0_13BUnaryFunctorIiiiZZZNS0_18lshift_kernel_cudaERNS_18TensorIteratorBaseEENKUlvE_clEvENKUlvE1_clEvEUliiE_EESt5arrayIPcLm2EEEEviT0_T1_
		.amdhsa_group_segment_fixed_size 0
		.amdhsa_private_segment_fixed_size 0
		.amdhsa_kernarg_size 32
		.amdhsa_user_sgpr_count 6
		.amdhsa_user_sgpr_private_segment_buffer 1
		.amdhsa_user_sgpr_dispatch_ptr 0
		.amdhsa_user_sgpr_queue_ptr 0
		.amdhsa_user_sgpr_kernarg_segment_ptr 1
		.amdhsa_user_sgpr_dispatch_id 0
		.amdhsa_user_sgpr_flat_scratch_init 0
		.amdhsa_user_sgpr_private_segment_size 0
		.amdhsa_uses_dynamic_stack 0
		.amdhsa_system_sgpr_private_segment_wavefront_offset 0
		.amdhsa_system_sgpr_workgroup_id_x 1
		.amdhsa_system_sgpr_workgroup_id_y 0
		.amdhsa_system_sgpr_workgroup_id_z 0
		.amdhsa_system_sgpr_workgroup_info 0
		.amdhsa_system_vgpr_workitem_id 0
		.amdhsa_next_free_vgpr 9
		.amdhsa_next_free_sgpr 16
		.amdhsa_reserve_vcc 1
		.amdhsa_reserve_flat_scratch 0
		.amdhsa_float_round_mode_32 0
		.amdhsa_float_round_mode_16_64 0
		.amdhsa_float_denorm_mode_32 3
		.amdhsa_float_denorm_mode_16_64 3
		.amdhsa_dx10_clamp 1
		.amdhsa_ieee_mode 1
		.amdhsa_fp16_overflow 0
		.amdhsa_exception_fp_ieee_invalid_op 0
		.amdhsa_exception_fp_denorm_src 0
		.amdhsa_exception_fp_ieee_div_zero 0
		.amdhsa_exception_fp_ieee_overflow 0
		.amdhsa_exception_fp_ieee_underflow 0
		.amdhsa_exception_fp_ieee_inexact 0
		.amdhsa_exception_int_div_zero 0
	.end_amdhsa_kernel
	.section	.text._ZN2at6native29vectorized_elementwise_kernelILi4ENS0_13BUnaryFunctorIiiiZZZNS0_18lshift_kernel_cudaERNS_18TensorIteratorBaseEENKUlvE_clEvENKUlvE1_clEvEUliiE_EESt5arrayIPcLm2EEEEviT0_T1_,"axG",@progbits,_ZN2at6native29vectorized_elementwise_kernelILi4ENS0_13BUnaryFunctorIiiiZZZNS0_18lshift_kernel_cudaERNS_18TensorIteratorBaseEENKUlvE_clEvENKUlvE1_clEvEUliiE_EESt5arrayIPcLm2EEEEviT0_T1_,comdat
.Lfunc_end58:
	.size	_ZN2at6native29vectorized_elementwise_kernelILi4ENS0_13BUnaryFunctorIiiiZZZNS0_18lshift_kernel_cudaERNS_18TensorIteratorBaseEENKUlvE_clEvENKUlvE1_clEvEUliiE_EESt5arrayIPcLm2EEEEviT0_T1_, .Lfunc_end58-_ZN2at6native29vectorized_elementwise_kernelILi4ENS0_13BUnaryFunctorIiiiZZZNS0_18lshift_kernel_cudaERNS_18TensorIteratorBaseEENKUlvE_clEvENKUlvE1_clEvEUliiE_EESt5arrayIPcLm2EEEEviT0_T1_
                                        ; -- End function
	.set _ZN2at6native29vectorized_elementwise_kernelILi4ENS0_13BUnaryFunctorIiiiZZZNS0_18lshift_kernel_cudaERNS_18TensorIteratorBaseEENKUlvE_clEvENKUlvE1_clEvEUliiE_EESt5arrayIPcLm2EEEEviT0_T1_.num_vgpr, 9
	.set _ZN2at6native29vectorized_elementwise_kernelILi4ENS0_13BUnaryFunctorIiiiZZZNS0_18lshift_kernel_cudaERNS_18TensorIteratorBaseEENKUlvE_clEvENKUlvE1_clEvEUliiE_EESt5arrayIPcLm2EEEEviT0_T1_.num_agpr, 0
	.set _ZN2at6native29vectorized_elementwise_kernelILi4ENS0_13BUnaryFunctorIiiiZZZNS0_18lshift_kernel_cudaERNS_18TensorIteratorBaseEENKUlvE_clEvENKUlvE1_clEvEUliiE_EESt5arrayIPcLm2EEEEviT0_T1_.numbered_sgpr, 16
	.set _ZN2at6native29vectorized_elementwise_kernelILi4ENS0_13BUnaryFunctorIiiiZZZNS0_18lshift_kernel_cudaERNS_18TensorIteratorBaseEENKUlvE_clEvENKUlvE1_clEvEUliiE_EESt5arrayIPcLm2EEEEviT0_T1_.num_named_barrier, 0
	.set _ZN2at6native29vectorized_elementwise_kernelILi4ENS0_13BUnaryFunctorIiiiZZZNS0_18lshift_kernel_cudaERNS_18TensorIteratorBaseEENKUlvE_clEvENKUlvE1_clEvEUliiE_EESt5arrayIPcLm2EEEEviT0_T1_.private_seg_size, 0
	.set _ZN2at6native29vectorized_elementwise_kernelILi4ENS0_13BUnaryFunctorIiiiZZZNS0_18lshift_kernel_cudaERNS_18TensorIteratorBaseEENKUlvE_clEvENKUlvE1_clEvEUliiE_EESt5arrayIPcLm2EEEEviT0_T1_.uses_vcc, 1
	.set _ZN2at6native29vectorized_elementwise_kernelILi4ENS0_13BUnaryFunctorIiiiZZZNS0_18lshift_kernel_cudaERNS_18TensorIteratorBaseEENKUlvE_clEvENKUlvE1_clEvEUliiE_EESt5arrayIPcLm2EEEEviT0_T1_.uses_flat_scratch, 0
	.set _ZN2at6native29vectorized_elementwise_kernelILi4ENS0_13BUnaryFunctorIiiiZZZNS0_18lshift_kernel_cudaERNS_18TensorIteratorBaseEENKUlvE_clEvENKUlvE1_clEvEUliiE_EESt5arrayIPcLm2EEEEviT0_T1_.has_dyn_sized_stack, 0
	.set _ZN2at6native29vectorized_elementwise_kernelILi4ENS0_13BUnaryFunctorIiiiZZZNS0_18lshift_kernel_cudaERNS_18TensorIteratorBaseEENKUlvE_clEvENKUlvE1_clEvEUliiE_EESt5arrayIPcLm2EEEEviT0_T1_.has_recursion, 0
	.set _ZN2at6native29vectorized_elementwise_kernelILi4ENS0_13BUnaryFunctorIiiiZZZNS0_18lshift_kernel_cudaERNS_18TensorIteratorBaseEENKUlvE_clEvENKUlvE1_clEvEUliiE_EESt5arrayIPcLm2EEEEviT0_T1_.has_indirect_call, 0
	.section	.AMDGPU.csdata,"",@progbits
; Kernel info:
; codeLenInByte = 800
; TotalNumSgprs: 20
; NumVgprs: 9
; ScratchSize: 0
; MemoryBound: 0
; FloatMode: 240
; IeeeMode: 1
; LDSByteSize: 0 bytes/workgroup (compile time only)
; SGPRBlocks: 2
; VGPRBlocks: 2
; NumSGPRsForWavesPerEU: 20
; NumVGPRsForWavesPerEU: 9
; Occupancy: 10
; WaveLimiterHint : 0
; COMPUTE_PGM_RSRC2:SCRATCH_EN: 0
; COMPUTE_PGM_RSRC2:USER_SGPR: 6
; COMPUTE_PGM_RSRC2:TRAP_HANDLER: 0
; COMPUTE_PGM_RSRC2:TGID_X_EN: 1
; COMPUTE_PGM_RSRC2:TGID_Y_EN: 0
; COMPUTE_PGM_RSRC2:TGID_Z_EN: 0
; COMPUTE_PGM_RSRC2:TIDIG_COMP_CNT: 0
	.section	.text._ZN2at6native29vectorized_elementwise_kernelILi2ENS0_13BUnaryFunctorIiiiZZZNS0_18lshift_kernel_cudaERNS_18TensorIteratorBaseEENKUlvE_clEvENKUlvE1_clEvEUliiE_EESt5arrayIPcLm2EEEEviT0_T1_,"axG",@progbits,_ZN2at6native29vectorized_elementwise_kernelILi2ENS0_13BUnaryFunctorIiiiZZZNS0_18lshift_kernel_cudaERNS_18TensorIteratorBaseEENKUlvE_clEvENKUlvE1_clEvEUliiE_EESt5arrayIPcLm2EEEEviT0_T1_,comdat
	.globl	_ZN2at6native29vectorized_elementwise_kernelILi2ENS0_13BUnaryFunctorIiiiZZZNS0_18lshift_kernel_cudaERNS_18TensorIteratorBaseEENKUlvE_clEvENKUlvE1_clEvEUliiE_EESt5arrayIPcLm2EEEEviT0_T1_ ; -- Begin function _ZN2at6native29vectorized_elementwise_kernelILi2ENS0_13BUnaryFunctorIiiiZZZNS0_18lshift_kernel_cudaERNS_18TensorIteratorBaseEENKUlvE_clEvENKUlvE1_clEvEUliiE_EESt5arrayIPcLm2EEEEviT0_T1_
	.p2align	8
	.type	_ZN2at6native29vectorized_elementwise_kernelILi2ENS0_13BUnaryFunctorIiiiZZZNS0_18lshift_kernel_cudaERNS_18TensorIteratorBaseEENKUlvE_clEvENKUlvE1_clEvEUliiE_EESt5arrayIPcLm2EEEEviT0_T1_,@function
_ZN2at6native29vectorized_elementwise_kernelILi2ENS0_13BUnaryFunctorIiiiZZZNS0_18lshift_kernel_cudaERNS_18TensorIteratorBaseEENKUlvE_clEvENKUlvE1_clEvEUliiE_EESt5arrayIPcLm2EEEEviT0_T1_: ; @_ZN2at6native29vectorized_elementwise_kernelILi2ENS0_13BUnaryFunctorIiiiZZZNS0_18lshift_kernel_cudaERNS_18TensorIteratorBaseEENKUlvE_clEvENKUlvE1_clEvEUliiE_EESt5arrayIPcLm2EEEEviT0_T1_
; %bb.0:
	s_load_dword s0, s[4:5], 0x0
	s_load_dword s15, s[4:5], 0x8
	s_load_dwordx4 s[8:11], s[4:5], 0x10
	s_lshl_b32 s2, s6, 10
	s_waitcnt lgkmcnt(0)
	s_sub_i32 s14, s0, s2
	s_cmpk_gt_i32 s14, 0x3ff
	s_mov_b64 s[0:1], -1
	s_cbranch_scc0 .LBB59_2
; %bb.1:
	s_ashr_i32 s3, s2, 31
	s_lshl_b64 s[0:1], s[2:3], 2
	s_add_u32 s4, s10, s0
	s_addc_u32 s5, s11, s1
	v_lshlrev_b32_e32 v5, 3, v0
	global_load_dwordx2 v[1:2], v5, s[4:5]
	global_load_dwordx2 v[3:4], v5, s[4:5] offset:2048
	s_cmp_gt_u32 s15, 31
	s_cselect_b64 s[4:5], -1, 0
	s_add_u32 s0, s8, s0
	s_addc_u32 s1, s9, s1
	s_waitcnt vmcnt(1)
	v_lshlrev_b32_e32 v1, s15, v1
	v_lshlrev_b32_e32 v2, s15, v2
	s_waitcnt vmcnt(0)
	v_lshlrev_b32_e32 v3, s15, v3
	v_lshlrev_b32_e32 v4, s15, v4
	v_cndmask_b32_e64 v1, v1, 0, s[4:5]
	v_cndmask_b32_e64 v2, v2, 0, s[4:5]
	;; [unrolled: 1-line block ×4, first 2 shown]
	global_store_dwordx2 v5, v[1:2], s[0:1]
	global_store_dwordx2 v5, v[3:4], s[0:1] offset:2048
	s_mov_b64 s[0:1], 0
.LBB59_2:
	s_andn2_b64 vcc, exec, s[0:1]
	s_cbranch_vccnz .LBB59_16
; %bb.3:
	v_cmp_gt_i32_e32 vcc, s14, v0
	v_or_b32_e32 v6, 0x100, v0
	v_mov_b32_e32 v8, 0
	v_or_b32_e32 v1, s2, v0
	v_mov_b32_e32 v3, 0
	v_mov_b32_e32 v2, 0
	;; [unrolled: 1-line block ×3, first 2 shown]
	s_and_saveexec_b64 s[4:5], vcc
	s_cbranch_execz .LBB59_11
; %bb.4:
	v_mov_b32_e32 v2, 0
	v_lshlrev_b64 v[3:4], 2, v[1:2]
	v_mov_b32_e32 v5, s11
	v_add_co_u32_e64 v3, s[0:1], s10, v3
	v_addc_co_u32_e64 v4, s[0:1], v5, v4, s[0:1]
	global_load_dword v7, v[3:4], off
	v_cmp_gt_u32_e64 s[0:1], s14, v6
	v_mov_b32_e32 v3, v2
	v_mov_b32_e32 v8, v2
	s_and_saveexec_b64 s[6:7], s[0:1]
	s_cbranch_execz .LBB59_10
; %bb.5:
	v_add_u32_e32 v2, s2, v0
	v_mov_b32_e32 v3, 0
	v_lshlrev_b64 v[4:5], 2, v[2:3]
	v_mov_b32_e32 v2, s11
	v_add_co_u32_e64 v4, s[0:1], s10, v4
	v_addc_co_u32_e64 v5, s[0:1], v2, v5, s[0:1]
	global_load_dword v2, v[4:5], off offset:1024
	v_or_b32_e32 v8, 0x200, v0
	v_cmp_gt_u32_e64 s[0:1], s14, v8
	v_mov_b32_e32 v8, v3
	s_and_saveexec_b64 s[10:11], s[0:1]
	s_cbranch_execz .LBB59_9
; %bb.6:
	global_load_dword v3, v[4:5], off offset:2048
	v_or_b32_e32 v8, 0x300, v0
	v_cmp_gt_u32_e64 s[0:1], s14, v8
	v_mov_b32_e32 v8, 0
	s_and_saveexec_b64 s[12:13], s[0:1]
	s_cbranch_execz .LBB59_8
; %bb.7:
	global_load_dword v8, v[4:5], off offset:3072
.LBB59_8:
	s_or_b64 exec, exec, s[12:13]
.LBB59_9:
	s_or_b64 exec, exec, s[10:11]
.LBB59_10:
	s_or_b64 exec, exec, s[6:7]
.LBB59_11:
	s_or_b64 exec, exec, s[4:5]
	s_cmp_gt_u32 s15, 31
	s_cselect_b64 s[4:5], -1, 0
	s_waitcnt vmcnt(0)
	v_lshlrev_b32_e32 v2, s15, v2
	v_cndmask_b32_e64 v2, v2, 0, s[4:5]
	v_cmp_gt_i32_e64 s[0:1], s14, v6
	v_lshlrev_b32_e32 v4, s15, v7
	v_cndmask_b32_e64 v5, 0, v2, s[0:1]
	v_or_b32_e32 v2, 0x200, v0
	v_lshlrev_b32_e32 v3, s15, v3
	v_cndmask_b32_e64 v4, v4, 0, s[4:5]
	v_cndmask_b32_e64 v3, v3, 0, s[4:5]
	v_cmp_gt_i32_e64 s[0:1], s14, v2
	v_cndmask_b32_e32 v7, 0, v4, vcc
	v_cndmask_b32_e64 v4, 0, v3, s[0:1]
	v_or_b32_e32 v2, 0x300, v0
	v_lshlrev_b32_e32 v3, s15, v8
	v_cndmask_b32_e64 v3, v3, 0, s[4:5]
	v_cmp_gt_i32_e64 s[0:1], s14, v2
	v_cndmask_b32_e64 v3, 0, v3, s[0:1]
	s_and_saveexec_b64 s[0:1], vcc
	s_cbranch_execnz .LBB59_17
; %bb.12:
	s_or_b64 exec, exec, s[0:1]
	v_cmp_gt_i32_e32 vcc, s14, v0
	s_and_saveexec_b64 s[0:1], vcc
	s_cbranch_execnz .LBB59_18
.LBB59_13:
	s_or_b64 exec, exec, s[0:1]
	v_cmp_gt_i32_e32 vcc, s14, v0
	s_and_saveexec_b64 s[0:1], vcc
	s_cbranch_execnz .LBB59_19
.LBB59_14:
	s_or_b64 exec, exec, s[0:1]
	v_cmp_gt_i32_e32 vcc, s14, v0
	s_and_saveexec_b64 s[0:1], vcc
	s_cbranch_execz .LBB59_16
.LBB59_15:
	v_add_u32_e32 v0, s2, v0
	v_mov_b32_e32 v1, 0
	v_lshlrev_b64 v[0:1], 2, v[0:1]
	v_mov_b32_e32 v2, s9
	v_add_co_u32_e32 v0, vcc, s8, v0
	v_addc_co_u32_e32 v1, vcc, v2, v1, vcc
	global_store_dword v[0:1], v3, off
.LBB59_16:
	s_endpgm
.LBB59_17:
	v_mov_b32_e32 v2, 0
	v_lshlrev_b64 v[0:1], 2, v[1:2]
	v_mov_b32_e32 v2, s9
	v_add_co_u32_e32 v0, vcc, s8, v0
	v_addc_co_u32_e32 v1, vcc, v2, v1, vcc
	global_store_dword v[0:1], v7, off
	v_mov_b32_e32 v0, v6
	s_or_b64 exec, exec, s[0:1]
	v_cmp_gt_i32_e32 vcc, s14, v0
	s_and_saveexec_b64 s[0:1], vcc
	s_cbranch_execz .LBB59_13
.LBB59_18:
	v_add_u32_e32 v1, s2, v0
	v_mov_b32_e32 v2, 0
	v_lshlrev_b64 v[1:2], 2, v[1:2]
	v_mov_b32_e32 v6, s9
	v_add_co_u32_e32 v1, vcc, s8, v1
	v_addc_co_u32_e32 v2, vcc, v6, v2, vcc
	v_add_u32_e32 v0, 0x100, v0
	global_store_dword v[1:2], v5, off
	s_or_b64 exec, exec, s[0:1]
	v_cmp_gt_i32_e32 vcc, s14, v0
	s_and_saveexec_b64 s[0:1], vcc
	s_cbranch_execz .LBB59_14
.LBB59_19:
	v_add_u32_e32 v1, s2, v0
	v_mov_b32_e32 v2, 0
	v_lshlrev_b64 v[1:2], 2, v[1:2]
	v_mov_b32_e32 v5, s9
	v_add_co_u32_e32 v1, vcc, s8, v1
	v_addc_co_u32_e32 v2, vcc, v5, v2, vcc
	v_add_u32_e32 v0, 0x100, v0
	global_store_dword v[1:2], v4, off
	s_or_b64 exec, exec, s[0:1]
	v_cmp_gt_i32_e32 vcc, s14, v0
	s_and_saveexec_b64 s[0:1], vcc
	s_cbranch_execnz .LBB59_15
	s_branch .LBB59_16
	.section	.rodata,"a",@progbits
	.p2align	6, 0x0
	.amdhsa_kernel _ZN2at6native29vectorized_elementwise_kernelILi2ENS0_13BUnaryFunctorIiiiZZZNS0_18lshift_kernel_cudaERNS_18TensorIteratorBaseEENKUlvE_clEvENKUlvE1_clEvEUliiE_EESt5arrayIPcLm2EEEEviT0_T1_
		.amdhsa_group_segment_fixed_size 0
		.amdhsa_private_segment_fixed_size 0
		.amdhsa_kernarg_size 32
		.amdhsa_user_sgpr_count 6
		.amdhsa_user_sgpr_private_segment_buffer 1
		.amdhsa_user_sgpr_dispatch_ptr 0
		.amdhsa_user_sgpr_queue_ptr 0
		.amdhsa_user_sgpr_kernarg_segment_ptr 1
		.amdhsa_user_sgpr_dispatch_id 0
		.amdhsa_user_sgpr_flat_scratch_init 0
		.amdhsa_user_sgpr_private_segment_size 0
		.amdhsa_uses_dynamic_stack 0
		.amdhsa_system_sgpr_private_segment_wavefront_offset 0
		.amdhsa_system_sgpr_workgroup_id_x 1
		.amdhsa_system_sgpr_workgroup_id_y 0
		.amdhsa_system_sgpr_workgroup_id_z 0
		.amdhsa_system_sgpr_workgroup_info 0
		.amdhsa_system_vgpr_workitem_id 0
		.amdhsa_next_free_vgpr 9
		.amdhsa_next_free_sgpr 16
		.amdhsa_reserve_vcc 1
		.amdhsa_reserve_flat_scratch 0
		.amdhsa_float_round_mode_32 0
		.amdhsa_float_round_mode_16_64 0
		.amdhsa_float_denorm_mode_32 3
		.amdhsa_float_denorm_mode_16_64 3
		.amdhsa_dx10_clamp 1
		.amdhsa_ieee_mode 1
		.amdhsa_fp16_overflow 0
		.amdhsa_exception_fp_ieee_invalid_op 0
		.amdhsa_exception_fp_denorm_src 0
		.amdhsa_exception_fp_ieee_div_zero 0
		.amdhsa_exception_fp_ieee_overflow 0
		.amdhsa_exception_fp_ieee_underflow 0
		.amdhsa_exception_fp_ieee_inexact 0
		.amdhsa_exception_int_div_zero 0
	.end_amdhsa_kernel
	.section	.text._ZN2at6native29vectorized_elementwise_kernelILi2ENS0_13BUnaryFunctorIiiiZZZNS0_18lshift_kernel_cudaERNS_18TensorIteratorBaseEENKUlvE_clEvENKUlvE1_clEvEUliiE_EESt5arrayIPcLm2EEEEviT0_T1_,"axG",@progbits,_ZN2at6native29vectorized_elementwise_kernelILi2ENS0_13BUnaryFunctorIiiiZZZNS0_18lshift_kernel_cudaERNS_18TensorIteratorBaseEENKUlvE_clEvENKUlvE1_clEvEUliiE_EESt5arrayIPcLm2EEEEviT0_T1_,comdat
.Lfunc_end59:
	.size	_ZN2at6native29vectorized_elementwise_kernelILi2ENS0_13BUnaryFunctorIiiiZZZNS0_18lshift_kernel_cudaERNS_18TensorIteratorBaseEENKUlvE_clEvENKUlvE1_clEvEUliiE_EESt5arrayIPcLm2EEEEviT0_T1_, .Lfunc_end59-_ZN2at6native29vectorized_elementwise_kernelILi2ENS0_13BUnaryFunctorIiiiZZZNS0_18lshift_kernel_cudaERNS_18TensorIteratorBaseEENKUlvE_clEvENKUlvE1_clEvEUliiE_EESt5arrayIPcLm2EEEEviT0_T1_
                                        ; -- End function
	.set _ZN2at6native29vectorized_elementwise_kernelILi2ENS0_13BUnaryFunctorIiiiZZZNS0_18lshift_kernel_cudaERNS_18TensorIteratorBaseEENKUlvE_clEvENKUlvE1_clEvEUliiE_EESt5arrayIPcLm2EEEEviT0_T1_.num_vgpr, 9
	.set _ZN2at6native29vectorized_elementwise_kernelILi2ENS0_13BUnaryFunctorIiiiZZZNS0_18lshift_kernel_cudaERNS_18TensorIteratorBaseEENKUlvE_clEvENKUlvE1_clEvEUliiE_EESt5arrayIPcLm2EEEEviT0_T1_.num_agpr, 0
	.set _ZN2at6native29vectorized_elementwise_kernelILi2ENS0_13BUnaryFunctorIiiiZZZNS0_18lshift_kernel_cudaERNS_18TensorIteratorBaseEENKUlvE_clEvENKUlvE1_clEvEUliiE_EESt5arrayIPcLm2EEEEviT0_T1_.numbered_sgpr, 16
	.set _ZN2at6native29vectorized_elementwise_kernelILi2ENS0_13BUnaryFunctorIiiiZZZNS0_18lshift_kernel_cudaERNS_18TensorIteratorBaseEENKUlvE_clEvENKUlvE1_clEvEUliiE_EESt5arrayIPcLm2EEEEviT0_T1_.num_named_barrier, 0
	.set _ZN2at6native29vectorized_elementwise_kernelILi2ENS0_13BUnaryFunctorIiiiZZZNS0_18lshift_kernel_cudaERNS_18TensorIteratorBaseEENKUlvE_clEvENKUlvE1_clEvEUliiE_EESt5arrayIPcLm2EEEEviT0_T1_.private_seg_size, 0
	.set _ZN2at6native29vectorized_elementwise_kernelILi2ENS0_13BUnaryFunctorIiiiZZZNS0_18lshift_kernel_cudaERNS_18TensorIteratorBaseEENKUlvE_clEvENKUlvE1_clEvEUliiE_EESt5arrayIPcLm2EEEEviT0_T1_.uses_vcc, 1
	.set _ZN2at6native29vectorized_elementwise_kernelILi2ENS0_13BUnaryFunctorIiiiZZZNS0_18lshift_kernel_cudaERNS_18TensorIteratorBaseEENKUlvE_clEvENKUlvE1_clEvEUliiE_EESt5arrayIPcLm2EEEEviT0_T1_.uses_flat_scratch, 0
	.set _ZN2at6native29vectorized_elementwise_kernelILi2ENS0_13BUnaryFunctorIiiiZZZNS0_18lshift_kernel_cudaERNS_18TensorIteratorBaseEENKUlvE_clEvENKUlvE1_clEvEUliiE_EESt5arrayIPcLm2EEEEviT0_T1_.has_dyn_sized_stack, 0
	.set _ZN2at6native29vectorized_elementwise_kernelILi2ENS0_13BUnaryFunctorIiiiZZZNS0_18lshift_kernel_cudaERNS_18TensorIteratorBaseEENKUlvE_clEvENKUlvE1_clEvEUliiE_EESt5arrayIPcLm2EEEEviT0_T1_.has_recursion, 0
	.set _ZN2at6native29vectorized_elementwise_kernelILi2ENS0_13BUnaryFunctorIiiiZZZNS0_18lshift_kernel_cudaERNS_18TensorIteratorBaseEENKUlvE_clEvENKUlvE1_clEvEUliiE_EESt5arrayIPcLm2EEEEviT0_T1_.has_indirect_call, 0
	.section	.AMDGPU.csdata,"",@progbits
; Kernel info:
; codeLenInByte = 820
; TotalNumSgprs: 20
; NumVgprs: 9
; ScratchSize: 0
; MemoryBound: 0
; FloatMode: 240
; IeeeMode: 1
; LDSByteSize: 0 bytes/workgroup (compile time only)
; SGPRBlocks: 2
; VGPRBlocks: 2
; NumSGPRsForWavesPerEU: 20
; NumVGPRsForWavesPerEU: 9
; Occupancy: 10
; WaveLimiterHint : 1
; COMPUTE_PGM_RSRC2:SCRATCH_EN: 0
; COMPUTE_PGM_RSRC2:USER_SGPR: 6
; COMPUTE_PGM_RSRC2:TRAP_HANDLER: 0
; COMPUTE_PGM_RSRC2:TGID_X_EN: 1
; COMPUTE_PGM_RSRC2:TGID_Y_EN: 0
; COMPUTE_PGM_RSRC2:TGID_Z_EN: 0
; COMPUTE_PGM_RSRC2:TIDIG_COMP_CNT: 0
	.section	.text._ZN2at6native27unrolled_elementwise_kernelINS0_13BUnaryFunctorIiiiZZZNS0_18lshift_kernel_cudaERNS_18TensorIteratorBaseEENKUlvE_clEvENKUlvE1_clEvEUliiE_EESt5arrayIPcLm2EELi4E23TrivialOffsetCalculatorILi1EjESD_NS0_6memory15LoadWithoutCastENSE_16StoreWithoutCastEEEviT_T0_T2_T3_T4_T5_,"axG",@progbits,_ZN2at6native27unrolled_elementwise_kernelINS0_13BUnaryFunctorIiiiZZZNS0_18lshift_kernel_cudaERNS_18TensorIteratorBaseEENKUlvE_clEvENKUlvE1_clEvEUliiE_EESt5arrayIPcLm2EELi4E23TrivialOffsetCalculatorILi1EjESD_NS0_6memory15LoadWithoutCastENSE_16StoreWithoutCastEEEviT_T0_T2_T3_T4_T5_,comdat
	.globl	_ZN2at6native27unrolled_elementwise_kernelINS0_13BUnaryFunctorIiiiZZZNS0_18lshift_kernel_cudaERNS_18TensorIteratorBaseEENKUlvE_clEvENKUlvE1_clEvEUliiE_EESt5arrayIPcLm2EELi4E23TrivialOffsetCalculatorILi1EjESD_NS0_6memory15LoadWithoutCastENSE_16StoreWithoutCastEEEviT_T0_T2_T3_T4_T5_ ; -- Begin function _ZN2at6native27unrolled_elementwise_kernelINS0_13BUnaryFunctorIiiiZZZNS0_18lshift_kernel_cudaERNS_18TensorIteratorBaseEENKUlvE_clEvENKUlvE1_clEvEUliiE_EESt5arrayIPcLm2EELi4E23TrivialOffsetCalculatorILi1EjESD_NS0_6memory15LoadWithoutCastENSE_16StoreWithoutCastEEEviT_T0_T2_T3_T4_T5_
	.p2align	8
	.type	_ZN2at6native27unrolled_elementwise_kernelINS0_13BUnaryFunctorIiiiZZZNS0_18lshift_kernel_cudaERNS_18TensorIteratorBaseEENKUlvE_clEvENKUlvE1_clEvEUliiE_EESt5arrayIPcLm2EELi4E23TrivialOffsetCalculatorILi1EjESD_NS0_6memory15LoadWithoutCastENSE_16StoreWithoutCastEEEviT_T0_T2_T3_T4_T5_,@function
_ZN2at6native27unrolled_elementwise_kernelINS0_13BUnaryFunctorIiiiZZZNS0_18lshift_kernel_cudaERNS_18TensorIteratorBaseEENKUlvE_clEvENKUlvE1_clEvEUliiE_EESt5arrayIPcLm2EELi4E23TrivialOffsetCalculatorILi1EjESD_NS0_6memory15LoadWithoutCastENSE_16StoreWithoutCastEEEviT_T0_T2_T3_T4_T5_: ; @_ZN2at6native27unrolled_elementwise_kernelINS0_13BUnaryFunctorIiiiZZZNS0_18lshift_kernel_cudaERNS_18TensorIteratorBaseEENKUlvE_clEvENKUlvE1_clEvEUliiE_EESt5arrayIPcLm2EELi4E23TrivialOffsetCalculatorILi1EjESD_NS0_6memory15LoadWithoutCastENSE_16StoreWithoutCastEEEviT_T0_T2_T3_T4_T5_
; %bb.0:
	s_load_dword s0, s[4:5], 0x0
	s_load_dword s16, s[4:5], 0x8
	s_load_dwordx4 s[8:11], s[4:5], 0x10
	s_lshl_b32 s14, s6, 10
	v_mov_b32_e32 v4, 0
	s_waitcnt lgkmcnt(0)
	s_sub_i32 s15, s0, s14
	v_cmp_gt_i32_e32 vcc, s15, v0
	v_or_b32_e32 v5, 0x100, v0
	v_or_b32_e32 v1, s14, v0
	v_mov_b32_e32 v3, 0
	v_mov_b32_e32 v2, v4
	;; [unrolled: 1-line block ×3, first 2 shown]
	s_and_saveexec_b64 s[2:3], vcc
	s_cbranch_execz .LBB60_8
; %bb.1:
	v_mov_b32_e32 v2, 0
	v_lshlrev_b64 v[3:4], 2, v[1:2]
	v_mov_b32_e32 v6, s11
	v_add_co_u32_e64 v3, s[0:1], s10, v3
	v_addc_co_u32_e64 v4, s[0:1], v6, v4, s[0:1]
	global_load_dword v6, v[3:4], off
	v_cmp_gt_u32_e64 s[0:1], s15, v5
	v_mov_b32_e32 v3, v2
	v_mov_b32_e32 v4, v2
	s_and_saveexec_b64 s[4:5], s[0:1]
	s_cbranch_execz .LBB60_7
; %bb.2:
	v_add_u32_e32 v2, s14, v5
	v_mov_b32_e32 v3, 0
	v_lshlrev_b64 v[7:8], 2, v[2:3]
	v_mov_b32_e32 v2, s11
	v_add_co_u32_e64 v7, s[0:1], s10, v7
	v_addc_co_u32_e64 v8, s[0:1], v2, v8, s[0:1]
	global_load_dword v2, v[7:8], off
	v_or_b32_e32 v7, 0x200, v0
	v_cmp_gt_u32_e64 s[0:1], s15, v7
	v_mov_b32_e32 v4, v3
	s_and_saveexec_b64 s[6:7], s[0:1]
	s_cbranch_execz .LBB60_6
; %bb.3:
	v_add_u32_e32 v3, s14, v7
	v_mov_b32_e32 v4, 0
	v_lshlrev_b64 v[7:8], 2, v[3:4]
	v_mov_b32_e32 v3, s11
	v_add_co_u32_e64 v7, s[0:1], s10, v7
	v_addc_co_u32_e64 v8, s[0:1], v3, v8, s[0:1]
	global_load_dword v3, v[7:8], off
	v_or_b32_e32 v7, 0x300, v0
	v_cmp_gt_u32_e64 s[0:1], s15, v7
	s_and_saveexec_b64 s[12:13], s[0:1]
	s_cbranch_execz .LBB60_5
; %bb.4:
	v_add_u32_e32 v7, s14, v7
	v_mov_b32_e32 v8, 0
	v_lshlrev_b64 v[7:8], 2, v[7:8]
	v_mov_b32_e32 v4, s11
	v_add_co_u32_e64 v7, s[0:1], s10, v7
	v_addc_co_u32_e64 v8, s[0:1], v4, v8, s[0:1]
	global_load_dword v4, v[7:8], off
.LBB60_5:
	s_or_b64 exec, exec, s[12:13]
.LBB60_6:
	s_or_b64 exec, exec, s[6:7]
.LBB60_7:
	s_or_b64 exec, exec, s[4:5]
.LBB60_8:
	s_or_b64 exec, exec, s[2:3]
	s_cmp_gt_u32 s16, 31
	s_cselect_b64 s[2:3], -1, 0
	s_waitcnt vmcnt(0)
	v_lshlrev_b32_e32 v2, s16, v2
	v_cndmask_b32_e64 v2, v2, 0, s[2:3]
	v_cmp_gt_i32_e64 s[0:1], s15, v5
	v_lshlrev_b32_e32 v6, s16, v6
	v_cndmask_b32_e64 v7, 0, v2, s[0:1]
	v_or_b32_e32 v2, 0x200, v0
	v_lshlrev_b32_e32 v3, s16, v3
	v_cndmask_b32_e64 v6, v6, 0, s[2:3]
	v_cndmask_b32_e64 v3, v3, 0, s[2:3]
	v_cmp_gt_i32_e64 s[0:1], s15, v2
	v_cndmask_b32_e32 v8, 0, v6, vcc
	v_cndmask_b32_e64 v6, 0, v3, s[0:1]
	v_or_b32_e32 v2, 0x300, v0
	v_lshlrev_b32_e32 v3, s16, v4
	v_cndmask_b32_e64 v3, v3, 0, s[2:3]
	v_cmp_gt_i32_e64 s[0:1], s15, v2
	v_cndmask_b32_e64 v3, 0, v3, s[0:1]
	s_and_saveexec_b64 s[0:1], vcc
	s_cbranch_execnz .LBB60_13
; %bb.9:
	s_or_b64 exec, exec, s[0:1]
	v_cmp_gt_i32_e32 vcc, s15, v0
	s_and_saveexec_b64 s[0:1], vcc
	s_cbranch_execnz .LBB60_14
.LBB60_10:
	s_or_b64 exec, exec, s[0:1]
	v_cmp_gt_i32_e32 vcc, s15, v0
	s_and_saveexec_b64 s[0:1], vcc
	s_cbranch_execnz .LBB60_15
.LBB60_11:
	s_or_b64 exec, exec, s[0:1]
	v_cmp_gt_i32_e32 vcc, s15, v0
	s_and_saveexec_b64 s[0:1], vcc
	s_cbranch_execnz .LBB60_16
.LBB60_12:
	s_endpgm
.LBB60_13:
	v_mov_b32_e32 v2, 0
	v_lshlrev_b64 v[0:1], 2, v[1:2]
	v_mov_b32_e32 v2, s9
	v_add_co_u32_e32 v0, vcc, s8, v0
	v_addc_co_u32_e32 v1, vcc, v2, v1, vcc
	global_store_dword v[0:1], v8, off
	v_mov_b32_e32 v0, v5
	s_or_b64 exec, exec, s[0:1]
	v_cmp_gt_i32_e32 vcc, s15, v0
	s_and_saveexec_b64 s[0:1], vcc
	s_cbranch_execz .LBB60_10
.LBB60_14:
	v_add_u32_e32 v2, 0x100, v0
	v_add_u32_e32 v0, s14, v0
	v_mov_b32_e32 v1, 0
	v_lshlrev_b64 v[0:1], 2, v[0:1]
	v_mov_b32_e32 v4, s9
	v_add_co_u32_e32 v0, vcc, s8, v0
	v_addc_co_u32_e32 v1, vcc, v4, v1, vcc
	global_store_dword v[0:1], v7, off
	v_mov_b32_e32 v0, v2
	s_or_b64 exec, exec, s[0:1]
	v_cmp_gt_i32_e32 vcc, s15, v0
	s_and_saveexec_b64 s[0:1], vcc
	s_cbranch_execz .LBB60_11
.LBB60_15:
	v_add_u32_e32 v2, 0x100, v0
	v_add_u32_e32 v0, s14, v0
	v_mov_b32_e32 v1, 0
	v_lshlrev_b64 v[0:1], 2, v[0:1]
	v_mov_b32_e32 v4, s9
	v_add_co_u32_e32 v0, vcc, s8, v0
	v_addc_co_u32_e32 v1, vcc, v4, v1, vcc
	global_store_dword v[0:1], v6, off
	v_mov_b32_e32 v0, v2
	s_or_b64 exec, exec, s[0:1]
	v_cmp_gt_i32_e32 vcc, s15, v0
	s_and_saveexec_b64 s[0:1], vcc
	s_cbranch_execz .LBB60_12
.LBB60_16:
	v_add_u32_e32 v0, s14, v0
	v_mov_b32_e32 v1, 0
	v_lshlrev_b64 v[0:1], 2, v[0:1]
	v_mov_b32_e32 v2, s9
	v_add_co_u32_e32 v0, vcc, s8, v0
	v_addc_co_u32_e32 v1, vcc, v2, v1, vcc
	global_store_dword v[0:1], v3, off
	s_endpgm
	.section	.rodata,"a",@progbits
	.p2align	6, 0x0
	.amdhsa_kernel _ZN2at6native27unrolled_elementwise_kernelINS0_13BUnaryFunctorIiiiZZZNS0_18lshift_kernel_cudaERNS_18TensorIteratorBaseEENKUlvE_clEvENKUlvE1_clEvEUliiE_EESt5arrayIPcLm2EELi4E23TrivialOffsetCalculatorILi1EjESD_NS0_6memory15LoadWithoutCastENSE_16StoreWithoutCastEEEviT_T0_T2_T3_T4_T5_
		.amdhsa_group_segment_fixed_size 0
		.amdhsa_private_segment_fixed_size 0
		.amdhsa_kernarg_size 36
		.amdhsa_user_sgpr_count 6
		.amdhsa_user_sgpr_private_segment_buffer 1
		.amdhsa_user_sgpr_dispatch_ptr 0
		.amdhsa_user_sgpr_queue_ptr 0
		.amdhsa_user_sgpr_kernarg_segment_ptr 1
		.amdhsa_user_sgpr_dispatch_id 0
		.amdhsa_user_sgpr_flat_scratch_init 0
		.amdhsa_user_sgpr_private_segment_size 0
		.amdhsa_uses_dynamic_stack 0
		.amdhsa_system_sgpr_private_segment_wavefront_offset 0
		.amdhsa_system_sgpr_workgroup_id_x 1
		.amdhsa_system_sgpr_workgroup_id_y 0
		.amdhsa_system_sgpr_workgroup_id_z 0
		.amdhsa_system_sgpr_workgroup_info 0
		.amdhsa_system_vgpr_workitem_id 0
		.amdhsa_next_free_vgpr 9
		.amdhsa_next_free_sgpr 17
		.amdhsa_reserve_vcc 1
		.amdhsa_reserve_flat_scratch 0
		.amdhsa_float_round_mode_32 0
		.amdhsa_float_round_mode_16_64 0
		.amdhsa_float_denorm_mode_32 3
		.amdhsa_float_denorm_mode_16_64 3
		.amdhsa_dx10_clamp 1
		.amdhsa_ieee_mode 1
		.amdhsa_fp16_overflow 0
		.amdhsa_exception_fp_ieee_invalid_op 0
		.amdhsa_exception_fp_denorm_src 0
		.amdhsa_exception_fp_ieee_div_zero 0
		.amdhsa_exception_fp_ieee_overflow 0
		.amdhsa_exception_fp_ieee_underflow 0
		.amdhsa_exception_fp_ieee_inexact 0
		.amdhsa_exception_int_div_zero 0
	.end_amdhsa_kernel
	.section	.text._ZN2at6native27unrolled_elementwise_kernelINS0_13BUnaryFunctorIiiiZZZNS0_18lshift_kernel_cudaERNS_18TensorIteratorBaseEENKUlvE_clEvENKUlvE1_clEvEUliiE_EESt5arrayIPcLm2EELi4E23TrivialOffsetCalculatorILi1EjESD_NS0_6memory15LoadWithoutCastENSE_16StoreWithoutCastEEEviT_T0_T2_T3_T4_T5_,"axG",@progbits,_ZN2at6native27unrolled_elementwise_kernelINS0_13BUnaryFunctorIiiiZZZNS0_18lshift_kernel_cudaERNS_18TensorIteratorBaseEENKUlvE_clEvENKUlvE1_clEvEUliiE_EESt5arrayIPcLm2EELi4E23TrivialOffsetCalculatorILi1EjESD_NS0_6memory15LoadWithoutCastENSE_16StoreWithoutCastEEEviT_T0_T2_T3_T4_T5_,comdat
.Lfunc_end60:
	.size	_ZN2at6native27unrolled_elementwise_kernelINS0_13BUnaryFunctorIiiiZZZNS0_18lshift_kernel_cudaERNS_18TensorIteratorBaseEENKUlvE_clEvENKUlvE1_clEvEUliiE_EESt5arrayIPcLm2EELi4E23TrivialOffsetCalculatorILi1EjESD_NS0_6memory15LoadWithoutCastENSE_16StoreWithoutCastEEEviT_T0_T2_T3_T4_T5_, .Lfunc_end60-_ZN2at6native27unrolled_elementwise_kernelINS0_13BUnaryFunctorIiiiZZZNS0_18lshift_kernel_cudaERNS_18TensorIteratorBaseEENKUlvE_clEvENKUlvE1_clEvEUliiE_EESt5arrayIPcLm2EELi4E23TrivialOffsetCalculatorILi1EjESD_NS0_6memory15LoadWithoutCastENSE_16StoreWithoutCastEEEviT_T0_T2_T3_T4_T5_
                                        ; -- End function
	.set _ZN2at6native27unrolled_elementwise_kernelINS0_13BUnaryFunctorIiiiZZZNS0_18lshift_kernel_cudaERNS_18TensorIteratorBaseEENKUlvE_clEvENKUlvE1_clEvEUliiE_EESt5arrayIPcLm2EELi4E23TrivialOffsetCalculatorILi1EjESD_NS0_6memory15LoadWithoutCastENSE_16StoreWithoutCastEEEviT_T0_T2_T3_T4_T5_.num_vgpr, 9
	.set _ZN2at6native27unrolled_elementwise_kernelINS0_13BUnaryFunctorIiiiZZZNS0_18lshift_kernel_cudaERNS_18TensorIteratorBaseEENKUlvE_clEvENKUlvE1_clEvEUliiE_EESt5arrayIPcLm2EELi4E23TrivialOffsetCalculatorILi1EjESD_NS0_6memory15LoadWithoutCastENSE_16StoreWithoutCastEEEviT_T0_T2_T3_T4_T5_.num_agpr, 0
	.set _ZN2at6native27unrolled_elementwise_kernelINS0_13BUnaryFunctorIiiiZZZNS0_18lshift_kernel_cudaERNS_18TensorIteratorBaseEENKUlvE_clEvENKUlvE1_clEvEUliiE_EESt5arrayIPcLm2EELi4E23TrivialOffsetCalculatorILi1EjESD_NS0_6memory15LoadWithoutCastENSE_16StoreWithoutCastEEEviT_T0_T2_T3_T4_T5_.numbered_sgpr, 17
	.set _ZN2at6native27unrolled_elementwise_kernelINS0_13BUnaryFunctorIiiiZZZNS0_18lshift_kernel_cudaERNS_18TensorIteratorBaseEENKUlvE_clEvENKUlvE1_clEvEUliiE_EESt5arrayIPcLm2EELi4E23TrivialOffsetCalculatorILi1EjESD_NS0_6memory15LoadWithoutCastENSE_16StoreWithoutCastEEEviT_T0_T2_T3_T4_T5_.num_named_barrier, 0
	.set _ZN2at6native27unrolled_elementwise_kernelINS0_13BUnaryFunctorIiiiZZZNS0_18lshift_kernel_cudaERNS_18TensorIteratorBaseEENKUlvE_clEvENKUlvE1_clEvEUliiE_EESt5arrayIPcLm2EELi4E23TrivialOffsetCalculatorILi1EjESD_NS0_6memory15LoadWithoutCastENSE_16StoreWithoutCastEEEviT_T0_T2_T3_T4_T5_.private_seg_size, 0
	.set _ZN2at6native27unrolled_elementwise_kernelINS0_13BUnaryFunctorIiiiZZZNS0_18lshift_kernel_cudaERNS_18TensorIteratorBaseEENKUlvE_clEvENKUlvE1_clEvEUliiE_EESt5arrayIPcLm2EELi4E23TrivialOffsetCalculatorILi1EjESD_NS0_6memory15LoadWithoutCastENSE_16StoreWithoutCastEEEviT_T0_T2_T3_T4_T5_.uses_vcc, 1
	.set _ZN2at6native27unrolled_elementwise_kernelINS0_13BUnaryFunctorIiiiZZZNS0_18lshift_kernel_cudaERNS_18TensorIteratorBaseEENKUlvE_clEvENKUlvE1_clEvEUliiE_EESt5arrayIPcLm2EELi4E23TrivialOffsetCalculatorILi1EjESD_NS0_6memory15LoadWithoutCastENSE_16StoreWithoutCastEEEviT_T0_T2_T3_T4_T5_.uses_flat_scratch, 0
	.set _ZN2at6native27unrolled_elementwise_kernelINS0_13BUnaryFunctorIiiiZZZNS0_18lshift_kernel_cudaERNS_18TensorIteratorBaseEENKUlvE_clEvENKUlvE1_clEvEUliiE_EESt5arrayIPcLm2EELi4E23TrivialOffsetCalculatorILi1EjESD_NS0_6memory15LoadWithoutCastENSE_16StoreWithoutCastEEEviT_T0_T2_T3_T4_T5_.has_dyn_sized_stack, 0
	.set _ZN2at6native27unrolled_elementwise_kernelINS0_13BUnaryFunctorIiiiZZZNS0_18lshift_kernel_cudaERNS_18TensorIteratorBaseEENKUlvE_clEvENKUlvE1_clEvEUliiE_EESt5arrayIPcLm2EELi4E23TrivialOffsetCalculatorILi1EjESD_NS0_6memory15LoadWithoutCastENSE_16StoreWithoutCastEEEviT_T0_T2_T3_T4_T5_.has_recursion, 0
	.set _ZN2at6native27unrolled_elementwise_kernelINS0_13BUnaryFunctorIiiiZZZNS0_18lshift_kernel_cudaERNS_18TensorIteratorBaseEENKUlvE_clEvENKUlvE1_clEvEUliiE_EESt5arrayIPcLm2EELi4E23TrivialOffsetCalculatorILi1EjESD_NS0_6memory15LoadWithoutCastENSE_16StoreWithoutCastEEEviT_T0_T2_T3_T4_T5_.has_indirect_call, 0
	.section	.AMDGPU.csdata,"",@progbits
; Kernel info:
; codeLenInByte = 748
; TotalNumSgprs: 21
; NumVgprs: 9
; ScratchSize: 0
; MemoryBound: 0
; FloatMode: 240
; IeeeMode: 1
; LDSByteSize: 0 bytes/workgroup (compile time only)
; SGPRBlocks: 2
; VGPRBlocks: 2
; NumSGPRsForWavesPerEU: 21
; NumVGPRsForWavesPerEU: 9
; Occupancy: 10
; WaveLimiterHint : 0
; COMPUTE_PGM_RSRC2:SCRATCH_EN: 0
; COMPUTE_PGM_RSRC2:USER_SGPR: 6
; COMPUTE_PGM_RSRC2:TRAP_HANDLER: 0
; COMPUTE_PGM_RSRC2:TGID_X_EN: 1
; COMPUTE_PGM_RSRC2:TGID_Y_EN: 0
; COMPUTE_PGM_RSRC2:TGID_Z_EN: 0
; COMPUTE_PGM_RSRC2:TIDIG_COMP_CNT: 0
	.section	.text._ZN2at6native32elementwise_kernel_manual_unrollILi128ELi4EZNS0_22gpu_kernel_impl_nocastINS0_13BUnaryFunctorIiiiZZZNS0_18lshift_kernel_cudaERNS_18TensorIteratorBaseEENKUlvE_clEvENKUlvE1_clEvEUliiE_EEEEvS5_RKT_EUlibE_EEviT1_,"axG",@progbits,_ZN2at6native32elementwise_kernel_manual_unrollILi128ELi4EZNS0_22gpu_kernel_impl_nocastINS0_13BUnaryFunctorIiiiZZZNS0_18lshift_kernel_cudaERNS_18TensorIteratorBaseEENKUlvE_clEvENKUlvE1_clEvEUliiE_EEEEvS5_RKT_EUlibE_EEviT1_,comdat
	.globl	_ZN2at6native32elementwise_kernel_manual_unrollILi128ELi4EZNS0_22gpu_kernel_impl_nocastINS0_13BUnaryFunctorIiiiZZZNS0_18lshift_kernel_cudaERNS_18TensorIteratorBaseEENKUlvE_clEvENKUlvE1_clEvEUliiE_EEEEvS5_RKT_EUlibE_EEviT1_ ; -- Begin function _ZN2at6native32elementwise_kernel_manual_unrollILi128ELi4EZNS0_22gpu_kernel_impl_nocastINS0_13BUnaryFunctorIiiiZZZNS0_18lshift_kernel_cudaERNS_18TensorIteratorBaseEENKUlvE_clEvENKUlvE1_clEvEUliiE_EEEEvS5_RKT_EUlibE_EEviT1_
	.p2align	8
	.type	_ZN2at6native32elementwise_kernel_manual_unrollILi128ELi4EZNS0_22gpu_kernel_impl_nocastINS0_13BUnaryFunctorIiiiZZZNS0_18lshift_kernel_cudaERNS_18TensorIteratorBaseEENKUlvE_clEvENKUlvE1_clEvEUliiE_EEEEvS5_RKT_EUlibE_EEviT1_,@function
_ZN2at6native32elementwise_kernel_manual_unrollILi128ELi4EZNS0_22gpu_kernel_impl_nocastINS0_13BUnaryFunctorIiiiZZZNS0_18lshift_kernel_cudaERNS_18TensorIteratorBaseEENKUlvE_clEvENKUlvE1_clEvEUliiE_EEEEvS5_RKT_EUlibE_EEviT1_: ; @_ZN2at6native32elementwise_kernel_manual_unrollILi128ELi4EZNS0_22gpu_kernel_impl_nocastINS0_13BUnaryFunctorIiiiZZZNS0_18lshift_kernel_cudaERNS_18TensorIteratorBaseEENKUlvE_clEvENKUlvE1_clEvEUliiE_EEEEvS5_RKT_EUlibE_EEviT1_
; %bb.0:
	s_load_dword s58, s[4:5], 0x0
	s_load_dword s33, s[4:5], 0x8
	s_add_u32 s34, s4, 8
	s_addc_u32 s35, s5, 0
	v_lshl_or_b32 v7, s6, 9, v0
	v_or_b32_e32 v13, 0x180, v7
	s_waitcnt lgkmcnt(0)
	s_add_i32 s56, s33, -1
	s_cmp_gt_u32 s56, 1
	v_cmp_le_i32_e32 vcc, s58, v13
	s_cselect_b64 s[36:37], -1, 0
	s_and_saveexec_b64 s[0:1], vcc
	s_xor_b64 s[38:39], exec, s[0:1]
	s_cbranch_execz .LBB61_7
; %bb.1:
	s_load_dwordx4 s[20:23], s[34:35], 0x4
	s_load_dwordx2 s[42:43], s[34:35], 0x14
	s_load_dword s57, s[34:35], 0x15c
	s_cmp_lg_u32 s33, 0
	s_cselect_b64 s[48:49], -1, 0
	s_add_u32 s46, s34, 0xc4
	s_load_dwordx4 s[24:27], s[34:35], 0xc4
	s_load_dwordx4 s[16:19], s[34:35], 0x148
	s_addc_u32 s47, s35, 0
	s_min_u32 s59, s56, 15
	s_cmp_gt_u32 s33, 1
	s_cselect_b64 s[44:45], -1, 0
	s_waitcnt lgkmcnt(0)
	s_cmp_gt_u32 s57, 31
	s_cselect_b64 s[40:41], -1, 0
	v_cmp_gt_i32_e32 vcc, s58, v7
	s_and_saveexec_b64 s[50:51], vcc
	s_cbranch_execz .LBB61_14
; %bb.2:
	s_andn2_b64 vcc, exec, s[36:37]
	s_cbranch_vccnz .LBB61_21
; %bb.3:
	s_andn2_b64 vcc, exec, s[48:49]
	s_cbranch_vccnz .LBB61_73
; %bb.4:
	s_add_i32 s61, s59, 1
	s_cmp_eq_u32 s56, 2
	s_cbranch_scc1 .LBB61_75
; %bb.5:
	s_and_b32 s60, s61, 28
	v_mov_b32_e32 v2, 0
	s_mov_b32 s62, 0
	s_mov_b64 s[52:53], s[34:35]
	s_mov_b64 s[54:55], s[46:47]
	v_mov_b32_e32 v0, 0
	v_mov_b32_e32 v1, v7
.LBB61_6:                               ; =>This Inner Loop Header: Depth=1
	s_load_dwordx8 s[8:15], s[52:53], 0x4
	s_load_dwordx4 s[28:31], s[52:53], 0x24
	s_load_dwordx8 s[0:7], s[54:55], 0x0
	s_add_u32 s52, s52, 48
	s_addc_u32 s53, s53, 0
	s_waitcnt lgkmcnt(0)
	v_mul_hi_u32 v3, s9, v1
	s_add_i32 s62, s62, 4
	s_add_u32 s54, s54, 32
	s_addc_u32 s55, s55, 0
	v_add_u32_e32 v3, v1, v3
	v_lshrrev_b32_e32 v3, s10, v3
	v_mul_lo_u32 v4, v3, s8
	v_mul_hi_u32 v5, s12, v3
	s_cmp_lg_u32 s60, s62
	v_sub_u32_e32 v1, v1, v4
	v_add_u32_e32 v4, v3, v5
	v_mul_lo_u32 v5, v1, s0
	v_mul_lo_u32 v6, v1, s1
	v_lshrrev_b32_e32 v1, s13, v4
	v_mul_lo_u32 v4, v1, s11
	v_mul_hi_u32 v8, s15, v1
	v_sub_u32_e32 v3, v3, v4
	v_add_u32_e32 v4, v1, v8
	v_lshrrev_b32_e32 v4, s28, v4
	v_mul_hi_u32 v9, s30, v4
	v_mul_lo_u32 v10, v4, s14
	v_mul_lo_u32 v8, v3, s2
	;; [unrolled: 1-line block ×3, first 2 shown]
	v_sub_u32_e32 v10, v1, v10
	v_add_u32_e32 v1, v4, v9
	v_lshrrev_b32_e32 v1, s31, v1
	v_mul_lo_u32 v9, v1, s29
	v_mul_lo_u32 v11, v10, s4
	;; [unrolled: 1-line block ×3, first 2 shown]
	v_add3_u32 v0, v5, v0, v8
	v_sub_u32_e32 v4, v4, v9
	v_mul_lo_u32 v9, v4, s6
	v_mul_lo_u32 v4, v4, s7
	v_add3_u32 v2, v6, v2, v3
	v_add3_u32 v0, v11, v0, v9
	v_add3_u32 v2, v10, v2, v4
	s_cbranch_scc1 .LBB61_6
	s_branch .LBB61_76
.LBB61_7:
	s_andn2_saveexec_b64 s[0:1], s[38:39]
	s_cbranch_execz .LBB61_101
.LBB61_8:
	v_cndmask_b32_e64 v0, 0, 1, s[36:37]
	v_cmp_ne_u32_e64 s[0:1], 1, v0
	s_andn2_b64 vcc, exec, s[36:37]
	s_cbranch_vccnz .LBB61_20
; %bb.9:
	s_cmp_lg_u32 s33, 0
	s_mov_b32 s26, 0
	s_cbranch_scc0 .LBB61_23
; %bb.10:
	s_min_u32 s27, s56, 15
	s_add_i32 s27, s27, 1
	s_cmp_eq_u32 s56, 2
	s_cbranch_scc1 .LBB61_24
; %bb.11:
	s_and_b32 s26, s27, 28
	s_add_u32 s2, s34, 0xc4
	s_addc_u32 s3, s35, 0
	v_mov_b32_e32 v2, 0
	s_mov_b32 s28, 0
	s_mov_b64 s[24:25], s[34:35]
	v_mov_b32_e32 v0, 0
	v_mov_b32_e32 v1, v7
.LBB61_12:                              ; =>This Inner Loop Header: Depth=1
	s_load_dwordx8 s[12:19], s[24:25], 0x4
	s_load_dwordx4 s[20:23], s[24:25], 0x24
	s_load_dwordx8 s[4:11], s[2:3], 0x0
	s_add_u32 s24, s24, 48
	s_addc_u32 s25, s25, 0
	s_waitcnt lgkmcnt(0)
	v_mul_hi_u32 v3, s13, v1
	s_add_i32 s28, s28, 4
	s_add_u32 s2, s2, 32
	s_addc_u32 s3, s3, 0
	v_add_u32_e32 v3, v1, v3
	v_lshrrev_b32_e32 v3, s14, v3
	v_mul_lo_u32 v4, v3, s12
	v_mul_hi_u32 v5, s16, v3
	s_cmp_lg_u32 s26, s28
	v_sub_u32_e32 v1, v1, v4
	v_add_u32_e32 v4, v3, v5
	v_mul_lo_u32 v5, v1, s4
	v_mul_lo_u32 v6, v1, s5
	v_lshrrev_b32_e32 v1, s17, v4
	v_mul_lo_u32 v4, v1, s15
	v_mul_hi_u32 v8, s19, v1
	v_sub_u32_e32 v3, v3, v4
	v_add_u32_e32 v4, v1, v8
	v_lshrrev_b32_e32 v4, s20, v4
	v_mul_hi_u32 v9, s22, v4
	v_mul_lo_u32 v10, v4, s18
	v_mul_lo_u32 v8, v3, s6
	;; [unrolled: 1-line block ×3, first 2 shown]
	v_sub_u32_e32 v10, v1, v10
	v_add_u32_e32 v1, v4, v9
	v_lshrrev_b32_e32 v1, s23, v1
	v_mul_lo_u32 v9, v1, s21
	v_mul_lo_u32 v11, v10, s8
	v_mul_lo_u32 v10, v10, s9
	v_add3_u32 v0, v5, v0, v8
	v_sub_u32_e32 v4, v4, v9
	v_mul_lo_u32 v9, v4, s10
	v_mul_lo_u32 v4, v4, s11
	v_add3_u32 v2, v6, v2, v3
	v_add3_u32 v0, v11, v0, v9
	;; [unrolled: 1-line block ×3, first 2 shown]
	s_cbranch_scc1 .LBB61_12
; %bb.13:
	s_and_b32 s6, s27, 3
	s_cmp_eq_u32 s6, 0
	s_cbranch_scc0 .LBB61_25
	s_branch .LBB61_27
.LBB61_14:
	s_or_b64 exec, exec, s[50:51]
	v_cmp_gt_i32_e32 vcc, s58, v7
	s_and_saveexec_b64 s[50:51], vcc
	s_cbranch_execz .LBB61_83
.LBB61_15:
	s_andn2_b64 vcc, exec, s[36:37]
	s_cbranch_vccnz .LBB61_22
; %bb.16:
	s_andn2_b64 vcc, exec, s[48:49]
	s_cbranch_vccnz .LBB61_74
; %bb.17:
	s_add_i32 s61, s59, 1
	s_cmp_eq_u32 s56, 2
	s_cbranch_scc1 .LBB61_91
; %bb.18:
	s_and_b32 s60, s61, 28
	v_mov_b32_e32 v2, 0
	s_mov_b32 s62, 0
	s_mov_b64 s[52:53], s[34:35]
	s_mov_b64 s[54:55], s[46:47]
	v_mov_b32_e32 v0, 0
	v_mov_b32_e32 v1, v7
.LBB61_19:                              ; =>This Inner Loop Header: Depth=1
	s_load_dwordx8 s[8:15], s[52:53], 0x4
	s_load_dwordx4 s[28:31], s[52:53], 0x24
	s_load_dwordx8 s[0:7], s[54:55], 0x0
	s_add_u32 s52, s52, 48
	s_addc_u32 s53, s53, 0
	s_waitcnt lgkmcnt(0)
	v_mul_hi_u32 v3, s9, v1
	s_add_i32 s62, s62, 4
	s_add_u32 s54, s54, 32
	s_addc_u32 s55, s55, 0
	v_add_u32_e32 v3, v1, v3
	v_lshrrev_b32_e32 v3, s10, v3
	v_mul_lo_u32 v4, v3, s8
	v_mul_hi_u32 v5, s12, v3
	s_cmp_eq_u32 s60, s62
	v_sub_u32_e32 v1, v1, v4
	v_add_u32_e32 v4, v3, v5
	v_mul_lo_u32 v5, v1, s0
	v_mul_lo_u32 v6, v1, s1
	v_lshrrev_b32_e32 v1, s13, v4
	v_mul_lo_u32 v4, v1, s11
	v_mul_hi_u32 v8, s15, v1
	v_sub_u32_e32 v3, v3, v4
	v_add_u32_e32 v4, v1, v8
	v_lshrrev_b32_e32 v4, s28, v4
	v_mul_hi_u32 v9, s30, v4
	v_mul_lo_u32 v10, v4, s14
	v_mul_lo_u32 v8, v3, s2
	;; [unrolled: 1-line block ×3, first 2 shown]
	v_sub_u32_e32 v10, v1, v10
	v_add_u32_e32 v1, v4, v9
	v_lshrrev_b32_e32 v1, s31, v1
	v_mul_lo_u32 v9, v1, s29
	v_mul_lo_u32 v11, v10, s4
	;; [unrolled: 1-line block ×3, first 2 shown]
	v_add3_u32 v0, v5, v0, v8
	v_sub_u32_e32 v4, v4, v9
	v_mul_lo_u32 v9, v4, s6
	v_mul_lo_u32 v4, v4, s7
	v_add3_u32 v2, v6, v2, v3
	v_add3_u32 v0, v11, v0, v9
	;; [unrolled: 1-line block ×3, first 2 shown]
	s_cbranch_scc0 .LBB61_19
	s_branch .LBB61_92
.LBB61_20:
                                        ; implicit-def: $vgpr0
                                        ; implicit-def: $vgpr2
	s_branch .LBB61_28
.LBB61_21:
                                        ; implicit-def: $vgpr0
                                        ; implicit-def: $vgpr2
	s_branch .LBB61_80
.LBB61_22:
                                        ; implicit-def: $vgpr0
                                        ; implicit-def: $vgpr2
	s_branch .LBB61_96
.LBB61_23:
	v_mov_b32_e32 v0, 0
	v_mov_b32_e32 v2, 0
	s_branch .LBB61_27
.LBB61_24:
	v_mov_b32_e32 v0, 0
	v_mov_b32_e32 v2, 0
	v_mov_b32_e32 v1, v7
	s_and_b32 s6, s27, 3
	s_cmp_eq_u32 s6, 0
	s_cbranch_scc1 .LBB61_27
.LBB61_25:
	s_lshl_b32 s2, s26, 3
	s_add_u32 s2, s34, s2
	s_addc_u32 s3, s35, 0
	s_add_u32 s2, s2, 0xc4
	s_addc_u32 s3, s3, 0
	s_mul_i32 s4, s26, 12
	s_add_u32 s4, s34, s4
	s_addc_u32 s5, s35, 0
.LBB61_26:                              ; =>This Inner Loop Header: Depth=1
	s_load_dwordx2 s[8:9], s[4:5], 0x4
	s_load_dword s7, s[4:5], 0xc
	s_load_dwordx2 s[10:11], s[2:3], 0x0
	s_add_u32 s4, s4, 12
	s_addc_u32 s5, s5, 0
	s_waitcnt lgkmcnt(0)
	v_mul_hi_u32 v4, s9, v1
	s_add_u32 s2, s2, 8
	s_addc_u32 s3, s3, 0
	s_add_i32 s6, s6, -1
	v_add_u32_e32 v4, v1, v4
	v_lshrrev_b32_e32 v4, s7, v4
	v_mul_lo_u32 v5, v4, s8
	s_cmp_lg_u32 s6, 0
	v_sub_u32_e32 v5, v1, v5
	v_mad_u64_u32 v[0:1], s[8:9], v5, s10, v[0:1]
	v_mad_u64_u32 v[2:3], s[8:9], v5, s11, v[2:3]
	v_mov_b32_e32 v1, v4
	s_cbranch_scc1 .LBB61_26
.LBB61_27:
	s_cbranch_execnz .LBB61_30
.LBB61_28:
	s_load_dwordx4 s[4:7], s[34:35], 0x4
	s_load_dwordx2 s[2:3], s[34:35], 0xc4
	s_cmp_lt_u32 s33, 2
	s_waitcnt lgkmcnt(0)
	v_mul_hi_u32 v0, s5, v7
	v_add_u32_e32 v0, v7, v0
	v_lshrrev_b32_e32 v1, s6, v0
	v_mul_lo_u32 v0, v1, s4
	v_sub_u32_e32 v2, v7, v0
	v_mul_lo_u32 v0, v2, s2
	v_mul_lo_u32 v2, v2, s3
	s_cbranch_scc1 .LBB61_30
; %bb.29:
	s_load_dwordx4 s[4:7], s[34:35], 0x10
	s_load_dwordx2 s[2:3], s[34:35], 0xcc
	s_waitcnt lgkmcnt(0)
	v_mul_hi_u32 v3, s5, v1
	v_add_u32_e32 v3, v1, v3
	v_lshrrev_b32_e32 v3, s6, v3
	v_mul_lo_u32 v3, v3, s4
	v_sub_u32_e32 v3, v1, v3
	v_mad_u64_u32 v[0:1], s[4:5], v3, s2, v[0:1]
	v_mad_u64_u32 v[2:3], s[2:3], v3, s3, v[2:3]
.LBB61_30:
	s_and_b64 vcc, exec, s[0:1]
	v_add_u32_e32 v1, 0x80, v7
	s_cbranch_vccnz .LBB61_36
; %bb.31:
	s_cmp_lg_u32 s33, 0
	s_mov_b32 s26, 0
	s_cbranch_scc0 .LBB61_37
; %bb.32:
	s_min_u32 s27, s56, 15
	s_add_i32 s27, s27, 1
	s_cmp_eq_u32 s56, 2
	s_cbranch_scc1 .LBB61_38
; %bb.33:
	s_and_b32 s26, s27, 28
	s_add_u32 s2, s34, 0xc4
	s_addc_u32 s3, s35, 0
	v_mov_b32_e32 v5, 0
	s_mov_b32 s28, 0
	s_mov_b64 s[24:25], s[34:35]
	v_mov_b32_e32 v3, 0
	v_mov_b32_e32 v4, v1
.LBB61_34:                              ; =>This Inner Loop Header: Depth=1
	s_load_dwordx8 s[12:19], s[24:25], 0x4
	s_load_dwordx4 s[20:23], s[24:25], 0x24
	s_load_dwordx8 s[4:11], s[2:3], 0x0
	s_add_u32 s24, s24, 48
	s_addc_u32 s25, s25, 0
	s_waitcnt lgkmcnt(0)
	v_mul_hi_u32 v6, s13, v4
	s_add_i32 s28, s28, 4
	s_add_u32 s2, s2, 32
	s_addc_u32 s3, s3, 0
	v_add_u32_e32 v6, v4, v6
	v_lshrrev_b32_e32 v6, s14, v6
	v_mul_lo_u32 v8, v6, s12
	v_mul_hi_u32 v9, s16, v6
	s_cmp_lg_u32 s26, s28
	v_sub_u32_e32 v4, v4, v8
	v_add_u32_e32 v8, v6, v9
	v_mul_lo_u32 v9, v4, s4
	v_mul_lo_u32 v10, v4, s5
	v_lshrrev_b32_e32 v4, s17, v8
	v_mul_lo_u32 v8, v4, s15
	v_mul_hi_u32 v11, s19, v4
	v_sub_u32_e32 v6, v6, v8
	v_add_u32_e32 v8, v4, v11
	v_lshrrev_b32_e32 v8, s20, v8
	v_mul_hi_u32 v12, s22, v8
	v_mul_lo_u32 v14, v8, s18
	v_mul_lo_u32 v11, v6, s6
	;; [unrolled: 1-line block ×3, first 2 shown]
	v_sub_u32_e32 v14, v4, v14
	v_add_u32_e32 v4, v8, v12
	v_lshrrev_b32_e32 v4, s23, v4
	v_mul_lo_u32 v12, v4, s21
	v_mul_lo_u32 v15, v14, s8
	;; [unrolled: 1-line block ×3, first 2 shown]
	v_add3_u32 v3, v9, v3, v11
	v_sub_u32_e32 v8, v8, v12
	v_mul_lo_u32 v12, v8, s10
	v_mul_lo_u32 v8, v8, s11
	v_add3_u32 v5, v10, v5, v6
	v_add3_u32 v3, v15, v3, v12
	;; [unrolled: 1-line block ×3, first 2 shown]
	s_cbranch_scc1 .LBB61_34
; %bb.35:
	s_and_b32 s6, s27, 3
	s_cmp_eq_u32 s6, 0
	s_cbranch_scc0 .LBB61_39
	s_branch .LBB61_41
.LBB61_36:
                                        ; implicit-def: $vgpr3
                                        ; implicit-def: $vgpr5
	s_branch .LBB61_42
.LBB61_37:
	v_mov_b32_e32 v3, 0
	v_mov_b32_e32 v5, 0
	s_branch .LBB61_41
.LBB61_38:
	v_mov_b32_e32 v3, 0
	v_mov_b32_e32 v5, 0
	;; [unrolled: 1-line block ×3, first 2 shown]
	s_and_b32 s6, s27, 3
	s_cmp_eq_u32 s6, 0
	s_cbranch_scc1 .LBB61_41
.LBB61_39:
	s_lshl_b32 s2, s26, 3
	s_add_u32 s2, s34, s2
	s_addc_u32 s3, s35, 0
	s_add_u32 s2, s2, 0xc4
	s_addc_u32 s3, s3, 0
	s_mul_i32 s4, s26, 12
	s_add_u32 s4, s34, s4
	s_addc_u32 s5, s35, 0
.LBB61_40:                              ; =>This Inner Loop Header: Depth=1
	s_load_dwordx2 s[8:9], s[4:5], 0x4
	s_load_dword s7, s[4:5], 0xc
	s_load_dwordx2 s[10:11], s[2:3], 0x0
	s_add_u32 s4, s4, 12
	s_addc_u32 s5, s5, 0
	s_waitcnt lgkmcnt(0)
	v_mul_hi_u32 v8, s9, v4
	s_add_u32 s2, s2, 8
	s_addc_u32 s3, s3, 0
	s_add_i32 s6, s6, -1
	v_add_u32_e32 v8, v4, v8
	v_lshrrev_b32_e32 v8, s7, v8
	v_mul_lo_u32 v9, v8, s8
	s_cmp_lg_u32 s6, 0
	v_sub_u32_e32 v9, v4, v9
	v_mad_u64_u32 v[3:4], s[8:9], v9, s10, v[3:4]
	v_mad_u64_u32 v[5:6], s[8:9], v9, s11, v[5:6]
	v_mov_b32_e32 v4, v8
	s_cbranch_scc1 .LBB61_40
.LBB61_41:
	s_cbranch_execnz .LBB61_44
.LBB61_42:
	s_load_dwordx4 s[4:7], s[34:35], 0x4
	s_load_dwordx2 s[2:3], s[34:35], 0xc4
	s_cmp_lt_u32 s33, 2
	s_waitcnt lgkmcnt(0)
	v_mul_hi_u32 v3, s5, v1
	v_add_u32_e32 v3, v1, v3
	v_lshrrev_b32_e32 v4, s6, v3
	v_mul_lo_u32 v3, v4, s4
	v_sub_u32_e32 v1, v1, v3
	v_mul_lo_u32 v3, v1, s2
	v_mul_lo_u32 v5, v1, s3
	s_cbranch_scc1 .LBB61_44
; %bb.43:
	s_load_dwordx4 s[4:7], s[34:35], 0x10
	s_load_dwordx2 s[2:3], s[34:35], 0xcc
	s_waitcnt lgkmcnt(0)
	v_mul_hi_u32 v1, s5, v4
	v_add_u32_e32 v1, v4, v1
	v_lshrrev_b32_e32 v1, s6, v1
	v_mul_lo_u32 v1, v1, s4
	v_sub_u32_e32 v1, v4, v1
	v_mad_u64_u32 v[3:4], s[4:5], v1, s2, v[3:4]
	v_mad_u64_u32 v[5:6], s[2:3], v1, s3, v[5:6]
.LBB61_44:
	s_and_b64 vcc, exec, s[0:1]
	v_add_u32_e32 v1, 0x100, v7
	s_cbranch_vccnz .LBB61_50
; %bb.45:
	s_cmp_lg_u32 s33, 0
	s_mov_b32 s26, 0
	s_cbranch_scc0 .LBB61_51
; %bb.46:
	s_min_u32 s27, s56, 15
	s_add_i32 s27, s27, 1
	s_cmp_eq_u32 s56, 2
	s_cbranch_scc1 .LBB61_52
; %bb.47:
	s_and_b32 s26, s27, 28
	s_add_u32 s2, s34, 0xc4
	s_addc_u32 s3, s35, 0
	v_mov_b32_e32 v8, 0
	s_mov_b32 s28, 0
	s_mov_b64 s[24:25], s[34:35]
	v_mov_b32_e32 v6, 0
	v_mov_b32_e32 v4, v1
.LBB61_48:                              ; =>This Inner Loop Header: Depth=1
	s_load_dwordx8 s[12:19], s[24:25], 0x4
	s_load_dwordx4 s[20:23], s[24:25], 0x24
	s_load_dwordx8 s[4:11], s[2:3], 0x0
	s_add_u32 s24, s24, 48
	s_addc_u32 s25, s25, 0
	s_waitcnt lgkmcnt(0)
	v_mul_hi_u32 v7, s13, v4
	s_add_i32 s28, s28, 4
	s_add_u32 s2, s2, 32
	s_addc_u32 s3, s3, 0
	v_add_u32_e32 v7, v4, v7
	v_lshrrev_b32_e32 v7, s14, v7
	v_mul_lo_u32 v9, v7, s12
	v_mul_hi_u32 v10, s16, v7
	s_cmp_lg_u32 s26, s28
	v_sub_u32_e32 v4, v4, v9
	v_add_u32_e32 v9, v7, v10
	v_mul_lo_u32 v10, v4, s4
	v_mul_lo_u32 v11, v4, s5
	v_lshrrev_b32_e32 v4, s17, v9
	v_mul_lo_u32 v9, v4, s15
	v_mul_hi_u32 v12, s19, v4
	v_sub_u32_e32 v7, v7, v9
	v_add_u32_e32 v9, v4, v12
	v_lshrrev_b32_e32 v9, s20, v9
	v_mul_hi_u32 v14, s22, v9
	v_mul_lo_u32 v15, v9, s18
	v_mul_lo_u32 v12, v7, s6
	;; [unrolled: 1-line block ×3, first 2 shown]
	v_sub_u32_e32 v15, v4, v15
	v_add_u32_e32 v4, v9, v14
	v_lshrrev_b32_e32 v4, s23, v4
	v_mul_lo_u32 v14, v4, s21
	v_mul_lo_u32 v16, v15, s8
	;; [unrolled: 1-line block ×3, first 2 shown]
	v_add3_u32 v6, v10, v6, v12
	v_sub_u32_e32 v9, v9, v14
	v_mul_lo_u32 v14, v9, s10
	v_mul_lo_u32 v9, v9, s11
	v_add3_u32 v7, v11, v8, v7
	v_add3_u32 v6, v16, v6, v14
	;; [unrolled: 1-line block ×3, first 2 shown]
	s_cbranch_scc1 .LBB61_48
; %bb.49:
	s_and_b32 s6, s27, 3
	s_cmp_eq_u32 s6, 0
	s_cbranch_scc0 .LBB61_53
	s_branch .LBB61_55
.LBB61_50:
                                        ; implicit-def: $vgpr6
                                        ; implicit-def: $vgpr8
	s_branch .LBB61_56
.LBB61_51:
	v_mov_b32_e32 v6, 0
	v_mov_b32_e32 v8, 0
	s_branch .LBB61_55
.LBB61_52:
	v_mov_b32_e32 v6, 0
	v_mov_b32_e32 v8, 0
	;; [unrolled: 1-line block ×3, first 2 shown]
	s_and_b32 s6, s27, 3
	s_cmp_eq_u32 s6, 0
	s_cbranch_scc1 .LBB61_55
.LBB61_53:
	s_lshl_b32 s2, s26, 3
	s_add_u32 s2, s34, s2
	s_addc_u32 s3, s35, 0
	s_add_u32 s2, s2, 0xc4
	s_addc_u32 s3, s3, 0
	s_mul_i32 s4, s26, 12
	s_add_u32 s4, s34, s4
	s_addc_u32 s5, s35, 0
.LBB61_54:                              ; =>This Inner Loop Header: Depth=1
	s_load_dwordx2 s[8:9], s[4:5], 0x4
	s_load_dword s7, s[4:5], 0xc
	s_load_dwordx2 s[10:11], s[2:3], 0x0
	s_add_u32 s4, s4, 12
	s_addc_u32 s5, s5, 0
	s_waitcnt lgkmcnt(0)
	v_mul_hi_u32 v7, s9, v4
	s_add_u32 s2, s2, 8
	s_addc_u32 s3, s3, 0
	s_add_i32 s6, s6, -1
	v_add_u32_e32 v7, v4, v7
	v_lshrrev_b32_e32 v10, s7, v7
	v_mul_lo_u32 v7, v10, s8
	s_cmp_lg_u32 s6, 0
	v_sub_u32_e32 v4, v4, v7
	v_mad_u64_u32 v[6:7], s[8:9], v4, s10, v[6:7]
	v_mad_u64_u32 v[8:9], s[8:9], v4, s11, v[8:9]
	v_mov_b32_e32 v4, v10
	s_cbranch_scc1 .LBB61_54
.LBB61_55:
	s_cbranch_execnz .LBB61_58
.LBB61_56:
	s_load_dwordx4 s[4:7], s[34:35], 0x4
	s_load_dwordx2 s[2:3], s[34:35], 0xc4
	s_cmp_lt_u32 s33, 2
	s_waitcnt lgkmcnt(0)
	v_mul_hi_u32 v4, s5, v1
	v_add_u32_e32 v4, v1, v4
	v_lshrrev_b32_e32 v4, s6, v4
	v_mul_lo_u32 v6, v4, s4
	v_sub_u32_e32 v1, v1, v6
	v_mul_lo_u32 v6, v1, s2
	v_mul_lo_u32 v8, v1, s3
	s_cbranch_scc1 .LBB61_58
; %bb.57:
	s_load_dwordx4 s[4:7], s[34:35], 0x10
	s_load_dwordx2 s[2:3], s[34:35], 0xcc
	s_waitcnt lgkmcnt(0)
	v_mul_hi_u32 v1, s5, v4
	v_add_u32_e32 v1, v4, v1
	v_lshrrev_b32_e32 v1, s6, v1
	v_mul_lo_u32 v1, v1, s4
	v_sub_u32_e32 v1, v4, v1
	v_mad_u64_u32 v[6:7], s[4:5], v1, s2, v[6:7]
	v_mad_u64_u32 v[8:9], s[2:3], v1, s3, v[8:9]
.LBB61_58:
	s_and_b64 vcc, exec, s[0:1]
	s_cbranch_vccnz .LBB61_64
; %bb.59:
	s_cmp_lg_u32 s33, 0
	s_mov_b32 s24, 0
	s_cbranch_scc0 .LBB61_65
; %bb.60:
	s_min_u32 s25, s56, 15
	s_add_i32 s25, s25, 1
	s_cmp_eq_u32 s56, 2
	s_cbranch_scc1 .LBB61_66
; %bb.61:
	s_and_b32 s24, s25, 28
	s_add_u32 s20, s34, 0xc4
	s_addc_u32 s21, s35, 0
	v_mov_b32_e32 v11, 0
	s_mov_b32 s26, 0
	s_mov_b64 s[22:23], s[34:35]
	v_mov_b32_e32 v9, 0
	v_mov_b32_e32 v1, v13
.LBB61_62:                              ; =>This Inner Loop Header: Depth=1
	s_load_dwordx8 s[8:15], s[22:23], 0x4
	s_load_dwordx4 s[16:19], s[22:23], 0x24
	s_load_dwordx8 s[0:7], s[20:21], 0x0
	s_add_u32 s22, s22, 48
	s_addc_u32 s23, s23, 0
	s_waitcnt lgkmcnt(0)
	v_mul_hi_u32 v4, s9, v1
	s_add_i32 s26, s26, 4
	s_add_u32 s20, s20, 32
	s_addc_u32 s21, s21, 0
	v_add_u32_e32 v4, v1, v4
	v_lshrrev_b32_e32 v4, s10, v4
	v_mul_lo_u32 v7, v4, s8
	v_mul_hi_u32 v10, s12, v4
	s_cmp_lg_u32 s24, s26
	v_sub_u32_e32 v1, v1, v7
	v_add_u32_e32 v7, v4, v10
	v_mul_lo_u32 v10, v1, s0
	v_mul_lo_u32 v12, v1, s1
	v_lshrrev_b32_e32 v1, s13, v7
	v_mul_lo_u32 v7, v1, s11
	v_mul_hi_u32 v14, s15, v1
	v_sub_u32_e32 v4, v4, v7
	v_add_u32_e32 v7, v1, v14
	v_lshrrev_b32_e32 v7, s16, v7
	v_mul_hi_u32 v15, s18, v7
	v_mul_lo_u32 v16, v7, s14
	v_mul_lo_u32 v14, v4, s2
	;; [unrolled: 1-line block ×3, first 2 shown]
	v_sub_u32_e32 v16, v1, v16
	v_add_u32_e32 v1, v7, v15
	v_lshrrev_b32_e32 v1, s19, v1
	v_mul_lo_u32 v15, v1, s17
	v_mul_lo_u32 v17, v16, s4
	v_mul_lo_u32 v16, v16, s5
	v_add3_u32 v9, v10, v9, v14
	v_sub_u32_e32 v7, v7, v15
	v_mul_lo_u32 v15, v7, s6
	v_mul_lo_u32 v7, v7, s7
	v_add3_u32 v4, v12, v11, v4
	v_add3_u32 v9, v17, v9, v15
	;; [unrolled: 1-line block ×3, first 2 shown]
	s_cbranch_scc1 .LBB61_62
; %bb.63:
	s_and_b32 s4, s25, 3
	s_cmp_eq_u32 s4, 0
	s_cbranch_scc0 .LBB61_67
	s_branch .LBB61_69
.LBB61_64:
                                        ; implicit-def: $vgpr9
                                        ; implicit-def: $vgpr11
	s_branch .LBB61_70
.LBB61_65:
	v_mov_b32_e32 v9, 0
	v_mov_b32_e32 v11, 0
	s_branch .LBB61_69
.LBB61_66:
	v_mov_b32_e32 v9, 0
	v_mov_b32_e32 v11, 0
	;; [unrolled: 1-line block ×3, first 2 shown]
	s_and_b32 s4, s25, 3
	s_cmp_eq_u32 s4, 0
	s_cbranch_scc1 .LBB61_69
.LBB61_67:
	s_lshl_b32 s0, s24, 3
	s_add_u32 s0, s34, s0
	s_addc_u32 s1, s35, 0
	s_add_u32 s0, s0, 0xc4
	s_addc_u32 s1, s1, 0
	s_mul_i32 s2, s24, 12
	s_add_u32 s2, s34, s2
	s_addc_u32 s3, s35, 0
.LBB61_68:                              ; =>This Inner Loop Header: Depth=1
	s_load_dwordx2 s[6:7], s[2:3], 0x4
	s_load_dword s5, s[2:3], 0xc
	s_load_dwordx2 s[8:9], s[0:1], 0x0
	s_add_u32 s2, s2, 12
	s_addc_u32 s3, s3, 0
	s_waitcnt lgkmcnt(0)
	v_mul_hi_u32 v4, s7, v1
	s_add_u32 s0, s0, 8
	s_addc_u32 s1, s1, 0
	s_add_i32 s4, s4, -1
	v_add_u32_e32 v4, v1, v4
	v_lshrrev_b32_e32 v4, s5, v4
	v_mul_lo_u32 v7, v4, s6
	s_cmp_lg_u32 s4, 0
	v_sub_u32_e32 v1, v1, v7
	v_mad_u64_u32 v[9:10], s[6:7], v1, s8, v[9:10]
	v_mad_u64_u32 v[11:12], s[6:7], v1, s9, v[11:12]
	v_mov_b32_e32 v1, v4
	s_cbranch_scc1 .LBB61_68
.LBB61_69:
	s_cbranch_execnz .LBB61_72
.LBB61_70:
	s_load_dwordx4 s[0:3], s[34:35], 0x4
	s_load_dwordx2 s[4:5], s[34:35], 0xc4
	s_cmp_lt_u32 s33, 2
	s_waitcnt lgkmcnt(0)
	v_mul_hi_u32 v1, s1, v13
	v_add_u32_e32 v1, v13, v1
	v_lshrrev_b32_e32 v1, s2, v1
	v_mul_lo_u32 v4, v1, s0
	v_sub_u32_e32 v4, v13, v4
	v_mul_lo_u32 v9, v4, s4
	v_mul_lo_u32 v11, v4, s5
	s_cbranch_scc1 .LBB61_72
; %bb.71:
	s_load_dwordx4 s[0:3], s[34:35], 0x10
	s_load_dwordx2 s[4:5], s[34:35], 0xcc
	s_waitcnt lgkmcnt(0)
	v_mul_hi_u32 v4, s1, v1
	v_add_u32_e32 v4, v1, v4
	v_lshrrev_b32_e32 v4, s2, v4
	v_mul_lo_u32 v4, v4, s0
	v_sub_u32_e32 v1, v1, v4
	v_mad_u64_u32 v[9:10], s[0:1], v1, s4, v[9:10]
	v_mad_u64_u32 v[11:12], s[0:1], v1, s5, v[11:12]
.LBB61_72:
	s_load_dwordx4 s[0:3], s[34:35], 0x148
	s_load_dword s4, s[34:35], 0x15c
	s_waitcnt lgkmcnt(0)
	global_load_dword v1, v2, s[2:3]
	global_load_dword v4, v5, s[2:3]
	;; [unrolled: 1-line block ×4, first 2 shown]
	s_cmp_gt_u32 s4, 31
	s_cselect_b64 s[2:3], -1, 0
	s_waitcnt vmcnt(3)
	v_lshlrev_b32_e32 v1, s4, v1
	s_waitcnt vmcnt(2)
	v_lshlrev_b32_e32 v2, s4, v4
	;; [unrolled: 2-line block ×4, first 2 shown]
	v_cndmask_b32_e64 v1, v1, 0, s[2:3]
	v_cndmask_b32_e64 v2, v2, 0, s[2:3]
	;; [unrolled: 1-line block ×4, first 2 shown]
	global_store_dword v0, v1, s[0:1]
	global_store_dword v3, v2, s[0:1]
	;; [unrolled: 1-line block ×4, first 2 shown]
	s_endpgm
.LBB61_73:
	v_mov_b32_e32 v0, 0
	v_mov_b32_e32 v2, 0
	s_branch .LBB61_79
.LBB61_74:
	v_mov_b32_e32 v0, 0
	v_mov_b32_e32 v2, 0
	s_branch .LBB61_95
.LBB61_75:
	s_mov_b32 s60, 0
	v_mov_b32_e32 v0, 0
	v_mov_b32_e32 v2, 0
	;; [unrolled: 1-line block ×3, first 2 shown]
.LBB61_76:
	s_and_b32 s4, s61, 3
	s_cmp_eq_u32 s4, 0
	s_cbranch_scc1 .LBB61_79
; %bb.77:
	s_lshl_b32 s0, s60, 3
	s_add_u32 s0, s34, s0
	s_addc_u32 s1, s35, 0
	s_add_u32 s0, s0, 0xc4
	s_addc_u32 s1, s1, 0
	s_mul_i32 s2, s60, 12
	s_add_u32 s2, s34, s2
	s_addc_u32 s3, s35, 0
.LBB61_78:                              ; =>This Inner Loop Header: Depth=1
	s_load_dwordx2 s[6:7], s[2:3], 0x4
	s_load_dword s5, s[2:3], 0xc
	s_load_dwordx2 s[8:9], s[0:1], 0x0
	s_add_u32 s2, s2, 12
	s_addc_u32 s3, s3, 0
	s_waitcnt lgkmcnt(0)
	v_mul_hi_u32 v3, s7, v1
	s_add_u32 s0, s0, 8
	s_addc_u32 s1, s1, 0
	s_add_i32 s4, s4, -1
	v_add_u32_e32 v3, v1, v3
	v_lshrrev_b32_e32 v4, s5, v3
	v_mul_lo_u32 v3, v4, s6
	s_cmp_lg_u32 s4, 0
	v_sub_u32_e32 v3, v1, v3
	v_mad_u64_u32 v[0:1], s[6:7], v3, s8, v[0:1]
	v_mad_u64_u32 v[2:3], s[6:7], v3, s9, v[2:3]
	v_mov_b32_e32 v1, v4
	s_cbranch_scc1 .LBB61_78
.LBB61_79:
	s_cbranch_execnz .LBB61_82
.LBB61_80:
	v_mul_hi_u32 v0, s21, v7
	s_andn2_b64 vcc, exec, s[44:45]
	v_add_u32_e32 v0, v7, v0
	v_lshrrev_b32_e32 v1, s22, v0
	v_mul_lo_u32 v0, v1, s20
	v_sub_u32_e32 v2, v7, v0
	v_mul_lo_u32 v0, v2, s24
	v_mul_lo_u32 v2, v2, s25
	s_cbranch_vccnz .LBB61_82
; %bb.81:
	v_mul_hi_u32 v3, s42, v1
	v_add_u32_e32 v3, v1, v3
	v_lshrrev_b32_e32 v3, s43, v3
	v_mul_lo_u32 v3, v3, s23
	v_sub_u32_e32 v3, v1, v3
	v_mad_u64_u32 v[0:1], s[0:1], v3, s26, v[0:1]
	v_mad_u64_u32 v[2:3], s[0:1], v3, s27, v[2:3]
.LBB61_82:
	global_load_dword v1, v2, s[18:19]
	v_add_u32_e32 v7, 0x80, v7
	s_waitcnt vmcnt(0)
	v_lshlrev_b32_e32 v1, s57, v1
	v_cndmask_b32_e64 v1, v1, 0, s[40:41]
	global_store_dword v0, v1, s[16:17]
	s_or_b64 exec, exec, s[50:51]
	v_cmp_gt_i32_e32 vcc, s58, v7
	s_and_saveexec_b64 s[50:51], vcc
	s_cbranch_execnz .LBB61_15
.LBB61_83:
	s_or_b64 exec, exec, s[50:51]
	v_cmp_gt_i32_e32 vcc, s58, v7
	s_and_saveexec_b64 s[50:51], vcc
	s_cbranch_execz .LBB61_99
.LBB61_84:
	s_andn2_b64 vcc, exec, s[36:37]
	s_cbranch_vccnz .LBB61_89
; %bb.85:
	s_andn2_b64 vcc, exec, s[48:49]
	s_cbranch_vccnz .LBB61_90
; %bb.86:
	s_add_i32 s61, s59, 1
	s_cmp_eq_u32 s56, 2
	s_cbranch_scc1 .LBB61_102
; %bb.87:
	s_and_b32 s60, s61, 28
	v_mov_b32_e32 v2, 0
	s_mov_b32 s62, 0
	s_mov_b64 s[52:53], s[34:35]
	s_mov_b64 s[54:55], s[46:47]
	v_mov_b32_e32 v0, 0
	v_mov_b32_e32 v1, v7
.LBB61_88:                              ; =>This Inner Loop Header: Depth=1
	s_load_dwordx8 s[8:15], s[52:53], 0x4
	s_load_dwordx4 s[28:31], s[52:53], 0x24
	s_load_dwordx8 s[0:7], s[54:55], 0x0
	s_add_u32 s52, s52, 48
	s_addc_u32 s53, s53, 0
	s_waitcnt lgkmcnt(0)
	v_mul_hi_u32 v3, s9, v1
	s_add_i32 s62, s62, 4
	s_add_u32 s54, s54, 32
	s_addc_u32 s55, s55, 0
	v_add_u32_e32 v3, v1, v3
	v_lshrrev_b32_e32 v3, s10, v3
	v_mul_lo_u32 v4, v3, s8
	v_mul_hi_u32 v5, s12, v3
	s_cmp_eq_u32 s60, s62
	v_sub_u32_e32 v1, v1, v4
	v_add_u32_e32 v4, v3, v5
	v_mul_lo_u32 v5, v1, s0
	v_mul_lo_u32 v6, v1, s1
	v_lshrrev_b32_e32 v1, s13, v4
	v_mul_lo_u32 v4, v1, s11
	v_mul_hi_u32 v8, s15, v1
	v_sub_u32_e32 v3, v3, v4
	v_add_u32_e32 v4, v1, v8
	v_lshrrev_b32_e32 v4, s28, v4
	v_mul_hi_u32 v9, s30, v4
	v_mul_lo_u32 v10, v4, s14
	v_mul_lo_u32 v8, v3, s2
	;; [unrolled: 1-line block ×3, first 2 shown]
	v_sub_u32_e32 v10, v1, v10
	v_add_u32_e32 v1, v4, v9
	v_lshrrev_b32_e32 v1, s31, v1
	v_mul_lo_u32 v9, v1, s29
	v_mul_lo_u32 v11, v10, s4
	;; [unrolled: 1-line block ×3, first 2 shown]
	v_add3_u32 v0, v5, v0, v8
	v_sub_u32_e32 v4, v4, v9
	v_mul_lo_u32 v9, v4, s6
	v_mul_lo_u32 v4, v4, s7
	v_add3_u32 v2, v6, v2, v3
	v_add3_u32 v0, v11, v0, v9
	;; [unrolled: 1-line block ×3, first 2 shown]
	s_cbranch_scc0 .LBB61_88
	s_branch .LBB61_103
.LBB61_89:
                                        ; implicit-def: $vgpr0
                                        ; implicit-def: $vgpr2
	s_branch .LBB61_107
.LBB61_90:
	v_mov_b32_e32 v0, 0
	v_mov_b32_e32 v2, 0
	s_branch .LBB61_106
.LBB61_91:
	s_mov_b32 s60, 0
	v_mov_b32_e32 v0, 0
	v_mov_b32_e32 v2, 0
	;; [unrolled: 1-line block ×3, first 2 shown]
.LBB61_92:
	s_and_b32 s4, s61, 3
	s_cmp_eq_u32 s4, 0
	s_cbranch_scc1 .LBB61_95
; %bb.93:
	s_lshl_b32 s0, s60, 3
	s_add_u32 s0, s34, s0
	s_addc_u32 s1, s35, 0
	s_add_u32 s0, s0, 0xc4
	s_addc_u32 s1, s1, 0
	s_mul_i32 s2, s60, 12
	s_add_u32 s2, s34, s2
	s_addc_u32 s3, s35, 0
.LBB61_94:                              ; =>This Inner Loop Header: Depth=1
	s_load_dwordx2 s[6:7], s[2:3], 0x4
	s_load_dword s5, s[2:3], 0xc
	s_load_dwordx2 s[8:9], s[0:1], 0x0
	s_add_u32 s2, s2, 12
	s_addc_u32 s3, s3, 0
	s_waitcnt lgkmcnt(0)
	v_mul_hi_u32 v3, s7, v1
	s_add_u32 s0, s0, 8
	s_addc_u32 s1, s1, 0
	s_add_i32 s4, s4, -1
	v_add_u32_e32 v3, v1, v3
	v_lshrrev_b32_e32 v4, s5, v3
	v_mul_lo_u32 v3, v4, s6
	s_cmp_lg_u32 s4, 0
	v_sub_u32_e32 v3, v1, v3
	v_mad_u64_u32 v[0:1], s[6:7], v3, s8, v[0:1]
	v_mad_u64_u32 v[2:3], s[6:7], v3, s9, v[2:3]
	v_mov_b32_e32 v1, v4
	s_cbranch_scc1 .LBB61_94
.LBB61_95:
	s_cbranch_execnz .LBB61_98
.LBB61_96:
	v_mul_hi_u32 v0, s21, v7
	s_andn2_b64 vcc, exec, s[44:45]
	v_add_u32_e32 v0, v7, v0
	v_lshrrev_b32_e32 v1, s22, v0
	v_mul_lo_u32 v0, v1, s20
	v_sub_u32_e32 v2, v7, v0
	v_mul_lo_u32 v0, v2, s24
	v_mul_lo_u32 v2, v2, s25
	s_cbranch_vccnz .LBB61_98
; %bb.97:
	v_mul_hi_u32 v3, s42, v1
	v_add_u32_e32 v3, v1, v3
	v_lshrrev_b32_e32 v3, s43, v3
	v_mul_lo_u32 v3, v3, s23
	v_sub_u32_e32 v3, v1, v3
	v_mad_u64_u32 v[0:1], s[0:1], v3, s26, v[0:1]
	v_mad_u64_u32 v[2:3], s[0:1], v3, s27, v[2:3]
.LBB61_98:
	global_load_dword v1, v2, s[18:19]
	v_add_u32_e32 v7, 0x80, v7
	s_waitcnt vmcnt(0)
	v_lshlrev_b32_e32 v1, s57, v1
	v_cndmask_b32_e64 v1, v1, 0, s[40:41]
	global_store_dword v0, v1, s[16:17]
	s_or_b64 exec, exec, s[50:51]
	v_cmp_gt_i32_e32 vcc, s58, v7
	s_and_saveexec_b64 s[50:51], vcc
	s_cbranch_execnz .LBB61_84
.LBB61_99:
	s_or_b64 exec, exec, s[50:51]
	v_cmp_gt_i32_e32 vcc, s58, v7
	s_and_saveexec_b64 s[50:51], vcc
	s_cbranch_execnz .LBB61_110
.LBB61_100:
	s_or_b64 exec, exec, s[50:51]
                                        ; implicit-def: $vgpr13
                                        ; implicit-def: $vgpr7
	s_andn2_saveexec_b64 s[0:1], s[38:39]
	s_cbranch_execnz .LBB61_8
.LBB61_101:
	s_endpgm
.LBB61_102:
	s_mov_b32 s60, 0
	v_mov_b32_e32 v0, 0
	v_mov_b32_e32 v2, 0
	;; [unrolled: 1-line block ×3, first 2 shown]
.LBB61_103:
	s_and_b32 s4, s61, 3
	s_cmp_eq_u32 s4, 0
	s_cbranch_scc1 .LBB61_106
; %bb.104:
	s_lshl_b32 s0, s60, 3
	s_add_u32 s0, s34, s0
	s_addc_u32 s1, s35, 0
	s_add_u32 s0, s0, 0xc4
	s_addc_u32 s1, s1, 0
	s_mul_i32 s2, s60, 12
	s_add_u32 s2, s34, s2
	s_addc_u32 s3, s35, 0
.LBB61_105:                             ; =>This Inner Loop Header: Depth=1
	s_load_dwordx2 s[6:7], s[2:3], 0x4
	s_load_dword s5, s[2:3], 0xc
	s_load_dwordx2 s[8:9], s[0:1], 0x0
	s_add_u32 s2, s2, 12
	s_addc_u32 s3, s3, 0
	s_waitcnt lgkmcnt(0)
	v_mul_hi_u32 v3, s7, v1
	s_add_u32 s0, s0, 8
	s_addc_u32 s1, s1, 0
	s_add_i32 s4, s4, -1
	v_add_u32_e32 v3, v1, v3
	v_lshrrev_b32_e32 v4, s5, v3
	v_mul_lo_u32 v3, v4, s6
	s_cmp_lg_u32 s4, 0
	v_sub_u32_e32 v3, v1, v3
	v_mad_u64_u32 v[0:1], s[6:7], v3, s8, v[0:1]
	v_mad_u64_u32 v[2:3], s[6:7], v3, s9, v[2:3]
	v_mov_b32_e32 v1, v4
	s_cbranch_scc1 .LBB61_105
.LBB61_106:
	s_cbranch_execnz .LBB61_109
.LBB61_107:
	v_mul_hi_u32 v0, s21, v7
	s_andn2_b64 vcc, exec, s[44:45]
	v_add_u32_e32 v0, v7, v0
	v_lshrrev_b32_e32 v1, s22, v0
	v_mul_lo_u32 v0, v1, s20
	v_sub_u32_e32 v2, v7, v0
	v_mul_lo_u32 v0, v2, s24
	v_mul_lo_u32 v2, v2, s25
	s_cbranch_vccnz .LBB61_109
; %bb.108:
	v_mul_hi_u32 v3, s42, v1
	v_add_u32_e32 v3, v1, v3
	v_lshrrev_b32_e32 v3, s43, v3
	v_mul_lo_u32 v3, v3, s23
	v_sub_u32_e32 v3, v1, v3
	v_mad_u64_u32 v[0:1], s[0:1], v3, s26, v[0:1]
	v_mad_u64_u32 v[2:3], s[0:1], v3, s27, v[2:3]
.LBB61_109:
	global_load_dword v1, v2, s[18:19]
	v_add_u32_e32 v7, 0x80, v7
	s_waitcnt vmcnt(0)
	v_lshlrev_b32_e32 v1, s57, v1
	v_cndmask_b32_e64 v1, v1, 0, s[40:41]
	global_store_dword v0, v1, s[16:17]
	s_or_b64 exec, exec, s[50:51]
	v_cmp_gt_i32_e32 vcc, s58, v7
	s_and_saveexec_b64 s[50:51], vcc
	s_cbranch_execz .LBB61_100
.LBB61_110:
	s_andn2_b64 vcc, exec, s[36:37]
	s_cbranch_vccnz .LBB61_115
; %bb.111:
	s_andn2_b64 vcc, exec, s[48:49]
	s_cbranch_vccnz .LBB61_116
; %bb.112:
	s_add_i32 s59, s59, 1
	s_cmp_eq_u32 s56, 2
	s_cbranch_scc1 .LBB61_117
; %bb.113:
	s_and_b32 s52, s59, 28
	v_mov_b32_e32 v2, 0
	s_mov_b32 s53, 0
	s_mov_b64 s[48:49], s[34:35]
	v_mov_b32_e32 v0, 0
	v_mov_b32_e32 v1, v7
.LBB61_114:                             ; =>This Inner Loop Header: Depth=1
	s_load_dwordx8 s[8:15], s[48:49], 0x4
	s_load_dwordx4 s[28:31], s[48:49], 0x24
	s_load_dwordx8 s[0:7], s[46:47], 0x0
	s_add_u32 s48, s48, 48
	s_addc_u32 s49, s49, 0
	s_waitcnt lgkmcnt(0)
	v_mul_hi_u32 v3, s9, v1
	s_add_i32 s53, s53, 4
	s_add_u32 s46, s46, 32
	s_addc_u32 s47, s47, 0
	v_add_u32_e32 v3, v1, v3
	v_lshrrev_b32_e32 v3, s10, v3
	v_mul_lo_u32 v4, v3, s8
	v_mul_hi_u32 v5, s12, v3
	s_cmp_eq_u32 s52, s53
	v_sub_u32_e32 v1, v1, v4
	v_add_u32_e32 v4, v3, v5
	v_mul_lo_u32 v5, v1, s0
	v_mul_lo_u32 v6, v1, s1
	v_lshrrev_b32_e32 v1, s13, v4
	v_mul_lo_u32 v4, v1, s11
	v_mul_hi_u32 v8, s15, v1
	v_sub_u32_e32 v3, v3, v4
	v_add_u32_e32 v4, v1, v8
	v_lshrrev_b32_e32 v4, s28, v4
	v_mul_hi_u32 v9, s30, v4
	v_mul_lo_u32 v10, v4, s14
	v_mul_lo_u32 v8, v3, s2
	;; [unrolled: 1-line block ×3, first 2 shown]
	v_sub_u32_e32 v10, v1, v10
	v_add_u32_e32 v1, v4, v9
	v_lshrrev_b32_e32 v1, s31, v1
	v_mul_lo_u32 v9, v1, s29
	v_mul_lo_u32 v11, v10, s4
	;; [unrolled: 1-line block ×3, first 2 shown]
	v_add3_u32 v0, v5, v0, v8
	v_sub_u32_e32 v4, v4, v9
	v_mul_lo_u32 v9, v4, s6
	v_mul_lo_u32 v4, v4, s7
	v_add3_u32 v2, v6, v2, v3
	v_add3_u32 v0, v11, v0, v9
	;; [unrolled: 1-line block ×3, first 2 shown]
	s_cbranch_scc0 .LBB61_114
	s_branch .LBB61_118
.LBB61_115:
                                        ; implicit-def: $vgpr0
                                        ; implicit-def: $vgpr2
	s_branch .LBB61_122
.LBB61_116:
	v_mov_b32_e32 v0, 0
	v_mov_b32_e32 v2, 0
	s_branch .LBB61_121
.LBB61_117:
	s_mov_b32 s52, 0
	v_mov_b32_e32 v0, 0
	v_mov_b32_e32 v2, 0
	;; [unrolled: 1-line block ×3, first 2 shown]
.LBB61_118:
	s_and_b32 s4, s59, 3
	s_cmp_eq_u32 s4, 0
	s_cbranch_scc1 .LBB61_121
; %bb.119:
	s_lshl_b32 s0, s52, 3
	s_add_u32 s0, s34, s0
	s_addc_u32 s1, s35, 0
	s_add_u32 s0, s0, 0xc4
	s_addc_u32 s1, s1, 0
	s_mul_i32 s2, s52, 12
	s_add_u32 s2, s34, s2
	s_addc_u32 s3, s35, 0
.LBB61_120:                             ; =>This Inner Loop Header: Depth=1
	s_load_dwordx2 s[6:7], s[2:3], 0x4
	s_load_dword s5, s[2:3], 0xc
	s_load_dwordx2 s[8:9], s[0:1], 0x0
	s_add_u32 s2, s2, 12
	s_addc_u32 s3, s3, 0
	s_waitcnt lgkmcnt(0)
	v_mul_hi_u32 v3, s7, v1
	s_add_u32 s0, s0, 8
	s_addc_u32 s1, s1, 0
	s_add_i32 s4, s4, -1
	v_add_u32_e32 v3, v1, v3
	v_lshrrev_b32_e32 v4, s5, v3
	v_mul_lo_u32 v3, v4, s6
	s_cmp_lg_u32 s4, 0
	v_sub_u32_e32 v3, v1, v3
	v_mad_u64_u32 v[0:1], s[6:7], v3, s8, v[0:1]
	v_mad_u64_u32 v[2:3], s[6:7], v3, s9, v[2:3]
	v_mov_b32_e32 v1, v4
	s_cbranch_scc1 .LBB61_120
.LBB61_121:
	s_cbranch_execnz .LBB61_124
.LBB61_122:
	v_mul_hi_u32 v0, s21, v7
	s_andn2_b64 vcc, exec, s[44:45]
	v_add_u32_e32 v0, v7, v0
	v_lshrrev_b32_e32 v1, s22, v0
	v_mul_lo_u32 v0, v1, s20
	v_sub_u32_e32 v2, v7, v0
	v_mul_lo_u32 v0, v2, s24
	v_mul_lo_u32 v2, v2, s25
	s_cbranch_vccnz .LBB61_124
; %bb.123:
	v_mul_hi_u32 v3, s42, v1
	v_add_u32_e32 v3, v1, v3
	v_lshrrev_b32_e32 v3, s43, v3
	v_mul_lo_u32 v3, v3, s23
	v_sub_u32_e32 v3, v1, v3
	v_mad_u64_u32 v[0:1], s[0:1], v3, s26, v[0:1]
	v_mad_u64_u32 v[2:3], s[0:1], v3, s27, v[2:3]
.LBB61_124:
	global_load_dword v1, v2, s[18:19]
	s_waitcnt vmcnt(0)
	v_lshlrev_b32_e32 v1, s57, v1
	v_cndmask_b32_e64 v1, v1, 0, s[40:41]
	global_store_dword v0, v1, s[16:17]
	s_or_b64 exec, exec, s[50:51]
                                        ; implicit-def: $vgpr13
                                        ; implicit-def: $vgpr7
	s_andn2_saveexec_b64 s[0:1], s[38:39]
	s_cbranch_execz .LBB61_101
	s_branch .LBB61_8
	.section	.rodata,"a",@progbits
	.p2align	6, 0x0
	.amdhsa_kernel _ZN2at6native32elementwise_kernel_manual_unrollILi128ELi4EZNS0_22gpu_kernel_impl_nocastINS0_13BUnaryFunctorIiiiZZZNS0_18lshift_kernel_cudaERNS_18TensorIteratorBaseEENKUlvE_clEvENKUlvE1_clEvEUliiE_EEEEvS5_RKT_EUlibE_EEviT1_
		.amdhsa_group_segment_fixed_size 0
		.amdhsa_private_segment_fixed_size 0
		.amdhsa_kernarg_size 360
		.amdhsa_user_sgpr_count 6
		.amdhsa_user_sgpr_private_segment_buffer 1
		.amdhsa_user_sgpr_dispatch_ptr 0
		.amdhsa_user_sgpr_queue_ptr 0
		.amdhsa_user_sgpr_kernarg_segment_ptr 1
		.amdhsa_user_sgpr_dispatch_id 0
		.amdhsa_user_sgpr_flat_scratch_init 0
		.amdhsa_user_sgpr_private_segment_size 0
		.amdhsa_uses_dynamic_stack 0
		.amdhsa_system_sgpr_private_segment_wavefront_offset 0
		.amdhsa_system_sgpr_workgroup_id_x 1
		.amdhsa_system_sgpr_workgroup_id_y 0
		.amdhsa_system_sgpr_workgroup_id_z 0
		.amdhsa_system_sgpr_workgroup_info 0
		.amdhsa_system_vgpr_workitem_id 0
		.amdhsa_next_free_vgpr 18
		.amdhsa_next_free_sgpr 63
		.amdhsa_reserve_vcc 1
		.amdhsa_reserve_flat_scratch 0
		.amdhsa_float_round_mode_32 0
		.amdhsa_float_round_mode_16_64 0
		.amdhsa_float_denorm_mode_32 3
		.amdhsa_float_denorm_mode_16_64 3
		.amdhsa_dx10_clamp 1
		.amdhsa_ieee_mode 1
		.amdhsa_fp16_overflow 0
		.amdhsa_exception_fp_ieee_invalid_op 0
		.amdhsa_exception_fp_denorm_src 0
		.amdhsa_exception_fp_ieee_div_zero 0
		.amdhsa_exception_fp_ieee_overflow 0
		.amdhsa_exception_fp_ieee_underflow 0
		.amdhsa_exception_fp_ieee_inexact 0
		.amdhsa_exception_int_div_zero 0
	.end_amdhsa_kernel
	.section	.text._ZN2at6native32elementwise_kernel_manual_unrollILi128ELi4EZNS0_22gpu_kernel_impl_nocastINS0_13BUnaryFunctorIiiiZZZNS0_18lshift_kernel_cudaERNS_18TensorIteratorBaseEENKUlvE_clEvENKUlvE1_clEvEUliiE_EEEEvS5_RKT_EUlibE_EEviT1_,"axG",@progbits,_ZN2at6native32elementwise_kernel_manual_unrollILi128ELi4EZNS0_22gpu_kernel_impl_nocastINS0_13BUnaryFunctorIiiiZZZNS0_18lshift_kernel_cudaERNS_18TensorIteratorBaseEENKUlvE_clEvENKUlvE1_clEvEUliiE_EEEEvS5_RKT_EUlibE_EEviT1_,comdat
.Lfunc_end61:
	.size	_ZN2at6native32elementwise_kernel_manual_unrollILi128ELi4EZNS0_22gpu_kernel_impl_nocastINS0_13BUnaryFunctorIiiiZZZNS0_18lshift_kernel_cudaERNS_18TensorIteratorBaseEENKUlvE_clEvENKUlvE1_clEvEUliiE_EEEEvS5_RKT_EUlibE_EEviT1_, .Lfunc_end61-_ZN2at6native32elementwise_kernel_manual_unrollILi128ELi4EZNS0_22gpu_kernel_impl_nocastINS0_13BUnaryFunctorIiiiZZZNS0_18lshift_kernel_cudaERNS_18TensorIteratorBaseEENKUlvE_clEvENKUlvE1_clEvEUliiE_EEEEvS5_RKT_EUlibE_EEviT1_
                                        ; -- End function
	.set _ZN2at6native32elementwise_kernel_manual_unrollILi128ELi4EZNS0_22gpu_kernel_impl_nocastINS0_13BUnaryFunctorIiiiZZZNS0_18lshift_kernel_cudaERNS_18TensorIteratorBaseEENKUlvE_clEvENKUlvE1_clEvEUliiE_EEEEvS5_RKT_EUlibE_EEviT1_.num_vgpr, 18
	.set _ZN2at6native32elementwise_kernel_manual_unrollILi128ELi4EZNS0_22gpu_kernel_impl_nocastINS0_13BUnaryFunctorIiiiZZZNS0_18lshift_kernel_cudaERNS_18TensorIteratorBaseEENKUlvE_clEvENKUlvE1_clEvEUliiE_EEEEvS5_RKT_EUlibE_EEviT1_.num_agpr, 0
	.set _ZN2at6native32elementwise_kernel_manual_unrollILi128ELi4EZNS0_22gpu_kernel_impl_nocastINS0_13BUnaryFunctorIiiiZZZNS0_18lshift_kernel_cudaERNS_18TensorIteratorBaseEENKUlvE_clEvENKUlvE1_clEvEUliiE_EEEEvS5_RKT_EUlibE_EEviT1_.numbered_sgpr, 63
	.set _ZN2at6native32elementwise_kernel_manual_unrollILi128ELi4EZNS0_22gpu_kernel_impl_nocastINS0_13BUnaryFunctorIiiiZZZNS0_18lshift_kernel_cudaERNS_18TensorIteratorBaseEENKUlvE_clEvENKUlvE1_clEvEUliiE_EEEEvS5_RKT_EUlibE_EEviT1_.num_named_barrier, 0
	.set _ZN2at6native32elementwise_kernel_manual_unrollILi128ELi4EZNS0_22gpu_kernel_impl_nocastINS0_13BUnaryFunctorIiiiZZZNS0_18lshift_kernel_cudaERNS_18TensorIteratorBaseEENKUlvE_clEvENKUlvE1_clEvEUliiE_EEEEvS5_RKT_EUlibE_EEviT1_.private_seg_size, 0
	.set _ZN2at6native32elementwise_kernel_manual_unrollILi128ELi4EZNS0_22gpu_kernel_impl_nocastINS0_13BUnaryFunctorIiiiZZZNS0_18lshift_kernel_cudaERNS_18TensorIteratorBaseEENKUlvE_clEvENKUlvE1_clEvEUliiE_EEEEvS5_RKT_EUlibE_EEviT1_.uses_vcc, 1
	.set _ZN2at6native32elementwise_kernel_manual_unrollILi128ELi4EZNS0_22gpu_kernel_impl_nocastINS0_13BUnaryFunctorIiiiZZZNS0_18lshift_kernel_cudaERNS_18TensorIteratorBaseEENKUlvE_clEvENKUlvE1_clEvEUliiE_EEEEvS5_RKT_EUlibE_EEviT1_.uses_flat_scratch, 0
	.set _ZN2at6native32elementwise_kernel_manual_unrollILi128ELi4EZNS0_22gpu_kernel_impl_nocastINS0_13BUnaryFunctorIiiiZZZNS0_18lshift_kernel_cudaERNS_18TensorIteratorBaseEENKUlvE_clEvENKUlvE1_clEvEUliiE_EEEEvS5_RKT_EUlibE_EEviT1_.has_dyn_sized_stack, 0
	.set _ZN2at6native32elementwise_kernel_manual_unrollILi128ELi4EZNS0_22gpu_kernel_impl_nocastINS0_13BUnaryFunctorIiiiZZZNS0_18lshift_kernel_cudaERNS_18TensorIteratorBaseEENKUlvE_clEvENKUlvE1_clEvEUliiE_EEEEvS5_RKT_EUlibE_EEviT1_.has_recursion, 0
	.set _ZN2at6native32elementwise_kernel_manual_unrollILi128ELi4EZNS0_22gpu_kernel_impl_nocastINS0_13BUnaryFunctorIiiiZZZNS0_18lshift_kernel_cudaERNS_18TensorIteratorBaseEENKUlvE_clEvENKUlvE1_clEvEUliiE_EEEEvS5_RKT_EUlibE_EEviT1_.has_indirect_call, 0
	.section	.AMDGPU.csdata,"",@progbits
; Kernel info:
; codeLenInByte = 5764
; TotalNumSgprs: 67
; NumVgprs: 18
; ScratchSize: 0
; MemoryBound: 0
; FloatMode: 240
; IeeeMode: 1
; LDSByteSize: 0 bytes/workgroup (compile time only)
; SGPRBlocks: 8
; VGPRBlocks: 4
; NumSGPRsForWavesPerEU: 67
; NumVGPRsForWavesPerEU: 18
; Occupancy: 10
; WaveLimiterHint : 1
; COMPUTE_PGM_RSRC2:SCRATCH_EN: 0
; COMPUTE_PGM_RSRC2:USER_SGPR: 6
; COMPUTE_PGM_RSRC2:TRAP_HANDLER: 0
; COMPUTE_PGM_RSRC2:TGID_X_EN: 1
; COMPUTE_PGM_RSRC2:TGID_Y_EN: 0
; COMPUTE_PGM_RSRC2:TGID_Z_EN: 0
; COMPUTE_PGM_RSRC2:TIDIG_COMP_CNT: 0
	.section	.text._ZN2at6native32elementwise_kernel_manual_unrollILi128ELi4EZNS0_15gpu_kernel_implINS0_13BUnaryFunctorIiiiZZZNS0_18lshift_kernel_cudaERNS_18TensorIteratorBaseEENKUlvE_clEvENKUlvE1_clEvEUliiE_EEEEvS5_RKT_EUlibE_EEviT1_,"axG",@progbits,_ZN2at6native32elementwise_kernel_manual_unrollILi128ELi4EZNS0_15gpu_kernel_implINS0_13BUnaryFunctorIiiiZZZNS0_18lshift_kernel_cudaERNS_18TensorIteratorBaseEENKUlvE_clEvENKUlvE1_clEvEUliiE_EEEEvS5_RKT_EUlibE_EEviT1_,comdat
	.globl	_ZN2at6native32elementwise_kernel_manual_unrollILi128ELi4EZNS0_15gpu_kernel_implINS0_13BUnaryFunctorIiiiZZZNS0_18lshift_kernel_cudaERNS_18TensorIteratorBaseEENKUlvE_clEvENKUlvE1_clEvEUliiE_EEEEvS5_RKT_EUlibE_EEviT1_ ; -- Begin function _ZN2at6native32elementwise_kernel_manual_unrollILi128ELi4EZNS0_15gpu_kernel_implINS0_13BUnaryFunctorIiiiZZZNS0_18lshift_kernel_cudaERNS_18TensorIteratorBaseEENKUlvE_clEvENKUlvE1_clEvEUliiE_EEEEvS5_RKT_EUlibE_EEviT1_
	.p2align	8
	.type	_ZN2at6native32elementwise_kernel_manual_unrollILi128ELi4EZNS0_15gpu_kernel_implINS0_13BUnaryFunctorIiiiZZZNS0_18lshift_kernel_cudaERNS_18TensorIteratorBaseEENKUlvE_clEvENKUlvE1_clEvEUliiE_EEEEvS5_RKT_EUlibE_EEviT1_,@function
_ZN2at6native32elementwise_kernel_manual_unrollILi128ELi4EZNS0_15gpu_kernel_implINS0_13BUnaryFunctorIiiiZZZNS0_18lshift_kernel_cudaERNS_18TensorIteratorBaseEENKUlvE_clEvENKUlvE1_clEvEUliiE_EEEEvS5_RKT_EUlibE_EEviT1_: ; @_ZN2at6native32elementwise_kernel_manual_unrollILi128ELi4EZNS0_15gpu_kernel_implINS0_13BUnaryFunctorIiiiZZZNS0_18lshift_kernel_cudaERNS_18TensorIteratorBaseEENKUlvE_clEvENKUlvE1_clEvEUliiE_EEEEvS5_RKT_EUlibE_EEviT1_
; %bb.0:
	s_load_dwordx2 s[2:3], s[4:5], 0x24
	s_load_dwordx2 s[12:13], s[4:5], 0x18
	s_load_dword s42, s[4:5], 0x0
	s_load_dwordx4 s[8:11], s[4:5], 0x8
	v_lshl_or_b32 v4, s6, 9, v0
	v_or_b32_e32 v0, 0x180, v4
	s_waitcnt lgkmcnt(0)
	s_bfe_u32 s33, s3, 0x80008
	v_cmp_le_i32_e32 vcc, s42, v0
	s_mov_b64 s[4:5], 0
	s_mov_b64 s[14:15], 0
	s_and_saveexec_b64 s[0:1], vcc
	s_xor_b64 s[6:7], exec, s[0:1]
	s_cbranch_execz .LBB62_1011
; %bb.1:
	s_cmp_gt_u32 s2, 31
	s_cselect_b64 s[14:15], -1, 0
	v_cmp_gt_i32_e32 vcc, s42, v4
	s_mov_b64 s[22:23], -1
	s_mov_b64 s[24:25], 0
	s_mov_b64 s[18:19], 0
	;; [unrolled: 1-line block ×3, first 2 shown]
	s_and_saveexec_b64 s[20:21], vcc
	s_cbranch_execz .LBB62_248
; %bb.2:
	v_mul_lo_u32 v0, v4, s13
	v_mov_b32_e32 v1, s11
	s_and_b32 s22, 0xffff, s33
	s_cmp_lt_i32 s22, 11
	v_ashrrev_i32_e32 v2, 31, v0
	v_add_co_u32_e32 v0, vcc, s10, v0
	v_addc_co_u32_e32 v1, vcc, v1, v2, vcc
	s_cbranch_scc1 .LBB62_9
; %bb.3:
	s_cmp_gt_i32 s22, 25
	s_cbranch_scc0 .LBB62_18
; %bb.4:
	s_cmp_gt_i32 s22, 28
	s_cbranch_scc0 .LBB62_22
; %bb.5:
	s_cmp_gt_i32 s22, 43
	s_cbranch_scc0 .LBB62_24
; %bb.6:
	s_cmp_gt_i32 s22, 45
	s_cbranch_scc0 .LBB62_26
; %bb.7:
	s_cmp_eq_u32 s22, 46
	s_cbranch_scc0 .LBB62_28
; %bb.8:
	global_load_dword v2, v[0:1], off
	s_mov_b64 s[0:1], -1
	s_waitcnt vmcnt(0)
	v_lshlrev_b32_e32 v2, 16, v2
	v_cvt_i32_f32_e32 v2, v2
	s_branch .LBB62_30
.LBB62_9:
                                        ; implicit-def: $vgpr2
	s_mov_b64 s[0:1], 0
	s_cbranch_execnz .LBB62_199
.LBB62_10:
	s_andn2_b64 vcc, exec, s[0:1]
	s_cbranch_vccnz .LBB62_246
.LBB62_11:
	v_mul_lo_u32 v1, v4, s12
	s_waitcnt vmcnt(0)
	v_lshlrev_b32_e32 v0, s2, v2
	v_mov_b32_e32 v3, s9
	s_and_b32 s28, s3, 0xff
	v_ashrrev_i32_e32 v5, 31, v1
	v_add_co_u32_e32 v2, vcc, s8, v1
	v_cndmask_b32_e64 v0, v0, 0, s[14:15]
	s_cmp_lt_i32 s28, 11
	v_addc_co_u32_e32 v3, vcc, v3, v5, vcc
	s_cbranch_scc1 .LBB62_19
; %bb.12:
	s_and_b32 s29, 0xffff, s28
	s_cmp_gt_i32 s29, 25
	s_cbranch_scc0 .LBB62_23
; %bb.13:
	s_cmp_gt_i32 s29, 28
	s_cbranch_scc0 .LBB62_25
; %bb.14:
	;; [unrolled: 3-line block ×4, first 2 shown]
	s_mov_b64 s[22:23], 0
	s_mov_b64 s[0:1], -1
	s_cmp_eq_u32 s29, 46
	s_mov_b64 s[16:17], 0
	s_cbranch_scc0 .LBB62_34
; %bb.17:
	v_cvt_f32_i32_e32 v1, v0
	s_movk_i32 s0, 0x7fff
	s_mov_b64 s[16:17], -1
	v_bfe_u32 v5, v1, 16, 1
	v_add3_u32 v1, v1, v5, s0
	v_lshrrev_b32_e32 v1, 16, v1
	global_store_dword v[2:3], v1, off
	s_mov_b64 s[0:1], 0
	s_branch .LBB62_34
.LBB62_18:
	s_mov_b64 s[0:1], 0
                                        ; implicit-def: $vgpr2
	s_cbranch_execnz .LBB62_166
	s_branch .LBB62_198
.LBB62_19:
	s_mov_b64 s[0:1], 0
	s_mov_b64 s[16:17], 0
	s_cbranch_execnz .LBB62_103
.LBB62_20:
	s_andn2_b64 vcc, exec, s[16:17]
	s_cbranch_vccnz .LBB62_141
.LBB62_21:
	v_add_u32_e32 v4, 0x80, v4
	s_mov_b64 s[22:23], -1
	s_branch .LBB62_247
.LBB62_22:
	s_mov_b64 s[16:17], -1
	s_mov_b64 s[0:1], 0
                                        ; implicit-def: $vgpr2
	s_branch .LBB62_149
.LBB62_23:
	s_mov_b64 s[22:23], -1
	s_mov_b64 s[0:1], 0
	s_mov_b64 s[16:17], 0
	s_branch .LBB62_61
.LBB62_24:
	s_mov_b64 s[16:17], -1
	s_mov_b64 s[0:1], 0
                                        ; implicit-def: $vgpr2
	s_branch .LBB62_144
.LBB62_25:
	s_mov_b64 s[22:23], -1
	s_mov_b64 s[0:1], 0
	s_mov_b64 s[16:17], 0
	s_branch .LBB62_44
.LBB62_26:
	s_mov_b64 s[16:17], -1
	s_branch .LBB62_29
.LBB62_27:
	s_mov_b64 s[22:23], -1
	s_mov_b64 s[0:1], 0
	s_mov_b64 s[16:17], 0
	s_branch .LBB62_40
.LBB62_28:
	s_mov_b64 s[18:19], -1
.LBB62_29:
	s_mov_b64 s[0:1], 0
                                        ; implicit-def: $vgpr2
.LBB62_30:
	s_and_b64 vcc, exec, s[16:17]
	s_cbranch_vccz .LBB62_143
; %bb.31:
	s_cmp_eq_u32 s22, 44
	s_cbranch_scc0 .LBB62_142
; %bb.32:
	global_load_ubyte v2, v[0:1], off
	s_mov_b64 s[0:1], -1
	s_mov_b64 s[18:19], 0
	s_waitcnt vmcnt(0)
	v_lshlrev_b32_e32 v3, 23, v2
	v_cvt_i32_f32_e32 v3, v3
	v_cmp_ne_u32_e32 vcc, 0, v2
	v_cndmask_b32_e32 v2, 0, v3, vcc
	s_branch .LBB62_143
.LBB62_33:
	s_mov_b64 s[22:23], -1
	s_mov_b64 s[0:1], 0
	s_mov_b64 s[16:17], 0
.LBB62_34:
	s_and_b64 vcc, exec, s[22:23]
	s_cbranch_vccz .LBB62_39
; %bb.35:
	s_cmp_eq_u32 s29, 44
	s_mov_b64 s[0:1], -1
	s_cbranch_scc0 .LBB62_39
; %bb.36:
	v_cvt_f32_i32_e32 v1, v0
	s_movk_i32 s0, 0xff
	v_mov_b32_e32 v6, 0xff
	v_bfe_u32 v5, v1, 23, 8
	v_cmp_ne_u32_e32 vcc, s0, v5
	s_and_saveexec_b64 s[16:17], vcc
; %bb.37:
	s_mov_b32 s0, 0x3fffff
	v_lshrrev_b32_e32 v6, 23, v1
	v_and_b32_e32 v7, 0x400000, v1
	v_and_or_b32 v1, v1, s0, v5
	v_cmp_ne_u32_e32 vcc, 0, v7
	v_cmp_ne_u32_e64 s[0:1], 0, v1
	s_and_b64 s[0:1], vcc, s[0:1]
	v_cndmask_b32_e64 v1, 0, 1, s[0:1]
	v_add_u32_e32 v6, v6, v1
; %bb.38:
	s_or_b64 exec, exec, s[16:17]
	s_mov_b64 s[16:17], -1
	s_mov_b64 s[0:1], 0
	global_store_byte v[2:3], v6, off
.LBB62_39:
	s_mov_b64 s[22:23], 0
.LBB62_40:
	s_and_b64 vcc, exec, s[22:23]
	s_cbranch_vccz .LBB62_43
; %bb.41:
	s_cmp_eq_u32 s29, 29
	s_mov_b64 s[0:1], -1
	s_cbranch_scc0 .LBB62_43
; %bb.42:
	v_ashrrev_i32_e32 v1, 31, v0
	global_store_dwordx2 v[2:3], v[0:1], off
	s_mov_b64 s[16:17], -1
	s_mov_b64 s[0:1], 0
.LBB62_43:
	s_mov_b64 s[22:23], 0
.LBB62_44:
	s_and_b64 vcc, exec, s[22:23]
	s_cbranch_vccz .LBB62_60
; %bb.45:
	s_cmp_lt_i32 s29, 27
	s_mov_b64 s[16:17], -1
	s_cbranch_scc1 .LBB62_51
; %bb.46:
	s_cmp_gt_i32 s29, 27
	s_cbranch_scc0 .LBB62_48
; %bb.47:
	s_mov_b64 s[16:17], 0
	global_store_dword v[2:3], v0, off
.LBB62_48:
	s_andn2_b64 vcc, exec, s[16:17]
	s_cbranch_vccnz .LBB62_50
; %bb.49:
	global_store_short v[2:3], v0, off
.LBB62_50:
	s_mov_b64 s[16:17], 0
.LBB62_51:
	s_andn2_b64 vcc, exec, s[16:17]
	s_cbranch_vccnz .LBB62_59
; %bb.52:
	v_cvt_f32_i32_e32 v1, v0
	s_mov_b32 s16, 0x43800000
	v_mov_b32_e32 v6, 0x80
	v_and_b32_e32 v5, 0x7fffffff, v1
	v_cmp_gt_u32_e32 vcc, s16, v5
	s_and_saveexec_b64 s[16:17], vcc
	s_cbranch_execz .LBB62_58
; %bb.53:
	s_mov_b32 s22, 0x3bffffff
	v_cmp_lt_u32_e32 vcc, s22, v5
	s_mov_b64 s[22:23], 0
                                        ; implicit-def: $vgpr5
	s_and_saveexec_b64 s[26:27], vcc
	s_xor_b64 s[26:27], exec, s[26:27]
	s_cbranch_execz .LBB62_275
; %bb.54:
	v_bfe_u32 v5, v1, 20, 1
	s_mov_b32 s30, 0x487ffff
	v_add3_u32 v5, v1, v5, s30
	s_mov_b64 s[22:23], exec
	v_lshrrev_b32_e32 v5, 20, v5
	s_andn2_saveexec_b64 s[26:27], s[26:27]
	s_cbranch_execnz .LBB62_276
.LBB62_55:
	s_or_b64 exec, exec, s[26:27]
	v_mov_b32_e32 v6, 0
	s_and_saveexec_b64 s[26:27], s[22:23]
.LBB62_56:
	v_lshrrev_b32_e32 v1, 24, v1
	s_movk_i32 s22, 0x80
	v_and_or_b32 v6, v1, s22, v5
.LBB62_57:
	s_or_b64 exec, exec, s[26:27]
.LBB62_58:
	s_or_b64 exec, exec, s[16:17]
	global_store_byte v[2:3], v6, off
.LBB62_59:
	s_mov_b64 s[16:17], -1
.LBB62_60:
	s_mov_b64 s[22:23], 0
.LBB62_61:
	s_and_b64 vcc, exec, s[22:23]
	s_cbranch_vccz .LBB62_102
; %bb.62:
	s_cmp_gt_i32 s29, 22
	s_mov_b64 s[22:23], -1
	s_cbranch_scc0 .LBB62_94
; %bb.63:
	s_cmp_lt_i32 s29, 24
	s_mov_b64 s[16:17], -1
	s_cbranch_scc1 .LBB62_83
; %bb.64:
	s_cmp_gt_i32 s29, 24
	s_cbranch_scc0 .LBB62_72
; %bb.65:
	v_cvt_f32_i32_e32 v1, v0
	s_mov_b32 s16, 0x47800000
	v_mov_b32_e32 v6, 0x80
	v_and_b32_e32 v5, 0x7fffffff, v1
	v_cmp_gt_u32_e32 vcc, s16, v5
	s_and_saveexec_b64 s[16:17], vcc
	s_cbranch_execz .LBB62_71
; %bb.66:
	s_mov_b32 s22, 0x37ffffff
	v_cmp_lt_u32_e32 vcc, s22, v5
	s_mov_b64 s[22:23], 0
                                        ; implicit-def: $vgpr5
	s_and_saveexec_b64 s[26:27], vcc
	s_xor_b64 s[26:27], exec, s[26:27]
	s_cbranch_execz .LBB62_279
; %bb.67:
	v_bfe_u32 v5, v1, 21, 1
	s_mov_b32 s30, 0x88fffff
	v_add3_u32 v5, v1, v5, s30
	s_mov_b64 s[22:23], exec
	v_lshrrev_b32_e32 v5, 21, v5
	s_andn2_saveexec_b64 s[26:27], s[26:27]
	s_cbranch_execnz .LBB62_280
.LBB62_68:
	s_or_b64 exec, exec, s[26:27]
	v_mov_b32_e32 v6, 0
	s_and_saveexec_b64 s[26:27], s[22:23]
.LBB62_69:
	v_lshrrev_b32_e32 v1, 24, v1
	s_movk_i32 s22, 0x80
	v_and_or_b32 v6, v1, s22, v5
.LBB62_70:
	s_or_b64 exec, exec, s[26:27]
.LBB62_71:
	s_or_b64 exec, exec, s[16:17]
	s_mov_b64 s[16:17], 0
	global_store_byte v[2:3], v6, off
.LBB62_72:
	s_and_b64 vcc, exec, s[16:17]
	s_cbranch_vccz .LBB62_82
; %bb.73:
	v_cvt_f32_i32_e32 v1, v0
	s_mov_b32 s16, 0x43f00000
                                        ; implicit-def: $vgpr5
	v_and_b32_e32 v6, 0x7fffffff, v1
	v_cmp_gt_u32_e32 vcc, s16, v6
	s_and_saveexec_b64 s[16:17], vcc
	s_xor_b64 s[16:17], exec, s[16:17]
	s_cbranch_execz .LBB62_79
; %bb.74:
	s_mov_b32 s22, 0x3c7fffff
	v_cmp_lt_u32_e32 vcc, s22, v6
                                        ; implicit-def: $vgpr5
	s_and_saveexec_b64 s[22:23], vcc
	s_xor_b64 s[22:23], exec, s[22:23]
; %bb.75:
	v_bfe_u32 v5, v1, 20, 1
	s_mov_b32 s26, 0x407ffff
	v_add3_u32 v5, v1, v5, s26
	v_lshrrev_b32_e32 v6, 20, v5
	v_and_b32_e32 v5, 0xff00000, v5
	s_mov_b32 s26, 0x7f00000
	v_mov_b32_e32 v7, 0x7e
	v_cmp_ne_u32_e32 vcc, s26, v5
	v_cndmask_b32_e32 v5, v7, v6, vcc
; %bb.76:
	s_andn2_saveexec_b64 s[22:23], s[22:23]
; %bb.77:
	s_mov_b32 s26, 0x46800000
	v_add_f32_e64 v5, |v1|, s26
; %bb.78:
	s_or_b64 exec, exec, s[22:23]
                                        ; implicit-def: $vgpr6
.LBB62_79:
	s_andn2_saveexec_b64 s[16:17], s[16:17]
; %bb.80:
	s_mov_b32 s22, 0x7f800000
	v_mov_b32_e32 v5, 0x7e
	v_mov_b32_e32 v7, 0x7f
	v_cmp_lt_u32_e32 vcc, s22, v6
	v_cndmask_b32_e32 v5, v5, v7, vcc
; %bb.81:
	s_or_b64 exec, exec, s[16:17]
	v_lshrrev_b32_e32 v1, 24, v1
	s_movk_i32 s16, 0x80
	v_and_or_b32 v1, v1, s16, v5
	global_store_byte v[2:3], v1, off
.LBB62_82:
	s_mov_b64 s[16:17], 0
.LBB62_83:
	s_andn2_b64 vcc, exec, s[16:17]
	s_cbranch_vccnz .LBB62_93
; %bb.84:
	v_cvt_f32_i32_e32 v1, v0
	s_mov_b32 s16, 0x47800000
                                        ; implicit-def: $vgpr5
	v_and_b32_e32 v6, 0x7fffffff, v1
	v_cmp_gt_u32_e32 vcc, s16, v6
	s_and_saveexec_b64 s[16:17], vcc
	s_xor_b64 s[16:17], exec, s[16:17]
	s_cbranch_execz .LBB62_90
; %bb.85:
	s_mov_b32 s22, 0x387fffff
	v_cmp_lt_u32_e32 vcc, s22, v6
                                        ; implicit-def: $vgpr5
	s_and_saveexec_b64 s[22:23], vcc
	s_xor_b64 s[22:23], exec, s[22:23]
; %bb.86:
	v_bfe_u32 v5, v1, 21, 1
	s_mov_b32 s26, 0x80fffff
	v_add3_u32 v5, v1, v5, s26
	v_lshrrev_b32_e32 v5, 21, v5
; %bb.87:
	s_andn2_saveexec_b64 s[22:23], s[22:23]
; %bb.88:
	s_mov_b32 s26, 0x43000000
	v_add_f32_e64 v5, |v1|, s26
; %bb.89:
	s_or_b64 exec, exec, s[22:23]
                                        ; implicit-def: $vgpr6
.LBB62_90:
	s_andn2_saveexec_b64 s[16:17], s[16:17]
; %bb.91:
	s_mov_b32 s22, 0x7f800000
	v_mov_b32_e32 v5, 0x7c
	v_mov_b32_e32 v7, 0x7f
	v_cmp_lt_u32_e32 vcc, s22, v6
	v_cndmask_b32_e32 v5, v5, v7, vcc
; %bb.92:
	s_or_b64 exec, exec, s[16:17]
	v_lshrrev_b32_e32 v1, 24, v1
	s_movk_i32 s16, 0x80
	v_and_or_b32 v1, v1, s16, v5
	global_store_byte v[2:3], v1, off
.LBB62_93:
	s_mov_b64 s[22:23], 0
	s_mov_b64 s[16:17], -1
.LBB62_94:
	s_andn2_b64 vcc, exec, s[22:23]
	s_cbranch_vccnz .LBB62_102
; %bb.95:
	s_cmp_gt_i32 s29, 14
	s_mov_b64 s[22:23], -1
	s_cbranch_scc0 .LBB62_99
; %bb.96:
	s_cmp_eq_u32 s29, 15
	s_mov_b64 s[0:1], -1
	s_cbranch_scc0 .LBB62_98
; %bb.97:
	v_cvt_f32_i32_e32 v1, v0
	s_movk_i32 s0, 0x7fff
	s_mov_b64 s[16:17], -1
	v_bfe_u32 v5, v1, 16, 1
	v_add3_u32 v1, v1, v5, s0
	global_store_short_d16_hi v[2:3], v1, off
	s_mov_b64 s[0:1], 0
.LBB62_98:
	s_mov_b64 s[22:23], 0
.LBB62_99:
	s_and_b64 vcc, exec, s[22:23]
	s_cbranch_vccz .LBB62_102
; %bb.100:
	s_cmp_eq_u32 s29, 11
	s_mov_b64 s[0:1], -1
	s_cbranch_scc0 .LBB62_102
; %bb.101:
	v_cmp_ne_u32_e32 vcc, 0, v0
	v_cndmask_b32_e64 v1, 0, 1, vcc
	s_mov_b64 s[16:17], -1
	s_mov_b64 s[0:1], 0
	global_store_byte v[2:3], v1, off
.LBB62_102:
	s_branch .LBB62_20
.LBB62_103:
	s_and_b32 s22, 0xffff, s28
	s_cmp_lt_i32 s22, 5
	s_mov_b64 s[16:17], -1
	s_cbranch_scc1 .LBB62_124
; %bb.104:
	s_cmp_lt_i32 s22, 8
	s_cbranch_scc1 .LBB62_114
; %bb.105:
	s_cmp_lt_i32 s22, 9
	s_cbranch_scc1 .LBB62_111
; %bb.106:
	s_cmp_gt_i32 s22, 9
	s_cbranch_scc0 .LBB62_108
; %bb.107:
	v_cvt_f64_i32_e32 v[5:6], v0
	v_mov_b32_e32 v7, 0
	v_mov_b32_e32 v8, v7
	s_mov_b64 s[16:17], 0
	global_store_dwordx4 v[2:3], v[5:8], off
.LBB62_108:
	s_andn2_b64 vcc, exec, s[16:17]
	s_cbranch_vccnz .LBB62_110
; %bb.109:
	v_cvt_f32_i32_e32 v5, v0
	v_mov_b32_e32 v6, 0
	global_store_dwordx2 v[2:3], v[5:6], off
.LBB62_110:
	s_mov_b64 s[16:17], 0
.LBB62_111:
	s_andn2_b64 vcc, exec, s[16:17]
	s_cbranch_vccnz .LBB62_113
; %bb.112:
	v_cvt_f32_i32_e32 v1, v0
	v_cvt_f16_f32_e32 v1, v1
	global_store_dword v[2:3], v1, off
.LBB62_113:
	s_mov_b64 s[16:17], 0
.LBB62_114:
	s_andn2_b64 vcc, exec, s[16:17]
	s_cbranch_vccnz .LBB62_123
; %bb.115:
	s_cmp_lt_i32 s22, 6
	s_mov_b64 s[16:17], -1
	s_cbranch_scc1 .LBB62_121
; %bb.116:
	s_cmp_gt_i32 s22, 6
	s_cbranch_scc0 .LBB62_118
; %bb.117:
	v_cvt_f64_i32_e32 v[5:6], v0
	s_mov_b64 s[16:17], 0
	global_store_dwordx2 v[2:3], v[5:6], off
.LBB62_118:
	s_andn2_b64 vcc, exec, s[16:17]
	s_cbranch_vccnz .LBB62_120
; %bb.119:
	v_cvt_f32_i32_e32 v1, v0
	global_store_dword v[2:3], v1, off
.LBB62_120:
	s_mov_b64 s[16:17], 0
.LBB62_121:
	s_andn2_b64 vcc, exec, s[16:17]
	s_cbranch_vccnz .LBB62_123
; %bb.122:
	v_cvt_f32_i32_e32 v1, v0
	v_cvt_f16_f32_e32 v1, v1
	global_store_short v[2:3], v1, off
.LBB62_123:
	s_mov_b64 s[16:17], 0
.LBB62_124:
	s_andn2_b64 vcc, exec, s[16:17]
	s_cbranch_vccnz .LBB62_140
; %bb.125:
	s_cmp_lt_i32 s22, 2
	s_mov_b64 s[16:17], -1
	s_cbranch_scc1 .LBB62_135
; %bb.126:
	s_cmp_lt_i32 s22, 3
	s_cbranch_scc1 .LBB62_132
; %bb.127:
	s_cmp_gt_i32 s22, 3
	s_cbranch_scc0 .LBB62_129
; %bb.128:
	v_ashrrev_i32_e32 v1, 31, v0
	global_store_dwordx2 v[2:3], v[0:1], off
	s_mov_b64 s[16:17], 0
.LBB62_129:
	s_andn2_b64 vcc, exec, s[16:17]
	s_cbranch_vccnz .LBB62_131
; %bb.130:
	global_store_dword v[2:3], v0, off
.LBB62_131:
	s_mov_b64 s[16:17], 0
.LBB62_132:
	s_andn2_b64 vcc, exec, s[16:17]
	s_cbranch_vccnz .LBB62_134
; %bb.133:
	global_store_short v[2:3], v0, off
.LBB62_134:
	s_mov_b64 s[16:17], 0
.LBB62_135:
	s_andn2_b64 vcc, exec, s[16:17]
	s_cbranch_vccnz .LBB62_140
; %bb.136:
	s_cmp_gt_i32 s22, 0
	s_mov_b64 s[16:17], -1
	s_cbranch_scc0 .LBB62_138
; %bb.137:
	global_store_byte v[2:3], v0, off
	s_mov_b64 s[16:17], 0
.LBB62_138:
	s_andn2_b64 vcc, exec, s[16:17]
	s_cbranch_vccnz .LBB62_140
; %bb.139:
	global_store_byte v[2:3], v0, off
.LBB62_140:
	s_branch .LBB62_21
.LBB62_141:
	s_mov_b64 s[22:23], 0
                                        ; implicit-def: $vgpr4
	s_branch .LBB62_247
.LBB62_142:
	s_mov_b64 s[18:19], -1
                                        ; implicit-def: $vgpr2
.LBB62_143:
	s_mov_b64 s[16:17], 0
.LBB62_144:
	s_and_b64 vcc, exec, s[16:17]
	s_cbranch_vccz .LBB62_148
; %bb.145:
	s_cmp_eq_u32 s22, 29
	s_cbranch_scc0 .LBB62_147
; %bb.146:
	global_load_dword v2, v[0:1], off
	s_mov_b64 s[0:1], -1
	s_mov_b64 s[18:19], 0
	s_branch .LBB62_148
.LBB62_147:
	s_mov_b64 s[18:19], -1
                                        ; implicit-def: $vgpr2
.LBB62_148:
	s_mov_b64 s[16:17], 0
.LBB62_149:
	s_and_b64 vcc, exec, s[16:17]
	s_cbranch_vccz .LBB62_165
; %bb.150:
	s_cmp_lt_i32 s22, 27
	s_cbranch_scc1 .LBB62_153
; %bb.151:
	s_cmp_gt_i32 s22, 27
	s_cbranch_scc0 .LBB62_154
; %bb.152:
	global_load_dword v2, v[0:1], off
	s_mov_b64 s[0:1], 0
	s_branch .LBB62_155
.LBB62_153:
	s_mov_b64 s[0:1], -1
                                        ; implicit-def: $vgpr2
	s_branch .LBB62_158
.LBB62_154:
	s_mov_b64 s[0:1], -1
                                        ; implicit-def: $vgpr2
.LBB62_155:
	s_andn2_b64 vcc, exec, s[0:1]
	s_cbranch_vccnz .LBB62_157
; %bb.156:
	global_load_ushort v2, v[0:1], off
.LBB62_157:
	s_mov_b64 s[0:1], 0
.LBB62_158:
	s_andn2_b64 vcc, exec, s[0:1]
	s_cbranch_vccnz .LBB62_164
; %bb.159:
	global_load_ubyte v3, v[0:1], off
	s_movk_i32 s0, 0x7f
	s_mov_b64 s[16:17], 0
	s_waitcnt vmcnt(0)
	v_cmp_lt_i16_e32 vcc, s0, v3
	s_and_saveexec_b64 s[0:1], vcc
	s_xor_b64 s[0:1], exec, s[0:1]
	s_cbranch_execz .LBB62_175
; %bb.160:
	s_movk_i32 s16, 0x80
	v_cmp_ne_u16_e32 vcc, s16, v3
	s_and_b64 s[16:17], vcc, exec
	s_andn2_saveexec_b64 s[0:1], s[0:1]
	s_cbranch_execnz .LBB62_176
.LBB62_161:
	s_or_b64 exec, exec, s[0:1]
	v_mov_b32_e32 v2, 0
	s_and_saveexec_b64 s[0:1], s[16:17]
	s_cbranch_execz .LBB62_163
.LBB62_162:
	v_lshlrev_b32_e32 v2, 24, v3
	v_and_b32_e32 v3, 0xffff, v3
	v_and_b32_e32 v5, 7, v3
	v_ffbh_u32_e32 v7, v5
	v_min_u32_e32 v7, 32, v7
	v_subrev_u32_e32 v8, 28, v7
	v_bfe_u32 v6, v3, 3, 4
	v_lshlrev_b32_e32 v3, v8, v3
	v_sub_u32_e32 v7, 29, v7
	v_and_b32_e32 v3, 7, v3
	v_cmp_eq_u32_e32 vcc, 0, v6
	v_cndmask_b32_e32 v6, v6, v7, vcc
	v_cndmask_b32_e32 v3, v5, v3, vcc
	v_mov_b32_e32 v5, 0x3b800000
	v_lshlrev_b32_e32 v3, 20, v3
	v_and_b32_e32 v2, 0x80000000, v2
	v_lshl_add_u32 v5, v6, 23, v5
	v_or3_b32 v2, v2, v5, v3
	v_cvt_i32_f32_e32 v2, v2
.LBB62_163:
	s_or_b64 exec, exec, s[0:1]
.LBB62_164:
	s_mov_b64 s[0:1], -1
.LBB62_165:
	s_branch .LBB62_198
.LBB62_166:
	s_cmp_gt_i32 s22, 22
	s_cbranch_scc0 .LBB62_174
; %bb.167:
	s_cmp_lt_i32 s22, 24
	s_cbranch_scc1 .LBB62_177
; %bb.168:
	s_cmp_gt_i32 s22, 24
	s_cbranch_scc0 .LBB62_178
; %bb.169:
	global_load_ubyte v3, v[0:1], off
	s_movk_i32 s0, 0x7f
	s_mov_b64 s[16:17], 0
	s_waitcnt vmcnt(0)
	v_cmp_lt_i16_e32 vcc, s0, v3
	s_and_saveexec_b64 s[0:1], vcc
	s_xor_b64 s[0:1], exec, s[0:1]
	s_cbranch_execz .LBB62_190
; %bb.170:
	s_movk_i32 s16, 0x80
	v_cmp_ne_u16_e32 vcc, s16, v3
	s_and_b64 s[16:17], vcc, exec
	s_andn2_saveexec_b64 s[0:1], s[0:1]
	s_cbranch_execnz .LBB62_191
.LBB62_171:
	s_or_b64 exec, exec, s[0:1]
	v_mov_b32_e32 v2, 0
	s_and_saveexec_b64 s[0:1], s[16:17]
	s_cbranch_execz .LBB62_173
.LBB62_172:
	v_lshlrev_b32_e32 v2, 24, v3
	v_and_b32_e32 v3, 0xffff, v3
	v_and_b32_e32 v5, 3, v3
	v_ffbh_u32_e32 v7, v5
	v_min_u32_e32 v7, 32, v7
	v_subrev_u32_e32 v8, 29, v7
	v_bfe_u32 v6, v3, 2, 5
	v_lshlrev_b32_e32 v3, v8, v3
	v_sub_u32_e32 v7, 30, v7
	v_and_b32_e32 v3, 3, v3
	v_cmp_eq_u32_e32 vcc, 0, v6
	v_cndmask_b32_e32 v6, v6, v7, vcc
	v_cndmask_b32_e32 v3, v5, v3, vcc
	v_mov_b32_e32 v5, 0x37800000
	v_lshlrev_b32_e32 v3, 21, v3
	v_and_b32_e32 v2, 0x80000000, v2
	v_lshl_add_u32 v5, v6, 23, v5
	v_or3_b32 v2, v2, v5, v3
	v_cvt_i32_f32_e32 v2, v2
.LBB62_173:
	s_or_b64 exec, exec, s[0:1]
	s_mov_b64 s[0:1], 0
	s_branch .LBB62_179
.LBB62_174:
	s_mov_b64 s[16:17], -1
                                        ; implicit-def: $vgpr2
	s_branch .LBB62_185
.LBB62_175:
	s_andn2_saveexec_b64 s[0:1], s[0:1]
	s_cbranch_execz .LBB62_161
.LBB62_176:
	v_cmp_ne_u16_e32 vcc, 0, v3
	s_andn2_b64 s[16:17], s[16:17], exec
	s_and_b64 s[26:27], vcc, exec
	s_or_b64 s[16:17], s[16:17], s[26:27]
	s_or_b64 exec, exec, s[0:1]
	v_mov_b32_e32 v2, 0
	s_and_saveexec_b64 s[0:1], s[16:17]
	s_cbranch_execnz .LBB62_162
	s_branch .LBB62_163
.LBB62_177:
	s_mov_b64 s[0:1], -1
                                        ; implicit-def: $vgpr2
	s_branch .LBB62_182
.LBB62_178:
	s_mov_b64 s[0:1], -1
                                        ; implicit-def: $vgpr2
.LBB62_179:
	s_and_b64 vcc, exec, s[0:1]
	s_cbranch_vccz .LBB62_181
; %bb.180:
	global_load_ubyte v2, v[0:1], off
	s_mov_b32 s0, 0x7f800000
	s_waitcnt vmcnt(0)
	v_lshlrev_b32_e32 v2, 24, v2
	v_and_b32_e32 v3, 0x7f000000, v2
	v_ffbh_u32_e32 v5, v3
	v_min_u32_e32 v5, 32, v5
	v_sub_u32_e64 v5, v5, 4 clamp
	v_lshlrev_b32_e32 v7, v5, v3
	v_lshlrev_b32_e32 v5, 23, v5
	v_lshrrev_b32_e32 v7, 4, v7
	v_add_u32_e32 v6, 0x1000000, v3
	v_sub_u32_e32 v5, v7, v5
	v_ashrrev_i32_e32 v6, 8, v6
	v_add_u32_e32 v5, 0x3c000000, v5
	v_and_or_b32 v5, v6, s0, v5
	v_cmp_ne_u32_e32 vcc, 0, v3
	v_cndmask_b32_e32 v3, 0, v5, vcc
	s_brev_b32 s0, 1
	v_and_or_b32 v2, v2, s0, v3
	v_cvt_i32_f32_e32 v2, v2
.LBB62_181:
	s_mov_b64 s[0:1], 0
.LBB62_182:
	s_andn2_b64 vcc, exec, s[0:1]
	s_cbranch_vccnz .LBB62_184
; %bb.183:
	global_load_ubyte v2, v[0:1], off
	s_movk_i32 s0, 0x7f00
	s_brev_b32 s1, 16
	s_waitcnt vmcnt(0)
	v_lshlrev_b16_e32 v3, 8, v2
	v_lshlrev_b32_e32 v2, 25, v2
	v_lshrrev_b32_e32 v5, 4, v2
	v_and_or_b32 v6, v3, s0, 0.5
	v_or_b32_e32 v5, 0x70000000, v5
	v_add_f32_e32 v6, -0.5, v6
	v_mul_f32_e32 v5, 0x7800000, v5
	v_cmp_gt_u32_e32 vcc, s1, v2
	v_bfe_i32 v3, v3, 0, 16
	v_cndmask_b32_e32 v2, v5, v6, vcc
	s_brev_b32 s0, 1
	v_and_or_b32 v2, v3, s0, v2
	v_cvt_i32_f32_e32 v2, v2
.LBB62_184:
	s_mov_b64 s[16:17], 0
	s_mov_b64 s[0:1], -1
.LBB62_185:
	s_andn2_b64 vcc, exec, s[16:17]
	s_cbranch_vccnz .LBB62_198
; %bb.186:
	s_cmp_gt_i32 s22, 14
	s_cbranch_scc0 .LBB62_189
; %bb.187:
	s_cmp_eq_u32 s22, 15
	s_cbranch_scc0 .LBB62_192
; %bb.188:
	global_load_ushort v2, v[0:1], off
	s_mov_b64 s[0:1], -1
	s_mov_b64 s[18:19], 0
	s_waitcnt vmcnt(0)
	v_lshlrev_b32_e32 v2, 16, v2
	v_cvt_i32_f32_e32 v2, v2
	s_branch .LBB62_193
.LBB62_189:
	s_mov_b64 s[16:17], -1
                                        ; implicit-def: $vgpr2
	s_branch .LBB62_194
.LBB62_190:
	s_andn2_saveexec_b64 s[0:1], s[0:1]
	s_cbranch_execz .LBB62_171
.LBB62_191:
	v_cmp_ne_u16_e32 vcc, 0, v3
	s_andn2_b64 s[16:17], s[16:17], exec
	s_and_b64 s[26:27], vcc, exec
	s_or_b64 s[16:17], s[16:17], s[26:27]
	s_or_b64 exec, exec, s[0:1]
	v_mov_b32_e32 v2, 0
	s_and_saveexec_b64 s[0:1], s[16:17]
	s_cbranch_execnz .LBB62_172
	s_branch .LBB62_173
.LBB62_192:
	s_mov_b64 s[18:19], -1
                                        ; implicit-def: $vgpr2
.LBB62_193:
	s_mov_b64 s[16:17], 0
.LBB62_194:
	s_and_b64 vcc, exec, s[16:17]
	s_cbranch_vccz .LBB62_198
; %bb.195:
	s_cmp_eq_u32 s22, 11
	s_cbranch_scc0 .LBB62_197
; %bb.196:
	global_load_ubyte v2, v[0:1], off
	s_mov_b64 s[0:1], -1
	s_mov_b64 s[18:19], 0
	s_waitcnt vmcnt(0)
	v_cmp_ne_u16_e32 vcc, 0, v2
	v_cndmask_b32_e64 v2, 0, 1, vcc
	s_branch .LBB62_198
.LBB62_197:
	s_mov_b64 s[18:19], -1
                                        ; implicit-def: $vgpr2
.LBB62_198:
	s_branch .LBB62_10
.LBB62_199:
	s_cmp_lt_i32 s22, 5
	s_cbranch_scc1 .LBB62_204
; %bb.200:
	s_cmp_lt_i32 s22, 8
	s_cbranch_scc1 .LBB62_205
; %bb.201:
	;; [unrolled: 3-line block ×3, first 2 shown]
	s_cmp_gt_i32 s22, 9
	s_cbranch_scc0 .LBB62_207
; %bb.203:
	global_load_dwordx2 v[2:3], v[0:1], off
	s_mov_b64 s[0:1], 0
	s_waitcnt vmcnt(0)
	v_cvt_i32_f64_e32 v2, v[2:3]
	s_branch .LBB62_208
.LBB62_204:
                                        ; implicit-def: $vgpr2
	s_branch .LBB62_226
.LBB62_205:
	s_mov_b64 s[0:1], -1
                                        ; implicit-def: $vgpr2
	s_branch .LBB62_214
.LBB62_206:
	s_mov_b64 s[0:1], -1
                                        ; implicit-def: $vgpr2
	s_branch .LBB62_211
.LBB62_207:
	s_mov_b64 s[0:1], -1
                                        ; implicit-def: $vgpr2
.LBB62_208:
	s_andn2_b64 vcc, exec, s[0:1]
	s_cbranch_vccnz .LBB62_210
; %bb.209:
	global_load_dword v2, v[0:1], off
	s_waitcnt vmcnt(0)
	v_cvt_i32_f32_e32 v2, v2
.LBB62_210:
	s_mov_b64 s[0:1], 0
.LBB62_211:
	s_andn2_b64 vcc, exec, s[0:1]
	s_cbranch_vccnz .LBB62_213
; %bb.212:
	global_load_dword v2, v[0:1], off
	s_waitcnt vmcnt(0)
	v_cvt_f32_f16_e32 v2, v2
	v_cvt_i32_f32_e32 v2, v2
.LBB62_213:
	s_mov_b64 s[0:1], 0
.LBB62_214:
	s_andn2_b64 vcc, exec, s[0:1]
	s_cbranch_vccnz .LBB62_225
; %bb.215:
	s_cmp_lt_i32 s22, 6
	s_cbranch_scc1 .LBB62_218
; %bb.216:
	s_cmp_gt_i32 s22, 6
	s_cbranch_scc0 .LBB62_219
; %bb.217:
	global_load_dwordx2 v[2:3], v[0:1], off
	s_mov_b64 s[0:1], 0
	s_waitcnt vmcnt(0)
	v_cvt_i32_f64_e32 v2, v[2:3]
	s_branch .LBB62_220
.LBB62_218:
	s_mov_b64 s[0:1], -1
                                        ; implicit-def: $vgpr2
	s_branch .LBB62_223
.LBB62_219:
	s_mov_b64 s[0:1], -1
                                        ; implicit-def: $vgpr2
.LBB62_220:
	s_andn2_b64 vcc, exec, s[0:1]
	s_cbranch_vccnz .LBB62_222
; %bb.221:
	global_load_dword v2, v[0:1], off
	s_waitcnt vmcnt(0)
	v_cvt_i32_f32_e32 v2, v2
.LBB62_222:
	s_mov_b64 s[0:1], 0
.LBB62_223:
	s_andn2_b64 vcc, exec, s[0:1]
	s_cbranch_vccnz .LBB62_225
; %bb.224:
	global_load_ushort v2, v[0:1], off
	s_waitcnt vmcnt(0)
	v_cvt_f32_f16_e32 v2, v2
	v_cvt_i32_f32_e32 v2, v2
.LBB62_225:
	s_cbranch_execnz .LBB62_245
.LBB62_226:
	s_cmp_lt_i32 s22, 2
	s_cbranch_scc1 .LBB62_230
; %bb.227:
	s_cmp_lt_i32 s22, 3
	s_cbranch_scc1 .LBB62_231
; %bb.228:
	s_cmp_gt_i32 s22, 3
	s_cbranch_scc0 .LBB62_232
; %bb.229:
	global_load_dword v2, v[0:1], off
	s_mov_b64 s[0:1], 0
	s_branch .LBB62_233
.LBB62_230:
	s_mov_b64 s[0:1], -1
                                        ; implicit-def: $vgpr2
	s_branch .LBB62_239
.LBB62_231:
	s_mov_b64 s[0:1], -1
                                        ; implicit-def: $vgpr2
	s_branch .LBB62_236
.LBB62_232:
	s_mov_b64 s[0:1], -1
                                        ; implicit-def: $vgpr2
.LBB62_233:
	s_andn2_b64 vcc, exec, s[0:1]
	s_cbranch_vccnz .LBB62_235
; %bb.234:
	global_load_dword v2, v[0:1], off
.LBB62_235:
	s_mov_b64 s[0:1], 0
.LBB62_236:
	s_andn2_b64 vcc, exec, s[0:1]
	s_cbranch_vccnz .LBB62_238
; %bb.237:
	global_load_sshort v2, v[0:1], off
.LBB62_238:
	s_mov_b64 s[0:1], 0
.LBB62_239:
	s_andn2_b64 vcc, exec, s[0:1]
	s_cbranch_vccnz .LBB62_245
; %bb.240:
	s_cmp_gt_i32 s22, 0
	s_cbranch_scc0 .LBB62_242
; %bb.241:
	global_load_sbyte v2, v[0:1], off
	s_mov_b64 s[0:1], 0
	s_branch .LBB62_243
.LBB62_242:
	s_mov_b64 s[0:1], -1
                                        ; implicit-def: $vgpr2
.LBB62_243:
	s_andn2_b64 vcc, exec, s[0:1]
	s_cbranch_vccnz .LBB62_245
; %bb.244:
	global_load_ubyte v2, v[0:1], off
.LBB62_245:
	s_branch .LBB62_11
.LBB62_246:
	s_mov_b64 s[0:1], 0
                                        ; implicit-def: $vgpr4
	s_mov_b64 s[22:23], 0
.LBB62_247:
	s_and_b64 s[16:17], s[0:1], exec
	s_and_b64 s[18:19], s[18:19], exec
	s_orn2_b64 s[22:23], s[22:23], exec
.LBB62_248:
	s_or_b64 exec, exec, s[20:21]
	s_mov_b64 s[26:27], 0
	s_mov_b64 s[0:1], 0
                                        ; implicit-def: $vgpr0_vgpr1
                                        ; implicit-def: $vgpr5
	s_and_saveexec_b64 s[20:21], s[22:23]
	s_cbranch_execz .LBB62_257
; %bb.249:
	v_cmp_gt_i32_e32 vcc, s42, v4
	s_mov_b64 s[0:1], -1
	s_mov_b64 s[22:23], s[18:19]
	s_mov_b64 s[24:25], s[16:17]
	s_and_saveexec_b64 s[26:27], vcc
	s_cbranch_execz .LBB62_505
; %bb.250:
	v_mul_lo_u32 v0, v4, s13
	v_mov_b32_e32 v1, s11
	s_and_b32 s28, 0xffff, s33
	s_cmp_lt_i32 s28, 11
	s_waitcnt vmcnt(0)
	v_ashrrev_i32_e32 v2, 31, v0
	v_add_co_u32_e32 v0, vcc, s10, v0
	v_addc_co_u32_e32 v1, vcc, v1, v2, vcc
	s_cbranch_scc1 .LBB62_260
; %bb.251:
	s_cmp_gt_i32 s28, 25
	s_cbranch_scc0 .LBB62_269
; %bb.252:
	s_cmp_gt_i32 s28, 28
	s_cbranch_scc0 .LBB62_271
	;; [unrolled: 3-line block ×4, first 2 shown]
; %bb.255:
	s_cmp_eq_u32 s28, 46
	s_mov_b64 s[24:25], 0
	s_cbranch_scc0 .LBB62_281
; %bb.256:
	global_load_dword v2, v[0:1], off
	s_mov_b64 s[22:23], 0
	s_waitcnt vmcnt(0)
	v_lshlrev_b32_e32 v2, 16, v2
	v_cvt_i32_f32_e32 v2, v2
	s_branch .LBB62_282
.LBB62_257:
	s_or_b64 exec, exec, s[20:21]
	s_mov_b64 s[20:21], 0
	s_and_saveexec_b64 s[22:23], s[18:19]
	s_cbranch_execnz .LBB62_843
.LBB62_258:
	s_or_b64 exec, exec, s[22:23]
	s_and_saveexec_b64 s[18:19], s[24:25]
	s_xor_b64 s[18:19], exec, s[18:19]
	s_cbranch_execz .LBB62_844
.LBB62_259:
	global_load_ubyte v2, v[0:1], off
	s_or_b64 s[0:1], s[0:1], exec
	s_waitcnt vmcnt(0)
	v_cmp_ne_u16_e32 vcc, 0, v2
	v_cndmask_b32_e64 v5, 0, 1, vcc
	s_or_b64 exec, exec, s[18:19]
	s_and_saveexec_b64 s[18:19], s[26:27]
	s_cbranch_execz .LBB62_890
	s_branch .LBB62_845
.LBB62_260:
	s_mov_b64 s[0:1], 0
                                        ; implicit-def: $vgpr2
	s_mov_b64 s[22:23], s[18:19]
	s_cbranch_execnz .LBB62_455
.LBB62_261:
	s_andn2_b64 vcc, exec, s[0:1]
	s_cbranch_vccnz .LBB62_503
.LBB62_262:
	v_mul_lo_u32 v1, v4, s12
	s_waitcnt vmcnt(0)
	v_lshlrev_b32_e32 v0, s2, v2
	v_mov_b32_e32 v3, s9
	s_and_b32 s34, s3, 0xff
	v_ashrrev_i32_e32 v5, 31, v1
	v_add_co_u32_e32 v2, vcc, s8, v1
	v_cndmask_b32_e64 v0, v0, 0, s[14:15]
	s_cmp_lt_i32 s34, 11
	v_addc_co_u32_e32 v3, vcc, v3, v5, vcc
	s_cbranch_scc1 .LBB62_270
; %bb.263:
	s_and_b32 s35, 0xffff, s34
	s_cmp_gt_i32 s35, 25
	s_cbranch_scc0 .LBB62_272
; %bb.264:
	s_cmp_gt_i32 s35, 28
	s_cbranch_scc0 .LBB62_274
; %bb.265:
	s_cmp_gt_i32 s35, 43
	s_cbranch_scc0 .LBB62_278
; %bb.266:
	s_cmp_gt_i32 s35, 45
	s_cbranch_scc0 .LBB62_285
; %bb.267:
	s_mov_b64 s[28:29], 0
	s_mov_b64 s[0:1], -1
	s_cmp_eq_u32 s35, 46
	s_mov_b64 s[24:25], 0
	s_cbranch_scc0 .LBB62_286
; %bb.268:
	v_cvt_f32_i32_e32 v1, v0
	s_movk_i32 s0, 0x7fff
	s_mov_b64 s[24:25], -1
	v_bfe_u32 v5, v1, 16, 1
	v_add3_u32 v1, v1, v5, s0
	v_lshrrev_b32_e32 v1, 16, v1
	global_store_dword v[2:3], v1, off
	s_mov_b64 s[0:1], 0
	s_branch .LBB62_286
.LBB62_269:
	s_mov_b64 s[24:25], -1
	s_mov_b64 s[0:1], 0
	s_mov_b64 s[22:23], s[18:19]
                                        ; implicit-def: $vgpr2
	s_branch .LBB62_421
.LBB62_270:
	s_mov_b64 s[28:29], -1
	s_mov_b64 s[24:25], 0
	s_mov_b64 s[0:1], s[16:17]
	s_branch .LBB62_355
.LBB62_271:
	s_mov_b64 s[24:25], -1
	s_mov_b64 s[0:1], 0
	s_mov_b64 s[22:23], s[18:19]
                                        ; implicit-def: $vgpr2
	s_branch .LBB62_404
.LBB62_272:
	s_mov_b64 s[28:29], -1
	s_mov_b64 s[24:25], 0
	s_mov_b64 s[0:1], s[16:17]
	s_branch .LBB62_313
.LBB62_273:
	s_mov_b64 s[24:25], -1
	s_mov_b64 s[0:1], 0
	s_mov_b64 s[22:23], s[18:19]
                                        ; implicit-def: $vgpr2
	s_branch .LBB62_399
.LBB62_274:
	s_mov_b64 s[28:29], -1
	s_mov_b64 s[24:25], 0
	s_mov_b64 s[0:1], s[16:17]
	s_branch .LBB62_296
.LBB62_275:
	s_andn2_saveexec_b64 s[26:27], s[26:27]
	s_cbranch_execz .LBB62_55
.LBB62_276:
	s_mov_b32 s30, 0x46000000
	v_add_f32_e64 v5, |v1|, s30
	v_and_b32_e32 v5, 0xff, v5
	v_cmp_ne_u32_e32 vcc, 0, v5
	s_andn2_b64 s[22:23], s[22:23], exec
	s_and_b64 s[30:31], vcc, exec
	s_or_b64 s[22:23], s[22:23], s[30:31]
	s_or_b64 exec, exec, s[26:27]
	v_mov_b32_e32 v6, 0
	s_and_saveexec_b64 s[26:27], s[22:23]
	s_cbranch_execnz .LBB62_56
	s_branch .LBB62_57
.LBB62_277:
	s_mov_b64 s[24:25], -1
	s_mov_b64 s[0:1], 0
	s_mov_b64 s[22:23], s[18:19]
                                        ; implicit-def: $vgpr2
	s_branch .LBB62_282
.LBB62_278:
	s_mov_b64 s[28:29], -1
	s_mov_b64 s[24:25], 0
	s_mov_b64 s[0:1], s[16:17]
	s_branch .LBB62_292
.LBB62_279:
	s_andn2_saveexec_b64 s[26:27], s[26:27]
	s_cbranch_execz .LBB62_68
.LBB62_280:
	s_mov_b32 s30, 0x42800000
	v_add_f32_e64 v5, |v1|, s30
	v_and_b32_e32 v5, 0xff, v5
	v_cmp_ne_u32_e32 vcc, 0, v5
	s_andn2_b64 s[22:23], s[22:23], exec
	s_and_b64 s[30:31], vcc, exec
	s_or_b64 s[22:23], s[22:23], s[30:31]
	s_or_b64 exec, exec, s[26:27]
	v_mov_b32_e32 v6, 0
	s_and_saveexec_b64 s[26:27], s[22:23]
	s_cbranch_execnz .LBB62_69
	s_branch .LBB62_70
.LBB62_281:
	s_mov_b64 s[22:23], -1
                                        ; implicit-def: $vgpr2
	s_mov_b64 s[0:1], 0
.LBB62_282:
	s_and_b64 vcc, exec, s[24:25]
	s_cbranch_vccz .LBB62_398
; %bb.283:
	s_cmp_eq_u32 s28, 44
	s_cbranch_scc0 .LBB62_397
; %bb.284:
	global_load_ubyte v2, v[0:1], off
	s_mov_b64 s[0:1], -1
	s_mov_b64 s[22:23], 0
	s_waitcnt vmcnt(0)
	v_lshlrev_b32_e32 v3, 23, v2
	v_cvt_i32_f32_e32 v3, v3
	v_cmp_ne_u32_e32 vcc, 0, v2
	v_cndmask_b32_e32 v2, 0, v3, vcc
	s_branch .LBB62_398
.LBB62_285:
	s_mov_b64 s[28:29], -1
	s_mov_b64 s[24:25], 0
	s_mov_b64 s[0:1], s[16:17]
.LBB62_286:
	s_and_b64 vcc, exec, s[28:29]
	s_cbranch_vccz .LBB62_291
; %bb.287:
	s_cmp_eq_u32 s35, 44
	s_mov_b64 s[0:1], -1
	s_cbranch_scc0 .LBB62_291
; %bb.288:
	v_cvt_f32_i32_e32 v1, v0
	s_movk_i32 s0, 0xff
	v_mov_b32_e32 v6, 0xff
	v_bfe_u32 v5, v1, 23, 8
	v_cmp_ne_u32_e32 vcc, s0, v5
	s_and_saveexec_b64 s[24:25], vcc
; %bb.289:
	s_mov_b32 s0, 0x3fffff
	v_lshrrev_b32_e32 v6, 23, v1
	v_and_b32_e32 v7, 0x400000, v1
	v_and_or_b32 v1, v1, s0, v5
	v_cmp_ne_u32_e32 vcc, 0, v7
	v_cmp_ne_u32_e64 s[0:1], 0, v1
	s_and_b64 s[0:1], vcc, s[0:1]
	v_cndmask_b32_e64 v1, 0, 1, s[0:1]
	v_add_u32_e32 v6, v6, v1
; %bb.290:
	s_or_b64 exec, exec, s[24:25]
	s_mov_b64 s[24:25], -1
	s_mov_b64 s[0:1], 0
	global_store_byte v[2:3], v6, off
.LBB62_291:
	s_mov_b64 s[28:29], 0
.LBB62_292:
	s_and_b64 vcc, exec, s[28:29]
	s_cbranch_vccz .LBB62_295
; %bb.293:
	s_cmp_eq_u32 s35, 29
	s_mov_b64 s[0:1], -1
	s_cbranch_scc0 .LBB62_295
; %bb.294:
	v_ashrrev_i32_e32 v1, 31, v0
	global_store_dwordx2 v[2:3], v[0:1], off
	s_mov_b64 s[24:25], -1
	s_mov_b64 s[0:1], 0
.LBB62_295:
	s_mov_b64 s[28:29], 0
.LBB62_296:
	s_and_b64 vcc, exec, s[28:29]
	s_cbranch_vccz .LBB62_312
; %bb.297:
	s_cmp_lt_i32 s35, 27
	s_mov_b64 s[24:25], -1
	s_cbranch_scc1 .LBB62_303
; %bb.298:
	s_cmp_gt_i32 s35, 27
	s_cbranch_scc0 .LBB62_300
; %bb.299:
	s_mov_b64 s[24:25], 0
	global_store_dword v[2:3], v0, off
.LBB62_300:
	s_andn2_b64 vcc, exec, s[24:25]
	s_cbranch_vccnz .LBB62_302
; %bb.301:
	global_store_short v[2:3], v0, off
.LBB62_302:
	s_mov_b64 s[24:25], 0
.LBB62_303:
	s_andn2_b64 vcc, exec, s[24:25]
	s_cbranch_vccnz .LBB62_311
; %bb.304:
	v_cvt_f32_i32_e32 v1, v0
	s_mov_b32 s24, 0x43800000
	v_mov_b32_e32 v6, 0x80
	v_and_b32_e32 v5, 0x7fffffff, v1
	v_cmp_gt_u32_e32 vcc, s24, v5
	s_and_saveexec_b64 s[24:25], vcc
	s_cbranch_execz .LBB62_310
; %bb.305:
	s_mov_b32 s28, 0x3bffffff
	v_cmp_lt_u32_e32 vcc, s28, v5
	s_mov_b64 s[28:29], 0
                                        ; implicit-def: $vgpr5
	s_and_saveexec_b64 s[30:31], vcc
	s_xor_b64 s[30:31], exec, s[30:31]
	s_cbranch_execz .LBB62_518
; %bb.306:
	v_bfe_u32 v5, v1, 20, 1
	s_mov_b32 s36, 0x487ffff
	v_add3_u32 v5, v1, v5, s36
	s_mov_b64 s[28:29], exec
	v_lshrrev_b32_e32 v5, 20, v5
	s_andn2_saveexec_b64 s[30:31], s[30:31]
	s_cbranch_execnz .LBB62_519
.LBB62_307:
	s_or_b64 exec, exec, s[30:31]
	v_mov_b32_e32 v6, 0
	s_and_saveexec_b64 s[30:31], s[28:29]
.LBB62_308:
	v_lshrrev_b32_e32 v1, 24, v1
	s_movk_i32 s28, 0x80
	v_and_or_b32 v6, v1, s28, v5
.LBB62_309:
	s_or_b64 exec, exec, s[30:31]
.LBB62_310:
	s_or_b64 exec, exec, s[24:25]
	global_store_byte v[2:3], v6, off
.LBB62_311:
	s_mov_b64 s[24:25], -1
.LBB62_312:
	s_mov_b64 s[28:29], 0
.LBB62_313:
	s_and_b64 vcc, exec, s[28:29]
	s_cbranch_vccz .LBB62_354
; %bb.314:
	s_cmp_gt_i32 s35, 22
	s_mov_b64 s[28:29], -1
	s_cbranch_scc0 .LBB62_346
; %bb.315:
	s_cmp_lt_i32 s35, 24
	s_mov_b64 s[24:25], -1
	s_cbranch_scc1 .LBB62_335
; %bb.316:
	s_cmp_gt_i32 s35, 24
	s_cbranch_scc0 .LBB62_324
; %bb.317:
	v_cvt_f32_i32_e32 v1, v0
	s_mov_b32 s24, 0x47800000
	v_mov_b32_e32 v6, 0x80
	v_and_b32_e32 v5, 0x7fffffff, v1
	v_cmp_gt_u32_e32 vcc, s24, v5
	s_and_saveexec_b64 s[24:25], vcc
	s_cbranch_execz .LBB62_323
; %bb.318:
	s_mov_b32 s28, 0x37ffffff
	v_cmp_lt_u32_e32 vcc, s28, v5
	s_mov_b64 s[28:29], 0
                                        ; implicit-def: $vgpr5
	s_and_saveexec_b64 s[30:31], vcc
	s_xor_b64 s[30:31], exec, s[30:31]
	s_cbranch_execz .LBB62_521
; %bb.319:
	v_bfe_u32 v5, v1, 21, 1
	s_mov_b32 s36, 0x88fffff
	v_add3_u32 v5, v1, v5, s36
	s_mov_b64 s[28:29], exec
	v_lshrrev_b32_e32 v5, 21, v5
	s_andn2_saveexec_b64 s[30:31], s[30:31]
	s_cbranch_execnz .LBB62_522
.LBB62_320:
	s_or_b64 exec, exec, s[30:31]
	v_mov_b32_e32 v6, 0
	s_and_saveexec_b64 s[30:31], s[28:29]
.LBB62_321:
	v_lshrrev_b32_e32 v1, 24, v1
	s_movk_i32 s28, 0x80
	v_and_or_b32 v6, v1, s28, v5
.LBB62_322:
	s_or_b64 exec, exec, s[30:31]
.LBB62_323:
	s_or_b64 exec, exec, s[24:25]
	s_mov_b64 s[24:25], 0
	global_store_byte v[2:3], v6, off
.LBB62_324:
	s_and_b64 vcc, exec, s[24:25]
	s_cbranch_vccz .LBB62_334
; %bb.325:
	v_cvt_f32_i32_e32 v1, v0
	s_mov_b32 s24, 0x43f00000
                                        ; implicit-def: $vgpr5
	v_and_b32_e32 v6, 0x7fffffff, v1
	v_cmp_gt_u32_e32 vcc, s24, v6
	s_and_saveexec_b64 s[24:25], vcc
	s_xor_b64 s[24:25], exec, s[24:25]
	s_cbranch_execz .LBB62_331
; %bb.326:
	s_mov_b32 s28, 0x3c7fffff
	v_cmp_lt_u32_e32 vcc, s28, v6
                                        ; implicit-def: $vgpr5
	s_and_saveexec_b64 s[28:29], vcc
	s_xor_b64 s[28:29], exec, s[28:29]
; %bb.327:
	v_bfe_u32 v5, v1, 20, 1
	s_mov_b32 s30, 0x407ffff
	v_add3_u32 v5, v1, v5, s30
	v_lshrrev_b32_e32 v6, 20, v5
	v_and_b32_e32 v5, 0xff00000, v5
	s_mov_b32 s30, 0x7f00000
	v_mov_b32_e32 v7, 0x7e
	v_cmp_ne_u32_e32 vcc, s30, v5
	v_cndmask_b32_e32 v5, v7, v6, vcc
; %bb.328:
	s_andn2_saveexec_b64 s[28:29], s[28:29]
; %bb.329:
	s_mov_b32 s30, 0x46800000
	v_add_f32_e64 v5, |v1|, s30
; %bb.330:
	s_or_b64 exec, exec, s[28:29]
                                        ; implicit-def: $vgpr6
.LBB62_331:
	s_andn2_saveexec_b64 s[24:25], s[24:25]
; %bb.332:
	s_mov_b32 s28, 0x7f800000
	v_mov_b32_e32 v5, 0x7e
	v_mov_b32_e32 v7, 0x7f
	v_cmp_lt_u32_e32 vcc, s28, v6
	v_cndmask_b32_e32 v5, v5, v7, vcc
; %bb.333:
	s_or_b64 exec, exec, s[24:25]
	v_lshrrev_b32_e32 v1, 24, v1
	s_movk_i32 s24, 0x80
	v_and_or_b32 v1, v1, s24, v5
	global_store_byte v[2:3], v1, off
.LBB62_334:
	s_mov_b64 s[24:25], 0
.LBB62_335:
	s_andn2_b64 vcc, exec, s[24:25]
	s_cbranch_vccnz .LBB62_345
; %bb.336:
	v_cvt_f32_i32_e32 v1, v0
	s_mov_b32 s24, 0x47800000
                                        ; implicit-def: $vgpr5
	v_and_b32_e32 v6, 0x7fffffff, v1
	v_cmp_gt_u32_e32 vcc, s24, v6
	s_and_saveexec_b64 s[24:25], vcc
	s_xor_b64 s[24:25], exec, s[24:25]
	s_cbranch_execz .LBB62_342
; %bb.337:
	s_mov_b32 s28, 0x387fffff
	v_cmp_lt_u32_e32 vcc, s28, v6
                                        ; implicit-def: $vgpr5
	s_and_saveexec_b64 s[28:29], vcc
	s_xor_b64 s[28:29], exec, s[28:29]
; %bb.338:
	v_bfe_u32 v5, v1, 21, 1
	s_mov_b32 s30, 0x80fffff
	v_add3_u32 v5, v1, v5, s30
	v_lshrrev_b32_e32 v5, 21, v5
; %bb.339:
	s_andn2_saveexec_b64 s[28:29], s[28:29]
; %bb.340:
	s_mov_b32 s30, 0x43000000
	v_add_f32_e64 v5, |v1|, s30
; %bb.341:
	s_or_b64 exec, exec, s[28:29]
                                        ; implicit-def: $vgpr6
.LBB62_342:
	s_andn2_saveexec_b64 s[24:25], s[24:25]
; %bb.343:
	s_mov_b32 s28, 0x7f800000
	v_mov_b32_e32 v5, 0x7c
	v_mov_b32_e32 v7, 0x7f
	v_cmp_lt_u32_e32 vcc, s28, v6
	v_cndmask_b32_e32 v5, v5, v7, vcc
; %bb.344:
	s_or_b64 exec, exec, s[24:25]
	v_lshrrev_b32_e32 v1, 24, v1
	s_movk_i32 s24, 0x80
	v_and_or_b32 v1, v1, s24, v5
	global_store_byte v[2:3], v1, off
.LBB62_345:
	s_mov_b64 s[28:29], 0
	s_mov_b64 s[24:25], -1
.LBB62_346:
	s_andn2_b64 vcc, exec, s[28:29]
	s_cbranch_vccnz .LBB62_354
; %bb.347:
	s_cmp_gt_i32 s35, 14
	s_mov_b64 s[28:29], -1
	s_cbranch_scc0 .LBB62_351
; %bb.348:
	s_cmp_eq_u32 s35, 15
	s_mov_b64 s[0:1], -1
	s_cbranch_scc0 .LBB62_350
; %bb.349:
	v_cvt_f32_i32_e32 v1, v0
	s_movk_i32 s0, 0x7fff
	s_mov_b64 s[24:25], -1
	v_bfe_u32 v5, v1, 16, 1
	v_add3_u32 v1, v1, v5, s0
	global_store_short_d16_hi v[2:3], v1, off
	s_mov_b64 s[0:1], 0
.LBB62_350:
	s_mov_b64 s[28:29], 0
.LBB62_351:
	s_and_b64 vcc, exec, s[28:29]
	s_cbranch_vccz .LBB62_354
; %bb.352:
	s_cmp_eq_u32 s35, 11
	s_mov_b64 s[0:1], -1
	s_cbranch_scc0 .LBB62_354
; %bb.353:
	v_cmp_ne_u32_e32 vcc, 0, v0
	v_cndmask_b32_e64 v1, 0, 1, vcc
	s_mov_b64 s[24:25], -1
	s_mov_b64 s[0:1], 0
	global_store_byte v[2:3], v1, off
.LBB62_354:
	s_mov_b64 s[28:29], 0
.LBB62_355:
	s_and_b64 vcc, exec, s[28:29]
	s_cbranch_vccz .LBB62_394
; %bb.356:
	s_and_b32 s28, 0xffff, s34
	s_cmp_lt_i32 s28, 5
	s_mov_b64 s[24:25], -1
	s_cbranch_scc1 .LBB62_377
; %bb.357:
	s_cmp_lt_i32 s28, 8
	s_cbranch_scc1 .LBB62_367
; %bb.358:
	s_cmp_lt_i32 s28, 9
	s_cbranch_scc1 .LBB62_364
; %bb.359:
	s_cmp_gt_i32 s28, 9
	s_cbranch_scc0 .LBB62_361
; %bb.360:
	v_cvt_f64_i32_e32 v[5:6], v0
	v_mov_b32_e32 v7, 0
	v_mov_b32_e32 v8, v7
	s_mov_b64 s[24:25], 0
	global_store_dwordx4 v[2:3], v[5:8], off
.LBB62_361:
	s_andn2_b64 vcc, exec, s[24:25]
	s_cbranch_vccnz .LBB62_363
; %bb.362:
	v_cvt_f32_i32_e32 v5, v0
	v_mov_b32_e32 v6, 0
	global_store_dwordx2 v[2:3], v[5:6], off
.LBB62_363:
	s_mov_b64 s[24:25], 0
.LBB62_364:
	s_andn2_b64 vcc, exec, s[24:25]
	s_cbranch_vccnz .LBB62_366
; %bb.365:
	v_cvt_f32_i32_e32 v1, v0
	v_cvt_f16_f32_e32 v1, v1
	global_store_dword v[2:3], v1, off
.LBB62_366:
	s_mov_b64 s[24:25], 0
.LBB62_367:
	s_andn2_b64 vcc, exec, s[24:25]
	s_cbranch_vccnz .LBB62_376
; %bb.368:
	s_cmp_lt_i32 s28, 6
	s_mov_b64 s[24:25], -1
	s_cbranch_scc1 .LBB62_374
; %bb.369:
	s_cmp_gt_i32 s28, 6
	s_cbranch_scc0 .LBB62_371
; %bb.370:
	v_cvt_f64_i32_e32 v[5:6], v0
	s_mov_b64 s[24:25], 0
	global_store_dwordx2 v[2:3], v[5:6], off
.LBB62_371:
	s_andn2_b64 vcc, exec, s[24:25]
	s_cbranch_vccnz .LBB62_373
; %bb.372:
	v_cvt_f32_i32_e32 v1, v0
	global_store_dword v[2:3], v1, off
.LBB62_373:
	s_mov_b64 s[24:25], 0
.LBB62_374:
	s_andn2_b64 vcc, exec, s[24:25]
	s_cbranch_vccnz .LBB62_376
; %bb.375:
	v_cvt_f32_i32_e32 v1, v0
	v_cvt_f16_f32_e32 v1, v1
	global_store_short v[2:3], v1, off
.LBB62_376:
	s_mov_b64 s[24:25], 0
.LBB62_377:
	s_andn2_b64 vcc, exec, s[24:25]
	s_cbranch_vccnz .LBB62_393
; %bb.378:
	s_cmp_lt_i32 s28, 2
	s_mov_b64 s[24:25], -1
	s_cbranch_scc1 .LBB62_388
; %bb.379:
	s_cmp_lt_i32 s28, 3
	s_cbranch_scc1 .LBB62_385
; %bb.380:
	s_cmp_gt_i32 s28, 3
	s_cbranch_scc0 .LBB62_382
; %bb.381:
	v_ashrrev_i32_e32 v1, 31, v0
	s_mov_b64 s[24:25], 0
	global_store_dwordx2 v[2:3], v[0:1], off
.LBB62_382:
	s_andn2_b64 vcc, exec, s[24:25]
	s_cbranch_vccnz .LBB62_384
; %bb.383:
	global_store_dword v[2:3], v0, off
.LBB62_384:
	s_mov_b64 s[24:25], 0
.LBB62_385:
	s_andn2_b64 vcc, exec, s[24:25]
	s_cbranch_vccnz .LBB62_387
; %bb.386:
	global_store_short v[2:3], v0, off
.LBB62_387:
	s_mov_b64 s[24:25], 0
.LBB62_388:
	s_andn2_b64 vcc, exec, s[24:25]
	s_cbranch_vccnz .LBB62_393
; %bb.389:
	s_cmp_gt_i32 s28, 0
	s_mov_b64 s[24:25], -1
	s_cbranch_scc0 .LBB62_391
; %bb.390:
	s_mov_b64 s[24:25], 0
	global_store_byte v[2:3], v0, off
.LBB62_391:
	s_andn2_b64 vcc, exec, s[24:25]
	s_cbranch_vccnz .LBB62_393
; %bb.392:
	global_store_byte v[2:3], v0, off
.LBB62_393:
	s_mov_b64 s[24:25], -1
.LBB62_394:
	s_andn2_b64 vcc, exec, s[24:25]
	s_cbranch_vccnz .LBB62_396
; %bb.395:
	v_add_u32_e32 v4, 0x80, v4
	s_mov_b64 s[28:29], -1
	s_branch .LBB62_504
.LBB62_396:
	s_mov_b64 s[28:29], 0
                                        ; implicit-def: $vgpr4
	s_branch .LBB62_504
.LBB62_397:
	s_mov_b64 s[22:23], -1
                                        ; implicit-def: $vgpr2
.LBB62_398:
	s_mov_b64 s[24:25], 0
.LBB62_399:
	s_and_b64 vcc, exec, s[24:25]
	s_cbranch_vccz .LBB62_403
; %bb.400:
	s_cmp_eq_u32 s28, 29
	s_cbranch_scc0 .LBB62_402
; %bb.401:
	global_load_dword v2, v[0:1], off
	s_mov_b64 s[0:1], -1
	s_mov_b64 s[22:23], 0
	s_branch .LBB62_403
.LBB62_402:
	s_mov_b64 s[22:23], -1
                                        ; implicit-def: $vgpr2
.LBB62_403:
	s_mov_b64 s[24:25], 0
.LBB62_404:
	s_and_b64 vcc, exec, s[24:25]
	s_cbranch_vccz .LBB62_420
; %bb.405:
	s_cmp_lt_i32 s28, 27
	s_cbranch_scc1 .LBB62_408
; %bb.406:
	s_cmp_gt_i32 s28, 27
	s_cbranch_scc0 .LBB62_409
; %bb.407:
	global_load_dword v2, v[0:1], off
	s_mov_b64 s[0:1], 0
	s_branch .LBB62_410
.LBB62_408:
	s_mov_b64 s[0:1], -1
                                        ; implicit-def: $vgpr2
	s_branch .LBB62_413
.LBB62_409:
	s_mov_b64 s[0:1], -1
                                        ; implicit-def: $vgpr2
.LBB62_410:
	s_andn2_b64 vcc, exec, s[0:1]
	s_cbranch_vccnz .LBB62_412
; %bb.411:
	global_load_ushort v2, v[0:1], off
.LBB62_412:
	s_mov_b64 s[0:1], 0
.LBB62_413:
	s_andn2_b64 vcc, exec, s[0:1]
	s_cbranch_vccnz .LBB62_419
; %bb.414:
	global_load_ubyte v3, v[0:1], off
	s_movk_i32 s0, 0x7f
	s_mov_b64 s[24:25], 0
	s_waitcnt vmcnt(0)
	v_cmp_lt_i16_e32 vcc, s0, v3
	s_and_saveexec_b64 s[0:1], vcc
	s_xor_b64 s[0:1], exec, s[0:1]
	s_cbranch_execz .LBB62_431
; %bb.415:
	s_movk_i32 s24, 0x80
	v_cmp_ne_u16_e32 vcc, s24, v3
	s_and_b64 s[24:25], vcc, exec
	s_andn2_saveexec_b64 s[0:1], s[0:1]
	s_cbranch_execnz .LBB62_432
.LBB62_416:
	s_or_b64 exec, exec, s[0:1]
	v_mov_b32_e32 v2, 0
	s_and_saveexec_b64 s[0:1], s[24:25]
	s_cbranch_execz .LBB62_418
.LBB62_417:
	v_lshlrev_b32_e32 v2, 24, v3
	v_and_b32_e32 v3, 0xffff, v3
	v_and_b32_e32 v5, 7, v3
	v_ffbh_u32_e32 v7, v5
	v_min_u32_e32 v7, 32, v7
	v_subrev_u32_e32 v8, 28, v7
	v_bfe_u32 v6, v3, 3, 4
	v_lshlrev_b32_e32 v3, v8, v3
	v_sub_u32_e32 v7, 29, v7
	v_and_b32_e32 v3, 7, v3
	v_cmp_eq_u32_e32 vcc, 0, v6
	v_cndmask_b32_e32 v6, v6, v7, vcc
	v_cndmask_b32_e32 v3, v5, v3, vcc
	v_mov_b32_e32 v5, 0x3b800000
	v_lshlrev_b32_e32 v3, 20, v3
	v_and_b32_e32 v2, 0x80000000, v2
	v_lshl_add_u32 v5, v6, 23, v5
	v_or3_b32 v2, v2, v5, v3
	v_cvt_i32_f32_e32 v2, v2
.LBB62_418:
	s_or_b64 exec, exec, s[0:1]
.LBB62_419:
	s_mov_b64 s[0:1], -1
.LBB62_420:
	s_mov_b64 s[24:25], 0
.LBB62_421:
	s_and_b64 vcc, exec, s[24:25]
	s_cbranch_vccz .LBB62_454
; %bb.422:
	s_cmp_gt_i32 s28, 22
	s_cbranch_scc0 .LBB62_430
; %bb.423:
	s_cmp_lt_i32 s28, 24
	s_cbranch_scc1 .LBB62_433
; %bb.424:
	s_cmp_gt_i32 s28, 24
	s_cbranch_scc0 .LBB62_434
; %bb.425:
	global_load_ubyte v3, v[0:1], off
	s_movk_i32 s0, 0x7f
	s_mov_b64 s[24:25], 0
	s_waitcnt vmcnt(0)
	v_cmp_lt_i16_e32 vcc, s0, v3
	s_and_saveexec_b64 s[0:1], vcc
	s_xor_b64 s[0:1], exec, s[0:1]
	s_cbranch_execz .LBB62_446
; %bb.426:
	s_movk_i32 s24, 0x80
	v_cmp_ne_u16_e32 vcc, s24, v3
	s_and_b64 s[24:25], vcc, exec
	s_andn2_saveexec_b64 s[0:1], s[0:1]
	s_cbranch_execnz .LBB62_447
.LBB62_427:
	s_or_b64 exec, exec, s[0:1]
	v_mov_b32_e32 v2, 0
	s_and_saveexec_b64 s[0:1], s[24:25]
	s_cbranch_execz .LBB62_429
.LBB62_428:
	v_lshlrev_b32_e32 v2, 24, v3
	v_and_b32_e32 v3, 0xffff, v3
	v_and_b32_e32 v5, 3, v3
	v_ffbh_u32_e32 v7, v5
	v_min_u32_e32 v7, 32, v7
	v_subrev_u32_e32 v8, 29, v7
	v_bfe_u32 v6, v3, 2, 5
	v_lshlrev_b32_e32 v3, v8, v3
	v_sub_u32_e32 v7, 30, v7
	v_and_b32_e32 v3, 3, v3
	v_cmp_eq_u32_e32 vcc, 0, v6
	v_cndmask_b32_e32 v6, v6, v7, vcc
	v_cndmask_b32_e32 v3, v5, v3, vcc
	v_mov_b32_e32 v5, 0x37800000
	v_lshlrev_b32_e32 v3, 21, v3
	v_and_b32_e32 v2, 0x80000000, v2
	v_lshl_add_u32 v5, v6, 23, v5
	v_or3_b32 v2, v2, v5, v3
	v_cvt_i32_f32_e32 v2, v2
.LBB62_429:
	s_or_b64 exec, exec, s[0:1]
	s_mov_b64 s[0:1], 0
	s_branch .LBB62_435
.LBB62_430:
	s_mov_b64 s[24:25], -1
                                        ; implicit-def: $vgpr2
	s_branch .LBB62_441
.LBB62_431:
	s_andn2_saveexec_b64 s[0:1], s[0:1]
	s_cbranch_execz .LBB62_416
.LBB62_432:
	v_cmp_ne_u16_e32 vcc, 0, v3
	s_andn2_b64 s[24:25], s[24:25], exec
	s_and_b64 s[30:31], vcc, exec
	s_or_b64 s[24:25], s[24:25], s[30:31]
	s_or_b64 exec, exec, s[0:1]
	v_mov_b32_e32 v2, 0
	s_and_saveexec_b64 s[0:1], s[24:25]
	s_cbranch_execnz .LBB62_417
	s_branch .LBB62_418
.LBB62_433:
	s_mov_b64 s[0:1], -1
                                        ; implicit-def: $vgpr2
	s_branch .LBB62_438
.LBB62_434:
	s_mov_b64 s[0:1], -1
                                        ; implicit-def: $vgpr2
.LBB62_435:
	s_and_b64 vcc, exec, s[0:1]
	s_cbranch_vccz .LBB62_437
; %bb.436:
	global_load_ubyte v2, v[0:1], off
	s_mov_b32 s0, 0x7f800000
	s_waitcnt vmcnt(0)
	v_lshlrev_b32_e32 v2, 24, v2
	v_and_b32_e32 v3, 0x7f000000, v2
	v_ffbh_u32_e32 v5, v3
	v_min_u32_e32 v5, 32, v5
	v_sub_u32_e64 v5, v5, 4 clamp
	v_lshlrev_b32_e32 v7, v5, v3
	v_lshlrev_b32_e32 v5, 23, v5
	v_lshrrev_b32_e32 v7, 4, v7
	v_add_u32_e32 v6, 0x1000000, v3
	v_sub_u32_e32 v5, v7, v5
	v_ashrrev_i32_e32 v6, 8, v6
	v_add_u32_e32 v5, 0x3c000000, v5
	v_and_or_b32 v5, v6, s0, v5
	v_cmp_ne_u32_e32 vcc, 0, v3
	v_cndmask_b32_e32 v3, 0, v5, vcc
	s_brev_b32 s0, 1
	v_and_or_b32 v2, v2, s0, v3
	v_cvt_i32_f32_e32 v2, v2
.LBB62_437:
	s_mov_b64 s[0:1], 0
.LBB62_438:
	s_andn2_b64 vcc, exec, s[0:1]
	s_cbranch_vccnz .LBB62_440
; %bb.439:
	global_load_ubyte v2, v[0:1], off
	s_movk_i32 s0, 0x7f00
	s_brev_b32 s1, 16
	s_waitcnt vmcnt(0)
	v_lshlrev_b16_e32 v3, 8, v2
	v_lshlrev_b32_e32 v2, 25, v2
	v_lshrrev_b32_e32 v5, 4, v2
	v_and_or_b32 v6, v3, s0, 0.5
	v_or_b32_e32 v5, 0x70000000, v5
	v_add_f32_e32 v6, -0.5, v6
	v_mul_f32_e32 v5, 0x7800000, v5
	v_cmp_gt_u32_e32 vcc, s1, v2
	v_bfe_i32 v3, v3, 0, 16
	v_cndmask_b32_e32 v2, v5, v6, vcc
	s_brev_b32 s0, 1
	v_and_or_b32 v2, v3, s0, v2
	v_cvt_i32_f32_e32 v2, v2
.LBB62_440:
	s_mov_b64 s[24:25], 0
	s_mov_b64 s[0:1], -1
.LBB62_441:
	s_andn2_b64 vcc, exec, s[24:25]
	s_cbranch_vccnz .LBB62_454
; %bb.442:
	s_cmp_gt_i32 s28, 14
	s_cbranch_scc0 .LBB62_445
; %bb.443:
	s_cmp_eq_u32 s28, 15
	s_cbranch_scc0 .LBB62_448
; %bb.444:
	global_load_ushort v2, v[0:1], off
	s_mov_b64 s[0:1], -1
	s_mov_b64 s[22:23], 0
	s_waitcnt vmcnt(0)
	v_lshlrev_b32_e32 v2, 16, v2
	v_cvt_i32_f32_e32 v2, v2
	s_branch .LBB62_449
.LBB62_445:
	s_mov_b64 s[24:25], -1
                                        ; implicit-def: $vgpr2
	s_branch .LBB62_450
.LBB62_446:
	s_andn2_saveexec_b64 s[0:1], s[0:1]
	s_cbranch_execz .LBB62_427
.LBB62_447:
	v_cmp_ne_u16_e32 vcc, 0, v3
	s_andn2_b64 s[24:25], s[24:25], exec
	s_and_b64 s[30:31], vcc, exec
	s_or_b64 s[24:25], s[24:25], s[30:31]
	s_or_b64 exec, exec, s[0:1]
	v_mov_b32_e32 v2, 0
	s_and_saveexec_b64 s[0:1], s[24:25]
	s_cbranch_execnz .LBB62_428
	s_branch .LBB62_429
.LBB62_448:
	s_mov_b64 s[22:23], -1
                                        ; implicit-def: $vgpr2
.LBB62_449:
	s_mov_b64 s[24:25], 0
.LBB62_450:
	s_and_b64 vcc, exec, s[24:25]
	s_cbranch_vccz .LBB62_454
; %bb.451:
	s_cmp_eq_u32 s28, 11
	s_cbranch_scc0 .LBB62_453
; %bb.452:
	global_load_ubyte v2, v[0:1], off
	s_mov_b64 s[0:1], -1
	s_mov_b64 s[22:23], 0
	s_waitcnt vmcnt(0)
	v_cmp_ne_u16_e32 vcc, 0, v2
	v_cndmask_b32_e64 v2, 0, 1, vcc
	s_branch .LBB62_454
.LBB62_453:
	s_mov_b64 s[22:23], -1
                                        ; implicit-def: $vgpr2
.LBB62_454:
	s_branch .LBB62_261
.LBB62_455:
	s_cmp_lt_i32 s28, 5
	s_cbranch_scc1 .LBB62_460
; %bb.456:
	s_cmp_lt_i32 s28, 8
	s_cbranch_scc1 .LBB62_461
; %bb.457:
	;; [unrolled: 3-line block ×3, first 2 shown]
	s_cmp_gt_i32 s28, 9
	s_cbranch_scc0 .LBB62_463
; %bb.459:
	global_load_dwordx2 v[2:3], v[0:1], off
	s_mov_b64 s[0:1], 0
	s_waitcnt vmcnt(0)
	v_cvt_i32_f64_e32 v2, v[2:3]
	s_branch .LBB62_464
.LBB62_460:
	s_mov_b64 s[0:1], -1
                                        ; implicit-def: $vgpr2
	s_branch .LBB62_482
.LBB62_461:
	s_mov_b64 s[0:1], -1
                                        ; implicit-def: $vgpr2
	s_branch .LBB62_470
.LBB62_462:
	s_mov_b64 s[0:1], -1
                                        ; implicit-def: $vgpr2
	s_branch .LBB62_467
.LBB62_463:
	s_mov_b64 s[0:1], -1
                                        ; implicit-def: $vgpr2
.LBB62_464:
	s_andn2_b64 vcc, exec, s[0:1]
	s_cbranch_vccnz .LBB62_466
; %bb.465:
	global_load_dword v2, v[0:1], off
	s_waitcnt vmcnt(0)
	v_cvt_i32_f32_e32 v2, v2
.LBB62_466:
	s_mov_b64 s[0:1], 0
.LBB62_467:
	s_andn2_b64 vcc, exec, s[0:1]
	s_cbranch_vccnz .LBB62_469
; %bb.468:
	global_load_dword v2, v[0:1], off
	s_waitcnt vmcnt(0)
	v_cvt_f32_f16_e32 v2, v2
	v_cvt_i32_f32_e32 v2, v2
.LBB62_469:
	s_mov_b64 s[0:1], 0
.LBB62_470:
	s_andn2_b64 vcc, exec, s[0:1]
	s_cbranch_vccnz .LBB62_481
; %bb.471:
	s_cmp_lt_i32 s28, 6
	s_cbranch_scc1 .LBB62_474
; %bb.472:
	s_cmp_gt_i32 s28, 6
	s_cbranch_scc0 .LBB62_475
; %bb.473:
	global_load_dwordx2 v[2:3], v[0:1], off
	s_mov_b64 s[0:1], 0
	s_waitcnt vmcnt(0)
	v_cvt_i32_f64_e32 v2, v[2:3]
	s_branch .LBB62_476
.LBB62_474:
	s_mov_b64 s[0:1], -1
                                        ; implicit-def: $vgpr2
	s_branch .LBB62_479
.LBB62_475:
	s_mov_b64 s[0:1], -1
                                        ; implicit-def: $vgpr2
.LBB62_476:
	s_andn2_b64 vcc, exec, s[0:1]
	s_cbranch_vccnz .LBB62_478
; %bb.477:
	global_load_dword v2, v[0:1], off
	s_waitcnt vmcnt(0)
	v_cvt_i32_f32_e32 v2, v2
.LBB62_478:
	s_mov_b64 s[0:1], 0
.LBB62_479:
	s_andn2_b64 vcc, exec, s[0:1]
	s_cbranch_vccnz .LBB62_481
; %bb.480:
	global_load_ushort v2, v[0:1], off
	s_waitcnt vmcnt(0)
	v_cvt_f32_f16_e32 v2, v2
	v_cvt_i32_f32_e32 v2, v2
.LBB62_481:
	s_mov_b64 s[0:1], 0
.LBB62_482:
	s_andn2_b64 vcc, exec, s[0:1]
	s_cbranch_vccnz .LBB62_502
; %bb.483:
	s_cmp_lt_i32 s28, 2
	s_cbranch_scc1 .LBB62_487
; %bb.484:
	s_cmp_lt_i32 s28, 3
	s_cbranch_scc1 .LBB62_488
; %bb.485:
	s_cmp_gt_i32 s28, 3
	s_cbranch_scc0 .LBB62_489
; %bb.486:
	global_load_dword v2, v[0:1], off
	s_mov_b64 s[0:1], 0
	s_branch .LBB62_490
.LBB62_487:
	s_mov_b64 s[0:1], -1
                                        ; implicit-def: $vgpr2
	s_branch .LBB62_496
.LBB62_488:
	s_mov_b64 s[0:1], -1
                                        ; implicit-def: $vgpr2
	s_branch .LBB62_493
.LBB62_489:
	s_mov_b64 s[0:1], -1
                                        ; implicit-def: $vgpr2
.LBB62_490:
	s_andn2_b64 vcc, exec, s[0:1]
	s_cbranch_vccnz .LBB62_492
; %bb.491:
	global_load_dword v2, v[0:1], off
.LBB62_492:
	s_mov_b64 s[0:1], 0
.LBB62_493:
	s_andn2_b64 vcc, exec, s[0:1]
	s_cbranch_vccnz .LBB62_495
; %bb.494:
	global_load_sshort v2, v[0:1], off
.LBB62_495:
	s_mov_b64 s[0:1], 0
.LBB62_496:
	s_andn2_b64 vcc, exec, s[0:1]
	s_cbranch_vccnz .LBB62_502
; %bb.497:
	s_cmp_gt_i32 s28, 0
	s_cbranch_scc0 .LBB62_499
; %bb.498:
	global_load_sbyte v2, v[0:1], off
	s_mov_b64 s[0:1], 0
	s_branch .LBB62_500
.LBB62_499:
	s_mov_b64 s[0:1], -1
                                        ; implicit-def: $vgpr2
.LBB62_500:
	s_andn2_b64 vcc, exec, s[0:1]
	s_cbranch_vccnz .LBB62_502
; %bb.501:
	global_load_ubyte v2, v[0:1], off
.LBB62_502:
	s_branch .LBB62_262
.LBB62_503:
	s_mov_b64 s[28:29], 0
                                        ; implicit-def: $vgpr4
	s_mov_b64 s[0:1], s[16:17]
.LBB62_504:
	s_andn2_b64 s[24:25], s[16:17], exec
	s_and_b64 s[0:1], s[0:1], exec
	s_or_b64 s[24:25], s[24:25], s[0:1]
	s_andn2_b64 s[0:1], s[18:19], exec
	s_and_b64 s[22:23], s[22:23], exec
	s_or_b64 s[22:23], s[0:1], s[22:23]
	s_orn2_b64 s[0:1], s[28:29], exec
.LBB62_505:
	s_or_b64 exec, exec, s[26:27]
	s_mov_b64 s[28:29], 0
	s_mov_b64 s[30:31], 0
	;; [unrolled: 1-line block ×3, first 2 shown]
                                        ; implicit-def: $vgpr0_vgpr1
                                        ; implicit-def: $vgpr5
	s_and_saveexec_b64 s[26:27], s[0:1]
	s_cbranch_execz .LBB62_842
; %bb.506:
	v_cmp_gt_i32_e32 vcc, s42, v4
	s_mov_b64 s[38:39], -1
	s_mov_b64 s[0:1], s[22:23]
	s_mov_b64 s[34:35], s[24:25]
	s_and_saveexec_b64 s[28:29], vcc
	s_cbranch_execz .LBB62_760
; %bb.507:
	v_mul_lo_u32 v0, v4, s13
	v_mov_b32_e32 v1, s11
	s_and_b32 s36, 0xffff, s33
	s_cmp_lt_i32 s36, 11
	s_waitcnt vmcnt(0)
	v_ashrrev_i32_e32 v2, 31, v0
	v_add_co_u32_e32 v0, vcc, s10, v0
	v_addc_co_u32_e32 v1, vcc, v1, v2, vcc
	s_cbranch_scc1 .LBB62_514
; %bb.508:
	s_cmp_gt_i32 s36, 25
	s_cbranch_scc0 .LBB62_515
; %bb.509:
	s_cmp_gt_i32 s36, 28
	s_cbranch_scc0 .LBB62_516
	;; [unrolled: 3-line block ×4, first 2 shown]
; %bb.512:
	s_cmp_eq_u32 s36, 46
	s_mov_b64 s[34:35], 0
	s_cbranch_scc0 .LBB62_523
; %bb.513:
	global_load_dword v2, v[0:1], off
	s_mov_b64 s[0:1], -1
	s_waitcnt vmcnt(0)
	v_lshlrev_b32_e32 v2, 16, v2
	v_cvt_i32_f32_e32 v2, v2
	s_branch .LBB62_524
.LBB62_514:
	s_mov_b64 s[34:35], -1
	s_mov_b64 s[0:1], 0
                                        ; implicit-def: $vgpr2
	s_mov_b64 s[30:31], s[22:23]
	s_branch .LBB62_585
.LBB62_515:
	s_mov_b64 s[34:35], -1
	s_mov_b64 s[0:1], 0
	s_mov_b64 s[30:31], s[22:23]
                                        ; implicit-def: $vgpr2
	s_branch .LBB62_551
.LBB62_516:
	s_mov_b64 s[34:35], -1
	s_mov_b64 s[0:1], 0
	s_mov_b64 s[30:31], s[22:23]
                                        ; implicit-def: $vgpr2
	s_branch .LBB62_534
.LBB62_517:
	s_mov_b64 s[34:35], -1
	s_mov_b64 s[0:1], 0
	s_mov_b64 s[30:31], s[22:23]
                                        ; implicit-def: $vgpr2
	s_branch .LBB62_529
.LBB62_518:
	s_andn2_saveexec_b64 s[30:31], s[30:31]
	s_cbranch_execz .LBB62_307
.LBB62_519:
	s_mov_b32 s36, 0x46000000
	v_add_f32_e64 v5, |v1|, s36
	v_and_b32_e32 v5, 0xff, v5
	v_cmp_ne_u32_e32 vcc, 0, v5
	s_andn2_b64 s[28:29], s[28:29], exec
	s_and_b64 s[36:37], vcc, exec
	s_or_b64 s[28:29], s[28:29], s[36:37]
	s_or_b64 exec, exec, s[30:31]
	v_mov_b32_e32 v6, 0
	s_and_saveexec_b64 s[30:31], s[28:29]
	s_cbranch_execnz .LBB62_308
	s_branch .LBB62_309
.LBB62_520:
	s_mov_b64 s[34:35], -1
	s_mov_b64 s[0:1], 0
	s_mov_b64 s[30:31], s[22:23]
                                        ; implicit-def: $vgpr2
	s_branch .LBB62_524
.LBB62_521:
	s_andn2_saveexec_b64 s[30:31], s[30:31]
	s_cbranch_execz .LBB62_320
.LBB62_522:
	s_mov_b32 s36, 0x42800000
	v_add_f32_e64 v5, |v1|, s36
	v_and_b32_e32 v5, 0xff, v5
	v_cmp_ne_u32_e32 vcc, 0, v5
	s_andn2_b64 s[28:29], s[28:29], exec
	s_and_b64 s[36:37], vcc, exec
	s_or_b64 s[28:29], s[28:29], s[36:37]
	s_or_b64 exec, exec, s[30:31]
	v_mov_b32_e32 v6, 0
	s_and_saveexec_b64 s[30:31], s[28:29]
	s_cbranch_execnz .LBB62_321
	s_branch .LBB62_322
.LBB62_523:
	s_mov_b64 s[30:31], -1
                                        ; implicit-def: $vgpr2
	s_mov_b64 s[0:1], 0
.LBB62_524:
	s_and_b64 vcc, exec, s[34:35]
	s_cbranch_vccz .LBB62_528
; %bb.525:
	s_cmp_eq_u32 s36, 44
	s_cbranch_scc0 .LBB62_527
; %bb.526:
	global_load_ubyte v2, v[0:1], off
	s_mov_b64 s[0:1], -1
	s_mov_b64 s[30:31], 0
	s_waitcnt vmcnt(0)
	v_lshlrev_b32_e32 v3, 23, v2
	v_cvt_i32_f32_e32 v3, v3
	v_cmp_ne_u32_e32 vcc, 0, v2
	v_cndmask_b32_e32 v2, 0, v3, vcc
	s_branch .LBB62_528
.LBB62_527:
	s_mov_b64 s[30:31], -1
                                        ; implicit-def: $vgpr2
.LBB62_528:
	s_mov_b64 s[34:35], 0
.LBB62_529:
	s_and_b64 vcc, exec, s[34:35]
	s_cbranch_vccz .LBB62_533
; %bb.530:
	s_cmp_eq_u32 s36, 29
	s_cbranch_scc0 .LBB62_532
; %bb.531:
	global_load_dword v2, v[0:1], off
	s_mov_b64 s[0:1], -1
	s_mov_b64 s[30:31], 0
	s_branch .LBB62_533
.LBB62_532:
	s_mov_b64 s[30:31], -1
                                        ; implicit-def: $vgpr2
.LBB62_533:
	s_mov_b64 s[34:35], 0
.LBB62_534:
	s_and_b64 vcc, exec, s[34:35]
	s_cbranch_vccz .LBB62_550
; %bb.535:
	s_cmp_lt_i32 s36, 27
	s_cbranch_scc1 .LBB62_538
; %bb.536:
	s_cmp_gt_i32 s36, 27
	s_cbranch_scc0 .LBB62_539
; %bb.537:
	global_load_dword v2, v[0:1], off
	s_mov_b64 s[0:1], 0
	s_branch .LBB62_540
.LBB62_538:
	s_mov_b64 s[0:1], -1
                                        ; implicit-def: $vgpr2
	s_branch .LBB62_543
.LBB62_539:
	s_mov_b64 s[0:1], -1
                                        ; implicit-def: $vgpr2
.LBB62_540:
	s_andn2_b64 vcc, exec, s[0:1]
	s_cbranch_vccnz .LBB62_542
; %bb.541:
	global_load_ushort v2, v[0:1], off
.LBB62_542:
	s_mov_b64 s[0:1], 0
.LBB62_543:
	s_andn2_b64 vcc, exec, s[0:1]
	s_cbranch_vccnz .LBB62_549
; %bb.544:
	global_load_ubyte v3, v[0:1], off
	s_movk_i32 s0, 0x7f
	s_mov_b64 s[34:35], 0
	s_waitcnt vmcnt(0)
	v_cmp_lt_i16_e32 vcc, s0, v3
	s_and_saveexec_b64 s[0:1], vcc
	s_xor_b64 s[0:1], exec, s[0:1]
	s_cbranch_execz .LBB62_561
; %bb.545:
	s_movk_i32 s34, 0x80
	v_cmp_ne_u16_e32 vcc, s34, v3
	s_and_b64 s[34:35], vcc, exec
	s_andn2_saveexec_b64 s[0:1], s[0:1]
	s_cbranch_execnz .LBB62_562
.LBB62_546:
	s_or_b64 exec, exec, s[0:1]
	v_mov_b32_e32 v2, 0
	s_and_saveexec_b64 s[0:1], s[34:35]
	s_cbranch_execz .LBB62_548
.LBB62_547:
	v_lshlrev_b32_e32 v2, 24, v3
	v_and_b32_e32 v3, 0xffff, v3
	v_and_b32_e32 v5, 7, v3
	v_ffbh_u32_e32 v7, v5
	v_min_u32_e32 v7, 32, v7
	v_subrev_u32_e32 v8, 28, v7
	v_bfe_u32 v6, v3, 3, 4
	v_lshlrev_b32_e32 v3, v8, v3
	v_sub_u32_e32 v7, 29, v7
	v_and_b32_e32 v3, 7, v3
	v_cmp_eq_u32_e32 vcc, 0, v6
	v_cndmask_b32_e32 v6, v6, v7, vcc
	v_cndmask_b32_e32 v3, v5, v3, vcc
	v_mov_b32_e32 v5, 0x3b800000
	v_lshlrev_b32_e32 v3, 20, v3
	v_and_b32_e32 v2, 0x80000000, v2
	v_lshl_add_u32 v5, v6, 23, v5
	v_or3_b32 v2, v2, v5, v3
	v_cvt_i32_f32_e32 v2, v2
.LBB62_548:
	s_or_b64 exec, exec, s[0:1]
.LBB62_549:
	s_mov_b64 s[0:1], -1
.LBB62_550:
	s_mov_b64 s[34:35], 0
.LBB62_551:
	s_and_b64 vcc, exec, s[34:35]
	s_cbranch_vccz .LBB62_584
; %bb.552:
	s_cmp_gt_i32 s36, 22
	s_cbranch_scc0 .LBB62_560
; %bb.553:
	s_cmp_lt_i32 s36, 24
	s_cbranch_scc1 .LBB62_563
; %bb.554:
	s_cmp_gt_i32 s36, 24
	s_cbranch_scc0 .LBB62_564
; %bb.555:
	global_load_ubyte v3, v[0:1], off
	s_movk_i32 s0, 0x7f
	s_mov_b64 s[34:35], 0
	s_waitcnt vmcnt(0)
	v_cmp_lt_i16_e32 vcc, s0, v3
	s_and_saveexec_b64 s[0:1], vcc
	s_xor_b64 s[0:1], exec, s[0:1]
	s_cbranch_execz .LBB62_576
; %bb.556:
	s_movk_i32 s34, 0x80
	v_cmp_ne_u16_e32 vcc, s34, v3
	s_and_b64 s[34:35], vcc, exec
	s_andn2_saveexec_b64 s[0:1], s[0:1]
	s_cbranch_execnz .LBB62_577
.LBB62_557:
	s_or_b64 exec, exec, s[0:1]
	v_mov_b32_e32 v2, 0
	s_and_saveexec_b64 s[0:1], s[34:35]
	s_cbranch_execz .LBB62_559
.LBB62_558:
	v_lshlrev_b32_e32 v2, 24, v3
	v_and_b32_e32 v3, 0xffff, v3
	v_and_b32_e32 v5, 3, v3
	v_ffbh_u32_e32 v7, v5
	v_min_u32_e32 v7, 32, v7
	v_subrev_u32_e32 v8, 29, v7
	v_bfe_u32 v6, v3, 2, 5
	v_lshlrev_b32_e32 v3, v8, v3
	v_sub_u32_e32 v7, 30, v7
	v_and_b32_e32 v3, 3, v3
	v_cmp_eq_u32_e32 vcc, 0, v6
	v_cndmask_b32_e32 v6, v6, v7, vcc
	v_cndmask_b32_e32 v3, v5, v3, vcc
	v_mov_b32_e32 v5, 0x37800000
	v_lshlrev_b32_e32 v3, 21, v3
	v_and_b32_e32 v2, 0x80000000, v2
	v_lshl_add_u32 v5, v6, 23, v5
	v_or3_b32 v2, v2, v5, v3
	v_cvt_i32_f32_e32 v2, v2
.LBB62_559:
	s_or_b64 exec, exec, s[0:1]
	s_mov_b64 s[0:1], 0
	s_branch .LBB62_565
.LBB62_560:
	s_mov_b64 s[34:35], -1
                                        ; implicit-def: $vgpr2
	s_branch .LBB62_571
.LBB62_561:
	s_andn2_saveexec_b64 s[0:1], s[0:1]
	s_cbranch_execz .LBB62_546
.LBB62_562:
	v_cmp_ne_u16_e32 vcc, 0, v3
	s_andn2_b64 s[34:35], s[34:35], exec
	s_and_b64 s[38:39], vcc, exec
	s_or_b64 s[34:35], s[34:35], s[38:39]
	s_or_b64 exec, exec, s[0:1]
	v_mov_b32_e32 v2, 0
	s_and_saveexec_b64 s[0:1], s[34:35]
	s_cbranch_execnz .LBB62_547
	s_branch .LBB62_548
.LBB62_563:
	s_mov_b64 s[0:1], -1
                                        ; implicit-def: $vgpr2
	s_branch .LBB62_568
.LBB62_564:
	s_mov_b64 s[0:1], -1
                                        ; implicit-def: $vgpr2
.LBB62_565:
	s_and_b64 vcc, exec, s[0:1]
	s_cbranch_vccz .LBB62_567
; %bb.566:
	global_load_ubyte v2, v[0:1], off
	s_mov_b32 s0, 0x7f800000
	s_waitcnt vmcnt(0)
	v_lshlrev_b32_e32 v2, 24, v2
	v_and_b32_e32 v3, 0x7f000000, v2
	v_ffbh_u32_e32 v5, v3
	v_min_u32_e32 v5, 32, v5
	v_sub_u32_e64 v5, v5, 4 clamp
	v_lshlrev_b32_e32 v7, v5, v3
	v_lshlrev_b32_e32 v5, 23, v5
	v_lshrrev_b32_e32 v7, 4, v7
	v_add_u32_e32 v6, 0x1000000, v3
	v_sub_u32_e32 v5, v7, v5
	v_ashrrev_i32_e32 v6, 8, v6
	v_add_u32_e32 v5, 0x3c000000, v5
	v_and_or_b32 v5, v6, s0, v5
	v_cmp_ne_u32_e32 vcc, 0, v3
	v_cndmask_b32_e32 v3, 0, v5, vcc
	s_brev_b32 s0, 1
	v_and_or_b32 v2, v2, s0, v3
	v_cvt_i32_f32_e32 v2, v2
.LBB62_567:
	s_mov_b64 s[0:1], 0
.LBB62_568:
	s_andn2_b64 vcc, exec, s[0:1]
	s_cbranch_vccnz .LBB62_570
; %bb.569:
	global_load_ubyte v2, v[0:1], off
	s_movk_i32 s0, 0x7f00
	s_brev_b32 s1, 16
	s_waitcnt vmcnt(0)
	v_lshlrev_b16_e32 v3, 8, v2
	v_lshlrev_b32_e32 v2, 25, v2
	v_lshrrev_b32_e32 v5, 4, v2
	v_and_or_b32 v6, v3, s0, 0.5
	v_or_b32_e32 v5, 0x70000000, v5
	v_add_f32_e32 v6, -0.5, v6
	v_mul_f32_e32 v5, 0x7800000, v5
	v_cmp_gt_u32_e32 vcc, s1, v2
	v_bfe_i32 v3, v3, 0, 16
	v_cndmask_b32_e32 v2, v5, v6, vcc
	s_brev_b32 s0, 1
	v_and_or_b32 v2, v3, s0, v2
	v_cvt_i32_f32_e32 v2, v2
.LBB62_570:
	s_mov_b64 s[34:35], 0
	s_mov_b64 s[0:1], -1
.LBB62_571:
	s_andn2_b64 vcc, exec, s[34:35]
	s_cbranch_vccnz .LBB62_584
; %bb.572:
	s_cmp_gt_i32 s36, 14
	s_cbranch_scc0 .LBB62_575
; %bb.573:
	s_cmp_eq_u32 s36, 15
	s_cbranch_scc0 .LBB62_578
; %bb.574:
	global_load_ushort v2, v[0:1], off
	s_mov_b64 s[0:1], -1
	s_mov_b64 s[30:31], 0
	s_waitcnt vmcnt(0)
	v_lshlrev_b32_e32 v2, 16, v2
	v_cvt_i32_f32_e32 v2, v2
	s_branch .LBB62_579
.LBB62_575:
	s_mov_b64 s[34:35], -1
                                        ; implicit-def: $vgpr2
	s_branch .LBB62_580
.LBB62_576:
	s_andn2_saveexec_b64 s[0:1], s[0:1]
	s_cbranch_execz .LBB62_557
.LBB62_577:
	v_cmp_ne_u16_e32 vcc, 0, v3
	s_andn2_b64 s[34:35], s[34:35], exec
	s_and_b64 s[38:39], vcc, exec
	s_or_b64 s[34:35], s[34:35], s[38:39]
	s_or_b64 exec, exec, s[0:1]
	v_mov_b32_e32 v2, 0
	s_and_saveexec_b64 s[0:1], s[34:35]
	s_cbranch_execnz .LBB62_558
	s_branch .LBB62_559
.LBB62_578:
	s_mov_b64 s[30:31], -1
                                        ; implicit-def: $vgpr2
.LBB62_579:
	s_mov_b64 s[34:35], 0
.LBB62_580:
	s_and_b64 vcc, exec, s[34:35]
	s_cbranch_vccz .LBB62_584
; %bb.581:
	s_cmp_eq_u32 s36, 11
	s_cbranch_scc0 .LBB62_583
; %bb.582:
	global_load_ubyte v2, v[0:1], off
	s_mov_b64 s[0:1], -1
	s_mov_b64 s[30:31], 0
	s_waitcnt vmcnt(0)
	v_cmp_ne_u16_e32 vcc, 0, v2
	v_cndmask_b32_e64 v2, 0, 1, vcc
	s_branch .LBB62_584
.LBB62_583:
	s_mov_b64 s[30:31], -1
                                        ; implicit-def: $vgpr2
.LBB62_584:
	s_mov_b64 s[34:35], 0
.LBB62_585:
	s_and_b64 vcc, exec, s[34:35]
	s_cbranch_vccz .LBB62_634
; %bb.586:
	s_cmp_lt_i32 s36, 5
	s_cbranch_scc1 .LBB62_591
; %bb.587:
	s_cmp_lt_i32 s36, 8
	s_cbranch_scc1 .LBB62_592
	;; [unrolled: 3-line block ×3, first 2 shown]
; %bb.589:
	s_cmp_gt_i32 s36, 9
	s_cbranch_scc0 .LBB62_594
; %bb.590:
	global_load_dwordx2 v[2:3], v[0:1], off
	s_mov_b64 s[0:1], 0
	s_waitcnt vmcnt(0)
	v_cvt_i32_f64_e32 v2, v[2:3]
	s_branch .LBB62_595
.LBB62_591:
	s_mov_b64 s[0:1], -1
                                        ; implicit-def: $vgpr2
	s_branch .LBB62_613
.LBB62_592:
	s_mov_b64 s[0:1], -1
                                        ; implicit-def: $vgpr2
	s_branch .LBB62_601
.LBB62_593:
	s_mov_b64 s[0:1], -1
                                        ; implicit-def: $vgpr2
	s_branch .LBB62_598
.LBB62_594:
	s_mov_b64 s[0:1], -1
                                        ; implicit-def: $vgpr2
.LBB62_595:
	s_andn2_b64 vcc, exec, s[0:1]
	s_cbranch_vccnz .LBB62_597
; %bb.596:
	global_load_dword v2, v[0:1], off
	s_waitcnt vmcnt(0)
	v_cvt_i32_f32_e32 v2, v2
.LBB62_597:
	s_mov_b64 s[0:1], 0
.LBB62_598:
	s_andn2_b64 vcc, exec, s[0:1]
	s_cbranch_vccnz .LBB62_600
; %bb.599:
	global_load_dword v2, v[0:1], off
	s_waitcnt vmcnt(0)
	v_cvt_f32_f16_e32 v2, v2
	v_cvt_i32_f32_e32 v2, v2
.LBB62_600:
	s_mov_b64 s[0:1], 0
.LBB62_601:
	s_andn2_b64 vcc, exec, s[0:1]
	s_cbranch_vccnz .LBB62_612
; %bb.602:
	s_cmp_lt_i32 s36, 6
	s_cbranch_scc1 .LBB62_605
; %bb.603:
	s_cmp_gt_i32 s36, 6
	s_cbranch_scc0 .LBB62_606
; %bb.604:
	global_load_dwordx2 v[2:3], v[0:1], off
	s_mov_b64 s[0:1], 0
	s_waitcnt vmcnt(0)
	v_cvt_i32_f64_e32 v2, v[2:3]
	s_branch .LBB62_607
.LBB62_605:
	s_mov_b64 s[0:1], -1
                                        ; implicit-def: $vgpr2
	s_branch .LBB62_610
.LBB62_606:
	s_mov_b64 s[0:1], -1
                                        ; implicit-def: $vgpr2
.LBB62_607:
	s_andn2_b64 vcc, exec, s[0:1]
	s_cbranch_vccnz .LBB62_609
; %bb.608:
	global_load_dword v2, v[0:1], off
	s_waitcnt vmcnt(0)
	v_cvt_i32_f32_e32 v2, v2
.LBB62_609:
	s_mov_b64 s[0:1], 0
.LBB62_610:
	s_andn2_b64 vcc, exec, s[0:1]
	s_cbranch_vccnz .LBB62_612
; %bb.611:
	global_load_ushort v2, v[0:1], off
	s_waitcnt vmcnt(0)
	v_cvt_f32_f16_e32 v2, v2
	v_cvt_i32_f32_e32 v2, v2
.LBB62_612:
	s_mov_b64 s[0:1], 0
.LBB62_613:
	s_andn2_b64 vcc, exec, s[0:1]
	s_cbranch_vccnz .LBB62_633
; %bb.614:
	s_cmp_lt_i32 s36, 2
	s_cbranch_scc1 .LBB62_618
; %bb.615:
	s_cmp_lt_i32 s36, 3
	s_cbranch_scc1 .LBB62_619
; %bb.616:
	s_cmp_gt_i32 s36, 3
	s_cbranch_scc0 .LBB62_620
; %bb.617:
	global_load_dword v2, v[0:1], off
	s_mov_b64 s[0:1], 0
	s_branch .LBB62_621
.LBB62_618:
	s_mov_b64 s[0:1], -1
                                        ; implicit-def: $vgpr2
	s_branch .LBB62_627
.LBB62_619:
	s_mov_b64 s[0:1], -1
                                        ; implicit-def: $vgpr2
	s_branch .LBB62_624
.LBB62_620:
	s_mov_b64 s[0:1], -1
                                        ; implicit-def: $vgpr2
.LBB62_621:
	s_andn2_b64 vcc, exec, s[0:1]
	s_cbranch_vccnz .LBB62_623
; %bb.622:
	global_load_dword v2, v[0:1], off
.LBB62_623:
	s_mov_b64 s[0:1], 0
.LBB62_624:
	s_andn2_b64 vcc, exec, s[0:1]
	s_cbranch_vccnz .LBB62_626
; %bb.625:
	global_load_sshort v2, v[0:1], off
.LBB62_626:
	s_mov_b64 s[0:1], 0
.LBB62_627:
	s_andn2_b64 vcc, exec, s[0:1]
	s_cbranch_vccnz .LBB62_633
; %bb.628:
	s_cmp_gt_i32 s36, 0
	s_cbranch_scc0 .LBB62_630
; %bb.629:
	global_load_sbyte v2, v[0:1], off
	s_mov_b64 s[0:1], 0
	s_branch .LBB62_631
.LBB62_630:
	s_mov_b64 s[0:1], -1
                                        ; implicit-def: $vgpr2
.LBB62_631:
	s_andn2_b64 vcc, exec, s[0:1]
	s_cbranch_vccnz .LBB62_633
; %bb.632:
	global_load_ubyte v2, v[0:1], off
.LBB62_633:
	s_mov_b64 s[0:1], -1
.LBB62_634:
	s_andn2_b64 vcc, exec, s[0:1]
	s_cbranch_vccnz .LBB62_642
; %bb.635:
	v_mul_lo_u32 v1, v4, s12
	s_waitcnt vmcnt(0)
	v_lshlrev_b32_e32 v0, s2, v2
	v_mov_b32_e32 v3, s9
	s_and_b32 s40, s3, 0xff
	v_ashrrev_i32_e32 v5, 31, v1
	v_add_co_u32_e32 v2, vcc, s8, v1
	v_cndmask_b32_e64 v0, v0, 0, s[14:15]
	s_cmp_lt_i32 s40, 11
	v_addc_co_u32_e32 v3, vcc, v3, v5, vcc
	s_cbranch_scc1 .LBB62_643
; %bb.636:
	s_and_b32 s41, 0xffff, s40
	s_cmp_gt_i32 s41, 25
	s_cbranch_scc0 .LBB62_644
; %bb.637:
	s_cmp_gt_i32 s41, 28
	s_cbranch_scc0 .LBB62_645
; %bb.638:
	;; [unrolled: 3-line block ×4, first 2 shown]
	s_mov_b64 s[36:37], 0
	s_mov_b64 s[0:1], -1
	s_cmp_eq_u32 s41, 46
	s_mov_b64 s[34:35], 0
	s_cbranch_scc0 .LBB62_648
; %bb.641:
	v_cvt_f32_i32_e32 v1, v0
	s_movk_i32 s0, 0x7fff
	s_mov_b64 s[34:35], -1
	v_bfe_u32 v5, v1, 16, 1
	v_add3_u32 v1, v1, v5, s0
	v_lshrrev_b32_e32 v1, 16, v1
	global_store_dword v[2:3], v1, off
	s_mov_b64 s[0:1], 0
	s_branch .LBB62_648
.LBB62_642:
	s_mov_b64 s[36:37], 0
                                        ; implicit-def: $vgpr4
	s_mov_b64 s[0:1], s[24:25]
	s_branch .LBB62_759
.LBB62_643:
	s_mov_b64 s[36:37], -1
	s_mov_b64 s[34:35], 0
	s_mov_b64 s[0:1], s[24:25]
	s_branch .LBB62_717
.LBB62_644:
	s_mov_b64 s[36:37], -1
	s_mov_b64 s[34:35], 0
	s_mov_b64 s[0:1], s[24:25]
	s_branch .LBB62_675
.LBB62_645:
	s_mov_b64 s[36:37], -1
	s_mov_b64 s[34:35], 0
	s_mov_b64 s[0:1], s[24:25]
	s_branch .LBB62_658
.LBB62_646:
	s_mov_b64 s[36:37], -1
	s_mov_b64 s[34:35], 0
	s_mov_b64 s[0:1], s[24:25]
	s_branch .LBB62_654
.LBB62_647:
	s_mov_b64 s[36:37], -1
	s_mov_b64 s[34:35], 0
	s_mov_b64 s[0:1], s[24:25]
.LBB62_648:
	s_and_b64 vcc, exec, s[36:37]
	s_cbranch_vccz .LBB62_653
; %bb.649:
	s_cmp_eq_u32 s41, 44
	s_mov_b64 s[0:1], -1
	s_cbranch_scc0 .LBB62_653
; %bb.650:
	v_cvt_f32_i32_e32 v1, v0
	s_movk_i32 s0, 0xff
	v_mov_b32_e32 v6, 0xff
	v_bfe_u32 v5, v1, 23, 8
	v_cmp_ne_u32_e32 vcc, s0, v5
	s_and_saveexec_b64 s[34:35], vcc
; %bb.651:
	s_mov_b32 s0, 0x3fffff
	v_lshrrev_b32_e32 v6, 23, v1
	v_and_b32_e32 v7, 0x400000, v1
	v_and_or_b32 v1, v1, s0, v5
	v_cmp_ne_u32_e32 vcc, 0, v7
	v_cmp_ne_u32_e64 s[0:1], 0, v1
	s_and_b64 s[0:1], vcc, s[0:1]
	v_cndmask_b32_e64 v1, 0, 1, s[0:1]
	v_add_u32_e32 v6, v6, v1
; %bb.652:
	s_or_b64 exec, exec, s[34:35]
	s_mov_b64 s[34:35], -1
	s_mov_b64 s[0:1], 0
	global_store_byte v[2:3], v6, off
.LBB62_653:
	s_mov_b64 s[36:37], 0
.LBB62_654:
	s_and_b64 vcc, exec, s[36:37]
	s_cbranch_vccz .LBB62_657
; %bb.655:
	s_cmp_eq_u32 s41, 29
	s_mov_b64 s[0:1], -1
	s_cbranch_scc0 .LBB62_657
; %bb.656:
	v_ashrrev_i32_e32 v1, 31, v0
	global_store_dwordx2 v[2:3], v[0:1], off
	s_mov_b64 s[34:35], -1
	s_mov_b64 s[0:1], 0
.LBB62_657:
	s_mov_b64 s[36:37], 0
.LBB62_658:
	s_and_b64 vcc, exec, s[36:37]
	s_cbranch_vccz .LBB62_674
; %bb.659:
	s_cmp_lt_i32 s41, 27
	s_mov_b64 s[34:35], -1
	s_cbranch_scc1 .LBB62_665
; %bb.660:
	s_cmp_gt_i32 s41, 27
	s_cbranch_scc0 .LBB62_662
; %bb.661:
	s_mov_b64 s[34:35], 0
	global_store_dword v[2:3], v0, off
.LBB62_662:
	s_andn2_b64 vcc, exec, s[34:35]
	s_cbranch_vccnz .LBB62_664
; %bb.663:
	global_store_short v[2:3], v0, off
.LBB62_664:
	s_mov_b64 s[34:35], 0
.LBB62_665:
	s_andn2_b64 vcc, exec, s[34:35]
	s_cbranch_vccnz .LBB62_673
; %bb.666:
	v_cvt_f32_i32_e32 v1, v0
	s_mov_b32 s34, 0x43800000
	v_mov_b32_e32 v6, 0x80
	v_and_b32_e32 v5, 0x7fffffff, v1
	v_cmp_gt_u32_e32 vcc, s34, v5
	s_and_saveexec_b64 s[34:35], vcc
	s_cbranch_execz .LBB62_672
; %bb.667:
	s_mov_b32 s36, 0x3bffffff
	v_cmp_lt_u32_e32 vcc, s36, v5
	s_mov_b64 s[36:37], 0
                                        ; implicit-def: $vgpr5
	s_and_saveexec_b64 s[38:39], vcc
	s_xor_b64 s[38:39], exec, s[38:39]
	s_cbranch_execz .LBB62_773
; %bb.668:
	v_bfe_u32 v5, v1, 20, 1
	s_mov_b32 s43, 0x487ffff
	v_add3_u32 v5, v1, v5, s43
	s_mov_b64 s[36:37], exec
	v_lshrrev_b32_e32 v5, 20, v5
	s_andn2_saveexec_b64 s[38:39], s[38:39]
	s_cbranch_execnz .LBB62_774
.LBB62_669:
	s_or_b64 exec, exec, s[38:39]
	v_mov_b32_e32 v6, 0
	s_and_saveexec_b64 s[38:39], s[36:37]
.LBB62_670:
	v_lshrrev_b32_e32 v1, 24, v1
	s_movk_i32 s36, 0x80
	v_and_or_b32 v6, v1, s36, v5
.LBB62_671:
	s_or_b64 exec, exec, s[38:39]
.LBB62_672:
	s_or_b64 exec, exec, s[34:35]
	global_store_byte v[2:3], v6, off
.LBB62_673:
	s_mov_b64 s[34:35], -1
.LBB62_674:
	s_mov_b64 s[36:37], 0
.LBB62_675:
	s_and_b64 vcc, exec, s[36:37]
	s_cbranch_vccz .LBB62_716
; %bb.676:
	s_cmp_gt_i32 s41, 22
	s_mov_b64 s[36:37], -1
	s_cbranch_scc0 .LBB62_708
; %bb.677:
	s_cmp_lt_i32 s41, 24
	s_mov_b64 s[34:35], -1
	s_cbranch_scc1 .LBB62_697
; %bb.678:
	s_cmp_gt_i32 s41, 24
	s_cbranch_scc0 .LBB62_686
; %bb.679:
	v_cvt_f32_i32_e32 v1, v0
	s_mov_b32 s34, 0x47800000
	v_mov_b32_e32 v6, 0x80
	v_and_b32_e32 v5, 0x7fffffff, v1
	v_cmp_gt_u32_e32 vcc, s34, v5
	s_and_saveexec_b64 s[34:35], vcc
	s_cbranch_execz .LBB62_685
; %bb.680:
	s_mov_b32 s36, 0x37ffffff
	v_cmp_lt_u32_e32 vcc, s36, v5
	s_mov_b64 s[36:37], 0
                                        ; implicit-def: $vgpr5
	s_and_saveexec_b64 s[38:39], vcc
	s_xor_b64 s[38:39], exec, s[38:39]
	s_cbranch_execz .LBB62_776
; %bb.681:
	v_bfe_u32 v5, v1, 21, 1
	s_mov_b32 s43, 0x88fffff
	v_add3_u32 v5, v1, v5, s43
	s_mov_b64 s[36:37], exec
	v_lshrrev_b32_e32 v5, 21, v5
	s_andn2_saveexec_b64 s[38:39], s[38:39]
	s_cbranch_execnz .LBB62_777
.LBB62_682:
	s_or_b64 exec, exec, s[38:39]
	v_mov_b32_e32 v6, 0
	s_and_saveexec_b64 s[38:39], s[36:37]
.LBB62_683:
	v_lshrrev_b32_e32 v1, 24, v1
	s_movk_i32 s36, 0x80
	v_and_or_b32 v6, v1, s36, v5
.LBB62_684:
	s_or_b64 exec, exec, s[38:39]
.LBB62_685:
	s_or_b64 exec, exec, s[34:35]
	s_mov_b64 s[34:35], 0
	global_store_byte v[2:3], v6, off
.LBB62_686:
	s_and_b64 vcc, exec, s[34:35]
	s_cbranch_vccz .LBB62_696
; %bb.687:
	v_cvt_f32_i32_e32 v1, v0
	s_mov_b32 s34, 0x43f00000
                                        ; implicit-def: $vgpr5
	v_and_b32_e32 v6, 0x7fffffff, v1
	v_cmp_gt_u32_e32 vcc, s34, v6
	s_and_saveexec_b64 s[34:35], vcc
	s_xor_b64 s[34:35], exec, s[34:35]
	s_cbranch_execz .LBB62_693
; %bb.688:
	s_mov_b32 s36, 0x3c7fffff
	v_cmp_lt_u32_e32 vcc, s36, v6
                                        ; implicit-def: $vgpr5
	s_and_saveexec_b64 s[36:37], vcc
	s_xor_b64 s[36:37], exec, s[36:37]
; %bb.689:
	v_bfe_u32 v5, v1, 20, 1
	s_mov_b32 s38, 0x407ffff
	v_add3_u32 v5, v1, v5, s38
	v_lshrrev_b32_e32 v6, 20, v5
	v_and_b32_e32 v5, 0xff00000, v5
	s_mov_b32 s38, 0x7f00000
	v_mov_b32_e32 v7, 0x7e
	v_cmp_ne_u32_e32 vcc, s38, v5
	v_cndmask_b32_e32 v5, v7, v6, vcc
; %bb.690:
	s_andn2_saveexec_b64 s[36:37], s[36:37]
; %bb.691:
	s_mov_b32 s38, 0x46800000
	v_add_f32_e64 v5, |v1|, s38
; %bb.692:
	s_or_b64 exec, exec, s[36:37]
                                        ; implicit-def: $vgpr6
.LBB62_693:
	s_andn2_saveexec_b64 s[34:35], s[34:35]
; %bb.694:
	s_mov_b32 s36, 0x7f800000
	v_mov_b32_e32 v5, 0x7e
	v_mov_b32_e32 v7, 0x7f
	v_cmp_lt_u32_e32 vcc, s36, v6
	v_cndmask_b32_e32 v5, v5, v7, vcc
; %bb.695:
	s_or_b64 exec, exec, s[34:35]
	v_lshrrev_b32_e32 v1, 24, v1
	s_movk_i32 s34, 0x80
	v_and_or_b32 v1, v1, s34, v5
	global_store_byte v[2:3], v1, off
.LBB62_696:
	s_mov_b64 s[34:35], 0
.LBB62_697:
	s_andn2_b64 vcc, exec, s[34:35]
	s_cbranch_vccnz .LBB62_707
; %bb.698:
	v_cvt_f32_i32_e32 v1, v0
	s_mov_b32 s34, 0x47800000
                                        ; implicit-def: $vgpr5
	v_and_b32_e32 v6, 0x7fffffff, v1
	v_cmp_gt_u32_e32 vcc, s34, v6
	s_and_saveexec_b64 s[34:35], vcc
	s_xor_b64 s[34:35], exec, s[34:35]
	s_cbranch_execz .LBB62_704
; %bb.699:
	s_mov_b32 s36, 0x387fffff
	v_cmp_lt_u32_e32 vcc, s36, v6
                                        ; implicit-def: $vgpr5
	s_and_saveexec_b64 s[36:37], vcc
	s_xor_b64 s[36:37], exec, s[36:37]
; %bb.700:
	v_bfe_u32 v5, v1, 21, 1
	s_mov_b32 s38, 0x80fffff
	v_add3_u32 v5, v1, v5, s38
	v_lshrrev_b32_e32 v5, 21, v5
; %bb.701:
	s_andn2_saveexec_b64 s[36:37], s[36:37]
; %bb.702:
	s_mov_b32 s38, 0x43000000
	v_add_f32_e64 v5, |v1|, s38
; %bb.703:
	s_or_b64 exec, exec, s[36:37]
                                        ; implicit-def: $vgpr6
.LBB62_704:
	s_andn2_saveexec_b64 s[34:35], s[34:35]
; %bb.705:
	s_mov_b32 s36, 0x7f800000
	v_mov_b32_e32 v5, 0x7c
	v_mov_b32_e32 v7, 0x7f
	v_cmp_lt_u32_e32 vcc, s36, v6
	v_cndmask_b32_e32 v5, v5, v7, vcc
; %bb.706:
	s_or_b64 exec, exec, s[34:35]
	v_lshrrev_b32_e32 v1, 24, v1
	s_movk_i32 s34, 0x80
	v_and_or_b32 v1, v1, s34, v5
	global_store_byte v[2:3], v1, off
.LBB62_707:
	s_mov_b64 s[36:37], 0
	s_mov_b64 s[34:35], -1
.LBB62_708:
	s_andn2_b64 vcc, exec, s[36:37]
	s_cbranch_vccnz .LBB62_716
; %bb.709:
	s_cmp_gt_i32 s41, 14
	s_mov_b64 s[36:37], -1
	s_cbranch_scc0 .LBB62_713
; %bb.710:
	s_cmp_eq_u32 s41, 15
	s_mov_b64 s[0:1], -1
	s_cbranch_scc0 .LBB62_712
; %bb.711:
	v_cvt_f32_i32_e32 v1, v0
	s_movk_i32 s0, 0x7fff
	s_mov_b64 s[34:35], -1
	v_bfe_u32 v5, v1, 16, 1
	v_add3_u32 v1, v1, v5, s0
	global_store_short_d16_hi v[2:3], v1, off
	s_mov_b64 s[0:1], 0
.LBB62_712:
	s_mov_b64 s[36:37], 0
.LBB62_713:
	s_and_b64 vcc, exec, s[36:37]
	s_cbranch_vccz .LBB62_716
; %bb.714:
	s_cmp_eq_u32 s41, 11
	s_mov_b64 s[0:1], -1
	s_cbranch_scc0 .LBB62_716
; %bb.715:
	v_cmp_ne_u32_e32 vcc, 0, v0
	v_cndmask_b32_e64 v1, 0, 1, vcc
	s_mov_b64 s[34:35], -1
	s_mov_b64 s[0:1], 0
	global_store_byte v[2:3], v1, off
.LBB62_716:
	s_mov_b64 s[36:37], 0
.LBB62_717:
	s_and_b64 vcc, exec, s[36:37]
	s_cbranch_vccz .LBB62_756
; %bb.718:
	s_and_b32 s36, 0xffff, s40
	s_cmp_lt_i32 s36, 5
	s_mov_b64 s[34:35], -1
	s_cbranch_scc1 .LBB62_739
; %bb.719:
	s_cmp_lt_i32 s36, 8
	s_cbranch_scc1 .LBB62_729
; %bb.720:
	s_cmp_lt_i32 s36, 9
	s_cbranch_scc1 .LBB62_726
; %bb.721:
	s_cmp_gt_i32 s36, 9
	s_cbranch_scc0 .LBB62_723
; %bb.722:
	v_cvt_f64_i32_e32 v[5:6], v0
	v_mov_b32_e32 v7, 0
	v_mov_b32_e32 v8, v7
	s_mov_b64 s[34:35], 0
	global_store_dwordx4 v[2:3], v[5:8], off
.LBB62_723:
	s_andn2_b64 vcc, exec, s[34:35]
	s_cbranch_vccnz .LBB62_725
; %bb.724:
	v_cvt_f32_i32_e32 v5, v0
	v_mov_b32_e32 v6, 0
	global_store_dwordx2 v[2:3], v[5:6], off
.LBB62_725:
	s_mov_b64 s[34:35], 0
.LBB62_726:
	s_andn2_b64 vcc, exec, s[34:35]
	s_cbranch_vccnz .LBB62_728
; %bb.727:
	v_cvt_f32_i32_e32 v1, v0
	v_cvt_f16_f32_e32 v1, v1
	global_store_dword v[2:3], v1, off
.LBB62_728:
	s_mov_b64 s[34:35], 0
.LBB62_729:
	s_andn2_b64 vcc, exec, s[34:35]
	s_cbranch_vccnz .LBB62_738
; %bb.730:
	s_cmp_lt_i32 s36, 6
	s_mov_b64 s[34:35], -1
	s_cbranch_scc1 .LBB62_736
; %bb.731:
	s_cmp_gt_i32 s36, 6
	s_cbranch_scc0 .LBB62_733
; %bb.732:
	v_cvt_f64_i32_e32 v[5:6], v0
	s_mov_b64 s[34:35], 0
	global_store_dwordx2 v[2:3], v[5:6], off
.LBB62_733:
	s_andn2_b64 vcc, exec, s[34:35]
	s_cbranch_vccnz .LBB62_735
; %bb.734:
	v_cvt_f32_i32_e32 v1, v0
	global_store_dword v[2:3], v1, off
.LBB62_735:
	s_mov_b64 s[34:35], 0
.LBB62_736:
	s_andn2_b64 vcc, exec, s[34:35]
	s_cbranch_vccnz .LBB62_738
; %bb.737:
	v_cvt_f32_i32_e32 v1, v0
	v_cvt_f16_f32_e32 v1, v1
	global_store_short v[2:3], v1, off
.LBB62_738:
	s_mov_b64 s[34:35], 0
.LBB62_739:
	s_andn2_b64 vcc, exec, s[34:35]
	s_cbranch_vccnz .LBB62_755
; %bb.740:
	s_cmp_lt_i32 s36, 2
	s_mov_b64 s[34:35], -1
	s_cbranch_scc1 .LBB62_750
; %bb.741:
	s_cmp_lt_i32 s36, 3
	s_cbranch_scc1 .LBB62_747
; %bb.742:
	s_cmp_gt_i32 s36, 3
	s_cbranch_scc0 .LBB62_744
; %bb.743:
	v_ashrrev_i32_e32 v1, 31, v0
	s_mov_b64 s[34:35], 0
	global_store_dwordx2 v[2:3], v[0:1], off
.LBB62_744:
	s_andn2_b64 vcc, exec, s[34:35]
	s_cbranch_vccnz .LBB62_746
; %bb.745:
	global_store_dword v[2:3], v0, off
.LBB62_746:
	s_mov_b64 s[34:35], 0
.LBB62_747:
	s_andn2_b64 vcc, exec, s[34:35]
	s_cbranch_vccnz .LBB62_749
; %bb.748:
	global_store_short v[2:3], v0, off
.LBB62_749:
	s_mov_b64 s[34:35], 0
.LBB62_750:
	s_andn2_b64 vcc, exec, s[34:35]
	s_cbranch_vccnz .LBB62_755
; %bb.751:
	s_cmp_gt_i32 s36, 0
	s_mov_b64 s[34:35], -1
	s_cbranch_scc0 .LBB62_753
; %bb.752:
	s_mov_b64 s[34:35], 0
	global_store_byte v[2:3], v0, off
.LBB62_753:
	s_andn2_b64 vcc, exec, s[34:35]
	s_cbranch_vccnz .LBB62_755
; %bb.754:
	global_store_byte v[2:3], v0, off
.LBB62_755:
	s_mov_b64 s[34:35], -1
.LBB62_756:
	s_andn2_b64 vcc, exec, s[34:35]
	s_cbranch_vccnz .LBB62_758
; %bb.757:
	v_add_u32_e32 v4, 0x80, v4
	s_mov_b64 s[36:37], -1
	s_branch .LBB62_759
.LBB62_758:
	s_mov_b64 s[36:37], 0
                                        ; implicit-def: $vgpr4
.LBB62_759:
	s_andn2_b64 s[34:35], s[24:25], exec
	s_and_b64 s[0:1], s[0:1], exec
	s_or_b64 s[34:35], s[34:35], s[0:1]
	s_andn2_b64 s[0:1], s[22:23], exec
	s_and_b64 s[30:31], s[30:31], exec
	s_or_b64 s[0:1], s[0:1], s[30:31]
	s_orn2_b64 s[38:39], s[36:37], exec
.LBB62_760:
	s_or_b64 exec, exec, s[28:29]
	s_mov_b64 s[36:37], 0
	s_mov_b64 s[30:31], 0
	;; [unrolled: 1-line block ×3, first 2 shown]
                                        ; implicit-def: $vgpr0_vgpr1
                                        ; implicit-def: $vgpr5
	s_and_saveexec_b64 s[28:29], s[38:39]
	s_cbranch_execz .LBB62_841
; %bb.761:
	v_cmp_gt_i32_e32 vcc, s42, v4
	s_mov_b64 s[38:39], 0
	s_mov_b64 s[42:43], s[0:1]
	;; [unrolled: 1-line block ×3, first 2 shown]
                                        ; implicit-def: $vgpr0_vgpr1
                                        ; implicit-def: $vgpr5
	s_and_saveexec_b64 s[30:31], vcc
	s_cbranch_execz .LBB62_840
; %bb.762:
	v_mul_lo_u32 v0, v4, s13
	v_mov_b32_e32 v1, s11
	s_and_b32 s44, 0xffff, s33
	s_cmp_lt_i32 s44, 11
	s_waitcnt vmcnt(0)
	v_ashrrev_i32_e32 v2, 31, v0
	v_add_co_u32_e32 v0, vcc, s10, v0
	v_addc_co_u32_e32 v1, vcc, v1, v2, vcc
	s_cbranch_scc1 .LBB62_769
; %bb.763:
	s_cmp_gt_i32 s44, 25
	s_cbranch_scc0 .LBB62_770
; %bb.764:
	s_cmp_gt_i32 s44, 28
	s_cbranch_scc0 .LBB62_771
	;; [unrolled: 3-line block ×4, first 2 shown]
; %bb.767:
	s_cmp_eq_u32 s44, 46
	s_mov_b64 s[42:43], 0
	s_cbranch_scc0 .LBB62_778
; %bb.768:
	global_load_dword v2, v[0:1], off
	s_mov_b64 s[40:41], -1
	s_waitcnt vmcnt(0)
	v_lshlrev_b32_e32 v2, 16, v2
	v_cvt_i32_f32_e32 v5, v2
	s_branch .LBB62_780
.LBB62_769:
	s_mov_b64 s[42:43], -1
                                        ; implicit-def: $vgpr5
	s_mov_b64 s[36:37], s[0:1]
	s_branch .LBB62_839
.LBB62_770:
	s_mov_b64 s[42:43], -1
	s_mov_b64 s[36:37], s[0:1]
                                        ; implicit-def: $vgpr5
	s_branch .LBB62_807
.LBB62_771:
	s_mov_b64 s[42:43], -1
	s_mov_b64 s[36:37], s[0:1]
                                        ; implicit-def: $vgpr5
	s_branch .LBB62_790
.LBB62_772:
	s_mov_b64 s[42:43], -1
	s_mov_b64 s[36:37], s[0:1]
                                        ; implicit-def: $vgpr5
	s_branch .LBB62_785
.LBB62_773:
	s_andn2_saveexec_b64 s[38:39], s[38:39]
	s_cbranch_execz .LBB62_669
.LBB62_774:
	s_mov_b32 s43, 0x46000000
	v_add_f32_e64 v5, |v1|, s43
	v_and_b32_e32 v5, 0xff, v5
	v_cmp_ne_u32_e32 vcc, 0, v5
	s_andn2_b64 s[36:37], s[36:37], exec
	s_and_b64 s[44:45], vcc, exec
	s_or_b64 s[36:37], s[36:37], s[44:45]
	s_or_b64 exec, exec, s[38:39]
	v_mov_b32_e32 v6, 0
	s_and_saveexec_b64 s[38:39], s[36:37]
	s_cbranch_execnz .LBB62_670
	s_branch .LBB62_671
.LBB62_775:
	s_mov_b64 s[42:43], -1
	s_mov_b64 s[36:37], s[0:1]
	s_branch .LBB62_779
.LBB62_776:
	s_andn2_saveexec_b64 s[38:39], s[38:39]
	s_cbranch_execz .LBB62_682
.LBB62_777:
	s_mov_b32 s43, 0x42800000
	v_add_f32_e64 v5, |v1|, s43
	v_and_b32_e32 v5, 0xff, v5
	v_cmp_ne_u32_e32 vcc, 0, v5
	s_andn2_b64 s[36:37], s[36:37], exec
	s_and_b64 s[44:45], vcc, exec
	s_or_b64 s[36:37], s[36:37], s[44:45]
	s_or_b64 exec, exec, s[38:39]
	v_mov_b32_e32 v6, 0
	s_and_saveexec_b64 s[38:39], s[36:37]
	s_cbranch_execnz .LBB62_683
	s_branch .LBB62_684
.LBB62_778:
	s_mov_b64 s[36:37], -1
.LBB62_779:
                                        ; implicit-def: $vgpr5
.LBB62_780:
	s_and_b64 vcc, exec, s[42:43]
	s_cbranch_vccz .LBB62_784
; %bb.781:
	s_cmp_eq_u32 s44, 44
	s_cbranch_scc0 .LBB62_783
; %bb.782:
	global_load_ubyte v2, v[0:1], off
	s_mov_b64 s[36:37], 0
	s_mov_b64 s[40:41], -1
	s_waitcnt vmcnt(0)
	v_lshlrev_b32_e32 v3, 23, v2
	v_cvt_i32_f32_e32 v3, v3
	v_cmp_ne_u32_e32 vcc, 0, v2
	v_cndmask_b32_e32 v5, 0, v3, vcc
	s_branch .LBB62_784
.LBB62_783:
	s_mov_b64 s[36:37], -1
                                        ; implicit-def: $vgpr5
.LBB62_784:
	s_mov_b64 s[42:43], 0
.LBB62_785:
	s_and_b64 vcc, exec, s[42:43]
	s_cbranch_vccz .LBB62_789
; %bb.786:
	s_cmp_eq_u32 s44, 29
	s_cbranch_scc0 .LBB62_788
; %bb.787:
	global_load_dword v5, v[0:1], off
	s_mov_b64 s[36:37], 0
	s_mov_b64 s[40:41], -1
	s_branch .LBB62_789
.LBB62_788:
	s_mov_b64 s[36:37], -1
                                        ; implicit-def: $vgpr5
.LBB62_789:
	s_mov_b64 s[42:43], 0
.LBB62_790:
	s_and_b64 vcc, exec, s[42:43]
	s_cbranch_vccz .LBB62_806
; %bb.791:
	s_cmp_lt_i32 s44, 27
	s_cbranch_scc1 .LBB62_794
; %bb.792:
	s_cmp_gt_i32 s44, 27
	s_cbranch_scc0 .LBB62_795
; %bb.793:
	global_load_dword v5, v[0:1], off
	s_mov_b64 s[40:41], 0
	s_branch .LBB62_796
.LBB62_794:
	s_mov_b64 s[40:41], -1
                                        ; implicit-def: $vgpr5
	s_branch .LBB62_799
.LBB62_795:
	s_mov_b64 s[40:41], -1
                                        ; implicit-def: $vgpr5
.LBB62_796:
	s_andn2_b64 vcc, exec, s[40:41]
	s_cbranch_vccnz .LBB62_798
; %bb.797:
	global_load_ushort v5, v[0:1], off
.LBB62_798:
	s_mov_b64 s[40:41], 0
.LBB62_799:
	s_andn2_b64 vcc, exec, s[40:41]
	s_cbranch_vccnz .LBB62_805
; %bb.800:
	global_load_ubyte v2, v[0:1], off
	s_movk_i32 s40, 0x7f
	s_mov_b64 s[42:43], 0
	s_waitcnt vmcnt(0)
	v_cmp_lt_i16_e32 vcc, s40, v2
	s_and_saveexec_b64 s[40:41], vcc
	s_xor_b64 s[40:41], exec, s[40:41]
	s_cbranch_execz .LBB62_817
; %bb.801:
	s_movk_i32 s42, 0x80
	v_cmp_ne_u16_e32 vcc, s42, v2
	s_and_b64 s[42:43], vcc, exec
	s_andn2_saveexec_b64 s[40:41], s[40:41]
	s_cbranch_execnz .LBB62_818
.LBB62_802:
	s_or_b64 exec, exec, s[40:41]
	v_mov_b32_e32 v5, 0
	s_and_saveexec_b64 s[40:41], s[42:43]
	s_cbranch_execz .LBB62_804
.LBB62_803:
	v_lshlrev_b32_e32 v3, 24, v2
	v_and_b32_e32 v2, 0xffff, v2
	v_and_b32_e32 v5, 7, v2
	v_ffbh_u32_e32 v7, v5
	v_min_u32_e32 v7, 32, v7
	v_subrev_u32_e32 v8, 28, v7
	v_bfe_u32 v6, v2, 3, 4
	v_lshlrev_b32_e32 v2, v8, v2
	v_sub_u32_e32 v7, 29, v7
	v_and_b32_e32 v2, 7, v2
	v_cmp_eq_u32_e32 vcc, 0, v6
	v_cndmask_b32_e32 v6, v6, v7, vcc
	v_cndmask_b32_e32 v2, v5, v2, vcc
	v_mov_b32_e32 v5, 0x3b800000
	v_lshlrev_b32_e32 v2, 20, v2
	v_and_b32_e32 v3, 0x80000000, v3
	v_lshl_add_u32 v5, v6, 23, v5
	v_or3_b32 v2, v3, v5, v2
	v_cvt_i32_f32_e32 v5, v2
.LBB62_804:
	s_or_b64 exec, exec, s[40:41]
.LBB62_805:
	s_mov_b64 s[40:41], -1
.LBB62_806:
	s_mov_b64 s[42:43], 0
.LBB62_807:
	s_and_b64 vcc, exec, s[42:43]
	s_cbranch_vccz .LBB62_838
; %bb.808:
	s_cmp_gt_i32 s44, 22
	s_cbranch_scc0 .LBB62_816
; %bb.809:
	s_cmp_lt_i32 s44, 24
	s_cbranch_scc1 .LBB62_819
; %bb.810:
	s_cmp_gt_i32 s44, 24
	s_cbranch_scc0 .LBB62_820
; %bb.811:
	global_load_ubyte v2, v[0:1], off
	s_movk_i32 s38, 0x7f
	s_mov_b64 s[40:41], 0
	s_waitcnt vmcnt(0)
	v_cmp_lt_i16_e32 vcc, s38, v2
	s_and_saveexec_b64 s[38:39], vcc
	s_xor_b64 s[38:39], exec, s[38:39]
	s_cbranch_execz .LBB62_832
; %bb.812:
	s_movk_i32 s40, 0x80
	v_cmp_ne_u16_e32 vcc, s40, v2
	s_and_b64 s[40:41], vcc, exec
	s_andn2_saveexec_b64 s[38:39], s[38:39]
	s_cbranch_execnz .LBB62_833
.LBB62_813:
	s_or_b64 exec, exec, s[38:39]
	v_mov_b32_e32 v5, 0
	s_and_saveexec_b64 s[38:39], s[40:41]
	s_cbranch_execz .LBB62_815
.LBB62_814:
	v_lshlrev_b32_e32 v3, 24, v2
	v_and_b32_e32 v2, 0xffff, v2
	v_and_b32_e32 v5, 3, v2
	v_ffbh_u32_e32 v7, v5
	v_min_u32_e32 v7, 32, v7
	v_subrev_u32_e32 v8, 29, v7
	v_bfe_u32 v6, v2, 2, 5
	v_lshlrev_b32_e32 v2, v8, v2
	v_sub_u32_e32 v7, 30, v7
	v_and_b32_e32 v2, 3, v2
	v_cmp_eq_u32_e32 vcc, 0, v6
	v_cndmask_b32_e32 v6, v6, v7, vcc
	v_cndmask_b32_e32 v2, v5, v2, vcc
	v_mov_b32_e32 v5, 0x37800000
	v_lshlrev_b32_e32 v2, 21, v2
	v_and_b32_e32 v3, 0x80000000, v3
	v_lshl_add_u32 v5, v6, 23, v5
	v_or3_b32 v2, v3, v5, v2
	v_cvt_i32_f32_e32 v5, v2
.LBB62_815:
	s_or_b64 exec, exec, s[38:39]
	s_mov_b64 s[38:39], 0
	s_branch .LBB62_821
.LBB62_816:
	s_mov_b64 s[38:39], -1
                                        ; implicit-def: $vgpr5
	s_branch .LBB62_827
.LBB62_817:
	s_andn2_saveexec_b64 s[40:41], s[40:41]
	s_cbranch_execz .LBB62_802
.LBB62_818:
	v_cmp_ne_u16_e32 vcc, 0, v2
	s_andn2_b64 s[42:43], s[42:43], exec
	s_and_b64 s[46:47], vcc, exec
	s_or_b64 s[42:43], s[42:43], s[46:47]
	s_or_b64 exec, exec, s[40:41]
	v_mov_b32_e32 v5, 0
	s_and_saveexec_b64 s[40:41], s[42:43]
	s_cbranch_execnz .LBB62_803
	s_branch .LBB62_804
.LBB62_819:
	s_mov_b64 s[38:39], -1
                                        ; implicit-def: $vgpr5
	s_branch .LBB62_824
.LBB62_820:
	s_mov_b64 s[38:39], -1
                                        ; implicit-def: $vgpr5
.LBB62_821:
	s_and_b64 vcc, exec, s[38:39]
	s_cbranch_vccz .LBB62_823
; %bb.822:
	global_load_ubyte v2, v[0:1], off
	s_mov_b32 s38, 0x7f800000
	s_waitcnt vmcnt(0)
	v_lshlrev_b32_e32 v2, 24, v2
	v_and_b32_e32 v3, 0x7f000000, v2
	v_ffbh_u32_e32 v5, v3
	v_min_u32_e32 v5, 32, v5
	v_sub_u32_e64 v5, v5, 4 clamp
	v_lshlrev_b32_e32 v7, v5, v3
	v_lshlrev_b32_e32 v5, 23, v5
	v_lshrrev_b32_e32 v7, 4, v7
	v_add_u32_e32 v6, 0x1000000, v3
	v_sub_u32_e32 v5, v7, v5
	v_ashrrev_i32_e32 v6, 8, v6
	v_add_u32_e32 v5, 0x3c000000, v5
	v_and_or_b32 v5, v6, s38, v5
	v_cmp_ne_u32_e32 vcc, 0, v3
	v_cndmask_b32_e32 v3, 0, v5, vcc
	s_brev_b32 s38, 1
	v_and_or_b32 v2, v2, s38, v3
	v_cvt_i32_f32_e32 v5, v2
.LBB62_823:
	s_mov_b64 s[38:39], 0
.LBB62_824:
	s_andn2_b64 vcc, exec, s[38:39]
	s_cbranch_vccnz .LBB62_826
; %bb.825:
	global_load_ubyte v2, v[0:1], off
	s_movk_i32 s38, 0x7f00
	s_brev_b32 s39, 16
	s_waitcnt vmcnt(0)
	v_lshlrev_b16_e32 v3, 8, v2
	v_lshlrev_b32_e32 v2, 25, v2
	v_lshrrev_b32_e32 v5, 4, v2
	v_and_or_b32 v6, v3, s38, 0.5
	v_or_b32_e32 v5, 0x70000000, v5
	v_add_f32_e32 v6, -0.5, v6
	v_mul_f32_e32 v5, 0x7800000, v5
	v_cmp_gt_u32_e32 vcc, s39, v2
	v_bfe_i32 v3, v3, 0, 16
	v_cndmask_b32_e32 v2, v5, v6, vcc
	s_brev_b32 s38, 1
	v_and_or_b32 v2, v3, s38, v2
	v_cvt_i32_f32_e32 v5, v2
.LBB62_826:
	s_mov_b64 s[38:39], 0
	s_mov_b64 s[40:41], -1
.LBB62_827:
	s_andn2_b64 vcc, exec, s[38:39]
	s_mov_b64 s[38:39], 0
	s_cbranch_vccnz .LBB62_838
; %bb.828:
	s_cmp_gt_i32 s44, 14
	s_cbranch_scc0 .LBB62_831
; %bb.829:
	s_cmp_eq_u32 s44, 15
	s_cbranch_scc0 .LBB62_834
; %bb.830:
	global_load_ushort v2, v[0:1], off
	s_mov_b64 s[36:37], 0
	s_mov_b64 s[40:41], -1
	s_waitcnt vmcnt(0)
	v_lshlrev_b32_e32 v2, 16, v2
	v_cvt_i32_f32_e32 v5, v2
	s_branch .LBB62_835
.LBB62_831:
	s_mov_b64 s[42:43], -1
                                        ; implicit-def: $vgpr5
	s_branch .LBB62_836
.LBB62_832:
	s_andn2_saveexec_b64 s[38:39], s[38:39]
	s_cbranch_execz .LBB62_813
.LBB62_833:
	v_cmp_ne_u16_e32 vcc, 0, v2
	s_andn2_b64 s[40:41], s[40:41], exec
	s_and_b64 s[42:43], vcc, exec
	s_or_b64 s[40:41], s[40:41], s[42:43]
	s_or_b64 exec, exec, s[38:39]
	v_mov_b32_e32 v5, 0
	s_and_saveexec_b64 s[38:39], s[40:41]
	s_cbranch_execnz .LBB62_814
	s_branch .LBB62_815
.LBB62_834:
	s_mov_b64 s[36:37], -1
                                        ; implicit-def: $vgpr5
.LBB62_835:
	s_mov_b64 s[42:43], 0
.LBB62_836:
	s_and_b64 vcc, exec, s[42:43]
	s_cbranch_vccz .LBB62_838
; %bb.837:
	s_cmp_lg_u32 s44, 11
	s_cselect_b64 s[42:43], -1, 0
	s_andn2_b64 s[36:37], s[36:37], exec
	s_and_b64 s[42:43], s[42:43], exec
	s_mov_b64 s[38:39], -1
	s_or_b64 s[36:37], s[36:37], s[42:43]
.LBB62_838:
	s_mov_b64 s[42:43], 0
.LBB62_839:
	s_and_b64 s[44:45], s[42:43], exec
	s_andn2_b64 s[42:43], s[0:1], exec
	s_and_b64 s[36:37], s[36:37], exec
	s_and_b64 s[40:41], s[40:41], exec
	s_and_b64 s[38:39], s[38:39], exec
	s_or_b64 s[42:43], s[42:43], s[36:37]
.LBB62_840:
	s_or_b64 exec, exec, s[30:31]
	s_and_b64 s[36:37], s[38:39], exec
	s_andn2_b64 s[0:1], s[0:1], exec
	s_and_b64 s[38:39], s[42:43], exec
	s_and_b64 s[40:41], s[40:41], exec
	;; [unrolled: 1-line block ×3, first 2 shown]
	s_or_b64 s[0:1], s[0:1], s[38:39]
.LBB62_841:
	s_or_b64 exec, exec, s[28:29]
	s_andn2_b64 s[24:25], s[24:25], exec
	s_and_b64 s[28:29], s[34:35], exec
	s_andn2_b64 s[22:23], s[22:23], exec
	s_and_b64 s[0:1], s[0:1], exec
	s_or_b64 s[24:25], s[24:25], s[28:29]
	s_and_b64 s[34:35], s[40:41], exec
	s_and_b64 s[30:31], s[30:31], exec
	;; [unrolled: 1-line block ×3, first 2 shown]
	s_or_b64 s[22:23], s[22:23], s[0:1]
.LBB62_842:
	s_or_b64 exec, exec, s[26:27]
	s_andn2_b64 s[0:1], s[16:17], exec
	s_and_b64 s[16:17], s[24:25], exec
	s_andn2_b64 s[18:19], s[18:19], exec
	s_and_b64 s[22:23], s[22:23], exec
	s_or_b64 s[16:17], s[0:1], s[16:17]
	s_and_b64 s[0:1], s[34:35], exec
	s_and_b64 s[26:27], s[30:31], exec
	;; [unrolled: 1-line block ×3, first 2 shown]
	s_or_b64 s[18:19], s[18:19], s[22:23]
	s_or_b64 exec, exec, s[20:21]
	s_mov_b64 s[20:21], 0
	s_and_saveexec_b64 s[22:23], s[18:19]
	s_cbranch_execz .LBB62_258
.LBB62_843:
	s_mov_b64 s[20:21], exec
	s_andn2_b64 s[24:25], s[24:25], exec
	s_trap 2
	s_or_b64 exec, exec, s[22:23]
	s_and_saveexec_b64 s[18:19], s[24:25]
	s_xor_b64 s[18:19], exec, s[18:19]
	s_cbranch_execnz .LBB62_259
.LBB62_844:
	s_or_b64 exec, exec, s[18:19]
	s_and_saveexec_b64 s[18:19], s[26:27]
	s_cbranch_execz .LBB62_890
.LBB62_845:
	s_sext_i32_i16 s22, s33
	s_cmp_lt_i32 s22, 5
	s_cbranch_scc1 .LBB62_850
; %bb.846:
	s_cmp_lt_i32 s22, 8
	s_cbranch_scc1 .LBB62_851
; %bb.847:
	;; [unrolled: 3-line block ×3, first 2 shown]
	s_cmp_gt_i32 s22, 9
	s_cbranch_scc0 .LBB62_853
; %bb.849:
	global_load_dwordx2 v[2:3], v[0:1], off
	s_mov_b64 s[22:23], 0
	s_waitcnt vmcnt(0)
	v_cvt_i32_f64_e32 v5, v[2:3]
	s_branch .LBB62_854
.LBB62_850:
                                        ; implicit-def: $vgpr5
	s_branch .LBB62_871
.LBB62_851:
                                        ; implicit-def: $vgpr5
	s_branch .LBB62_860
.LBB62_852:
	s_mov_b64 s[22:23], -1
                                        ; implicit-def: $vgpr5
	s_branch .LBB62_857
.LBB62_853:
	s_mov_b64 s[22:23], -1
                                        ; implicit-def: $vgpr5
.LBB62_854:
	s_andn2_b64 vcc, exec, s[22:23]
	s_cbranch_vccnz .LBB62_856
; %bb.855:
	global_load_dword v2, v[0:1], off
	s_waitcnt vmcnt(0)
	v_cvt_i32_f32_e32 v5, v2
.LBB62_856:
	s_mov_b64 s[22:23], 0
.LBB62_857:
	s_andn2_b64 vcc, exec, s[22:23]
	s_cbranch_vccnz .LBB62_859
; %bb.858:
	global_load_dword v2, v[0:1], off
	s_waitcnt vmcnt(0)
	v_cvt_f32_f16_e32 v2, v2
	v_cvt_i32_f32_e32 v5, v2
.LBB62_859:
	s_cbranch_execnz .LBB62_870
.LBB62_860:
	s_sext_i32_i16 s22, s33
	s_cmp_lt_i32 s22, 6
	s_cbranch_scc1 .LBB62_863
; %bb.861:
	s_cmp_gt_i32 s22, 6
	s_cbranch_scc0 .LBB62_864
; %bb.862:
	global_load_dwordx2 v[2:3], v[0:1], off
	s_mov_b64 s[22:23], 0
	s_waitcnt vmcnt(0)
	v_cvt_i32_f64_e32 v5, v[2:3]
	s_branch .LBB62_865
.LBB62_863:
	s_mov_b64 s[22:23], -1
                                        ; implicit-def: $vgpr5
	s_branch .LBB62_868
.LBB62_864:
	s_mov_b64 s[22:23], -1
                                        ; implicit-def: $vgpr5
.LBB62_865:
	s_andn2_b64 vcc, exec, s[22:23]
	s_cbranch_vccnz .LBB62_867
; %bb.866:
	global_load_dword v2, v[0:1], off
	s_waitcnt vmcnt(0)
	v_cvt_i32_f32_e32 v5, v2
.LBB62_867:
	s_mov_b64 s[22:23], 0
.LBB62_868:
	s_andn2_b64 vcc, exec, s[22:23]
	s_cbranch_vccnz .LBB62_870
; %bb.869:
	global_load_ushort v2, v[0:1], off
	s_waitcnt vmcnt(0)
	v_cvt_f32_f16_e32 v2, v2
	v_cvt_i32_f32_e32 v5, v2
.LBB62_870:
	s_cbranch_execnz .LBB62_889
.LBB62_871:
	s_sext_i32_i16 s22, s33
	s_cmp_lt_i32 s22, 2
	s_cbranch_scc1 .LBB62_875
; %bb.872:
	s_cmp_lt_i32 s22, 3
	s_cbranch_scc1 .LBB62_876
; %bb.873:
	s_cmp_gt_i32 s22, 3
	s_cbranch_scc0 .LBB62_877
; %bb.874:
	global_load_dword v5, v[0:1], off
	s_mov_b64 s[22:23], 0
	s_branch .LBB62_878
.LBB62_875:
                                        ; implicit-def: $vgpr5
	s_branch .LBB62_884
.LBB62_876:
	s_mov_b64 s[22:23], -1
                                        ; implicit-def: $vgpr5
	s_branch .LBB62_881
.LBB62_877:
	s_mov_b64 s[22:23], -1
                                        ; implicit-def: $vgpr5
.LBB62_878:
	s_andn2_b64 vcc, exec, s[22:23]
	s_cbranch_vccnz .LBB62_880
; %bb.879:
	global_load_dword v5, v[0:1], off
.LBB62_880:
	s_mov_b64 s[22:23], 0
.LBB62_881:
	s_andn2_b64 vcc, exec, s[22:23]
	s_cbranch_vccnz .LBB62_883
; %bb.882:
	global_load_sshort v5, v[0:1], off
.LBB62_883:
	s_cbranch_execnz .LBB62_889
.LBB62_884:
	s_sext_i32_i16 s22, s33
	s_cmp_gt_i32 s22, 0
	s_cbranch_scc0 .LBB62_886
; %bb.885:
	global_load_sbyte v5, v[0:1], off
	s_mov_b64 s[22:23], 0
	s_branch .LBB62_887
.LBB62_886:
	s_mov_b64 s[22:23], -1
                                        ; implicit-def: $vgpr5
.LBB62_887:
	s_andn2_b64 vcc, exec, s[22:23]
	s_cbranch_vccnz .LBB62_889
; %bb.888:
	global_load_ubyte v5, v[0:1], off
.LBB62_889:
	s_or_b64 s[0:1], s[0:1], exec
.LBB62_890:
	s_or_b64 exec, exec, s[18:19]
	s_mov_b64 s[24:25], 0
	s_mov_b64 s[22:23], 0
                                        ; implicit-def: $sgpr28
                                        ; implicit-def: $vgpr2_vgpr3
                                        ; implicit-def: $vgpr0
	s_and_saveexec_b64 s[18:19], s[0:1]
	s_cbranch_execz .LBB62_898
; %bb.891:
	v_mul_lo_u32 v1, v4, s12
	s_waitcnt vmcnt(0)
	v_lshlrev_b32_e32 v0, s2, v5
	v_mov_b32_e32 v3, s9
	s_and_b32 s28, s3, 0xff
	v_ashrrev_i32_e32 v4, 31, v1
	v_add_co_u32_e32 v2, vcc, s8, v1
	v_cndmask_b32_e64 v0, v0, 0, s[14:15]
	s_cmp_lt_i32 s28, 11
	v_addc_co_u32_e32 v3, vcc, v3, v4, vcc
	s_cbranch_scc1 .LBB62_901
; %bb.892:
	s_and_b32 s29, 0xffff, s28
	s_mov_b64 s[22:23], -1
	s_cmp_gt_i32 s29, 25
	s_mov_b64 s[0:1], s[16:17]
	s_cbranch_scc0 .LBB62_929
; %bb.893:
	s_mov_b64 s[14:15], -1
	s_cmp_gt_i32 s29, 28
	s_mov_b64 s[0:1], s[16:17]
	s_cbranch_scc0 .LBB62_913
; %bb.894:
	s_cmp_gt_i32 s29, 43
	s_mov_b64 s[0:1], s[16:17]
	s_cbranch_scc0 .LBB62_909
; %bb.895:
	;; [unrolled: 4-line block ×3, first 2 shown]
	s_cmp_eq_u32 s29, 46
	s_mov_b64 s[0:1], -1
	s_cbranch_scc0 .LBB62_902
; %bb.897:
	v_cvt_f32_i32_e32 v1, v0
	s_movk_i32 s0, 0x7fff
	s_mov_b64 s[14:15], 0
	v_bfe_u32 v4, v1, 16, 1
	v_add3_u32 v1, v1, v4, s0
	v_lshrrev_b32_e32 v1, 16, v1
	global_store_dword v[2:3], v1, off
	s_mov_b64 s[0:1], 0
	s_branch .LBB62_903
.LBB62_898:
	s_or_b64 exec, exec, s[18:19]
	s_and_saveexec_b64 s[0:1], s[16:17]
	s_cbranch_execnz .LBB62_971
.LBB62_899:
	s_or_b64 exec, exec, s[0:1]
	s_and_saveexec_b64 s[0:1], s[24:25]
	s_xor_b64 s[0:1], exec, s[0:1]
	s_cbranch_execz .LBB62_972
.LBB62_900:
	v_cmp_ne_u32_e32 vcc, 0, v0
	v_cndmask_b32_e64 v1, 0, 1, vcc
	s_waitcnt vmcnt(0)
	global_store_byte v[2:3], v1, off
	s_or_b64 exec, exec, s[0:1]
	s_and_saveexec_b64 s[0:1], s[22:23]
	s_xor_b64 s[0:1], exec, s[0:1]
	s_cbranch_execz .LBB62_1010
	s_branch .LBB62_973
.LBB62_901:
	s_mov_b64 s[14:15], -1
	s_mov_b64 s[0:1], s[16:17]
	s_branch .LBB62_970
.LBB62_902:
	s_mov_b64 s[14:15], 0
.LBB62_903:
	s_and_b64 vcc, exec, s[14:15]
	s_cbranch_vccz .LBB62_908
; %bb.904:
	s_cmp_eq_u32 s29, 44
	s_mov_b64 s[0:1], -1
	s_cbranch_scc0 .LBB62_908
; %bb.905:
	v_cvt_f32_i32_e32 v1, v0
	s_movk_i32 s0, 0xff
	v_mov_b32_e32 v5, 0xff
	v_bfe_u32 v4, v1, 23, 8
	v_cmp_ne_u32_e32 vcc, s0, v4
	s_and_saveexec_b64 s[14:15], vcc
; %bb.906:
	s_mov_b32 s0, 0x3fffff
	v_lshrrev_b32_e32 v5, 23, v1
	v_and_b32_e32 v6, 0x400000, v1
	v_and_or_b32 v1, v1, s0, v4
	v_cmp_ne_u32_e32 vcc, 0, v6
	v_cmp_ne_u32_e64 s[0:1], 0, v1
	s_and_b64 s[0:1], vcc, s[0:1]
	v_cndmask_b32_e64 v1, 0, 1, s[0:1]
	v_add_u32_e32 v5, v5, v1
; %bb.907:
	s_or_b64 exec, exec, s[14:15]
	s_mov_b64 s[0:1], 0
	global_store_byte v[2:3], v5, off
.LBB62_908:
	s_mov_b64 s[14:15], 0
.LBB62_909:
	s_and_b64 vcc, exec, s[14:15]
	s_cbranch_vccz .LBB62_912
; %bb.910:
	s_cmp_eq_u32 s29, 29
	s_mov_b64 s[0:1], -1
	s_cbranch_scc0 .LBB62_912
; %bb.911:
	v_ashrrev_i32_e32 v1, 31, v0
	global_store_dwordx2 v[2:3], v[0:1], off
	s_mov_b64 s[0:1], 0
.LBB62_912:
	s_mov_b64 s[14:15], 0
.LBB62_913:
	s_and_b64 vcc, exec, s[14:15]
	s_cbranch_vccz .LBB62_928
; %bb.914:
	s_cmp_lt_i32 s29, 27
	s_mov_b64 s[14:15], -1
	s_cbranch_scc1 .LBB62_920
; %bb.915:
	s_cmp_gt_i32 s29, 27
	s_cbranch_scc0 .LBB62_917
; %bb.916:
	s_mov_b64 s[14:15], 0
	global_store_dword v[2:3], v0, off
.LBB62_917:
	s_andn2_b64 vcc, exec, s[14:15]
	s_cbranch_vccnz .LBB62_919
; %bb.918:
	global_store_short v[2:3], v0, off
.LBB62_919:
	s_mov_b64 s[14:15], 0
.LBB62_920:
	s_andn2_b64 vcc, exec, s[14:15]
	s_cbranch_vccnz .LBB62_928
; %bb.921:
	v_cvt_f32_i32_e32 v1, v0
	s_mov_b32 s14, 0x43800000
	v_mov_b32_e32 v5, 0x80
	v_and_b32_e32 v4, 0x7fffffff, v1
	v_cmp_gt_u32_e32 vcc, s14, v4
	s_and_saveexec_b64 s[14:15], vcc
	s_cbranch_execz .LBB62_927
; %bb.922:
	s_mov_b32 s22, 0x3bffffff
	v_cmp_lt_u32_e32 vcc, s22, v4
	s_mov_b64 s[22:23], 0
                                        ; implicit-def: $vgpr4
	s_and_saveexec_b64 s[24:25], vcc
	s_xor_b64 s[24:25], exec, s[24:25]
	s_cbranch_execz .LBB62_1025
; %bb.923:
	v_bfe_u32 v4, v1, 20, 1
	s_mov_b32 s26, 0x487ffff
	v_add3_u32 v4, v1, v4, s26
	s_mov_b64 s[22:23], exec
	v_lshrrev_b32_e32 v4, 20, v4
	s_andn2_saveexec_b64 s[24:25], s[24:25]
	s_cbranch_execnz .LBB62_1026
.LBB62_924:
	s_or_b64 exec, exec, s[24:25]
	v_mov_b32_e32 v5, 0
	s_and_saveexec_b64 s[24:25], s[22:23]
.LBB62_925:
	v_lshrrev_b32_e32 v1, 24, v1
	s_movk_i32 s22, 0x80
	v_and_or_b32 v5, v1, s22, v4
.LBB62_926:
	s_or_b64 exec, exec, s[24:25]
.LBB62_927:
	s_or_b64 exec, exec, s[14:15]
	global_store_byte v[2:3], v5, off
.LBB62_928:
	s_mov_b64 s[22:23], 0
.LBB62_929:
	s_mov_b64 s[14:15], 0
	s_and_b64 vcc, exec, s[22:23]
	s_cbranch_vccz .LBB62_969
; %bb.930:
	s_cmp_gt_i32 s29, 22
	s_mov_b64 s[22:23], -1
	s_cbranch_scc0 .LBB62_962
; %bb.931:
	s_cmp_lt_i32 s29, 24
	s_cbranch_scc1 .LBB62_951
; %bb.932:
	s_cmp_gt_i32 s29, 24
	s_cbranch_scc0 .LBB62_940
; %bb.933:
	v_cvt_f32_i32_e32 v1, v0
	s_mov_b32 s22, 0x47800000
	v_mov_b32_e32 v5, 0x80
	v_and_b32_e32 v4, 0x7fffffff, v1
	v_cmp_gt_u32_e32 vcc, s22, v4
	s_and_saveexec_b64 s[22:23], vcc
	s_cbranch_execz .LBB62_939
; %bb.934:
	s_mov_b32 s24, 0x37ffffff
	v_cmp_lt_u32_e32 vcc, s24, v4
	s_mov_b64 s[24:25], 0
                                        ; implicit-def: $vgpr4
	s_and_saveexec_b64 s[26:27], vcc
	s_xor_b64 s[26:27], exec, s[26:27]
	s_cbranch_execz .LBB62_1145
; %bb.935:
	v_bfe_u32 v4, v1, 21, 1
	s_mov_b32 s30, 0x88fffff
	v_add3_u32 v4, v1, v4, s30
	s_mov_b64 s[24:25], exec
	v_lshrrev_b32_e32 v4, 21, v4
	s_andn2_saveexec_b64 s[26:27], s[26:27]
	s_cbranch_execnz .LBB62_1146
.LBB62_936:
	s_or_b64 exec, exec, s[26:27]
	v_mov_b32_e32 v5, 0
	s_and_saveexec_b64 s[26:27], s[24:25]
.LBB62_937:
	v_lshrrev_b32_e32 v1, 24, v1
	s_movk_i32 s24, 0x80
	v_and_or_b32 v5, v1, s24, v4
.LBB62_938:
	s_or_b64 exec, exec, s[26:27]
.LBB62_939:
	s_or_b64 exec, exec, s[22:23]
	s_mov_b64 s[22:23], 0
	global_store_byte v[2:3], v5, off
.LBB62_940:
	s_and_b64 vcc, exec, s[22:23]
	s_cbranch_vccz .LBB62_950
; %bb.941:
	v_cvt_f32_i32_e32 v1, v0
	s_mov_b32 s22, 0x43f00000
                                        ; implicit-def: $vgpr4
	v_and_b32_e32 v5, 0x7fffffff, v1
	v_cmp_gt_u32_e32 vcc, s22, v5
	s_and_saveexec_b64 s[22:23], vcc
	s_xor_b64 s[22:23], exec, s[22:23]
	s_cbranch_execz .LBB62_947
; %bb.942:
	s_mov_b32 s24, 0x3c7fffff
	v_cmp_lt_u32_e32 vcc, s24, v5
                                        ; implicit-def: $vgpr4
	s_and_saveexec_b64 s[24:25], vcc
	s_xor_b64 s[24:25], exec, s[24:25]
; %bb.943:
	v_bfe_u32 v4, v1, 20, 1
	s_mov_b32 s26, 0x407ffff
	v_add3_u32 v4, v1, v4, s26
	v_lshrrev_b32_e32 v5, 20, v4
	v_and_b32_e32 v4, 0xff00000, v4
	s_mov_b32 s26, 0x7f00000
	v_mov_b32_e32 v6, 0x7e
	v_cmp_ne_u32_e32 vcc, s26, v4
	v_cndmask_b32_e32 v4, v6, v5, vcc
; %bb.944:
	s_andn2_saveexec_b64 s[24:25], s[24:25]
; %bb.945:
	s_mov_b32 s26, 0x46800000
	v_add_f32_e64 v4, |v1|, s26
; %bb.946:
	s_or_b64 exec, exec, s[24:25]
                                        ; implicit-def: $vgpr5
.LBB62_947:
	s_andn2_saveexec_b64 s[22:23], s[22:23]
; %bb.948:
	s_mov_b32 s24, 0x7f800000
	v_mov_b32_e32 v4, 0x7e
	v_mov_b32_e32 v6, 0x7f
	v_cmp_lt_u32_e32 vcc, s24, v5
	v_cndmask_b32_e32 v4, v4, v6, vcc
; %bb.949:
	s_or_b64 exec, exec, s[22:23]
	v_lshrrev_b32_e32 v1, 24, v1
	s_movk_i32 s22, 0x80
	v_and_or_b32 v1, v1, s22, v4
	global_store_byte v[2:3], v1, off
.LBB62_950:
	s_mov_b64 s[22:23], 0
.LBB62_951:
	s_andn2_b64 vcc, exec, s[22:23]
	s_cbranch_vccnz .LBB62_961
; %bb.952:
	v_cvt_f32_i32_e32 v1, v0
	s_mov_b32 s22, 0x47800000
                                        ; implicit-def: $vgpr4
	v_and_b32_e32 v5, 0x7fffffff, v1
	v_cmp_gt_u32_e32 vcc, s22, v5
	s_and_saveexec_b64 s[22:23], vcc
	s_xor_b64 s[22:23], exec, s[22:23]
	s_cbranch_execz .LBB62_958
; %bb.953:
	s_mov_b32 s24, 0x387fffff
	v_cmp_lt_u32_e32 vcc, s24, v5
                                        ; implicit-def: $vgpr4
	s_and_saveexec_b64 s[24:25], vcc
	s_xor_b64 s[24:25], exec, s[24:25]
; %bb.954:
	v_bfe_u32 v4, v1, 21, 1
	s_mov_b32 s26, 0x80fffff
	v_add3_u32 v4, v1, v4, s26
	v_lshrrev_b32_e32 v4, 21, v4
; %bb.955:
	s_andn2_saveexec_b64 s[24:25], s[24:25]
; %bb.956:
	s_mov_b32 s26, 0x43000000
	v_add_f32_e64 v4, |v1|, s26
; %bb.957:
	s_or_b64 exec, exec, s[24:25]
                                        ; implicit-def: $vgpr5
.LBB62_958:
	s_andn2_saveexec_b64 s[22:23], s[22:23]
; %bb.959:
	s_mov_b32 s24, 0x7f800000
	v_mov_b32_e32 v4, 0x7c
	v_mov_b32_e32 v6, 0x7f
	v_cmp_lt_u32_e32 vcc, s24, v5
	v_cndmask_b32_e32 v4, v4, v6, vcc
; %bb.960:
	s_or_b64 exec, exec, s[22:23]
	v_lshrrev_b32_e32 v1, 24, v1
	s_movk_i32 s22, 0x80
	v_and_or_b32 v1, v1, s22, v4
	global_store_byte v[2:3], v1, off
.LBB62_961:
	s_mov_b64 s[22:23], 0
.LBB62_962:
	s_andn2_b64 vcc, exec, s[22:23]
	s_mov_b64 s[24:25], 0
	s_cbranch_vccnz .LBB62_970
; %bb.963:
	s_cmp_gt_i32 s29, 14
	s_mov_b64 s[22:23], -1
	s_cbranch_scc0 .LBB62_967
; %bb.964:
	s_cmp_eq_u32 s29, 15
	s_mov_b64 s[0:1], -1
	s_cbranch_scc0 .LBB62_966
; %bb.965:
	v_cvt_f32_i32_e32 v1, v0
	s_movk_i32 s0, 0x7fff
	v_bfe_u32 v4, v1, 16, 1
	v_add3_u32 v1, v1, v4, s0
	global_store_short_d16_hi v[2:3], v1, off
	s_mov_b64 s[0:1], 0
.LBB62_966:
	s_mov_b64 s[22:23], 0
.LBB62_967:
	s_and_b64 vcc, exec, s[22:23]
	s_cbranch_vccz .LBB62_970
; %bb.968:
	s_cmp_lg_u32 s29, 11
	s_cselect_b64 s[22:23], -1, 0
	s_andn2_b64 s[0:1], s[0:1], exec
	s_and_b64 s[22:23], s[22:23], exec
	s_mov_b64 s[24:25], -1
	s_or_b64 s[0:1], s[0:1], s[22:23]
	s_branch .LBB62_970
.LBB62_969:
	s_mov_b64 s[24:25], 0
.LBB62_970:
	s_and_b64 s[22:23], s[14:15], exec
	s_andn2_b64 s[14:15], s[16:17], exec
	s_and_b64 s[0:1], s[0:1], exec
	s_and_b64 s[24:25], s[24:25], exec
	s_or_b64 s[16:17], s[14:15], s[0:1]
	s_or_b64 exec, exec, s[18:19]
	s_and_saveexec_b64 s[0:1], s[16:17]
	s_cbranch_execz .LBB62_899
.LBB62_971:
	s_or_b64 s[20:21], s[20:21], exec
	s_andn2_b64 s[24:25], s[24:25], exec
	s_trap 2
	s_or_b64 exec, exec, s[0:1]
	s_and_saveexec_b64 s[0:1], s[24:25]
	s_xor_b64 s[0:1], exec, s[0:1]
	s_cbranch_execnz .LBB62_900
.LBB62_972:
	s_or_b64 exec, exec, s[0:1]
	s_and_saveexec_b64 s[0:1], s[22:23]
	s_xor_b64 s[0:1], exec, s[0:1]
	s_cbranch_execz .LBB62_1010
.LBB62_973:
	s_sext_i32_i16 s16, s28
	s_cmp_lt_i32 s16, 5
	s_mov_b64 s[14:15], -1
	s_cbranch_scc1 .LBB62_994
; %bb.974:
	s_cmp_lt_i32 s16, 8
	s_cbranch_scc1 .LBB62_984
; %bb.975:
	s_cmp_lt_i32 s16, 9
	s_cbranch_scc1 .LBB62_981
; %bb.976:
	s_cmp_gt_i32 s16, 9
	s_cbranch_scc0 .LBB62_978
; %bb.977:
	s_waitcnt vmcnt(0)
	v_cvt_f64_i32_e32 v[4:5], v0
	v_mov_b32_e32 v6, 0
	v_mov_b32_e32 v7, v6
	s_mov_b64 s[14:15], 0
	global_store_dwordx4 v[2:3], v[4:7], off
.LBB62_978:
	s_andn2_b64 vcc, exec, s[14:15]
	s_cbranch_vccnz .LBB62_980
; %bb.979:
	v_cvt_f32_i32_e32 v4, v0
	s_waitcnt vmcnt(0)
	v_mov_b32_e32 v5, 0
	global_store_dwordx2 v[2:3], v[4:5], off
.LBB62_980:
	s_mov_b64 s[14:15], 0
.LBB62_981:
	s_andn2_b64 vcc, exec, s[14:15]
	s_cbranch_vccnz .LBB62_983
; %bb.982:
	v_cvt_f32_i32_e32 v1, v0
	v_cvt_f16_f32_e32 v1, v1
	s_waitcnt vmcnt(0)
	global_store_dword v[2:3], v1, off
.LBB62_983:
	s_mov_b64 s[14:15], 0
.LBB62_984:
	s_andn2_b64 vcc, exec, s[14:15]
	s_cbranch_vccnz .LBB62_993
; %bb.985:
	s_sext_i32_i16 s16, s28
	s_cmp_lt_i32 s16, 6
	s_mov_b64 s[14:15], -1
	s_cbranch_scc1 .LBB62_991
; %bb.986:
	s_cmp_gt_i32 s16, 6
	s_cbranch_scc0 .LBB62_988
; %bb.987:
	s_waitcnt vmcnt(0)
	v_cvt_f64_i32_e32 v[4:5], v0
	s_mov_b64 s[14:15], 0
	global_store_dwordx2 v[2:3], v[4:5], off
.LBB62_988:
	s_andn2_b64 vcc, exec, s[14:15]
	s_cbranch_vccnz .LBB62_990
; %bb.989:
	v_cvt_f32_i32_e32 v1, v0
	s_waitcnt vmcnt(0)
	global_store_dword v[2:3], v1, off
.LBB62_990:
	s_mov_b64 s[14:15], 0
.LBB62_991:
	s_andn2_b64 vcc, exec, s[14:15]
	s_cbranch_vccnz .LBB62_993
; %bb.992:
	v_cvt_f32_i32_e32 v1, v0
	v_cvt_f16_f32_e32 v1, v1
	s_waitcnt vmcnt(0)
	global_store_short v[2:3], v1, off
.LBB62_993:
	s_mov_b64 s[14:15], 0
.LBB62_994:
	s_andn2_b64 vcc, exec, s[14:15]
	s_cbranch_vccnz .LBB62_1010
; %bb.995:
	s_sext_i32_i16 s16, s28
	s_cmp_lt_i32 s16, 2
	s_mov_b64 s[14:15], -1
	s_cbranch_scc1 .LBB62_1005
; %bb.996:
	s_cmp_lt_i32 s16, 3
	s_cbranch_scc1 .LBB62_1002
; %bb.997:
	s_cmp_gt_i32 s16, 3
	s_cbranch_scc0 .LBB62_999
; %bb.998:
	v_ashrrev_i32_e32 v1, 31, v0
	s_mov_b64 s[14:15], 0
	s_waitcnt vmcnt(0)
	global_store_dwordx2 v[2:3], v[0:1], off
.LBB62_999:
	s_andn2_b64 vcc, exec, s[14:15]
	s_cbranch_vccnz .LBB62_1001
; %bb.1000:
	s_waitcnt vmcnt(0)
	global_store_dword v[2:3], v0, off
.LBB62_1001:
	s_mov_b64 s[14:15], 0
.LBB62_1002:
	s_andn2_b64 vcc, exec, s[14:15]
	s_cbranch_vccnz .LBB62_1004
; %bb.1003:
	s_waitcnt vmcnt(0)
	global_store_short v[2:3], v0, off
.LBB62_1004:
	s_mov_b64 s[14:15], 0
.LBB62_1005:
	s_andn2_b64 vcc, exec, s[14:15]
	s_cbranch_vccnz .LBB62_1010
; %bb.1006:
	s_sext_i32_i16 s14, s28
	s_cmp_gt_i32 s14, 0
	s_mov_b64 s[14:15], -1
	s_cbranch_scc0 .LBB62_1008
; %bb.1007:
	s_mov_b64 s[14:15], 0
	s_waitcnt vmcnt(0)
	global_store_byte v[2:3], v0, off
.LBB62_1008:
	s_andn2_b64 vcc, exec, s[14:15]
	s_cbranch_vccnz .LBB62_1010
; %bb.1009:
	s_waitcnt vmcnt(0)
	global_store_byte v[2:3], v0, off
.LBB62_1010:
	s_or_b64 exec, exec, s[0:1]
	s_and_b64 s[14:15], s[20:21], exec
                                        ; implicit-def: $vgpr4
.LBB62_1011:
	s_or_saveexec_b64 s[6:7], s[6:7]
	s_mov_b64 s[0:1], 0
                                        ; implicit-def: $sgpr24
                                        ; implicit-def: $vgpr2_vgpr3
                                        ; implicit-def: $vgpr0
	s_xor_b64 exec, exec, s[6:7]
	s_cbranch_execz .LBB62_1942
; %bb.1012:
	v_mul_lo_u32 v3, s13, v4
	v_mov_b32_e32 v1, s11
	s_and_b32 s22, 0xffff, s33
	s_cmp_lt_i32 s22, 11
	s_waitcnt vmcnt(0)
	v_ashrrev_i32_e32 v2, 31, v3
	v_add_co_u32_e32 v0, vcc, s10, v3
	v_addc_co_u32_e32 v1, vcc, v1, v2, vcc
	s_cbranch_scc1 .LBB62_1019
; %bb.1013:
	s_cmp_gt_i32 s22, 25
	s_cbranch_scc0 .LBB62_1021
; %bb.1014:
	s_cmp_gt_i32 s22, 28
	s_cbranch_scc0 .LBB62_1022
	;; [unrolled: 3-line block ×4, first 2 shown]
; %bb.1017:
	s_cmp_eq_u32 s22, 46
	s_mov_b64 s[16:17], 0
	s_cbranch_scc0 .LBB62_1027
; %bb.1018:
	global_load_dword v2, v[0:1], off
	s_mov_b64 s[18:19], -1
	s_waitcnt vmcnt(0)
	v_lshlrev_b32_e32 v2, 16, v2
	v_cvt_i32_f32_e32 v2, v2
	s_branch .LBB62_1028
.LBB62_1019:
	s_mov_b64 s[18:19], 0
                                        ; implicit-def: $vgpr2
	s_mov_b64 s[16:17], s[14:15]
	s_cbranch_execnz .LBB62_1086
.LBB62_1020:
	s_andn2_b64 vcc, exec, s[18:19]
	s_cbranch_vccz .LBB62_1131
	s_branch .LBB62_1940
.LBB62_1021:
	s_mov_b64 s[18:19], 0
                                        ; implicit-def: $vgpr2
	s_cbranch_execnz .LBB62_1053
	s_branch .LBB62_1082
.LBB62_1022:
	s_mov_b64 s[18:19], 0
                                        ; implicit-def: $vgpr2
	s_cbranch_execz .LBB62_1052
	s_branch .LBB62_1037
.LBB62_1023:
	s_mov_b64 s[18:19], 0
                                        ; implicit-def: $vgpr2
	s_cbranch_execnz .LBB62_1033
	s_branch .LBB62_1036
.LBB62_1024:
	s_mov_b64 s[16:17], -1
	s_mov_b64 s[18:19], 0
                                        ; implicit-def: $vgpr2
	s_branch .LBB62_1028
.LBB62_1025:
	s_andn2_saveexec_b64 s[24:25], s[24:25]
	s_cbranch_execz .LBB62_924
.LBB62_1026:
	s_mov_b32 s26, 0x46000000
	v_add_f32_e64 v4, |v1|, s26
	v_and_b32_e32 v4, 0xff, v4
	v_cmp_ne_u32_e32 vcc, 0, v4
	s_andn2_b64 s[22:23], s[22:23], exec
	s_and_b64 s[26:27], vcc, exec
	s_or_b64 s[22:23], s[22:23], s[26:27]
	s_or_b64 exec, exec, s[24:25]
	v_mov_b32_e32 v5, 0
	s_and_saveexec_b64 s[24:25], s[22:23]
	s_cbranch_execnz .LBB62_925
	s_branch .LBB62_926
.LBB62_1027:
	s_mov_b64 s[0:1], -1
                                        ; implicit-def: $vgpr2
	s_mov_b64 s[18:19], 0
.LBB62_1028:
	s_and_b64 vcc, exec, s[16:17]
	s_cbranch_vccz .LBB62_1031
; %bb.1029:
	s_cmp_eq_u32 s22, 44
	s_cbranch_scc0 .LBB62_1032
; %bb.1030:
	global_load_ubyte v2, v[0:1], off
	s_mov_b64 s[0:1], 0
	s_mov_b64 s[18:19], -1
	s_waitcnt vmcnt(0)
	v_lshlrev_b32_e32 v5, 23, v2
	v_cvt_i32_f32_e32 v5, v5
	v_cmp_ne_u32_e32 vcc, 0, v2
	v_cndmask_b32_e32 v2, 0, v5, vcc
.LBB62_1031:
	s_branch .LBB62_1036
.LBB62_1032:
	s_mov_b64 s[0:1], -1
                                        ; implicit-def: $vgpr2
	s_branch .LBB62_1036
.LBB62_1033:
	s_cmp_eq_u32 s22, 29
	s_cbranch_scc0 .LBB62_1035
; %bb.1034:
	global_load_dword v2, v[0:1], off
	s_mov_b64 s[0:1], 0
	s_mov_b64 s[18:19], -1
	s_branch .LBB62_1036
.LBB62_1035:
	s_mov_b64 s[0:1], -1
                                        ; implicit-def: $vgpr2
.LBB62_1036:
	s_branch .LBB62_1052
.LBB62_1037:
	s_cmp_lt_i32 s22, 27
	s_cbranch_scc1 .LBB62_1040
; %bb.1038:
	s_cmp_gt_i32 s22, 27
	s_cbranch_scc0 .LBB62_1041
; %bb.1039:
	global_load_dword v2, v[0:1], off
	s_mov_b64 s[16:17], 0
	s_branch .LBB62_1042
.LBB62_1040:
	s_mov_b64 s[16:17], -1
                                        ; implicit-def: $vgpr2
	s_branch .LBB62_1045
.LBB62_1041:
	s_mov_b64 s[16:17], -1
                                        ; implicit-def: $vgpr2
.LBB62_1042:
	s_andn2_b64 vcc, exec, s[16:17]
	s_cbranch_vccnz .LBB62_1044
; %bb.1043:
	global_load_ushort v2, v[0:1], off
.LBB62_1044:
	s_mov_b64 s[16:17], 0
.LBB62_1045:
	s_andn2_b64 vcc, exec, s[16:17]
	s_cbranch_vccnz .LBB62_1051
; %bb.1046:
	global_load_ubyte v5, v[0:1], off
	s_movk_i32 s16, 0x7f
	s_mov_b64 s[18:19], 0
	s_waitcnt vmcnt(0)
	v_cmp_lt_i16_e32 vcc, s16, v5
	s_and_saveexec_b64 s[16:17], vcc
	s_xor_b64 s[16:17], exec, s[16:17]
	s_cbranch_execz .LBB62_1062
; %bb.1047:
	s_movk_i32 s18, 0x80
	v_cmp_ne_u16_e32 vcc, s18, v5
	s_and_b64 s[18:19], vcc, exec
	s_andn2_saveexec_b64 s[16:17], s[16:17]
	s_cbranch_execnz .LBB62_1063
.LBB62_1048:
	s_or_b64 exec, exec, s[16:17]
	v_mov_b32_e32 v2, 0
	s_and_saveexec_b64 s[16:17], s[18:19]
	s_cbranch_execz .LBB62_1050
.LBB62_1049:
	v_lshlrev_b32_e32 v2, 24, v5
	v_and_b32_e32 v5, 0xffff, v5
	v_and_b32_e32 v6, 7, v5
	v_ffbh_u32_e32 v8, v6
	v_min_u32_e32 v8, 32, v8
	v_subrev_u32_e32 v9, 28, v8
	v_bfe_u32 v7, v5, 3, 4
	v_lshlrev_b32_e32 v5, v9, v5
	v_sub_u32_e32 v8, 29, v8
	v_and_b32_e32 v5, 7, v5
	v_cmp_eq_u32_e32 vcc, 0, v7
	v_cndmask_b32_e32 v7, v7, v8, vcc
	v_cndmask_b32_e32 v5, v6, v5, vcc
	v_mov_b32_e32 v6, 0x3b800000
	v_lshlrev_b32_e32 v5, 20, v5
	v_and_b32_e32 v2, 0x80000000, v2
	v_lshl_add_u32 v6, v7, 23, v6
	v_or3_b32 v2, v2, v6, v5
	v_cvt_i32_f32_e32 v2, v2
.LBB62_1050:
	s_or_b64 exec, exec, s[16:17]
.LBB62_1051:
	s_mov_b64 s[18:19], -1
.LBB62_1052:
	s_branch .LBB62_1082
.LBB62_1053:
	s_cmp_gt_i32 s22, 22
	s_cbranch_scc0 .LBB62_1061
; %bb.1054:
	s_cmp_lt_i32 s22, 24
	s_cbranch_scc1 .LBB62_1064
; %bb.1055:
	s_cmp_gt_i32 s22, 24
	s_cbranch_scc0 .LBB62_1065
; %bb.1056:
	global_load_ubyte v5, v[0:1], off
	s_movk_i32 s4, 0x7f
	s_mov_b64 s[16:17], 0
	s_waitcnt vmcnt(0)
	v_cmp_lt_i16_e32 vcc, s4, v5
	s_and_saveexec_b64 s[4:5], vcc
	s_xor_b64 s[4:5], exec, s[4:5]
	s_cbranch_execz .LBB62_1076
; %bb.1057:
	s_movk_i32 s16, 0x80
	v_cmp_ne_u16_e32 vcc, s16, v5
	s_and_b64 s[16:17], vcc, exec
	s_andn2_saveexec_b64 s[4:5], s[4:5]
	s_cbranch_execnz .LBB62_1077
.LBB62_1058:
	s_or_b64 exec, exec, s[4:5]
	v_mov_b32_e32 v2, 0
	s_and_saveexec_b64 s[4:5], s[16:17]
	s_cbranch_execz .LBB62_1060
.LBB62_1059:
	v_lshlrev_b32_e32 v2, 24, v5
	v_and_b32_e32 v5, 0xffff, v5
	v_and_b32_e32 v6, 3, v5
	v_ffbh_u32_e32 v8, v6
	v_min_u32_e32 v8, 32, v8
	v_subrev_u32_e32 v9, 29, v8
	v_bfe_u32 v7, v5, 2, 5
	v_lshlrev_b32_e32 v5, v9, v5
	v_sub_u32_e32 v8, 30, v8
	v_and_b32_e32 v5, 3, v5
	v_cmp_eq_u32_e32 vcc, 0, v7
	v_cndmask_b32_e32 v7, v7, v8, vcc
	v_cndmask_b32_e32 v5, v6, v5, vcc
	v_mov_b32_e32 v6, 0x37800000
	v_lshlrev_b32_e32 v5, 21, v5
	v_and_b32_e32 v2, 0x80000000, v2
	v_lshl_add_u32 v6, v7, 23, v6
	v_or3_b32 v2, v2, v6, v5
	v_cvt_i32_f32_e32 v2, v2
.LBB62_1060:
	s_or_b64 exec, exec, s[4:5]
	s_mov_b64 s[4:5], 0
	s_branch .LBB62_1066
.LBB62_1061:
                                        ; implicit-def: $vgpr2
	s_mov_b64 s[4:5], 0
	s_branch .LBB62_1072
.LBB62_1062:
	s_andn2_saveexec_b64 s[16:17], s[16:17]
	s_cbranch_execz .LBB62_1048
.LBB62_1063:
	v_cmp_ne_u16_e32 vcc, 0, v5
	s_andn2_b64 s[18:19], s[18:19], exec
	s_and_b64 s[20:21], vcc, exec
	s_or_b64 s[18:19], s[18:19], s[20:21]
	s_or_b64 exec, exec, s[16:17]
	v_mov_b32_e32 v2, 0
	s_and_saveexec_b64 s[16:17], s[18:19]
	s_cbranch_execnz .LBB62_1049
	s_branch .LBB62_1050
.LBB62_1064:
	s_mov_b64 s[4:5], -1
                                        ; implicit-def: $vgpr2
	s_branch .LBB62_1069
.LBB62_1065:
	s_mov_b64 s[4:5], -1
                                        ; implicit-def: $vgpr2
.LBB62_1066:
	s_and_b64 vcc, exec, s[4:5]
	s_cbranch_vccz .LBB62_1068
; %bb.1067:
	global_load_ubyte v2, v[0:1], off
	s_mov_b32 s4, 0x7f800000
	s_waitcnt vmcnt(0)
	v_lshlrev_b32_e32 v2, 24, v2
	v_and_b32_e32 v5, 0x7f000000, v2
	v_ffbh_u32_e32 v6, v5
	v_min_u32_e32 v6, 32, v6
	v_sub_u32_e64 v6, v6, 4 clamp
	v_lshlrev_b32_e32 v8, v6, v5
	v_lshlrev_b32_e32 v6, 23, v6
	v_lshrrev_b32_e32 v8, 4, v8
	v_add_u32_e32 v7, 0x1000000, v5
	v_sub_u32_e32 v6, v8, v6
	v_ashrrev_i32_e32 v7, 8, v7
	v_add_u32_e32 v6, 0x3c000000, v6
	v_and_or_b32 v6, v7, s4, v6
	v_cmp_ne_u32_e32 vcc, 0, v5
	v_cndmask_b32_e32 v5, 0, v6, vcc
	s_brev_b32 s4, 1
	v_and_or_b32 v2, v2, s4, v5
	v_cvt_i32_f32_e32 v2, v2
.LBB62_1068:
	s_mov_b64 s[4:5], 0
.LBB62_1069:
	s_andn2_b64 vcc, exec, s[4:5]
	s_cbranch_vccnz .LBB62_1071
; %bb.1070:
	global_load_ubyte v2, v[0:1], off
	s_movk_i32 s4, 0x7f00
	s_brev_b32 s5, 16
	s_waitcnt vmcnt(0)
	v_lshlrev_b16_e32 v5, 8, v2
	v_lshlrev_b32_e32 v2, 25, v2
	v_lshrrev_b32_e32 v6, 4, v2
	v_and_or_b32 v7, v5, s4, 0.5
	v_or_b32_e32 v6, 0x70000000, v6
	v_add_f32_e32 v7, -0.5, v7
	v_mul_f32_e32 v6, 0x7800000, v6
	v_cmp_gt_u32_e32 vcc, s5, v2
	v_bfe_i32 v5, v5, 0, 16
	v_cndmask_b32_e32 v2, v6, v7, vcc
	s_brev_b32 s4, 1
	v_and_or_b32 v2, v5, s4, v2
	v_cvt_i32_f32_e32 v2, v2
.LBB62_1071:
	s_mov_b64 s[18:19], -1
	s_mov_b64 s[4:5], 0
	s_cbranch_execnz .LBB62_1082
.LBB62_1072:
	s_cmp_gt_i32 s22, 14
	s_cbranch_scc0 .LBB62_1075
; %bb.1073:
	s_cmp_eq_u32 s22, 15
	s_cbranch_scc0 .LBB62_1078
; %bb.1074:
	global_load_ushort v2, v[0:1], off
	s_mov_b64 s[0:1], 0
	s_mov_b64 s[18:19], -1
	s_waitcnt vmcnt(0)
	v_lshlrev_b32_e32 v2, 16, v2
	v_cvt_i32_f32_e32 v2, v2
	s_branch .LBB62_1079
.LBB62_1075:
	s_mov_b64 s[16:17], -1
                                        ; implicit-def: $vgpr2
	s_branch .LBB62_1080
.LBB62_1076:
	s_andn2_saveexec_b64 s[4:5], s[4:5]
	s_cbranch_execz .LBB62_1058
.LBB62_1077:
	v_cmp_ne_u16_e32 vcc, 0, v5
	s_andn2_b64 s[16:17], s[16:17], exec
	s_and_b64 s[18:19], vcc, exec
	s_or_b64 s[16:17], s[16:17], s[18:19]
	s_or_b64 exec, exec, s[4:5]
	v_mov_b32_e32 v2, 0
	s_and_saveexec_b64 s[4:5], s[16:17]
	s_cbranch_execnz .LBB62_1059
	s_branch .LBB62_1060
.LBB62_1078:
	s_mov_b64 s[0:1], -1
                                        ; implicit-def: $vgpr2
.LBB62_1079:
	s_mov_b64 s[16:17], 0
.LBB62_1080:
	s_and_b64 vcc, exec, s[16:17]
	s_cbranch_vccz .LBB62_1082
; %bb.1081:
	s_cmp_lg_u32 s22, 11
	s_mov_b64 s[4:5], -1
	s_cselect_b64 s[0:1], -1, 0
.LBB62_1082:
	s_and_b64 vcc, exec, s[0:1]
	s_mov_b64 s[16:17], s[14:15]
	s_cbranch_vccnz .LBB62_1143
; %bb.1083:
	s_andn2_b64 vcc, exec, s[4:5]
	s_cbranch_vccnz .LBB62_1085
.LBB62_1084:
	global_load_ubyte v2, v[0:1], off
	s_mov_b64 s[18:19], -1
	s_waitcnt vmcnt(0)
	v_cmp_ne_u16_e32 vcc, 0, v2
	v_cndmask_b32_e64 v2, 0, 1, vcc
.LBB62_1085:
	s_branch .LBB62_1020
.LBB62_1086:
	s_cmp_lt_i32 s22, 5
	s_cbranch_scc1 .LBB62_1091
; %bb.1087:
	s_cmp_lt_i32 s22, 8
	s_cbranch_scc1 .LBB62_1092
; %bb.1088:
	;; [unrolled: 3-line block ×3, first 2 shown]
	s_cmp_gt_i32 s22, 9
	s_cbranch_scc0 .LBB62_1094
; %bb.1090:
	global_load_dwordx2 v[5:6], v[0:1], off
	s_mov_b64 s[0:1], 0
	s_waitcnt vmcnt(0)
	v_cvt_i32_f64_e32 v2, v[5:6]
	s_branch .LBB62_1095
.LBB62_1091:
                                        ; implicit-def: $vgpr2
	s_branch .LBB62_1112
.LBB62_1092:
                                        ; implicit-def: $vgpr2
	s_branch .LBB62_1101
.LBB62_1093:
	s_mov_b64 s[0:1], -1
                                        ; implicit-def: $vgpr2
	s_branch .LBB62_1098
.LBB62_1094:
	s_mov_b64 s[0:1], -1
                                        ; implicit-def: $vgpr2
.LBB62_1095:
	s_andn2_b64 vcc, exec, s[0:1]
	s_cbranch_vccnz .LBB62_1097
; %bb.1096:
	global_load_dword v2, v[0:1], off
	s_waitcnt vmcnt(0)
	v_cvt_i32_f32_e32 v2, v2
.LBB62_1097:
	s_mov_b64 s[0:1], 0
.LBB62_1098:
	s_andn2_b64 vcc, exec, s[0:1]
	s_cbranch_vccnz .LBB62_1100
; %bb.1099:
	global_load_dword v2, v[0:1], off
	s_waitcnt vmcnt(0)
	v_cvt_f32_f16_e32 v2, v2
	v_cvt_i32_f32_e32 v2, v2
.LBB62_1100:
	s_cbranch_execnz .LBB62_1111
.LBB62_1101:
	s_cmp_lt_i32 s22, 6
	s_cbranch_scc1 .LBB62_1104
; %bb.1102:
	s_cmp_gt_i32 s22, 6
	s_cbranch_scc0 .LBB62_1105
; %bb.1103:
	global_load_dwordx2 v[5:6], v[0:1], off
	s_mov_b64 s[0:1], 0
	s_waitcnt vmcnt(0)
	v_cvt_i32_f64_e32 v2, v[5:6]
	s_branch .LBB62_1106
.LBB62_1104:
	s_mov_b64 s[0:1], -1
                                        ; implicit-def: $vgpr2
	s_branch .LBB62_1109
.LBB62_1105:
	s_mov_b64 s[0:1], -1
                                        ; implicit-def: $vgpr2
.LBB62_1106:
	s_andn2_b64 vcc, exec, s[0:1]
	s_cbranch_vccnz .LBB62_1108
; %bb.1107:
	global_load_dword v2, v[0:1], off
	s_waitcnt vmcnt(0)
	v_cvt_i32_f32_e32 v2, v2
.LBB62_1108:
	s_mov_b64 s[0:1], 0
.LBB62_1109:
	s_andn2_b64 vcc, exec, s[0:1]
	s_cbranch_vccnz .LBB62_1111
; %bb.1110:
	global_load_ushort v2, v[0:1], off
	s_waitcnt vmcnt(0)
	v_cvt_f32_f16_e32 v2, v2
	v_cvt_i32_f32_e32 v2, v2
.LBB62_1111:
	s_cbranch_execnz .LBB62_1130
.LBB62_1112:
	s_cmp_lt_i32 s22, 2
	s_cbranch_scc1 .LBB62_1116
; %bb.1113:
	s_cmp_lt_i32 s22, 3
	s_cbranch_scc1 .LBB62_1117
; %bb.1114:
	s_cmp_gt_i32 s22, 3
	s_cbranch_scc0 .LBB62_1118
; %bb.1115:
	global_load_dword v2, v[0:1], off
	s_mov_b64 s[0:1], 0
	s_branch .LBB62_1119
.LBB62_1116:
                                        ; implicit-def: $vgpr2
	s_branch .LBB62_1125
.LBB62_1117:
	s_mov_b64 s[0:1], -1
                                        ; implicit-def: $vgpr2
	s_branch .LBB62_1122
.LBB62_1118:
	s_mov_b64 s[0:1], -1
                                        ; implicit-def: $vgpr2
.LBB62_1119:
	s_andn2_b64 vcc, exec, s[0:1]
	s_cbranch_vccnz .LBB62_1121
; %bb.1120:
	global_load_dword v2, v[0:1], off
.LBB62_1121:
	s_mov_b64 s[0:1], 0
.LBB62_1122:
	s_andn2_b64 vcc, exec, s[0:1]
	s_cbranch_vccnz .LBB62_1124
; %bb.1123:
	global_load_sshort v2, v[0:1], off
.LBB62_1124:
	s_cbranch_execnz .LBB62_1130
.LBB62_1125:
	s_cmp_gt_i32 s22, 0
	s_cbranch_scc0 .LBB62_1127
; %bb.1126:
	global_load_sbyte v2, v[0:1], off
	s_mov_b64 s[0:1], 0
	s_branch .LBB62_1128
.LBB62_1127:
	s_mov_b64 s[0:1], -1
                                        ; implicit-def: $vgpr2
.LBB62_1128:
	s_andn2_b64 vcc, exec, s[0:1]
	s_cbranch_vccnz .LBB62_1130
; %bb.1129:
	global_load_ubyte v2, v[0:1], off
.LBB62_1130:
.LBB62_1131:
	s_lshl_b32 s13, s13, 7
	v_add_u32_e32 v3, s13, v3
	v_ashrrev_i32_e32 v1, 31, v3
	v_mov_b32_e32 v5, s11
	v_add_co_u32_e32 v0, vcc, s10, v3
	s_cmp_lt_i32 s22, 11
	v_addc_co_u32_e32 v1, vcc, v5, v1, vcc
	s_cbranch_scc1 .LBB62_1138
; %bb.1132:
	s_cmp_gt_i32 s22, 25
	s_mov_b64 s[4:5], 0
	s_cbranch_scc0 .LBB62_1140
; %bb.1133:
	s_cmp_gt_i32 s22, 28
	s_cbranch_scc0 .LBB62_1141
; %bb.1134:
	s_cmp_gt_i32 s22, 43
	;; [unrolled: 3-line block ×3, first 2 shown]
	s_cbranch_scc0 .LBB62_1144
; %bb.1136:
	s_cmp_eq_u32 s22, 46
	s_mov_b64 s[20:21], 0
	s_cbranch_scc0 .LBB62_1147
; %bb.1137:
	global_load_dword v5, v[0:1], off
	s_mov_b64 s[0:1], 0
	s_mov_b64 s[18:19], -1
	s_waitcnt vmcnt(0)
	v_lshlrev_b32_e32 v5, 16, v5
	v_cvt_i32_f32_e32 v7, v5
	s_branch .LBB62_1148
.LBB62_1138:
	s_mov_b64 s[18:19], 0
                                        ; implicit-def: $vgpr7
	s_cbranch_execnz .LBB62_1209
.LBB62_1139:
	s_andn2_b64 vcc, exec, s[18:19]
	s_cbranch_vccnz .LBB62_1940
	s_branch .LBB62_1256
.LBB62_1140:
	s_mov_b64 s[18:19], 0
	s_mov_b64 s[0:1], 0
                                        ; implicit-def: $vgpr7
	s_cbranch_execnz .LBB62_1175
	s_branch .LBB62_1205
.LBB62_1141:
	s_mov_b64 s[20:21], -1
	s_mov_b64 s[18:19], 0
	s_mov_b64 s[0:1], 0
                                        ; implicit-def: $vgpr7
	s_branch .LBB62_1158
.LBB62_1142:
	s_mov_b64 s[20:21], -1
	s_mov_b64 s[18:19], 0
	s_mov_b64 s[0:1], 0
                                        ; implicit-def: $vgpr7
	s_branch .LBB62_1153
.LBB62_1143:
	s_or_b64 s[16:17], s[14:15], exec
	s_trap 2
	s_cbranch_execz .LBB62_1084
	s_branch .LBB62_1085
.LBB62_1144:
	s_mov_b64 s[20:21], -1
	s_mov_b64 s[18:19], 0
	s_mov_b64 s[0:1], 0
                                        ; implicit-def: $vgpr7
	s_branch .LBB62_1148
.LBB62_1145:
	s_andn2_saveexec_b64 s[26:27], s[26:27]
	s_cbranch_execz .LBB62_936
.LBB62_1146:
	s_mov_b32 s30, 0x42800000
	v_add_f32_e64 v4, |v1|, s30
	v_and_b32_e32 v4, 0xff, v4
	v_cmp_ne_u32_e32 vcc, 0, v4
	s_andn2_b64 s[24:25], s[24:25], exec
	s_and_b64 s[30:31], vcc, exec
	s_or_b64 s[24:25], s[24:25], s[30:31]
	s_or_b64 exec, exec, s[26:27]
	v_mov_b32_e32 v5, 0
	s_and_saveexec_b64 s[26:27], s[24:25]
	s_cbranch_execnz .LBB62_937
	s_branch .LBB62_938
.LBB62_1147:
	s_mov_b64 s[0:1], -1
                                        ; implicit-def: $vgpr7
	s_mov_b64 s[18:19], 0
.LBB62_1148:
	s_and_b64 vcc, exec, s[20:21]
	s_cbranch_vccz .LBB62_1152
; %bb.1149:
	s_cmp_eq_u32 s22, 44
	s_cbranch_scc0 .LBB62_1151
; %bb.1150:
	global_load_ubyte v5, v[0:1], off
	s_mov_b64 s[0:1], 0
	s_mov_b64 s[18:19], -1
	s_waitcnt vmcnt(0)
	v_lshlrev_b32_e32 v6, 23, v5
	v_cvt_i32_f32_e32 v6, v6
	v_cmp_ne_u32_e32 vcc, 0, v5
	v_cndmask_b32_e32 v7, 0, v6, vcc
	s_branch .LBB62_1152
.LBB62_1151:
	s_mov_b64 s[0:1], -1
                                        ; implicit-def: $vgpr7
.LBB62_1152:
	s_mov_b64 s[20:21], 0
.LBB62_1153:
	s_and_b64 vcc, exec, s[20:21]
	s_cbranch_vccz .LBB62_1157
; %bb.1154:
	s_cmp_eq_u32 s22, 29
	s_cbranch_scc0 .LBB62_1156
; %bb.1155:
	global_load_dword v7, v[0:1], off
	s_mov_b64 s[0:1], 0
	s_mov_b64 s[18:19], -1
	s_branch .LBB62_1157
.LBB62_1156:
	s_mov_b64 s[0:1], -1
                                        ; implicit-def: $vgpr7
.LBB62_1157:
	s_mov_b64 s[20:21], 0
.LBB62_1158:
	s_and_b64 vcc, exec, s[20:21]
	s_cbranch_vccz .LBB62_1174
; %bb.1159:
	s_cmp_lt_i32 s22, 27
	s_cbranch_scc1 .LBB62_1162
; %bb.1160:
	s_cmp_gt_i32 s22, 27
	s_cbranch_scc0 .LBB62_1163
; %bb.1161:
	global_load_dword v7, v[0:1], off
	s_mov_b64 s[18:19], 0
	s_branch .LBB62_1164
.LBB62_1162:
	s_mov_b64 s[18:19], -1
                                        ; implicit-def: $vgpr7
	s_branch .LBB62_1167
.LBB62_1163:
	s_mov_b64 s[18:19], -1
                                        ; implicit-def: $vgpr7
.LBB62_1164:
	s_andn2_b64 vcc, exec, s[18:19]
	s_cbranch_vccnz .LBB62_1166
; %bb.1165:
	global_load_ushort v7, v[0:1], off
.LBB62_1166:
	s_mov_b64 s[18:19], 0
.LBB62_1167:
	s_andn2_b64 vcc, exec, s[18:19]
	s_cbranch_vccnz .LBB62_1173
; %bb.1168:
	global_load_ubyte v5, v[0:1], off
	s_movk_i32 s18, 0x7f
	s_mov_b64 s[20:21], 0
	s_waitcnt vmcnt(0)
	v_cmp_lt_i16_e32 vcc, s18, v5
	s_and_saveexec_b64 s[18:19], vcc
	s_xor_b64 s[18:19], exec, s[18:19]
	s_cbranch_execz .LBB62_1184
; %bb.1169:
	s_movk_i32 s20, 0x80
	v_cmp_ne_u16_e32 vcc, s20, v5
	s_and_b64 s[20:21], vcc, exec
	s_andn2_saveexec_b64 s[18:19], s[18:19]
	s_cbranch_execnz .LBB62_1185
.LBB62_1170:
	s_or_b64 exec, exec, s[18:19]
	v_mov_b32_e32 v7, 0
	s_and_saveexec_b64 s[18:19], s[20:21]
	s_cbranch_execz .LBB62_1172
.LBB62_1171:
	v_lshlrev_b32_e32 v6, 24, v5
	v_and_b32_e32 v5, 0xffff, v5
	v_and_b32_e32 v7, 7, v5
	v_ffbh_u32_e32 v9, v7
	v_min_u32_e32 v9, 32, v9
	v_subrev_u32_e32 v10, 28, v9
	v_bfe_u32 v8, v5, 3, 4
	v_lshlrev_b32_e32 v5, v10, v5
	v_sub_u32_e32 v9, 29, v9
	v_and_b32_e32 v5, 7, v5
	v_cmp_eq_u32_e32 vcc, 0, v8
	v_cndmask_b32_e32 v8, v8, v9, vcc
	v_cndmask_b32_e32 v5, v7, v5, vcc
	v_mov_b32_e32 v7, 0x3b800000
	v_lshlrev_b32_e32 v5, 20, v5
	v_and_b32_e32 v6, 0x80000000, v6
	v_lshl_add_u32 v7, v8, 23, v7
	v_or3_b32 v5, v6, v7, v5
	v_cvt_i32_f32_e32 v7, v5
.LBB62_1172:
	s_or_b64 exec, exec, s[18:19]
.LBB62_1173:
	s_mov_b64 s[18:19], -1
.LBB62_1174:
	s_branch .LBB62_1205
.LBB62_1175:
	s_cmp_gt_i32 s22, 22
	s_cbranch_scc0 .LBB62_1183
; %bb.1176:
	s_cmp_lt_i32 s22, 24
	s_cbranch_scc1 .LBB62_1186
; %bb.1177:
	s_cmp_gt_i32 s22, 24
	s_cbranch_scc0 .LBB62_1187
; %bb.1178:
	global_load_ubyte v5, v[0:1], off
	s_movk_i32 s4, 0x7f
	s_mov_b64 s[18:19], 0
	s_waitcnt vmcnt(0)
	v_cmp_lt_i16_e32 vcc, s4, v5
	s_and_saveexec_b64 s[4:5], vcc
	s_xor_b64 s[4:5], exec, s[4:5]
	s_cbranch_execz .LBB62_1199
; %bb.1179:
	s_movk_i32 s18, 0x80
	v_cmp_ne_u16_e32 vcc, s18, v5
	s_and_b64 s[18:19], vcc, exec
	s_andn2_saveexec_b64 s[4:5], s[4:5]
	s_cbranch_execnz .LBB62_1200
.LBB62_1180:
	s_or_b64 exec, exec, s[4:5]
	v_mov_b32_e32 v7, 0
	s_and_saveexec_b64 s[4:5], s[18:19]
	s_cbranch_execz .LBB62_1182
.LBB62_1181:
	v_lshlrev_b32_e32 v6, 24, v5
	v_and_b32_e32 v5, 0xffff, v5
	v_and_b32_e32 v7, 3, v5
	v_ffbh_u32_e32 v9, v7
	v_min_u32_e32 v9, 32, v9
	v_subrev_u32_e32 v10, 29, v9
	v_bfe_u32 v8, v5, 2, 5
	v_lshlrev_b32_e32 v5, v10, v5
	v_sub_u32_e32 v9, 30, v9
	v_and_b32_e32 v5, 3, v5
	v_cmp_eq_u32_e32 vcc, 0, v8
	v_cndmask_b32_e32 v8, v8, v9, vcc
	v_cndmask_b32_e32 v5, v7, v5, vcc
	v_mov_b32_e32 v7, 0x37800000
	v_lshlrev_b32_e32 v5, 21, v5
	v_and_b32_e32 v6, 0x80000000, v6
	v_lshl_add_u32 v7, v8, 23, v7
	v_or3_b32 v5, v6, v7, v5
	v_cvt_i32_f32_e32 v7, v5
.LBB62_1182:
	s_or_b64 exec, exec, s[4:5]
	s_mov_b64 s[4:5], 0
	s_branch .LBB62_1188
.LBB62_1183:
	s_mov_b64 s[4:5], -1
                                        ; implicit-def: $vgpr7
	s_branch .LBB62_1194
.LBB62_1184:
	s_andn2_saveexec_b64 s[18:19], s[18:19]
	s_cbranch_execz .LBB62_1170
.LBB62_1185:
	v_cmp_ne_u16_e32 vcc, 0, v5
	s_andn2_b64 s[20:21], s[20:21], exec
	s_and_b64 s[24:25], vcc, exec
	s_or_b64 s[20:21], s[20:21], s[24:25]
	s_or_b64 exec, exec, s[18:19]
	v_mov_b32_e32 v7, 0
	s_and_saveexec_b64 s[18:19], s[20:21]
	s_cbranch_execnz .LBB62_1171
	s_branch .LBB62_1172
.LBB62_1186:
	s_mov_b64 s[4:5], -1
                                        ; implicit-def: $vgpr7
	s_branch .LBB62_1191
.LBB62_1187:
	s_mov_b64 s[4:5], -1
                                        ; implicit-def: $vgpr7
.LBB62_1188:
	s_and_b64 vcc, exec, s[4:5]
	s_cbranch_vccz .LBB62_1190
; %bb.1189:
	global_load_ubyte v5, v[0:1], off
	s_mov_b32 s4, 0x7f800000
	s_waitcnt vmcnt(0)
	v_lshlrev_b32_e32 v5, 24, v5
	v_and_b32_e32 v6, 0x7f000000, v5
	v_ffbh_u32_e32 v7, v6
	v_min_u32_e32 v7, 32, v7
	v_sub_u32_e64 v7, v7, 4 clamp
	v_lshlrev_b32_e32 v9, v7, v6
	v_lshlrev_b32_e32 v7, 23, v7
	v_lshrrev_b32_e32 v9, 4, v9
	v_add_u32_e32 v8, 0x1000000, v6
	v_sub_u32_e32 v7, v9, v7
	v_ashrrev_i32_e32 v8, 8, v8
	v_add_u32_e32 v7, 0x3c000000, v7
	v_and_or_b32 v7, v8, s4, v7
	v_cmp_ne_u32_e32 vcc, 0, v6
	v_cndmask_b32_e32 v6, 0, v7, vcc
	s_brev_b32 s4, 1
	v_and_or_b32 v5, v5, s4, v6
	v_cvt_i32_f32_e32 v7, v5
.LBB62_1190:
	s_mov_b64 s[4:5], 0
.LBB62_1191:
	s_andn2_b64 vcc, exec, s[4:5]
	s_cbranch_vccnz .LBB62_1193
; %bb.1192:
	global_load_ubyte v5, v[0:1], off
	s_movk_i32 s4, 0x7f00
	s_brev_b32 s5, 16
	s_waitcnt vmcnt(0)
	v_lshlrev_b16_e32 v6, 8, v5
	v_lshlrev_b32_e32 v5, 25, v5
	v_lshrrev_b32_e32 v7, 4, v5
	v_and_or_b32 v8, v6, s4, 0.5
	v_or_b32_e32 v7, 0x70000000, v7
	v_add_f32_e32 v8, -0.5, v8
	v_mul_f32_e32 v7, 0x7800000, v7
	v_cmp_gt_u32_e32 vcc, s5, v5
	v_bfe_i32 v6, v6, 0, 16
	v_cndmask_b32_e32 v5, v7, v8, vcc
	s_brev_b32 s4, 1
	v_and_or_b32 v5, v6, s4, v5
	v_cvt_i32_f32_e32 v7, v5
.LBB62_1193:
	s_mov_b64 s[4:5], 0
	s_mov_b64 s[18:19], -1
.LBB62_1194:
	s_andn2_b64 vcc, exec, s[4:5]
	s_mov_b64 s[4:5], 0
	s_cbranch_vccnz .LBB62_1205
; %bb.1195:
	s_cmp_gt_i32 s22, 14
	s_cbranch_scc0 .LBB62_1198
; %bb.1196:
	s_cmp_eq_u32 s22, 15
	s_cbranch_scc0 .LBB62_1201
; %bb.1197:
	global_load_ushort v5, v[0:1], off
	s_mov_b64 s[0:1], 0
	s_mov_b64 s[18:19], -1
	s_waitcnt vmcnt(0)
	v_lshlrev_b32_e32 v5, 16, v5
	v_cvt_i32_f32_e32 v7, v5
	s_branch .LBB62_1202
.LBB62_1198:
	s_mov_b64 s[20:21], -1
                                        ; implicit-def: $vgpr7
	s_branch .LBB62_1203
.LBB62_1199:
	s_andn2_saveexec_b64 s[4:5], s[4:5]
	s_cbranch_execz .LBB62_1180
.LBB62_1200:
	v_cmp_ne_u16_e32 vcc, 0, v5
	s_andn2_b64 s[18:19], s[18:19], exec
	s_and_b64 s[20:21], vcc, exec
	s_or_b64 s[18:19], s[18:19], s[20:21]
	s_or_b64 exec, exec, s[4:5]
	v_mov_b32_e32 v7, 0
	s_and_saveexec_b64 s[4:5], s[18:19]
	s_cbranch_execnz .LBB62_1181
	s_branch .LBB62_1182
.LBB62_1201:
	s_mov_b64 s[0:1], -1
                                        ; implicit-def: $vgpr7
.LBB62_1202:
	s_mov_b64 s[20:21], 0
.LBB62_1203:
	s_and_b64 vcc, exec, s[20:21]
	s_cbranch_vccz .LBB62_1205
; %bb.1204:
	s_cmp_lg_u32 s22, 11
	s_mov_b64 s[4:5], -1
	s_cselect_b64 s[0:1], -1, 0
.LBB62_1205:
	s_and_b64 vcc, exec, s[0:1]
	s_cbranch_vccnz .LBB62_1268
; %bb.1206:
	s_andn2_b64 vcc, exec, s[4:5]
	s_cbranch_vccnz .LBB62_1208
.LBB62_1207:
	global_load_ubyte v5, v[0:1], off
	s_mov_b64 s[18:19], -1
	s_waitcnt vmcnt(0)
	v_cmp_ne_u16_e32 vcc, 0, v5
	v_cndmask_b32_e64 v7, 0, 1, vcc
.LBB62_1208:
	s_branch .LBB62_1139
.LBB62_1209:
	s_cmp_lt_i32 s22, 5
	s_cbranch_scc1 .LBB62_1214
; %bb.1210:
	s_cmp_lt_i32 s22, 8
	s_cbranch_scc1 .LBB62_1215
; %bb.1211:
	;; [unrolled: 3-line block ×3, first 2 shown]
	s_cmp_gt_i32 s22, 9
	s_cbranch_scc0 .LBB62_1217
; %bb.1213:
	global_load_dwordx2 v[5:6], v[0:1], off
	s_mov_b64 s[0:1], 0
	s_waitcnt vmcnt(0)
	v_cvt_i32_f64_e32 v7, v[5:6]
	s_branch .LBB62_1218
.LBB62_1214:
                                        ; implicit-def: $vgpr7
	s_branch .LBB62_1236
.LBB62_1215:
	s_mov_b64 s[0:1], -1
                                        ; implicit-def: $vgpr7
	s_branch .LBB62_1224
.LBB62_1216:
	s_mov_b64 s[0:1], -1
                                        ; implicit-def: $vgpr7
	s_branch .LBB62_1221
.LBB62_1217:
	s_mov_b64 s[0:1], -1
                                        ; implicit-def: $vgpr7
.LBB62_1218:
	s_andn2_b64 vcc, exec, s[0:1]
	s_cbranch_vccnz .LBB62_1220
; %bb.1219:
	global_load_dword v5, v[0:1], off
	s_waitcnt vmcnt(0)
	v_cvt_i32_f32_e32 v7, v5
.LBB62_1220:
	s_mov_b64 s[0:1], 0
.LBB62_1221:
	s_andn2_b64 vcc, exec, s[0:1]
	s_cbranch_vccnz .LBB62_1223
; %bb.1222:
	global_load_dword v5, v[0:1], off
	s_waitcnt vmcnt(0)
	v_cvt_f32_f16_e32 v5, v5
	v_cvt_i32_f32_e32 v7, v5
.LBB62_1223:
	s_mov_b64 s[0:1], 0
.LBB62_1224:
	s_andn2_b64 vcc, exec, s[0:1]
	s_cbranch_vccnz .LBB62_1235
; %bb.1225:
	s_cmp_lt_i32 s22, 6
	s_cbranch_scc1 .LBB62_1228
; %bb.1226:
	s_cmp_gt_i32 s22, 6
	s_cbranch_scc0 .LBB62_1229
; %bb.1227:
	global_load_dwordx2 v[5:6], v[0:1], off
	s_mov_b64 s[0:1], 0
	s_waitcnt vmcnt(0)
	v_cvt_i32_f64_e32 v7, v[5:6]
	s_branch .LBB62_1230
.LBB62_1228:
	s_mov_b64 s[0:1], -1
                                        ; implicit-def: $vgpr7
	s_branch .LBB62_1233
.LBB62_1229:
	s_mov_b64 s[0:1], -1
                                        ; implicit-def: $vgpr7
.LBB62_1230:
	s_andn2_b64 vcc, exec, s[0:1]
	s_cbranch_vccnz .LBB62_1232
; %bb.1231:
	global_load_dword v5, v[0:1], off
	s_waitcnt vmcnt(0)
	v_cvt_i32_f32_e32 v7, v5
.LBB62_1232:
	s_mov_b64 s[0:1], 0
.LBB62_1233:
	s_andn2_b64 vcc, exec, s[0:1]
	s_cbranch_vccnz .LBB62_1235
; %bb.1234:
	global_load_ushort v5, v[0:1], off
	s_waitcnt vmcnt(0)
	v_cvt_f32_f16_e32 v5, v5
	v_cvt_i32_f32_e32 v7, v5
.LBB62_1235:
	s_cbranch_execnz .LBB62_1255
.LBB62_1236:
	s_cmp_lt_i32 s22, 2
	s_cbranch_scc1 .LBB62_1240
; %bb.1237:
	s_cmp_lt_i32 s22, 3
	s_cbranch_scc1 .LBB62_1241
; %bb.1238:
	s_cmp_gt_i32 s22, 3
	s_cbranch_scc0 .LBB62_1242
; %bb.1239:
	global_load_dword v7, v[0:1], off
	s_mov_b64 s[0:1], 0
	s_branch .LBB62_1243
.LBB62_1240:
	s_mov_b64 s[0:1], -1
                                        ; implicit-def: $vgpr7
	s_branch .LBB62_1249
.LBB62_1241:
	s_mov_b64 s[0:1], -1
                                        ; implicit-def: $vgpr7
	s_branch .LBB62_1246
.LBB62_1242:
	s_mov_b64 s[0:1], -1
                                        ; implicit-def: $vgpr7
.LBB62_1243:
	s_andn2_b64 vcc, exec, s[0:1]
	s_cbranch_vccnz .LBB62_1245
; %bb.1244:
	global_load_dword v7, v[0:1], off
.LBB62_1245:
	s_mov_b64 s[0:1], 0
.LBB62_1246:
	s_andn2_b64 vcc, exec, s[0:1]
	s_cbranch_vccnz .LBB62_1248
; %bb.1247:
	global_load_sshort v7, v[0:1], off
.LBB62_1248:
	s_mov_b64 s[0:1], 0
.LBB62_1249:
	s_andn2_b64 vcc, exec, s[0:1]
	s_cbranch_vccnz .LBB62_1255
; %bb.1250:
	s_cmp_gt_i32 s22, 0
	s_cbranch_scc0 .LBB62_1252
; %bb.1251:
	global_load_sbyte v7, v[0:1], off
	s_mov_b64 s[0:1], 0
	s_branch .LBB62_1253
.LBB62_1252:
	s_mov_b64 s[0:1], -1
                                        ; implicit-def: $vgpr7
.LBB62_1253:
	s_andn2_b64 vcc, exec, s[0:1]
	s_cbranch_vccnz .LBB62_1255
; %bb.1254:
	global_load_ubyte v7, v[0:1], off
.LBB62_1255:
.LBB62_1256:
	v_add_u32_e32 v3, s13, v3
	v_ashrrev_i32_e32 v1, 31, v3
	v_mov_b32_e32 v5, s11
	v_add_co_u32_e32 v0, vcc, s10, v3
	s_cmp_lt_i32 s22, 11
	v_addc_co_u32_e32 v1, vcc, v5, v1, vcc
	s_cbranch_scc1 .LBB62_1263
; %bb.1257:
	s_cmp_gt_i32 s22, 25
	s_mov_b64 s[4:5], 0
	s_cbranch_scc0 .LBB62_1265
; %bb.1258:
	s_cmp_gt_i32 s22, 28
	s_cbranch_scc0 .LBB62_1266
; %bb.1259:
	s_cmp_gt_i32 s22, 43
	;; [unrolled: 3-line block ×3, first 2 shown]
	s_cbranch_scc0 .LBB62_1269
; %bb.1261:
	s_cmp_eq_u32 s22, 46
	s_mov_b64 s[20:21], 0
	s_cbranch_scc0 .LBB62_1270
; %bb.1262:
	global_load_dword v5, v[0:1], off
	s_mov_b64 s[0:1], 0
	s_mov_b64 s[18:19], -1
	s_waitcnt vmcnt(0)
	v_lshlrev_b32_e32 v5, 16, v5
	v_cvt_i32_f32_e32 v6, v5
	s_branch .LBB62_1271
.LBB62_1263:
	s_mov_b64 s[18:19], 0
                                        ; implicit-def: $vgpr6
	s_cbranch_execnz .LBB62_1333
.LBB62_1264:
	s_andn2_b64 vcc, exec, s[18:19]
	s_cbranch_vccnz .LBB62_1940
	s_branch .LBB62_1381
.LBB62_1265:
	s_mov_b64 s[20:21], -1
	s_mov_b64 s[18:19], 0
	s_mov_b64 s[0:1], 0
                                        ; implicit-def: $vgpr6
	s_branch .LBB62_1298
.LBB62_1266:
	s_mov_b64 s[20:21], -1
	s_mov_b64 s[18:19], 0
	s_mov_b64 s[0:1], 0
                                        ; implicit-def: $vgpr6
	s_branch .LBB62_1281
.LBB62_1267:
	s_mov_b64 s[20:21], -1
	s_mov_b64 s[18:19], 0
	s_mov_b64 s[0:1], 0
                                        ; implicit-def: $vgpr6
	s_branch .LBB62_1276
.LBB62_1268:
	s_trap 2
	s_or_b64 s[16:17], s[16:17], exec
	s_cbranch_execz .LBB62_1207
	s_branch .LBB62_1208
.LBB62_1269:
	s_mov_b64 s[20:21], -1
	s_mov_b64 s[18:19], 0
	s_mov_b64 s[0:1], 0
                                        ; implicit-def: $vgpr6
	s_branch .LBB62_1271
.LBB62_1270:
	s_mov_b64 s[0:1], -1
                                        ; implicit-def: $vgpr6
	s_mov_b64 s[18:19], 0
.LBB62_1271:
	s_and_b64 vcc, exec, s[20:21]
	s_cbranch_vccz .LBB62_1275
; %bb.1272:
	s_cmp_eq_u32 s22, 44
	s_cbranch_scc0 .LBB62_1274
; %bb.1273:
	global_load_ubyte v5, v[0:1], off
	s_mov_b64 s[0:1], 0
	s_mov_b64 s[18:19], -1
	s_waitcnt vmcnt(0)
	v_lshlrev_b32_e32 v6, 23, v5
	v_cvt_i32_f32_e32 v6, v6
	v_cmp_ne_u32_e32 vcc, 0, v5
	v_cndmask_b32_e32 v6, 0, v6, vcc
	s_branch .LBB62_1275
.LBB62_1274:
	s_mov_b64 s[0:1], -1
                                        ; implicit-def: $vgpr6
.LBB62_1275:
	s_mov_b64 s[20:21], 0
.LBB62_1276:
	s_and_b64 vcc, exec, s[20:21]
	s_cbranch_vccz .LBB62_1280
; %bb.1277:
	s_cmp_eq_u32 s22, 29
	s_cbranch_scc0 .LBB62_1279
; %bb.1278:
	global_load_dword v6, v[0:1], off
	s_mov_b64 s[0:1], 0
	s_mov_b64 s[18:19], -1
	s_branch .LBB62_1280
.LBB62_1279:
	s_mov_b64 s[0:1], -1
                                        ; implicit-def: $vgpr6
.LBB62_1280:
	s_mov_b64 s[20:21], 0
.LBB62_1281:
	s_and_b64 vcc, exec, s[20:21]
	s_cbranch_vccz .LBB62_1297
; %bb.1282:
	s_cmp_lt_i32 s22, 27
	s_cbranch_scc1 .LBB62_1285
; %bb.1283:
	s_cmp_gt_i32 s22, 27
	s_cbranch_scc0 .LBB62_1286
; %bb.1284:
	global_load_dword v6, v[0:1], off
	s_mov_b64 s[18:19], 0
	s_branch .LBB62_1287
.LBB62_1285:
	s_mov_b64 s[18:19], -1
                                        ; implicit-def: $vgpr6
	s_branch .LBB62_1290
.LBB62_1286:
	s_mov_b64 s[18:19], -1
                                        ; implicit-def: $vgpr6
.LBB62_1287:
	s_andn2_b64 vcc, exec, s[18:19]
	s_cbranch_vccnz .LBB62_1289
; %bb.1288:
	global_load_ushort v6, v[0:1], off
.LBB62_1289:
	s_mov_b64 s[18:19], 0
.LBB62_1290:
	s_andn2_b64 vcc, exec, s[18:19]
	s_cbranch_vccnz .LBB62_1296
; %bb.1291:
	global_load_ubyte v5, v[0:1], off
	s_movk_i32 s18, 0x7f
	s_mov_b64 s[20:21], 0
	s_waitcnt vmcnt(0)
	v_cmp_lt_i16_e32 vcc, s18, v5
	s_and_saveexec_b64 s[18:19], vcc
	s_xor_b64 s[18:19], exec, s[18:19]
	s_cbranch_execz .LBB62_1308
; %bb.1292:
	s_movk_i32 s20, 0x80
	v_cmp_ne_u16_e32 vcc, s20, v5
	s_and_b64 s[20:21], vcc, exec
	s_andn2_saveexec_b64 s[18:19], s[18:19]
	s_cbranch_execnz .LBB62_1309
.LBB62_1293:
	s_or_b64 exec, exec, s[18:19]
	v_mov_b32_e32 v6, 0
	s_and_saveexec_b64 s[18:19], s[20:21]
	s_cbranch_execz .LBB62_1295
.LBB62_1294:
	v_lshlrev_b32_e32 v6, 24, v5
	v_and_b32_e32 v5, 0xffff, v5
	v_and_b32_e32 v8, 7, v5
	v_ffbh_u32_e32 v10, v8
	v_min_u32_e32 v10, 32, v10
	v_subrev_u32_e32 v11, 28, v10
	v_bfe_u32 v9, v5, 3, 4
	v_lshlrev_b32_e32 v5, v11, v5
	v_sub_u32_e32 v10, 29, v10
	v_and_b32_e32 v5, 7, v5
	v_cmp_eq_u32_e32 vcc, 0, v9
	v_cndmask_b32_e32 v9, v9, v10, vcc
	v_cndmask_b32_e32 v5, v8, v5, vcc
	v_mov_b32_e32 v8, 0x3b800000
	v_lshlrev_b32_e32 v5, 20, v5
	v_and_b32_e32 v6, 0x80000000, v6
	v_lshl_add_u32 v8, v9, 23, v8
	v_or3_b32 v5, v6, v8, v5
	v_cvt_i32_f32_e32 v6, v5
.LBB62_1295:
	s_or_b64 exec, exec, s[18:19]
.LBB62_1296:
	s_mov_b64 s[18:19], -1
.LBB62_1297:
	s_mov_b64 s[20:21], 0
.LBB62_1298:
	s_and_b64 vcc, exec, s[20:21]
	s_cbranch_vccz .LBB62_1329
; %bb.1299:
	s_cmp_gt_i32 s22, 22
	s_cbranch_scc0 .LBB62_1307
; %bb.1300:
	s_cmp_lt_i32 s22, 24
	s_cbranch_scc1 .LBB62_1310
; %bb.1301:
	s_cmp_gt_i32 s22, 24
	s_cbranch_scc0 .LBB62_1311
; %bb.1302:
	global_load_ubyte v5, v[0:1], off
	s_movk_i32 s4, 0x7f
	s_mov_b64 s[18:19], 0
	s_waitcnt vmcnt(0)
	v_cmp_lt_i16_e32 vcc, s4, v5
	s_and_saveexec_b64 s[4:5], vcc
	s_xor_b64 s[4:5], exec, s[4:5]
	s_cbranch_execz .LBB62_1323
; %bb.1303:
	s_movk_i32 s18, 0x80
	v_cmp_ne_u16_e32 vcc, s18, v5
	s_and_b64 s[18:19], vcc, exec
	s_andn2_saveexec_b64 s[4:5], s[4:5]
	s_cbranch_execnz .LBB62_1324
.LBB62_1304:
	s_or_b64 exec, exec, s[4:5]
	v_mov_b32_e32 v6, 0
	s_and_saveexec_b64 s[4:5], s[18:19]
	s_cbranch_execz .LBB62_1306
.LBB62_1305:
	v_lshlrev_b32_e32 v6, 24, v5
	v_and_b32_e32 v5, 0xffff, v5
	v_and_b32_e32 v8, 3, v5
	v_ffbh_u32_e32 v10, v8
	v_min_u32_e32 v10, 32, v10
	v_subrev_u32_e32 v11, 29, v10
	v_bfe_u32 v9, v5, 2, 5
	v_lshlrev_b32_e32 v5, v11, v5
	v_sub_u32_e32 v10, 30, v10
	v_and_b32_e32 v5, 3, v5
	v_cmp_eq_u32_e32 vcc, 0, v9
	v_cndmask_b32_e32 v9, v9, v10, vcc
	v_cndmask_b32_e32 v5, v8, v5, vcc
	v_mov_b32_e32 v8, 0x37800000
	v_lshlrev_b32_e32 v5, 21, v5
	v_and_b32_e32 v6, 0x80000000, v6
	v_lshl_add_u32 v8, v9, 23, v8
	v_or3_b32 v5, v6, v8, v5
	v_cvt_i32_f32_e32 v6, v5
.LBB62_1306:
	s_or_b64 exec, exec, s[4:5]
	s_mov_b64 s[4:5], 0
	s_branch .LBB62_1312
.LBB62_1307:
	s_mov_b64 s[4:5], -1
                                        ; implicit-def: $vgpr6
	s_branch .LBB62_1318
.LBB62_1308:
	s_andn2_saveexec_b64 s[18:19], s[18:19]
	s_cbranch_execz .LBB62_1293
.LBB62_1309:
	v_cmp_ne_u16_e32 vcc, 0, v5
	s_andn2_b64 s[20:21], s[20:21], exec
	s_and_b64 s[24:25], vcc, exec
	s_or_b64 s[20:21], s[20:21], s[24:25]
	s_or_b64 exec, exec, s[18:19]
	v_mov_b32_e32 v6, 0
	s_and_saveexec_b64 s[18:19], s[20:21]
	s_cbranch_execnz .LBB62_1294
	s_branch .LBB62_1295
.LBB62_1310:
	s_mov_b64 s[4:5], -1
                                        ; implicit-def: $vgpr6
	s_branch .LBB62_1315
.LBB62_1311:
	s_mov_b64 s[4:5], -1
                                        ; implicit-def: $vgpr6
.LBB62_1312:
	s_and_b64 vcc, exec, s[4:5]
	s_cbranch_vccz .LBB62_1314
; %bb.1313:
	global_load_ubyte v5, v[0:1], off
	s_mov_b32 s4, 0x7f800000
	s_waitcnt vmcnt(0)
	v_lshlrev_b32_e32 v5, 24, v5
	v_and_b32_e32 v6, 0x7f000000, v5
	v_ffbh_u32_e32 v8, v6
	v_min_u32_e32 v8, 32, v8
	v_sub_u32_e64 v8, v8, 4 clamp
	v_lshlrev_b32_e32 v10, v8, v6
	v_lshlrev_b32_e32 v8, 23, v8
	v_lshrrev_b32_e32 v10, 4, v10
	v_add_u32_e32 v9, 0x1000000, v6
	v_sub_u32_e32 v8, v10, v8
	v_ashrrev_i32_e32 v9, 8, v9
	v_add_u32_e32 v8, 0x3c000000, v8
	v_and_or_b32 v8, v9, s4, v8
	v_cmp_ne_u32_e32 vcc, 0, v6
	v_cndmask_b32_e32 v6, 0, v8, vcc
	s_brev_b32 s4, 1
	v_and_or_b32 v5, v5, s4, v6
	v_cvt_i32_f32_e32 v6, v5
.LBB62_1314:
	s_mov_b64 s[4:5], 0
.LBB62_1315:
	s_andn2_b64 vcc, exec, s[4:5]
	s_cbranch_vccnz .LBB62_1317
; %bb.1316:
	global_load_ubyte v5, v[0:1], off
	s_movk_i32 s4, 0x7f00
	s_brev_b32 s5, 16
	s_waitcnt vmcnt(0)
	v_lshlrev_b16_e32 v6, 8, v5
	v_lshlrev_b32_e32 v5, 25, v5
	v_lshrrev_b32_e32 v8, 4, v5
	v_and_or_b32 v9, v6, s4, 0.5
	v_or_b32_e32 v8, 0x70000000, v8
	v_add_f32_e32 v9, -0.5, v9
	v_mul_f32_e32 v8, 0x7800000, v8
	v_cmp_gt_u32_e32 vcc, s5, v5
	v_bfe_i32 v6, v6, 0, 16
	v_cndmask_b32_e32 v5, v8, v9, vcc
	s_brev_b32 s4, 1
	v_and_or_b32 v5, v6, s4, v5
	v_cvt_i32_f32_e32 v6, v5
.LBB62_1317:
	s_mov_b64 s[4:5], 0
	s_mov_b64 s[18:19], -1
.LBB62_1318:
	s_andn2_b64 vcc, exec, s[4:5]
	s_mov_b64 s[4:5], 0
	s_cbranch_vccnz .LBB62_1329
; %bb.1319:
	s_cmp_gt_i32 s22, 14
	s_cbranch_scc0 .LBB62_1322
; %bb.1320:
	s_cmp_eq_u32 s22, 15
	s_cbranch_scc0 .LBB62_1325
; %bb.1321:
	global_load_ushort v5, v[0:1], off
	s_mov_b64 s[0:1], 0
	s_mov_b64 s[18:19], -1
	s_waitcnt vmcnt(0)
	v_lshlrev_b32_e32 v5, 16, v5
	v_cvt_i32_f32_e32 v6, v5
	s_branch .LBB62_1326
.LBB62_1322:
	s_mov_b64 s[20:21], -1
                                        ; implicit-def: $vgpr6
	s_branch .LBB62_1327
.LBB62_1323:
	s_andn2_saveexec_b64 s[4:5], s[4:5]
	s_cbranch_execz .LBB62_1304
.LBB62_1324:
	v_cmp_ne_u16_e32 vcc, 0, v5
	s_andn2_b64 s[18:19], s[18:19], exec
	s_and_b64 s[20:21], vcc, exec
	s_or_b64 s[18:19], s[18:19], s[20:21]
	s_or_b64 exec, exec, s[4:5]
	v_mov_b32_e32 v6, 0
	s_and_saveexec_b64 s[4:5], s[18:19]
	s_cbranch_execnz .LBB62_1305
	s_branch .LBB62_1306
.LBB62_1325:
	s_mov_b64 s[0:1], -1
                                        ; implicit-def: $vgpr6
.LBB62_1326:
	s_mov_b64 s[20:21], 0
.LBB62_1327:
	s_and_b64 vcc, exec, s[20:21]
	s_cbranch_vccz .LBB62_1329
; %bb.1328:
	s_cmp_lg_u32 s22, 11
	s_mov_b64 s[4:5], -1
	s_cselect_b64 s[0:1], -1, 0
.LBB62_1329:
	s_and_b64 vcc, exec, s[0:1]
	s_cbranch_vccnz .LBB62_1392
; %bb.1330:
	s_andn2_b64 vcc, exec, s[4:5]
	s_cbranch_vccnz .LBB62_1332
.LBB62_1331:
	global_load_ubyte v5, v[0:1], off
	s_mov_b64 s[18:19], -1
	s_waitcnt vmcnt(0)
	v_cmp_ne_u16_e32 vcc, 0, v5
	v_cndmask_b32_e64 v6, 0, 1, vcc
.LBB62_1332:
	s_branch .LBB62_1264
.LBB62_1333:
	s_cmp_lt_i32 s22, 5
	s_cbranch_scc1 .LBB62_1338
; %bb.1334:
	s_cmp_lt_i32 s22, 8
	s_cbranch_scc1 .LBB62_1339
; %bb.1335:
	;; [unrolled: 3-line block ×3, first 2 shown]
	s_cmp_gt_i32 s22, 9
	s_cbranch_scc0 .LBB62_1341
; %bb.1337:
	global_load_dwordx2 v[5:6], v[0:1], off
	s_mov_b64 s[0:1], 0
	s_waitcnt vmcnt(0)
	v_cvt_i32_f64_e32 v6, v[5:6]
	s_branch .LBB62_1342
.LBB62_1338:
	s_mov_b64 s[0:1], -1
                                        ; implicit-def: $vgpr6
	s_branch .LBB62_1360
.LBB62_1339:
	s_mov_b64 s[0:1], -1
                                        ; implicit-def: $vgpr6
	s_branch .LBB62_1348
.LBB62_1340:
	s_mov_b64 s[0:1], -1
                                        ; implicit-def: $vgpr6
	s_branch .LBB62_1345
.LBB62_1341:
	s_mov_b64 s[0:1], -1
                                        ; implicit-def: $vgpr6
.LBB62_1342:
	s_andn2_b64 vcc, exec, s[0:1]
	s_cbranch_vccnz .LBB62_1344
; %bb.1343:
	global_load_dword v5, v[0:1], off
	s_waitcnt vmcnt(0)
	v_cvt_i32_f32_e32 v6, v5
.LBB62_1344:
	s_mov_b64 s[0:1], 0
.LBB62_1345:
	s_andn2_b64 vcc, exec, s[0:1]
	s_cbranch_vccnz .LBB62_1347
; %bb.1346:
	global_load_dword v5, v[0:1], off
	s_waitcnt vmcnt(0)
	v_cvt_f32_f16_e32 v5, v5
	v_cvt_i32_f32_e32 v6, v5
.LBB62_1347:
	s_mov_b64 s[0:1], 0
.LBB62_1348:
	s_andn2_b64 vcc, exec, s[0:1]
	s_cbranch_vccnz .LBB62_1359
; %bb.1349:
	s_cmp_lt_i32 s22, 6
	s_cbranch_scc1 .LBB62_1352
; %bb.1350:
	s_cmp_gt_i32 s22, 6
	s_cbranch_scc0 .LBB62_1353
; %bb.1351:
	global_load_dwordx2 v[5:6], v[0:1], off
	s_mov_b64 s[0:1], 0
	s_waitcnt vmcnt(0)
	v_cvt_i32_f64_e32 v6, v[5:6]
	s_branch .LBB62_1354
.LBB62_1352:
	s_mov_b64 s[0:1], -1
                                        ; implicit-def: $vgpr6
	s_branch .LBB62_1357
.LBB62_1353:
	s_mov_b64 s[0:1], -1
                                        ; implicit-def: $vgpr6
.LBB62_1354:
	s_andn2_b64 vcc, exec, s[0:1]
	s_cbranch_vccnz .LBB62_1356
; %bb.1355:
	global_load_dword v5, v[0:1], off
	s_waitcnt vmcnt(0)
	v_cvt_i32_f32_e32 v6, v5
.LBB62_1356:
	s_mov_b64 s[0:1], 0
.LBB62_1357:
	s_andn2_b64 vcc, exec, s[0:1]
	s_cbranch_vccnz .LBB62_1359
; %bb.1358:
	global_load_ushort v5, v[0:1], off
	s_waitcnt vmcnt(0)
	v_cvt_f32_f16_e32 v5, v5
	v_cvt_i32_f32_e32 v6, v5
.LBB62_1359:
	s_mov_b64 s[0:1], 0
.LBB62_1360:
	s_andn2_b64 vcc, exec, s[0:1]
	s_cbranch_vccnz .LBB62_1380
; %bb.1361:
	s_cmp_lt_i32 s22, 2
	s_cbranch_scc1 .LBB62_1365
; %bb.1362:
	s_cmp_lt_i32 s22, 3
	s_cbranch_scc1 .LBB62_1366
; %bb.1363:
	s_cmp_gt_i32 s22, 3
	s_cbranch_scc0 .LBB62_1367
; %bb.1364:
	global_load_dword v6, v[0:1], off
	s_mov_b64 s[0:1], 0
	s_branch .LBB62_1368
.LBB62_1365:
	s_mov_b64 s[0:1], -1
                                        ; implicit-def: $vgpr6
	s_branch .LBB62_1374
.LBB62_1366:
	s_mov_b64 s[0:1], -1
                                        ; implicit-def: $vgpr6
	s_branch .LBB62_1371
.LBB62_1367:
	s_mov_b64 s[0:1], -1
                                        ; implicit-def: $vgpr6
.LBB62_1368:
	s_andn2_b64 vcc, exec, s[0:1]
	s_cbranch_vccnz .LBB62_1370
; %bb.1369:
	global_load_dword v6, v[0:1], off
.LBB62_1370:
	s_mov_b64 s[0:1], 0
.LBB62_1371:
	s_andn2_b64 vcc, exec, s[0:1]
	s_cbranch_vccnz .LBB62_1373
; %bb.1372:
	global_load_sshort v6, v[0:1], off
.LBB62_1373:
	s_mov_b64 s[0:1], 0
.LBB62_1374:
	s_andn2_b64 vcc, exec, s[0:1]
	s_cbranch_vccnz .LBB62_1380
; %bb.1375:
	s_cmp_gt_i32 s22, 0
	s_cbranch_scc0 .LBB62_1377
; %bb.1376:
	global_load_sbyte v6, v[0:1], off
	s_mov_b64 s[0:1], 0
	s_branch .LBB62_1378
.LBB62_1377:
	s_mov_b64 s[0:1], -1
                                        ; implicit-def: $vgpr6
.LBB62_1378:
	s_andn2_b64 vcc, exec, s[0:1]
	s_cbranch_vccnz .LBB62_1380
; %bb.1379:
	global_load_ubyte v6, v[0:1], off
.LBB62_1380:
.LBB62_1381:
	v_add_u32_e32 v0, s13, v3
	v_ashrrev_i32_e32 v1, 31, v0
	v_mov_b32_e32 v3, s11
	v_add_co_u32_e32 v0, vcc, s10, v0
	s_cmp_lt_i32 s22, 11
	v_addc_co_u32_e32 v1, vcc, v3, v1, vcc
	s_cbranch_scc1 .LBB62_1388
; %bb.1382:
	s_cmp_gt_i32 s22, 25
	s_mov_b64 s[4:5], 0
	s_cbranch_scc0 .LBB62_1389
; %bb.1383:
	s_cmp_gt_i32 s22, 28
	s_cbranch_scc0 .LBB62_1390
; %bb.1384:
	s_cmp_gt_i32 s22, 43
	;; [unrolled: 3-line block ×3, first 2 shown]
	s_cbranch_scc0 .LBB62_1393
; %bb.1386:
	s_cmp_eq_u32 s22, 46
	s_mov_b64 s[18:19], 0
	s_cbranch_scc0 .LBB62_1394
; %bb.1387:
	global_load_dword v3, v[0:1], off
	s_mov_b64 s[0:1], 0
	s_mov_b64 s[10:11], -1
	s_waitcnt vmcnt(0)
	v_lshlrev_b32_e32 v3, 16, v3
	v_cvt_i32_f32_e32 v5, v3
	s_branch .LBB62_1395
.LBB62_1388:
	s_mov_b64 s[0:1], -1
	s_mov_b64 s[10:11], 0
                                        ; implicit-def: $vgpr5
	s_branch .LBB62_1457
.LBB62_1389:
	s_mov_b64 s[18:19], -1
	s_mov_b64 s[10:11], 0
	s_mov_b64 s[0:1], 0
                                        ; implicit-def: $vgpr5
	s_branch .LBB62_1422
.LBB62_1390:
	s_mov_b64 s[18:19], -1
	s_mov_b64 s[10:11], 0
	s_mov_b64 s[0:1], 0
                                        ; implicit-def: $vgpr5
	s_branch .LBB62_1405
.LBB62_1391:
	s_mov_b64 s[18:19], -1
	s_mov_b64 s[10:11], 0
	s_mov_b64 s[0:1], 0
                                        ; implicit-def: $vgpr5
	s_branch .LBB62_1400
.LBB62_1392:
	s_trap 2
	s_or_b64 s[16:17], s[16:17], exec
	s_cbranch_execz .LBB62_1331
	s_branch .LBB62_1332
.LBB62_1393:
	s_mov_b64 s[18:19], -1
	s_mov_b64 s[10:11], 0
	s_mov_b64 s[0:1], 0
                                        ; implicit-def: $vgpr5
	s_branch .LBB62_1395
.LBB62_1394:
	s_mov_b64 s[0:1], -1
                                        ; implicit-def: $vgpr5
	s_mov_b64 s[10:11], 0
.LBB62_1395:
	s_and_b64 vcc, exec, s[18:19]
	s_cbranch_vccz .LBB62_1399
; %bb.1396:
	s_cmp_eq_u32 s22, 44
	s_cbranch_scc0 .LBB62_1398
; %bb.1397:
	global_load_ubyte v3, v[0:1], off
	s_mov_b64 s[0:1], 0
	s_mov_b64 s[10:11], -1
	s_waitcnt vmcnt(0)
	v_lshlrev_b32_e32 v5, 23, v3
	v_cvt_i32_f32_e32 v5, v5
	v_cmp_ne_u32_e32 vcc, 0, v3
	v_cndmask_b32_e32 v5, 0, v5, vcc
	s_branch .LBB62_1399
.LBB62_1398:
	s_mov_b64 s[0:1], -1
                                        ; implicit-def: $vgpr5
.LBB62_1399:
	s_mov_b64 s[18:19], 0
.LBB62_1400:
	s_and_b64 vcc, exec, s[18:19]
	s_cbranch_vccz .LBB62_1404
; %bb.1401:
	s_cmp_eq_u32 s22, 29
	s_cbranch_scc0 .LBB62_1403
; %bb.1402:
	global_load_dword v5, v[0:1], off
	s_mov_b64 s[0:1], 0
	s_mov_b64 s[10:11], -1
	s_branch .LBB62_1404
.LBB62_1403:
	s_mov_b64 s[0:1], -1
                                        ; implicit-def: $vgpr5
.LBB62_1404:
	s_mov_b64 s[18:19], 0
.LBB62_1405:
	s_and_b64 vcc, exec, s[18:19]
	s_cbranch_vccz .LBB62_1421
; %bb.1406:
	s_cmp_lt_i32 s22, 27
	s_cbranch_scc1 .LBB62_1409
; %bb.1407:
	s_cmp_gt_i32 s22, 27
	s_cbranch_scc0 .LBB62_1410
; %bb.1408:
	global_load_dword v5, v[0:1], off
	s_mov_b64 s[10:11], 0
	s_branch .LBB62_1411
.LBB62_1409:
	s_mov_b64 s[10:11], -1
                                        ; implicit-def: $vgpr5
	s_branch .LBB62_1414
.LBB62_1410:
	s_mov_b64 s[10:11], -1
                                        ; implicit-def: $vgpr5
.LBB62_1411:
	s_andn2_b64 vcc, exec, s[10:11]
	s_cbranch_vccnz .LBB62_1413
; %bb.1412:
	global_load_ushort v5, v[0:1], off
.LBB62_1413:
	s_mov_b64 s[10:11], 0
.LBB62_1414:
	s_andn2_b64 vcc, exec, s[10:11]
	s_cbranch_vccnz .LBB62_1420
; %bb.1415:
	global_load_ubyte v3, v[0:1], off
	s_movk_i32 s10, 0x7f
	s_mov_b64 s[18:19], 0
	s_waitcnt vmcnt(0)
	v_cmp_lt_i16_e32 vcc, s10, v3
	s_and_saveexec_b64 s[10:11], vcc
	s_xor_b64 s[10:11], exec, s[10:11]
	s_cbranch_execz .LBB62_1432
; %bb.1416:
	s_movk_i32 s13, 0x80
	v_cmp_ne_u16_e32 vcc, s13, v3
	s_and_b64 s[18:19], vcc, exec
	s_andn2_saveexec_b64 s[10:11], s[10:11]
	s_cbranch_execnz .LBB62_1433
.LBB62_1417:
	s_or_b64 exec, exec, s[10:11]
	v_mov_b32_e32 v5, 0
	s_and_saveexec_b64 s[10:11], s[18:19]
	s_cbranch_execz .LBB62_1419
.LBB62_1418:
	v_lshlrev_b32_e32 v5, 24, v3
	v_and_b32_e32 v3, 0xffff, v3
	v_and_b32_e32 v8, 7, v3
	v_ffbh_u32_e32 v10, v8
	v_min_u32_e32 v10, 32, v10
	v_subrev_u32_e32 v11, 28, v10
	v_bfe_u32 v9, v3, 3, 4
	v_lshlrev_b32_e32 v3, v11, v3
	v_sub_u32_e32 v10, 29, v10
	v_and_b32_e32 v3, 7, v3
	v_cmp_eq_u32_e32 vcc, 0, v9
	v_cndmask_b32_e32 v9, v9, v10, vcc
	v_cndmask_b32_e32 v3, v8, v3, vcc
	v_mov_b32_e32 v8, 0x3b800000
	v_lshlrev_b32_e32 v3, 20, v3
	v_and_b32_e32 v5, 0x80000000, v5
	v_lshl_add_u32 v8, v9, 23, v8
	v_or3_b32 v3, v5, v8, v3
	v_cvt_i32_f32_e32 v5, v3
.LBB62_1419:
	s_or_b64 exec, exec, s[10:11]
.LBB62_1420:
	s_mov_b64 s[10:11], -1
.LBB62_1421:
	s_mov_b64 s[18:19], 0
.LBB62_1422:
	s_and_b64 vcc, exec, s[18:19]
	s_cbranch_vccz .LBB62_1453
; %bb.1423:
	s_cmp_gt_i32 s22, 22
	s_cbranch_scc0 .LBB62_1431
; %bb.1424:
	s_cmp_lt_i32 s22, 24
	s_cbranch_scc1 .LBB62_1434
; %bb.1425:
	s_cmp_gt_i32 s22, 24
	s_cbranch_scc0 .LBB62_1435
; %bb.1426:
	global_load_ubyte v3, v[0:1], off
	s_movk_i32 s4, 0x7f
	s_mov_b64 s[10:11], 0
	s_waitcnt vmcnt(0)
	v_cmp_lt_i16_e32 vcc, s4, v3
	s_and_saveexec_b64 s[4:5], vcc
	s_xor_b64 s[4:5], exec, s[4:5]
	s_cbranch_execz .LBB62_1447
; %bb.1427:
	s_movk_i32 s10, 0x80
	v_cmp_ne_u16_e32 vcc, s10, v3
	s_and_b64 s[10:11], vcc, exec
	s_andn2_saveexec_b64 s[4:5], s[4:5]
	s_cbranch_execnz .LBB62_1448
.LBB62_1428:
	s_or_b64 exec, exec, s[4:5]
	v_mov_b32_e32 v5, 0
	s_and_saveexec_b64 s[4:5], s[10:11]
	s_cbranch_execz .LBB62_1430
.LBB62_1429:
	v_lshlrev_b32_e32 v5, 24, v3
	v_and_b32_e32 v3, 0xffff, v3
	v_and_b32_e32 v8, 3, v3
	v_ffbh_u32_e32 v10, v8
	v_min_u32_e32 v10, 32, v10
	v_subrev_u32_e32 v11, 29, v10
	v_bfe_u32 v9, v3, 2, 5
	v_lshlrev_b32_e32 v3, v11, v3
	v_sub_u32_e32 v10, 30, v10
	v_and_b32_e32 v3, 3, v3
	v_cmp_eq_u32_e32 vcc, 0, v9
	v_cndmask_b32_e32 v9, v9, v10, vcc
	v_cndmask_b32_e32 v3, v8, v3, vcc
	v_mov_b32_e32 v8, 0x37800000
	v_lshlrev_b32_e32 v3, 21, v3
	v_and_b32_e32 v5, 0x80000000, v5
	v_lshl_add_u32 v8, v9, 23, v8
	v_or3_b32 v3, v5, v8, v3
	v_cvt_i32_f32_e32 v5, v3
.LBB62_1430:
	s_or_b64 exec, exec, s[4:5]
	s_mov_b64 s[4:5], 0
	s_branch .LBB62_1436
.LBB62_1431:
	s_mov_b64 s[4:5], -1
                                        ; implicit-def: $vgpr5
	s_branch .LBB62_1442
.LBB62_1432:
	s_andn2_saveexec_b64 s[10:11], s[10:11]
	s_cbranch_execz .LBB62_1417
.LBB62_1433:
	v_cmp_ne_u16_e32 vcc, 0, v3
	s_andn2_b64 s[18:19], s[18:19], exec
	s_and_b64 s[20:21], vcc, exec
	s_or_b64 s[18:19], s[18:19], s[20:21]
	s_or_b64 exec, exec, s[10:11]
	v_mov_b32_e32 v5, 0
	s_and_saveexec_b64 s[10:11], s[18:19]
	s_cbranch_execnz .LBB62_1418
	s_branch .LBB62_1419
.LBB62_1434:
	s_mov_b64 s[4:5], -1
                                        ; implicit-def: $vgpr5
	s_branch .LBB62_1439
.LBB62_1435:
	s_mov_b64 s[4:5], -1
                                        ; implicit-def: $vgpr5
.LBB62_1436:
	s_and_b64 vcc, exec, s[4:5]
	s_cbranch_vccz .LBB62_1438
; %bb.1437:
	global_load_ubyte v3, v[0:1], off
	s_mov_b32 s4, 0x7f800000
	s_waitcnt vmcnt(0)
	v_lshlrev_b32_e32 v3, 24, v3
	v_and_b32_e32 v5, 0x7f000000, v3
	v_ffbh_u32_e32 v8, v5
	v_min_u32_e32 v8, 32, v8
	v_sub_u32_e64 v8, v8, 4 clamp
	v_lshlrev_b32_e32 v10, v8, v5
	v_lshlrev_b32_e32 v8, 23, v8
	v_lshrrev_b32_e32 v10, 4, v10
	v_add_u32_e32 v9, 0x1000000, v5
	v_sub_u32_e32 v8, v10, v8
	v_ashrrev_i32_e32 v9, 8, v9
	v_add_u32_e32 v8, 0x3c000000, v8
	v_and_or_b32 v8, v9, s4, v8
	v_cmp_ne_u32_e32 vcc, 0, v5
	v_cndmask_b32_e32 v5, 0, v8, vcc
	s_brev_b32 s4, 1
	v_and_or_b32 v3, v3, s4, v5
	v_cvt_i32_f32_e32 v5, v3
.LBB62_1438:
	s_mov_b64 s[4:5], 0
.LBB62_1439:
	s_andn2_b64 vcc, exec, s[4:5]
	s_cbranch_vccnz .LBB62_1441
; %bb.1440:
	global_load_ubyte v3, v[0:1], off
	s_movk_i32 s4, 0x7f00
	s_brev_b32 s5, 16
	s_waitcnt vmcnt(0)
	v_lshlrev_b16_e32 v5, 8, v3
	v_lshlrev_b32_e32 v3, 25, v3
	v_lshrrev_b32_e32 v8, 4, v3
	v_and_or_b32 v9, v5, s4, 0.5
	v_or_b32_e32 v8, 0x70000000, v8
	v_add_f32_e32 v9, -0.5, v9
	v_mul_f32_e32 v8, 0x7800000, v8
	v_cmp_gt_u32_e32 vcc, s5, v3
	v_bfe_i32 v5, v5, 0, 16
	v_cndmask_b32_e32 v3, v8, v9, vcc
	s_brev_b32 s4, 1
	v_and_or_b32 v3, v5, s4, v3
	v_cvt_i32_f32_e32 v5, v3
.LBB62_1441:
	s_mov_b64 s[4:5], 0
	s_mov_b64 s[10:11], -1
.LBB62_1442:
	s_andn2_b64 vcc, exec, s[4:5]
	s_mov_b64 s[4:5], 0
	s_cbranch_vccnz .LBB62_1453
; %bb.1443:
	s_cmp_gt_i32 s22, 14
	s_cbranch_scc0 .LBB62_1446
; %bb.1444:
	s_cmp_eq_u32 s22, 15
	s_cbranch_scc0 .LBB62_1449
; %bb.1445:
	global_load_ushort v3, v[0:1], off
	s_mov_b64 s[0:1], 0
	s_mov_b64 s[10:11], -1
	s_waitcnt vmcnt(0)
	v_lshlrev_b32_e32 v3, 16, v3
	v_cvt_i32_f32_e32 v5, v3
	s_branch .LBB62_1450
.LBB62_1446:
	s_mov_b64 s[18:19], -1
                                        ; implicit-def: $vgpr5
	s_branch .LBB62_1451
.LBB62_1447:
	s_andn2_saveexec_b64 s[4:5], s[4:5]
	s_cbranch_execz .LBB62_1428
.LBB62_1448:
	v_cmp_ne_u16_e32 vcc, 0, v3
	s_andn2_b64 s[10:11], s[10:11], exec
	s_and_b64 s[18:19], vcc, exec
	s_or_b64 s[10:11], s[10:11], s[18:19]
	s_or_b64 exec, exec, s[4:5]
	v_mov_b32_e32 v5, 0
	s_and_saveexec_b64 s[4:5], s[10:11]
	s_cbranch_execnz .LBB62_1429
	s_branch .LBB62_1430
.LBB62_1449:
	s_mov_b64 s[0:1], -1
                                        ; implicit-def: $vgpr5
.LBB62_1450:
	s_mov_b64 s[18:19], 0
.LBB62_1451:
	s_and_b64 vcc, exec, s[18:19]
	s_cbranch_vccz .LBB62_1453
; %bb.1452:
	s_cmp_lg_u32 s22, 11
	s_mov_b64 s[4:5], -1
	s_cselect_b64 s[0:1], -1, 0
.LBB62_1453:
	s_and_b64 vcc, exec, s[0:1]
	s_cbranch_vccnz .LBB62_1986
; %bb.1454:
	s_andn2_b64 vcc, exec, s[4:5]
	s_cbranch_vccnz .LBB62_1456
.LBB62_1455:
	global_load_ubyte v3, v[0:1], off
	s_mov_b64 s[10:11], -1
	s_waitcnt vmcnt(0)
	v_cmp_ne_u16_e32 vcc, 0, v3
	v_cndmask_b32_e64 v5, 0, 1, vcc
.LBB62_1456:
	s_mov_b64 s[0:1], 0
.LBB62_1457:
	s_and_b64 vcc, exec, s[0:1]
	s_cbranch_vccz .LBB62_1506
; %bb.1458:
	s_cmp_lt_i32 s22, 5
	s_cbranch_scc1 .LBB62_1463
; %bb.1459:
	s_cmp_lt_i32 s22, 8
	s_cbranch_scc1 .LBB62_1464
	;; [unrolled: 3-line block ×3, first 2 shown]
; %bb.1461:
	s_cmp_gt_i32 s22, 9
	s_cbranch_scc0 .LBB62_1466
; %bb.1462:
	global_load_dwordx2 v[8:9], v[0:1], off
	s_mov_b64 s[0:1], 0
	s_waitcnt vmcnt(0)
	v_cvt_i32_f64_e32 v5, v[8:9]
	s_branch .LBB62_1467
.LBB62_1463:
	s_mov_b64 s[0:1], -1
                                        ; implicit-def: $vgpr5
	s_branch .LBB62_1485
.LBB62_1464:
	s_mov_b64 s[0:1], -1
                                        ; implicit-def: $vgpr5
	s_branch .LBB62_1473
.LBB62_1465:
	s_mov_b64 s[0:1], -1
                                        ; implicit-def: $vgpr5
	s_branch .LBB62_1470
.LBB62_1466:
	s_mov_b64 s[0:1], -1
                                        ; implicit-def: $vgpr5
.LBB62_1467:
	s_andn2_b64 vcc, exec, s[0:1]
	s_cbranch_vccnz .LBB62_1469
; %bb.1468:
	global_load_dword v3, v[0:1], off
	s_waitcnt vmcnt(0)
	v_cvt_i32_f32_e32 v5, v3
.LBB62_1469:
	s_mov_b64 s[0:1], 0
.LBB62_1470:
	s_andn2_b64 vcc, exec, s[0:1]
	s_cbranch_vccnz .LBB62_1472
; %bb.1471:
	global_load_dword v3, v[0:1], off
	s_waitcnt vmcnt(0)
	v_cvt_f32_f16_e32 v3, v3
	v_cvt_i32_f32_e32 v5, v3
.LBB62_1472:
	s_mov_b64 s[0:1], 0
.LBB62_1473:
	s_andn2_b64 vcc, exec, s[0:1]
	s_cbranch_vccnz .LBB62_1484
; %bb.1474:
	s_cmp_lt_i32 s22, 6
	s_cbranch_scc1 .LBB62_1477
; %bb.1475:
	s_cmp_gt_i32 s22, 6
	s_cbranch_scc0 .LBB62_1478
; %bb.1476:
	global_load_dwordx2 v[8:9], v[0:1], off
	s_mov_b64 s[0:1], 0
	s_waitcnt vmcnt(0)
	v_cvt_i32_f64_e32 v5, v[8:9]
	s_branch .LBB62_1479
.LBB62_1477:
	s_mov_b64 s[0:1], -1
                                        ; implicit-def: $vgpr5
	s_branch .LBB62_1482
.LBB62_1478:
	s_mov_b64 s[0:1], -1
                                        ; implicit-def: $vgpr5
.LBB62_1479:
	s_andn2_b64 vcc, exec, s[0:1]
	s_cbranch_vccnz .LBB62_1481
; %bb.1480:
	global_load_dword v3, v[0:1], off
	s_waitcnt vmcnt(0)
	v_cvt_i32_f32_e32 v5, v3
.LBB62_1481:
	s_mov_b64 s[0:1], 0
.LBB62_1482:
	s_andn2_b64 vcc, exec, s[0:1]
	s_cbranch_vccnz .LBB62_1484
; %bb.1483:
	global_load_ushort v3, v[0:1], off
	s_waitcnt vmcnt(0)
	v_cvt_f32_f16_e32 v3, v3
	v_cvt_i32_f32_e32 v5, v3
.LBB62_1484:
	s_mov_b64 s[0:1], 0
.LBB62_1485:
	s_andn2_b64 vcc, exec, s[0:1]
	s_cbranch_vccnz .LBB62_1505
; %bb.1486:
	s_cmp_lt_i32 s22, 2
	s_cbranch_scc1 .LBB62_1490
; %bb.1487:
	s_cmp_lt_i32 s22, 3
	s_cbranch_scc1 .LBB62_1491
; %bb.1488:
	s_cmp_gt_i32 s22, 3
	s_cbranch_scc0 .LBB62_1492
; %bb.1489:
	global_load_dword v5, v[0:1], off
	s_mov_b64 s[0:1], 0
	s_branch .LBB62_1493
.LBB62_1490:
	s_mov_b64 s[0:1], -1
                                        ; implicit-def: $vgpr5
	s_branch .LBB62_1499
.LBB62_1491:
	s_mov_b64 s[0:1], -1
                                        ; implicit-def: $vgpr5
	s_branch .LBB62_1496
.LBB62_1492:
	s_mov_b64 s[0:1], -1
                                        ; implicit-def: $vgpr5
.LBB62_1493:
	s_andn2_b64 vcc, exec, s[0:1]
	s_cbranch_vccnz .LBB62_1495
; %bb.1494:
	global_load_dword v5, v[0:1], off
.LBB62_1495:
	s_mov_b64 s[0:1], 0
.LBB62_1496:
	s_andn2_b64 vcc, exec, s[0:1]
	s_cbranch_vccnz .LBB62_1498
; %bb.1497:
	global_load_sshort v5, v[0:1], off
.LBB62_1498:
	s_mov_b64 s[0:1], 0
.LBB62_1499:
	s_andn2_b64 vcc, exec, s[0:1]
	s_cbranch_vccnz .LBB62_1505
; %bb.1500:
	s_cmp_gt_i32 s22, 0
	s_cbranch_scc0 .LBB62_1502
; %bb.1501:
	global_load_sbyte v5, v[0:1], off
	s_mov_b64 s[0:1], 0
	s_branch .LBB62_1503
.LBB62_1502:
	s_mov_b64 s[0:1], -1
                                        ; implicit-def: $vgpr5
.LBB62_1503:
	s_andn2_b64 vcc, exec, s[0:1]
	s_cbranch_vccnz .LBB62_1505
; %bb.1504:
	global_load_ubyte v5, v[0:1], off
.LBB62_1505:
	s_mov_b64 s[10:11], -1
.LBB62_1506:
	s_andn2_b64 vcc, exec, s[10:11]
	s_cbranch_vccnz .LBB62_1940
; %bb.1507:
	v_mul_lo_u32 v4, s12, v4
	s_cmp_gt_u32 s2, 31
	s_waitcnt vmcnt(0)
	v_lshlrev_b32_e32 v0, s2, v2
	s_cselect_b64 s[4:5], -1, 0
	v_ashrrev_i32_e32 v1, 31, v4
	v_mov_b32_e32 v3, s9
	s_and_b32 s24, s3, 0xff
	v_add_co_u32_e32 v2, vcc, s8, v4
	v_cndmask_b32_e64 v0, v0, 0, s[4:5]
	s_cmp_lt_i32 s24, 11
	v_addc_co_u32_e32 v3, vcc, v3, v1, vcc
	s_cbranch_scc1 .LBB62_1585
; %bb.1508:
	s_and_b32 s3, 0xffff, s24
	s_mov_b64 s[20:21], -1
	s_mov_b64 s[10:11], 0
	s_cmp_gt_i32 s3, 25
	s_mov_b64 s[18:19], 0
	s_mov_b64 s[0:1], 0
	s_cbranch_scc0 .LBB62_1541
; %bb.1509:
	s_cmp_gt_i32 s3, 28
	s_cbranch_scc0 .LBB62_1524
; %bb.1510:
	s_cmp_gt_i32 s3, 43
	s_cbranch_scc0 .LBB62_1520
; %bb.1511:
	s_cmp_gt_i32 s3, 45
	s_cbranch_scc0 .LBB62_1514
; %bb.1512:
	s_mov_b64 s[0:1], -1
	s_mov_b64 s[20:21], 0
	s_cmp_eq_u32 s3, 46
	s_cbranch_scc0 .LBB62_1514
; %bb.1513:
	v_cvt_f32_i32_e32 v1, v0
	s_movk_i32 s13, 0x7fff
	s_mov_b64 s[0:1], 0
	s_mov_b64 s[18:19], -1
	v_bfe_u32 v8, v1, 16, 1
	v_add3_u32 v1, v1, v8, s13
	v_lshrrev_b32_e32 v1, 16, v1
	global_store_dword v[2:3], v1, off
.LBB62_1514:
	s_and_b64 vcc, exec, s[20:21]
	s_cbranch_vccz .LBB62_1519
; %bb.1515:
	s_cmp_eq_u32 s3, 44
	s_mov_b64 s[0:1], -1
	s_cbranch_scc0 .LBB62_1519
; %bb.1516:
	v_cvt_f32_i32_e32 v1, v0
	s_movk_i32 s0, 0xff
	v_mov_b32_e32 v9, 0xff
	v_bfe_u32 v8, v1, 23, 8
	v_cmp_ne_u32_e32 vcc, s0, v8
	s_and_saveexec_b64 s[18:19], vcc
; %bb.1517:
	s_mov_b32 s0, 0x3fffff
	v_lshrrev_b32_e32 v9, 23, v1
	v_and_b32_e32 v10, 0x400000, v1
	v_and_or_b32 v1, v1, s0, v8
	v_cmp_ne_u32_e32 vcc, 0, v10
	v_cmp_ne_u32_e64 s[0:1], 0, v1
	s_and_b64 s[0:1], vcc, s[0:1]
	v_cndmask_b32_e64 v1, 0, 1, s[0:1]
	v_add_u32_e32 v9, v9, v1
; %bb.1518:
	s_or_b64 exec, exec, s[18:19]
	s_mov_b64 s[0:1], 0
	s_mov_b64 s[18:19], -1
	global_store_byte v[2:3], v9, off
.LBB62_1519:
	s_mov_b64 s[20:21], 0
.LBB62_1520:
	s_and_b64 vcc, exec, s[20:21]
	s_cbranch_vccz .LBB62_1523
; %bb.1521:
	s_cmp_eq_u32 s3, 29
	s_mov_b64 s[0:1], -1
	s_cbranch_scc0 .LBB62_1523
; %bb.1522:
	v_ashrrev_i32_e32 v1, 31, v0
	global_store_dwordx2 v[2:3], v[0:1], off
	s_mov_b64 s[0:1], 0
	s_mov_b64 s[18:19], -1
.LBB62_1523:
	s_mov_b64 s[20:21], 0
.LBB62_1524:
	s_and_b64 vcc, exec, s[20:21]
	s_cbranch_vccz .LBB62_1540
; %bb.1525:
	s_cmp_lt_i32 s3, 27
	s_mov_b64 s[18:19], -1
	s_cbranch_scc1 .LBB62_1531
; %bb.1526:
	s_cmp_gt_i32 s3, 27
	s_cbranch_scc0 .LBB62_1528
; %bb.1527:
	s_mov_b64 s[18:19], 0
	global_store_dword v[2:3], v0, off
.LBB62_1528:
	s_andn2_b64 vcc, exec, s[18:19]
	s_cbranch_vccnz .LBB62_1530
; %bb.1529:
	global_store_short v[2:3], v0, off
.LBB62_1530:
	s_mov_b64 s[18:19], 0
.LBB62_1531:
	s_andn2_b64 vcc, exec, s[18:19]
	s_cbranch_vccnz .LBB62_1539
; %bb.1532:
	v_cvt_f32_i32_e32 v1, v0
	s_mov_b32 s13, 0x43800000
	v_mov_b32_e32 v9, 0x80
	v_and_b32_e32 v8, 0x7fffffff, v1
	v_cmp_gt_u32_e32 vcc, s13, v8
	s_and_saveexec_b64 s[18:19], vcc
	s_cbranch_execz .LBB62_1538
; %bb.1533:
	s_mov_b32 s13, 0x3bffffff
	v_cmp_lt_u32_e32 vcc, s13, v8
	s_mov_b64 s[20:21], 0
                                        ; implicit-def: $vgpr8
	s_and_saveexec_b64 s[22:23], vcc
	s_xor_b64 s[22:23], exec, s[22:23]
	s_cbranch_execz .LBB62_1987
; %bb.1534:
	v_bfe_u32 v8, v1, 20, 1
	s_mov_b32 s13, 0x487ffff
	v_add3_u32 v8, v1, v8, s13
	s_mov_b64 s[20:21], exec
	v_lshrrev_b32_e32 v8, 20, v8
	s_andn2_saveexec_b64 s[22:23], s[22:23]
	s_cbranch_execnz .LBB62_1988
.LBB62_1535:
	s_or_b64 exec, exec, s[22:23]
	v_mov_b32_e32 v9, 0
	s_and_saveexec_b64 s[22:23], s[20:21]
.LBB62_1536:
	v_lshrrev_b32_e32 v1, 24, v1
	s_movk_i32 s13, 0x80
	v_and_or_b32 v9, v1, s13, v8
.LBB62_1537:
	s_or_b64 exec, exec, s[22:23]
.LBB62_1538:
	s_or_b64 exec, exec, s[18:19]
	global_store_byte v[2:3], v9, off
.LBB62_1539:
	s_mov_b64 s[18:19], -1
.LBB62_1540:
	s_mov_b64 s[20:21], 0
.LBB62_1541:
	s_and_b64 vcc, exec, s[20:21]
	s_cbranch_vccz .LBB62_1581
; %bb.1542:
	s_cmp_gt_i32 s3, 22
	s_mov_b64 s[10:11], -1
	s_cbranch_scc0 .LBB62_1574
; %bb.1543:
	s_cmp_lt_i32 s3, 24
	s_cbranch_scc1 .LBB62_1563
; %bb.1544:
	s_cmp_gt_i32 s3, 24
	s_cbranch_scc0 .LBB62_1552
; %bb.1545:
	v_cvt_f32_i32_e32 v1, v0
	s_mov_b32 s10, 0x47800000
	v_mov_b32_e32 v9, 0x80
	v_and_b32_e32 v8, 0x7fffffff, v1
	v_cmp_gt_u32_e32 vcc, s10, v8
	s_and_saveexec_b64 s[10:11], vcc
	s_cbranch_execz .LBB62_1551
; %bb.1546:
	s_mov_b32 s13, 0x37ffffff
	v_cmp_lt_u32_e32 vcc, s13, v8
	s_mov_b64 s[18:19], 0
                                        ; implicit-def: $vgpr8
	s_and_saveexec_b64 s[20:21], vcc
	s_xor_b64 s[20:21], exec, s[20:21]
	s_cbranch_execz .LBB62_1990
; %bb.1547:
	v_bfe_u32 v8, v1, 21, 1
	s_mov_b32 s13, 0x88fffff
	v_add3_u32 v8, v1, v8, s13
	s_mov_b64 s[18:19], exec
	v_lshrrev_b32_e32 v8, 21, v8
	s_andn2_saveexec_b64 s[20:21], s[20:21]
	s_cbranch_execnz .LBB62_1991
.LBB62_1548:
	s_or_b64 exec, exec, s[20:21]
	v_mov_b32_e32 v9, 0
	s_and_saveexec_b64 s[20:21], s[18:19]
.LBB62_1549:
	v_lshrrev_b32_e32 v1, 24, v1
	s_movk_i32 s13, 0x80
	v_and_or_b32 v9, v1, s13, v8
.LBB62_1550:
	s_or_b64 exec, exec, s[20:21]
.LBB62_1551:
	s_or_b64 exec, exec, s[10:11]
	s_mov_b64 s[10:11], 0
	global_store_byte v[2:3], v9, off
.LBB62_1552:
	s_and_b64 vcc, exec, s[10:11]
	s_cbranch_vccz .LBB62_1562
; %bb.1553:
	v_cvt_f32_i32_e32 v1, v0
	s_mov_b32 s10, 0x43f00000
                                        ; implicit-def: $vgpr8
	v_and_b32_e32 v9, 0x7fffffff, v1
	v_cmp_gt_u32_e32 vcc, s10, v9
	s_and_saveexec_b64 s[10:11], vcc
	s_xor_b64 s[10:11], exec, s[10:11]
	s_cbranch_execz .LBB62_1559
; %bb.1554:
	s_mov_b32 s13, 0x3c7fffff
	v_cmp_lt_u32_e32 vcc, s13, v9
                                        ; implicit-def: $vgpr8
	s_and_saveexec_b64 s[18:19], vcc
	s_xor_b64 s[18:19], exec, s[18:19]
; %bb.1555:
	v_bfe_u32 v8, v1, 20, 1
	s_mov_b32 s13, 0x407ffff
	v_add3_u32 v8, v1, v8, s13
	v_lshrrev_b32_e32 v9, 20, v8
	v_and_b32_e32 v8, 0xff00000, v8
	s_mov_b32 s13, 0x7f00000
	v_mov_b32_e32 v10, 0x7e
	v_cmp_ne_u32_e32 vcc, s13, v8
	v_cndmask_b32_e32 v8, v10, v9, vcc
; %bb.1556:
	s_andn2_saveexec_b64 s[18:19], s[18:19]
; %bb.1557:
	s_mov_b32 s13, 0x46800000
	v_add_f32_e64 v8, |v1|, s13
; %bb.1558:
	s_or_b64 exec, exec, s[18:19]
                                        ; implicit-def: $vgpr9
.LBB62_1559:
	s_andn2_saveexec_b64 s[10:11], s[10:11]
; %bb.1560:
	s_mov_b32 s13, 0x7f800000
	v_mov_b32_e32 v8, 0x7e
	v_mov_b32_e32 v10, 0x7f
	v_cmp_lt_u32_e32 vcc, s13, v9
	v_cndmask_b32_e32 v8, v8, v10, vcc
; %bb.1561:
	s_or_b64 exec, exec, s[10:11]
	v_lshrrev_b32_e32 v1, 24, v1
	s_movk_i32 s10, 0x80
	v_and_or_b32 v1, v1, s10, v8
	global_store_byte v[2:3], v1, off
.LBB62_1562:
	s_mov_b64 s[10:11], 0
.LBB62_1563:
	s_andn2_b64 vcc, exec, s[10:11]
	s_cbranch_vccnz .LBB62_1573
; %bb.1564:
	v_cvt_f32_i32_e32 v1, v0
	s_mov_b32 s10, 0x47800000
                                        ; implicit-def: $vgpr8
	v_and_b32_e32 v9, 0x7fffffff, v1
	v_cmp_gt_u32_e32 vcc, s10, v9
	s_and_saveexec_b64 s[10:11], vcc
	s_xor_b64 s[10:11], exec, s[10:11]
	s_cbranch_execz .LBB62_1570
; %bb.1565:
	s_mov_b32 s13, 0x387fffff
	v_cmp_lt_u32_e32 vcc, s13, v9
                                        ; implicit-def: $vgpr8
	s_and_saveexec_b64 s[18:19], vcc
	s_xor_b64 s[18:19], exec, s[18:19]
; %bb.1566:
	v_bfe_u32 v8, v1, 21, 1
	s_mov_b32 s13, 0x80fffff
	v_add3_u32 v8, v1, v8, s13
	v_lshrrev_b32_e32 v8, 21, v8
; %bb.1567:
	s_andn2_saveexec_b64 s[18:19], s[18:19]
; %bb.1568:
	s_mov_b32 s13, 0x43000000
	v_add_f32_e64 v8, |v1|, s13
; %bb.1569:
	s_or_b64 exec, exec, s[18:19]
                                        ; implicit-def: $vgpr9
.LBB62_1570:
	s_andn2_saveexec_b64 s[10:11], s[10:11]
; %bb.1571:
	s_mov_b32 s13, 0x7f800000
	v_mov_b32_e32 v8, 0x7c
	v_mov_b32_e32 v10, 0x7f
	v_cmp_lt_u32_e32 vcc, s13, v9
	v_cndmask_b32_e32 v8, v8, v10, vcc
; %bb.1572:
	s_or_b64 exec, exec, s[10:11]
	v_lshrrev_b32_e32 v1, 24, v1
	s_movk_i32 s10, 0x80
	v_and_or_b32 v1, v1, s10, v8
	global_store_byte v[2:3], v1, off
.LBB62_1573:
	s_mov_b64 s[10:11], 0
	s_mov_b64 s[18:19], -1
.LBB62_1574:
	s_andn2_b64 vcc, exec, s[10:11]
	s_mov_b64 s[10:11], 0
	s_cbranch_vccnz .LBB62_1581
; %bb.1575:
	s_cmp_gt_i32 s3, 14
	s_mov_b64 s[20:21], -1
	s_cbranch_scc0 .LBB62_1579
; %bb.1576:
	s_cmp_eq_u32 s3, 15
	s_mov_b64 s[0:1], -1
	s_cbranch_scc0 .LBB62_1578
; %bb.1577:
	v_cvt_f32_i32_e32 v1, v0
	s_movk_i32 s10, 0x7fff
	s_mov_b64 s[0:1], 0
	s_mov_b64 s[18:19], -1
	v_bfe_u32 v8, v1, 16, 1
	v_add3_u32 v1, v1, v8, s10
	global_store_short_d16_hi v[2:3], v1, off
.LBB62_1578:
	s_mov_b64 s[20:21], 0
.LBB62_1579:
	s_mov_b64 s[10:11], 0
	s_and_b64 vcc, exec, s[20:21]
	s_cbranch_vccz .LBB62_1581
; %bb.1580:
	s_cmp_lg_u32 s3, 11
	s_mov_b64 s[10:11], -1
	s_cselect_b64 s[0:1], -1, 0
.LBB62_1581:
	s_and_b64 vcc, exec, s[0:1]
	s_cbranch_vccnz .LBB62_1989
; %bb.1582:
	s_andn2_b64 vcc, exec, s[10:11]
	s_cbranch_vccnz .LBB62_1584
.LBB62_1583:
	v_cmp_ne_u32_e32 vcc, 0, v0
	v_cndmask_b32_e64 v1, 0, 1, vcc
	s_mov_b64 s[18:19], -1
	global_store_byte v[2:3], v1, off
.LBB62_1584:
	s_mov_b64 s[0:1], 0
	s_branch .LBB62_1586
.LBB62_1585:
	s_mov_b64 s[0:1], -1
	s_mov_b64 s[18:19], 0
.LBB62_1586:
	s_and_b64 vcc, exec, s[0:1]
	s_cbranch_vccz .LBB62_1625
; %bb.1587:
	s_and_b32 s3, 0xffff, s24
	s_cmp_lt_i32 s3, 5
	s_mov_b64 s[0:1], -1
	s_cbranch_scc1 .LBB62_1608
; %bb.1588:
	s_cmp_lt_i32 s3, 8
	s_cbranch_scc1 .LBB62_1598
; %bb.1589:
	s_cmp_lt_i32 s3, 9
	s_cbranch_scc1 .LBB62_1595
; %bb.1590:
	s_cmp_gt_i32 s3, 9
	s_cbranch_scc0 .LBB62_1592
; %bb.1591:
	v_cvt_f64_i32_e32 v[8:9], v0
	v_mov_b32_e32 v10, 0
	v_mov_b32_e32 v11, v10
	s_mov_b64 s[0:1], 0
	global_store_dwordx4 v[2:3], v[8:11], off
.LBB62_1592:
	s_andn2_b64 vcc, exec, s[0:1]
	s_cbranch_vccnz .LBB62_1594
; %bb.1593:
	v_cvt_f32_i32_e32 v8, v0
	v_mov_b32_e32 v9, 0
	global_store_dwordx2 v[2:3], v[8:9], off
.LBB62_1594:
	s_mov_b64 s[0:1], 0
.LBB62_1595:
	s_andn2_b64 vcc, exec, s[0:1]
	s_cbranch_vccnz .LBB62_1597
; %bb.1596:
	v_cvt_f32_i32_e32 v1, v0
	v_cvt_f16_f32_e32 v1, v1
	global_store_dword v[2:3], v1, off
.LBB62_1597:
	s_mov_b64 s[0:1], 0
.LBB62_1598:
	s_andn2_b64 vcc, exec, s[0:1]
	s_cbranch_vccnz .LBB62_1607
; %bb.1599:
	s_cmp_lt_i32 s3, 6
	s_mov_b64 s[0:1], -1
	s_cbranch_scc1 .LBB62_1605
; %bb.1600:
	s_cmp_gt_i32 s3, 6
	s_cbranch_scc0 .LBB62_1602
; %bb.1601:
	v_cvt_f64_i32_e32 v[8:9], v0
	s_mov_b64 s[0:1], 0
	global_store_dwordx2 v[2:3], v[8:9], off
.LBB62_1602:
	s_andn2_b64 vcc, exec, s[0:1]
	s_cbranch_vccnz .LBB62_1604
; %bb.1603:
	v_cvt_f32_i32_e32 v1, v0
	global_store_dword v[2:3], v1, off
.LBB62_1604:
	s_mov_b64 s[0:1], 0
.LBB62_1605:
	s_andn2_b64 vcc, exec, s[0:1]
	s_cbranch_vccnz .LBB62_1607
; %bb.1606:
	v_cvt_f32_i32_e32 v1, v0
	v_cvt_f16_f32_e32 v1, v1
	global_store_short v[2:3], v1, off
.LBB62_1607:
	s_mov_b64 s[0:1], 0
.LBB62_1608:
	s_andn2_b64 vcc, exec, s[0:1]
	s_cbranch_vccnz .LBB62_1624
; %bb.1609:
	s_cmp_lt_i32 s3, 2
	s_mov_b64 s[0:1], -1
	s_cbranch_scc1 .LBB62_1619
; %bb.1610:
	s_cmp_lt_i32 s3, 3
	s_cbranch_scc1 .LBB62_1616
; %bb.1611:
	s_cmp_gt_i32 s3, 3
	s_cbranch_scc0 .LBB62_1613
; %bb.1612:
	v_ashrrev_i32_e32 v1, 31, v0
	global_store_dwordx2 v[2:3], v[0:1], off
	s_mov_b64 s[0:1], 0
.LBB62_1613:
	s_andn2_b64 vcc, exec, s[0:1]
	s_cbranch_vccnz .LBB62_1615
; %bb.1614:
	global_store_dword v[2:3], v0, off
.LBB62_1615:
	s_mov_b64 s[0:1], 0
.LBB62_1616:
	s_andn2_b64 vcc, exec, s[0:1]
	s_cbranch_vccnz .LBB62_1618
; %bb.1617:
	global_store_short v[2:3], v0, off
.LBB62_1618:
	s_mov_b64 s[0:1], 0
.LBB62_1619:
	s_andn2_b64 vcc, exec, s[0:1]
	s_cbranch_vccnz .LBB62_1624
; %bb.1620:
	s_cmp_gt_i32 s3, 0
	s_mov_b64 s[0:1], -1
	s_cbranch_scc0 .LBB62_1622
; %bb.1621:
	global_store_byte v[2:3], v0, off
	s_mov_b64 s[0:1], 0
.LBB62_1622:
	s_andn2_b64 vcc, exec, s[0:1]
	s_cbranch_vccnz .LBB62_1624
; %bb.1623:
	global_store_byte v[2:3], v0, off
.LBB62_1624:
	s_mov_b64 s[18:19], -1
.LBB62_1625:
	s_andn2_b64 vcc, exec, s[18:19]
	s_cbranch_vccnz .LBB62_1940
; %bb.1626:
	s_lshl_b32 s3, s12, 7
	v_add_u32_e32 v4, s3, v4
	v_lshlrev_b32_e32 v0, s2, v7
	v_ashrrev_i32_e32 v1, 31, v4
	v_mov_b32_e32 v3, s9
	v_add_co_u32_e32 v2, vcc, s8, v4
	v_cndmask_b32_e64 v0, v0, 0, s[4:5]
	s_cmp_lt_i32 s24, 11
	v_addc_co_u32_e32 v3, vcc, v3, v1, vcc
	s_cbranch_scc1 .LBB62_1704
; %bb.1627:
	s_and_b32 s22, 0xffff, s24
	s_mov_b64 s[18:19], -1
	s_mov_b64 s[10:11], 0
	s_cmp_gt_i32 s22, 25
	s_mov_b64 s[12:13], 0
	s_mov_b64 s[0:1], 0
	s_cbranch_scc0 .LBB62_1660
; %bb.1628:
	s_cmp_gt_i32 s22, 28
	s_cbranch_scc0 .LBB62_1643
; %bb.1629:
	s_cmp_gt_i32 s22, 43
	;; [unrolled: 3-line block ×3, first 2 shown]
	s_cbranch_scc0 .LBB62_1633
; %bb.1631:
	s_mov_b64 s[0:1], -1
	s_mov_b64 s[18:19], 0
	s_cmp_eq_u32 s22, 46
	s_cbranch_scc0 .LBB62_1633
; %bb.1632:
	v_cvt_f32_i32_e32 v1, v0
	s_movk_i32 s12, 0x7fff
	s_mov_b64 s[0:1], 0
	v_bfe_u32 v7, v1, 16, 1
	v_add3_u32 v1, v1, v7, s12
	v_lshrrev_b32_e32 v1, 16, v1
	global_store_dword v[2:3], v1, off
	s_mov_b64 s[12:13], -1
.LBB62_1633:
	s_and_b64 vcc, exec, s[18:19]
	s_cbranch_vccz .LBB62_1638
; %bb.1634:
	s_cmp_eq_u32 s22, 44
	s_mov_b64 s[0:1], -1
	s_cbranch_scc0 .LBB62_1638
; %bb.1635:
	v_cvt_f32_i32_e32 v1, v0
	s_movk_i32 s0, 0xff
	v_mov_b32_e32 v8, 0xff
	v_bfe_u32 v7, v1, 23, 8
	v_cmp_ne_u32_e32 vcc, s0, v7
	s_and_saveexec_b64 s[12:13], vcc
; %bb.1636:
	s_mov_b32 s0, 0x3fffff
	v_lshrrev_b32_e32 v8, 23, v1
	v_and_b32_e32 v9, 0x400000, v1
	v_and_or_b32 v1, v1, s0, v7
	v_cmp_ne_u32_e32 vcc, 0, v9
	v_cmp_ne_u32_e64 s[0:1], 0, v1
	s_and_b64 s[0:1], vcc, s[0:1]
	v_cndmask_b32_e64 v1, 0, 1, s[0:1]
	v_add_u32_e32 v8, v8, v1
; %bb.1637:
	s_or_b64 exec, exec, s[12:13]
	s_mov_b64 s[0:1], 0
	s_mov_b64 s[12:13], -1
	global_store_byte v[2:3], v8, off
.LBB62_1638:
	s_mov_b64 s[18:19], 0
.LBB62_1639:
	s_and_b64 vcc, exec, s[18:19]
	s_cbranch_vccz .LBB62_1642
; %bb.1640:
	s_cmp_eq_u32 s22, 29
	s_mov_b64 s[0:1], -1
	s_cbranch_scc0 .LBB62_1642
; %bb.1641:
	v_ashrrev_i32_e32 v1, 31, v0
	global_store_dwordx2 v[2:3], v[0:1], off
	s_mov_b64 s[0:1], 0
	s_mov_b64 s[12:13], -1
.LBB62_1642:
	s_mov_b64 s[18:19], 0
.LBB62_1643:
	s_and_b64 vcc, exec, s[18:19]
	s_cbranch_vccz .LBB62_1659
; %bb.1644:
	s_cmp_lt_i32 s22, 27
	s_mov_b64 s[12:13], -1
	s_cbranch_scc1 .LBB62_1650
; %bb.1645:
	s_cmp_gt_i32 s22, 27
	s_cbranch_scc0 .LBB62_1647
; %bb.1646:
	s_mov_b64 s[12:13], 0
	global_store_dword v[2:3], v0, off
.LBB62_1647:
	s_andn2_b64 vcc, exec, s[12:13]
	s_cbranch_vccnz .LBB62_1649
; %bb.1648:
	global_store_short v[2:3], v0, off
.LBB62_1649:
	s_mov_b64 s[12:13], 0
.LBB62_1650:
	s_andn2_b64 vcc, exec, s[12:13]
	s_cbranch_vccnz .LBB62_1658
; %bb.1651:
	v_cvt_f32_i32_e32 v1, v0
	s_mov_b32 s12, 0x43800000
	v_mov_b32_e32 v8, 0x80
	v_and_b32_e32 v7, 0x7fffffff, v1
	v_cmp_gt_u32_e32 vcc, s12, v7
	s_and_saveexec_b64 s[12:13], vcc
	s_cbranch_execz .LBB62_1657
; %bb.1652:
	s_mov_b32 s18, 0x3bffffff
	v_cmp_lt_u32_e32 vcc, s18, v7
	s_mov_b64 s[18:19], 0
                                        ; implicit-def: $vgpr7
	s_and_saveexec_b64 s[20:21], vcc
	s_xor_b64 s[20:21], exec, s[20:21]
	s_cbranch_execz .LBB62_1992
; %bb.1653:
	v_bfe_u32 v7, v1, 20, 1
	s_mov_b32 s23, 0x487ffff
	v_add3_u32 v7, v1, v7, s23
	s_mov_b64 s[18:19], exec
	v_lshrrev_b32_e32 v7, 20, v7
	s_andn2_saveexec_b64 s[20:21], s[20:21]
	s_cbranch_execnz .LBB62_1993
.LBB62_1654:
	s_or_b64 exec, exec, s[20:21]
	v_mov_b32_e32 v8, 0
	s_and_saveexec_b64 s[20:21], s[18:19]
.LBB62_1655:
	v_lshrrev_b32_e32 v1, 24, v1
	s_movk_i32 s18, 0x80
	v_and_or_b32 v8, v1, s18, v7
.LBB62_1656:
	s_or_b64 exec, exec, s[20:21]
.LBB62_1657:
	s_or_b64 exec, exec, s[12:13]
	global_store_byte v[2:3], v8, off
.LBB62_1658:
	s_mov_b64 s[12:13], -1
.LBB62_1659:
	s_mov_b64 s[18:19], 0
.LBB62_1660:
	s_and_b64 vcc, exec, s[18:19]
	s_cbranch_vccz .LBB62_1700
; %bb.1661:
	s_cmp_gt_i32 s22, 22
	s_mov_b64 s[10:11], -1
	s_cbranch_scc0 .LBB62_1693
; %bb.1662:
	s_cmp_lt_i32 s22, 24
	s_cbranch_scc1 .LBB62_1682
; %bb.1663:
	s_cmp_gt_i32 s22, 24
	s_cbranch_scc0 .LBB62_1671
; %bb.1664:
	v_cvt_f32_i32_e32 v1, v0
	s_mov_b32 s10, 0x47800000
	v_mov_b32_e32 v8, 0x80
	v_and_b32_e32 v7, 0x7fffffff, v1
	v_cmp_gt_u32_e32 vcc, s10, v7
	s_and_saveexec_b64 s[10:11], vcc
	s_cbranch_execz .LBB62_1670
; %bb.1665:
	s_mov_b32 s12, 0x37ffffff
	v_cmp_lt_u32_e32 vcc, s12, v7
	s_mov_b64 s[12:13], 0
                                        ; implicit-def: $vgpr7
	s_and_saveexec_b64 s[18:19], vcc
	s_xor_b64 s[18:19], exec, s[18:19]
	s_cbranch_execz .LBB62_1995
; %bb.1666:
	v_bfe_u32 v7, v1, 21, 1
	s_mov_b32 s20, 0x88fffff
	v_add3_u32 v7, v1, v7, s20
	s_mov_b64 s[12:13], exec
	v_lshrrev_b32_e32 v7, 21, v7
	s_andn2_saveexec_b64 s[18:19], s[18:19]
	s_cbranch_execnz .LBB62_1996
.LBB62_1667:
	s_or_b64 exec, exec, s[18:19]
	v_mov_b32_e32 v8, 0
	s_and_saveexec_b64 s[18:19], s[12:13]
.LBB62_1668:
	v_lshrrev_b32_e32 v1, 24, v1
	s_movk_i32 s12, 0x80
	v_and_or_b32 v8, v1, s12, v7
.LBB62_1669:
	s_or_b64 exec, exec, s[18:19]
.LBB62_1670:
	s_or_b64 exec, exec, s[10:11]
	s_mov_b64 s[10:11], 0
	global_store_byte v[2:3], v8, off
.LBB62_1671:
	s_and_b64 vcc, exec, s[10:11]
	s_cbranch_vccz .LBB62_1681
; %bb.1672:
	v_cvt_f32_i32_e32 v1, v0
	s_mov_b32 s10, 0x43f00000
                                        ; implicit-def: $vgpr7
	v_and_b32_e32 v8, 0x7fffffff, v1
	v_cmp_gt_u32_e32 vcc, s10, v8
	s_and_saveexec_b64 s[10:11], vcc
	s_xor_b64 s[10:11], exec, s[10:11]
	s_cbranch_execz .LBB62_1678
; %bb.1673:
	s_mov_b32 s12, 0x3c7fffff
	v_cmp_lt_u32_e32 vcc, s12, v8
                                        ; implicit-def: $vgpr7
	s_and_saveexec_b64 s[12:13], vcc
	s_xor_b64 s[12:13], exec, s[12:13]
; %bb.1674:
	v_bfe_u32 v7, v1, 20, 1
	s_mov_b32 s18, 0x407ffff
	v_add3_u32 v7, v1, v7, s18
	v_lshrrev_b32_e32 v8, 20, v7
	v_and_b32_e32 v7, 0xff00000, v7
	s_mov_b32 s18, 0x7f00000
	v_mov_b32_e32 v9, 0x7e
	v_cmp_ne_u32_e32 vcc, s18, v7
	v_cndmask_b32_e32 v7, v9, v8, vcc
; %bb.1675:
	s_andn2_saveexec_b64 s[12:13], s[12:13]
; %bb.1676:
	s_mov_b32 s18, 0x46800000
	v_add_f32_e64 v7, |v1|, s18
; %bb.1677:
	s_or_b64 exec, exec, s[12:13]
                                        ; implicit-def: $vgpr8
.LBB62_1678:
	s_andn2_saveexec_b64 s[10:11], s[10:11]
; %bb.1679:
	s_mov_b32 s12, 0x7f800000
	v_mov_b32_e32 v7, 0x7e
	v_mov_b32_e32 v9, 0x7f
	v_cmp_lt_u32_e32 vcc, s12, v8
	v_cndmask_b32_e32 v7, v7, v9, vcc
; %bb.1680:
	s_or_b64 exec, exec, s[10:11]
	v_lshrrev_b32_e32 v1, 24, v1
	s_movk_i32 s10, 0x80
	v_and_or_b32 v1, v1, s10, v7
	global_store_byte v[2:3], v1, off
.LBB62_1681:
	s_mov_b64 s[10:11], 0
.LBB62_1682:
	s_andn2_b64 vcc, exec, s[10:11]
	s_cbranch_vccnz .LBB62_1692
; %bb.1683:
	v_cvt_f32_i32_e32 v1, v0
	s_mov_b32 s10, 0x47800000
                                        ; implicit-def: $vgpr7
	v_and_b32_e32 v8, 0x7fffffff, v1
	v_cmp_gt_u32_e32 vcc, s10, v8
	s_and_saveexec_b64 s[10:11], vcc
	s_xor_b64 s[10:11], exec, s[10:11]
	s_cbranch_execz .LBB62_1689
; %bb.1684:
	s_mov_b32 s12, 0x387fffff
	v_cmp_lt_u32_e32 vcc, s12, v8
                                        ; implicit-def: $vgpr7
	s_and_saveexec_b64 s[12:13], vcc
	s_xor_b64 s[12:13], exec, s[12:13]
; %bb.1685:
	v_bfe_u32 v7, v1, 21, 1
	s_mov_b32 s18, 0x80fffff
	v_add3_u32 v7, v1, v7, s18
	v_lshrrev_b32_e32 v7, 21, v7
; %bb.1686:
	s_andn2_saveexec_b64 s[12:13], s[12:13]
; %bb.1687:
	s_mov_b32 s18, 0x43000000
	v_add_f32_e64 v7, |v1|, s18
; %bb.1688:
	s_or_b64 exec, exec, s[12:13]
                                        ; implicit-def: $vgpr8
.LBB62_1689:
	s_andn2_saveexec_b64 s[10:11], s[10:11]
; %bb.1690:
	s_mov_b32 s12, 0x7f800000
	v_mov_b32_e32 v7, 0x7c
	v_mov_b32_e32 v9, 0x7f
	v_cmp_lt_u32_e32 vcc, s12, v8
	v_cndmask_b32_e32 v7, v7, v9, vcc
; %bb.1691:
	s_or_b64 exec, exec, s[10:11]
	v_lshrrev_b32_e32 v1, 24, v1
	s_movk_i32 s10, 0x80
	v_and_or_b32 v1, v1, s10, v7
	global_store_byte v[2:3], v1, off
.LBB62_1692:
	s_mov_b64 s[10:11], 0
	s_mov_b64 s[12:13], -1
.LBB62_1693:
	s_andn2_b64 vcc, exec, s[10:11]
	s_mov_b64 s[10:11], 0
	s_cbranch_vccnz .LBB62_1700
; %bb.1694:
	s_cmp_gt_i32 s22, 14
	s_mov_b64 s[18:19], -1
	s_cbranch_scc0 .LBB62_1698
; %bb.1695:
	s_cmp_eq_u32 s22, 15
	s_mov_b64 s[0:1], -1
	s_cbranch_scc0 .LBB62_1697
; %bb.1696:
	v_cvt_f32_i32_e32 v1, v0
	s_movk_i32 s10, 0x7fff
	s_mov_b64 s[0:1], 0
	s_mov_b64 s[12:13], -1
	v_bfe_u32 v7, v1, 16, 1
	v_add3_u32 v1, v1, v7, s10
	global_store_short_d16_hi v[2:3], v1, off
.LBB62_1697:
	s_mov_b64 s[18:19], 0
.LBB62_1698:
	s_mov_b64 s[10:11], 0
	s_and_b64 vcc, exec, s[18:19]
	s_cbranch_vccz .LBB62_1700
; %bb.1699:
	s_cmp_lg_u32 s22, 11
	s_mov_b64 s[10:11], -1
	s_cselect_b64 s[0:1], -1, 0
.LBB62_1700:
	s_and_b64 vcc, exec, s[0:1]
	s_cbranch_vccnz .LBB62_1994
; %bb.1701:
	s_andn2_b64 vcc, exec, s[10:11]
	s_cbranch_vccnz .LBB62_1703
.LBB62_1702:
	v_cmp_ne_u32_e32 vcc, 0, v0
	v_cndmask_b32_e64 v1, 0, 1, vcc
	s_mov_b64 s[12:13], -1
	global_store_byte v[2:3], v1, off
.LBB62_1703:
	s_mov_b64 s[0:1], 0
	s_branch .LBB62_1705
.LBB62_1704:
	s_mov_b64 s[0:1], -1
	s_mov_b64 s[12:13], 0
.LBB62_1705:
	s_and_b64 vcc, exec, s[0:1]
	s_cbranch_vccz .LBB62_1744
; %bb.1706:
	s_and_b32 s10, 0xffff, s24
	s_cmp_lt_i32 s10, 5
	s_mov_b64 s[0:1], -1
	s_cbranch_scc1 .LBB62_1727
; %bb.1707:
	s_cmp_lt_i32 s10, 8
	s_cbranch_scc1 .LBB62_1717
; %bb.1708:
	s_cmp_lt_i32 s10, 9
	s_cbranch_scc1 .LBB62_1714
; %bb.1709:
	s_cmp_gt_i32 s10, 9
	s_cbranch_scc0 .LBB62_1711
; %bb.1710:
	v_cvt_f64_i32_e32 v[7:8], v0
	v_mov_b32_e32 v9, 0
	v_mov_b32_e32 v10, v9
	s_mov_b64 s[0:1], 0
	global_store_dwordx4 v[2:3], v[7:10], off
.LBB62_1711:
	s_andn2_b64 vcc, exec, s[0:1]
	s_cbranch_vccnz .LBB62_1713
; %bb.1712:
	v_cvt_f32_i32_e32 v7, v0
	v_mov_b32_e32 v8, 0
	global_store_dwordx2 v[2:3], v[7:8], off
.LBB62_1713:
	s_mov_b64 s[0:1], 0
.LBB62_1714:
	s_andn2_b64 vcc, exec, s[0:1]
	s_cbranch_vccnz .LBB62_1716
; %bb.1715:
	v_cvt_f32_i32_e32 v1, v0
	v_cvt_f16_f32_e32 v1, v1
	global_store_dword v[2:3], v1, off
.LBB62_1716:
	s_mov_b64 s[0:1], 0
.LBB62_1717:
	s_andn2_b64 vcc, exec, s[0:1]
	s_cbranch_vccnz .LBB62_1726
; %bb.1718:
	s_cmp_lt_i32 s10, 6
	s_mov_b64 s[0:1], -1
	s_cbranch_scc1 .LBB62_1724
; %bb.1719:
	s_cmp_gt_i32 s10, 6
	s_cbranch_scc0 .LBB62_1721
; %bb.1720:
	v_cvt_f64_i32_e32 v[7:8], v0
	s_mov_b64 s[0:1], 0
	global_store_dwordx2 v[2:3], v[7:8], off
.LBB62_1721:
	s_andn2_b64 vcc, exec, s[0:1]
	s_cbranch_vccnz .LBB62_1723
; %bb.1722:
	v_cvt_f32_i32_e32 v1, v0
	global_store_dword v[2:3], v1, off
.LBB62_1723:
	s_mov_b64 s[0:1], 0
.LBB62_1724:
	s_andn2_b64 vcc, exec, s[0:1]
	s_cbranch_vccnz .LBB62_1726
; %bb.1725:
	v_cvt_f32_i32_e32 v1, v0
	v_cvt_f16_f32_e32 v1, v1
	global_store_short v[2:3], v1, off
.LBB62_1726:
	s_mov_b64 s[0:1], 0
.LBB62_1727:
	s_andn2_b64 vcc, exec, s[0:1]
	s_cbranch_vccnz .LBB62_1743
; %bb.1728:
	s_cmp_lt_i32 s10, 2
	s_mov_b64 s[0:1], -1
	s_cbranch_scc1 .LBB62_1738
; %bb.1729:
	s_cmp_lt_i32 s10, 3
	s_cbranch_scc1 .LBB62_1735
; %bb.1730:
	s_cmp_gt_i32 s10, 3
	s_cbranch_scc0 .LBB62_1732
; %bb.1731:
	v_ashrrev_i32_e32 v1, 31, v0
	global_store_dwordx2 v[2:3], v[0:1], off
	s_mov_b64 s[0:1], 0
.LBB62_1732:
	s_andn2_b64 vcc, exec, s[0:1]
	s_cbranch_vccnz .LBB62_1734
; %bb.1733:
	global_store_dword v[2:3], v0, off
.LBB62_1734:
	s_mov_b64 s[0:1], 0
.LBB62_1735:
	s_andn2_b64 vcc, exec, s[0:1]
	s_cbranch_vccnz .LBB62_1737
; %bb.1736:
	global_store_short v[2:3], v0, off
.LBB62_1737:
	s_mov_b64 s[0:1], 0
.LBB62_1738:
	s_andn2_b64 vcc, exec, s[0:1]
	s_cbranch_vccnz .LBB62_1743
; %bb.1739:
	s_cmp_gt_i32 s10, 0
	s_mov_b64 s[0:1], -1
	s_cbranch_scc0 .LBB62_1741
; %bb.1740:
	global_store_byte v[2:3], v0, off
	s_mov_b64 s[0:1], 0
.LBB62_1741:
	s_andn2_b64 vcc, exec, s[0:1]
	s_cbranch_vccnz .LBB62_1743
; %bb.1742:
	global_store_byte v[2:3], v0, off
.LBB62_1743:
	s_mov_b64 s[12:13], -1
.LBB62_1744:
	s_andn2_b64 vcc, exec, s[12:13]
	s_cbranch_vccnz .LBB62_1940
; %bb.1745:
	v_add_u32_e32 v4, s3, v4
	v_lshlrev_b32_e32 v0, s2, v6
	v_ashrrev_i32_e32 v1, 31, v4
	v_mov_b32_e32 v3, s9
	v_add_co_u32_e32 v2, vcc, s8, v4
	v_cndmask_b32_e64 v0, v0, 0, s[4:5]
	s_cmp_lt_i32 s24, 11
	v_addc_co_u32_e32 v3, vcc, v3, v1, vcc
	s_cbranch_scc1 .LBB62_1823
; %bb.1746:
	s_and_b32 s22, 0xffff, s24
	s_mov_b64 s[18:19], -1
	s_mov_b64 s[10:11], 0
	s_cmp_gt_i32 s22, 25
	s_mov_b64 s[12:13], 0
	s_mov_b64 s[0:1], 0
	s_cbranch_scc0 .LBB62_1779
; %bb.1747:
	s_cmp_gt_i32 s22, 28
	s_cbranch_scc0 .LBB62_1762
; %bb.1748:
	s_cmp_gt_i32 s22, 43
	;; [unrolled: 3-line block ×3, first 2 shown]
	s_cbranch_scc0 .LBB62_1752
; %bb.1750:
	s_mov_b64 s[0:1], -1
	s_mov_b64 s[18:19], 0
	s_cmp_eq_u32 s22, 46
	s_cbranch_scc0 .LBB62_1752
; %bb.1751:
	v_cvt_f32_i32_e32 v1, v0
	s_movk_i32 s12, 0x7fff
	s_mov_b64 s[0:1], 0
	v_bfe_u32 v6, v1, 16, 1
	v_add3_u32 v1, v1, v6, s12
	v_lshrrev_b32_e32 v1, 16, v1
	global_store_dword v[2:3], v1, off
	s_mov_b64 s[12:13], -1
.LBB62_1752:
	s_and_b64 vcc, exec, s[18:19]
	s_cbranch_vccz .LBB62_1757
; %bb.1753:
	s_cmp_eq_u32 s22, 44
	s_mov_b64 s[0:1], -1
	s_cbranch_scc0 .LBB62_1757
; %bb.1754:
	v_cvt_f32_i32_e32 v1, v0
	s_movk_i32 s0, 0xff
	v_mov_b32_e32 v7, 0xff
	v_bfe_u32 v6, v1, 23, 8
	v_cmp_ne_u32_e32 vcc, s0, v6
	s_and_saveexec_b64 s[12:13], vcc
; %bb.1755:
	s_mov_b32 s0, 0x3fffff
	v_lshrrev_b32_e32 v7, 23, v1
	v_and_b32_e32 v8, 0x400000, v1
	v_and_or_b32 v1, v1, s0, v6
	v_cmp_ne_u32_e32 vcc, 0, v8
	v_cmp_ne_u32_e64 s[0:1], 0, v1
	s_and_b64 s[0:1], vcc, s[0:1]
	v_cndmask_b32_e64 v1, 0, 1, s[0:1]
	v_add_u32_e32 v7, v7, v1
; %bb.1756:
	s_or_b64 exec, exec, s[12:13]
	s_mov_b64 s[0:1], 0
	s_mov_b64 s[12:13], -1
	global_store_byte v[2:3], v7, off
.LBB62_1757:
	s_mov_b64 s[18:19], 0
.LBB62_1758:
	s_and_b64 vcc, exec, s[18:19]
	s_cbranch_vccz .LBB62_1761
; %bb.1759:
	s_cmp_eq_u32 s22, 29
	s_mov_b64 s[0:1], -1
	s_cbranch_scc0 .LBB62_1761
; %bb.1760:
	v_ashrrev_i32_e32 v1, 31, v0
	global_store_dwordx2 v[2:3], v[0:1], off
	s_mov_b64 s[0:1], 0
	s_mov_b64 s[12:13], -1
.LBB62_1761:
	s_mov_b64 s[18:19], 0
.LBB62_1762:
	s_and_b64 vcc, exec, s[18:19]
	s_cbranch_vccz .LBB62_1778
; %bb.1763:
	s_cmp_lt_i32 s22, 27
	s_mov_b64 s[12:13], -1
	s_cbranch_scc1 .LBB62_1769
; %bb.1764:
	s_cmp_gt_i32 s22, 27
	s_cbranch_scc0 .LBB62_1766
; %bb.1765:
	s_mov_b64 s[12:13], 0
	global_store_dword v[2:3], v0, off
.LBB62_1766:
	s_andn2_b64 vcc, exec, s[12:13]
	s_cbranch_vccnz .LBB62_1768
; %bb.1767:
	global_store_short v[2:3], v0, off
.LBB62_1768:
	s_mov_b64 s[12:13], 0
.LBB62_1769:
	s_andn2_b64 vcc, exec, s[12:13]
	s_cbranch_vccnz .LBB62_1777
; %bb.1770:
	v_cvt_f32_i32_e32 v1, v0
	s_mov_b32 s12, 0x43800000
	v_mov_b32_e32 v7, 0x80
	v_and_b32_e32 v6, 0x7fffffff, v1
	v_cmp_gt_u32_e32 vcc, s12, v6
	s_and_saveexec_b64 s[12:13], vcc
	s_cbranch_execz .LBB62_1776
; %bb.1771:
	s_mov_b32 s18, 0x3bffffff
	v_cmp_lt_u32_e32 vcc, s18, v6
	s_mov_b64 s[18:19], 0
                                        ; implicit-def: $vgpr6
	s_and_saveexec_b64 s[20:21], vcc
	s_xor_b64 s[20:21], exec, s[20:21]
	s_cbranch_execz .LBB62_1997
; %bb.1772:
	v_bfe_u32 v6, v1, 20, 1
	s_mov_b32 s23, 0x487ffff
	v_add3_u32 v6, v1, v6, s23
	s_mov_b64 s[18:19], exec
	v_lshrrev_b32_e32 v6, 20, v6
	s_andn2_saveexec_b64 s[20:21], s[20:21]
	s_cbranch_execnz .LBB62_1998
.LBB62_1773:
	s_or_b64 exec, exec, s[20:21]
	v_mov_b32_e32 v7, 0
	s_and_saveexec_b64 s[20:21], s[18:19]
.LBB62_1774:
	v_lshrrev_b32_e32 v1, 24, v1
	s_movk_i32 s18, 0x80
	v_and_or_b32 v7, v1, s18, v6
.LBB62_1775:
	s_or_b64 exec, exec, s[20:21]
.LBB62_1776:
	s_or_b64 exec, exec, s[12:13]
	global_store_byte v[2:3], v7, off
.LBB62_1777:
	s_mov_b64 s[12:13], -1
.LBB62_1778:
	s_mov_b64 s[18:19], 0
.LBB62_1779:
	s_and_b64 vcc, exec, s[18:19]
	s_cbranch_vccz .LBB62_1819
; %bb.1780:
	s_cmp_gt_i32 s22, 22
	s_mov_b64 s[10:11], -1
	s_cbranch_scc0 .LBB62_1812
; %bb.1781:
	s_cmp_lt_i32 s22, 24
	s_cbranch_scc1 .LBB62_1801
; %bb.1782:
	s_cmp_gt_i32 s22, 24
	s_cbranch_scc0 .LBB62_1790
; %bb.1783:
	v_cvt_f32_i32_e32 v1, v0
	s_mov_b32 s10, 0x47800000
	v_mov_b32_e32 v7, 0x80
	v_and_b32_e32 v6, 0x7fffffff, v1
	v_cmp_gt_u32_e32 vcc, s10, v6
	s_and_saveexec_b64 s[10:11], vcc
	s_cbranch_execz .LBB62_1789
; %bb.1784:
	s_mov_b32 s12, 0x37ffffff
	v_cmp_lt_u32_e32 vcc, s12, v6
	s_mov_b64 s[12:13], 0
                                        ; implicit-def: $vgpr6
	s_and_saveexec_b64 s[18:19], vcc
	s_xor_b64 s[18:19], exec, s[18:19]
	s_cbranch_execz .LBB62_2000
; %bb.1785:
	v_bfe_u32 v6, v1, 21, 1
	s_mov_b32 s20, 0x88fffff
	v_add3_u32 v6, v1, v6, s20
	s_mov_b64 s[12:13], exec
	v_lshrrev_b32_e32 v6, 21, v6
	s_andn2_saveexec_b64 s[18:19], s[18:19]
	s_cbranch_execnz .LBB62_2001
.LBB62_1786:
	s_or_b64 exec, exec, s[18:19]
	v_mov_b32_e32 v7, 0
	s_and_saveexec_b64 s[18:19], s[12:13]
.LBB62_1787:
	v_lshrrev_b32_e32 v1, 24, v1
	s_movk_i32 s12, 0x80
	v_and_or_b32 v7, v1, s12, v6
.LBB62_1788:
	s_or_b64 exec, exec, s[18:19]
.LBB62_1789:
	s_or_b64 exec, exec, s[10:11]
	s_mov_b64 s[10:11], 0
	global_store_byte v[2:3], v7, off
.LBB62_1790:
	s_and_b64 vcc, exec, s[10:11]
	s_cbranch_vccz .LBB62_1800
; %bb.1791:
	v_cvt_f32_i32_e32 v1, v0
	s_mov_b32 s10, 0x43f00000
                                        ; implicit-def: $vgpr6
	v_and_b32_e32 v7, 0x7fffffff, v1
	v_cmp_gt_u32_e32 vcc, s10, v7
	s_and_saveexec_b64 s[10:11], vcc
	s_xor_b64 s[10:11], exec, s[10:11]
	s_cbranch_execz .LBB62_1797
; %bb.1792:
	s_mov_b32 s12, 0x3c7fffff
	v_cmp_lt_u32_e32 vcc, s12, v7
                                        ; implicit-def: $vgpr6
	s_and_saveexec_b64 s[12:13], vcc
	s_xor_b64 s[12:13], exec, s[12:13]
; %bb.1793:
	v_bfe_u32 v6, v1, 20, 1
	s_mov_b32 s18, 0x407ffff
	v_add3_u32 v6, v1, v6, s18
	v_lshrrev_b32_e32 v7, 20, v6
	v_and_b32_e32 v6, 0xff00000, v6
	s_mov_b32 s18, 0x7f00000
	v_mov_b32_e32 v8, 0x7e
	v_cmp_ne_u32_e32 vcc, s18, v6
	v_cndmask_b32_e32 v6, v8, v7, vcc
; %bb.1794:
	s_andn2_saveexec_b64 s[12:13], s[12:13]
; %bb.1795:
	s_mov_b32 s18, 0x46800000
	v_add_f32_e64 v6, |v1|, s18
; %bb.1796:
	s_or_b64 exec, exec, s[12:13]
                                        ; implicit-def: $vgpr7
.LBB62_1797:
	s_andn2_saveexec_b64 s[10:11], s[10:11]
; %bb.1798:
	s_mov_b32 s12, 0x7f800000
	v_mov_b32_e32 v6, 0x7e
	v_mov_b32_e32 v8, 0x7f
	v_cmp_lt_u32_e32 vcc, s12, v7
	v_cndmask_b32_e32 v6, v6, v8, vcc
; %bb.1799:
	s_or_b64 exec, exec, s[10:11]
	v_lshrrev_b32_e32 v1, 24, v1
	s_movk_i32 s10, 0x80
	v_and_or_b32 v1, v1, s10, v6
	global_store_byte v[2:3], v1, off
.LBB62_1800:
	s_mov_b64 s[10:11], 0
.LBB62_1801:
	s_andn2_b64 vcc, exec, s[10:11]
	s_cbranch_vccnz .LBB62_1811
; %bb.1802:
	v_cvt_f32_i32_e32 v1, v0
	s_mov_b32 s10, 0x47800000
                                        ; implicit-def: $vgpr6
	v_and_b32_e32 v7, 0x7fffffff, v1
	v_cmp_gt_u32_e32 vcc, s10, v7
	s_and_saveexec_b64 s[10:11], vcc
	s_xor_b64 s[10:11], exec, s[10:11]
	s_cbranch_execz .LBB62_1808
; %bb.1803:
	s_mov_b32 s12, 0x387fffff
	v_cmp_lt_u32_e32 vcc, s12, v7
                                        ; implicit-def: $vgpr6
	s_and_saveexec_b64 s[12:13], vcc
	s_xor_b64 s[12:13], exec, s[12:13]
; %bb.1804:
	v_bfe_u32 v6, v1, 21, 1
	s_mov_b32 s18, 0x80fffff
	v_add3_u32 v6, v1, v6, s18
	v_lshrrev_b32_e32 v6, 21, v6
; %bb.1805:
	s_andn2_saveexec_b64 s[12:13], s[12:13]
; %bb.1806:
	s_mov_b32 s18, 0x43000000
	v_add_f32_e64 v6, |v1|, s18
; %bb.1807:
	s_or_b64 exec, exec, s[12:13]
                                        ; implicit-def: $vgpr7
.LBB62_1808:
	s_andn2_saveexec_b64 s[10:11], s[10:11]
; %bb.1809:
	s_mov_b32 s12, 0x7f800000
	v_mov_b32_e32 v6, 0x7c
	v_mov_b32_e32 v8, 0x7f
	v_cmp_lt_u32_e32 vcc, s12, v7
	v_cndmask_b32_e32 v6, v6, v8, vcc
; %bb.1810:
	s_or_b64 exec, exec, s[10:11]
	v_lshrrev_b32_e32 v1, 24, v1
	s_movk_i32 s10, 0x80
	v_and_or_b32 v1, v1, s10, v6
	global_store_byte v[2:3], v1, off
.LBB62_1811:
	s_mov_b64 s[10:11], 0
	s_mov_b64 s[12:13], -1
.LBB62_1812:
	s_andn2_b64 vcc, exec, s[10:11]
	s_mov_b64 s[10:11], 0
	s_cbranch_vccnz .LBB62_1819
; %bb.1813:
	s_cmp_gt_i32 s22, 14
	s_mov_b64 s[18:19], -1
	s_cbranch_scc0 .LBB62_1817
; %bb.1814:
	s_cmp_eq_u32 s22, 15
	s_mov_b64 s[0:1], -1
	s_cbranch_scc0 .LBB62_1816
; %bb.1815:
	v_cvt_f32_i32_e32 v1, v0
	s_movk_i32 s10, 0x7fff
	s_mov_b64 s[0:1], 0
	s_mov_b64 s[12:13], -1
	v_bfe_u32 v6, v1, 16, 1
	v_add3_u32 v1, v1, v6, s10
	global_store_short_d16_hi v[2:3], v1, off
.LBB62_1816:
	s_mov_b64 s[18:19], 0
.LBB62_1817:
	s_mov_b64 s[10:11], 0
	s_and_b64 vcc, exec, s[18:19]
	s_cbranch_vccz .LBB62_1819
; %bb.1818:
	s_cmp_lg_u32 s22, 11
	s_mov_b64 s[10:11], -1
	s_cselect_b64 s[0:1], -1, 0
.LBB62_1819:
	s_and_b64 vcc, exec, s[0:1]
	s_cbranch_vccnz .LBB62_1999
; %bb.1820:
	s_andn2_b64 vcc, exec, s[10:11]
	s_cbranch_vccnz .LBB62_1822
.LBB62_1821:
	v_cmp_ne_u32_e32 vcc, 0, v0
	v_cndmask_b32_e64 v1, 0, 1, vcc
	s_mov_b64 s[12:13], -1
	global_store_byte v[2:3], v1, off
.LBB62_1822:
	s_mov_b64 s[0:1], 0
	s_branch .LBB62_1824
.LBB62_1823:
	s_mov_b64 s[0:1], -1
	s_mov_b64 s[12:13], 0
.LBB62_1824:
	s_and_b64 vcc, exec, s[0:1]
	s_cbranch_vccz .LBB62_1863
; %bb.1825:
	s_and_b32 s10, 0xffff, s24
	s_cmp_lt_i32 s10, 5
	s_mov_b64 s[0:1], -1
	s_cbranch_scc1 .LBB62_1846
; %bb.1826:
	s_cmp_lt_i32 s10, 8
	s_cbranch_scc1 .LBB62_1836
; %bb.1827:
	s_cmp_lt_i32 s10, 9
	s_cbranch_scc1 .LBB62_1833
; %bb.1828:
	s_cmp_gt_i32 s10, 9
	s_cbranch_scc0 .LBB62_1830
; %bb.1829:
	v_cvt_f64_i32_e32 v[6:7], v0
	v_mov_b32_e32 v8, 0
	v_mov_b32_e32 v9, v8
	s_mov_b64 s[0:1], 0
	global_store_dwordx4 v[2:3], v[6:9], off
.LBB62_1830:
	s_andn2_b64 vcc, exec, s[0:1]
	s_cbranch_vccnz .LBB62_1832
; %bb.1831:
	v_cvt_f32_i32_e32 v6, v0
	v_mov_b32_e32 v7, 0
	global_store_dwordx2 v[2:3], v[6:7], off
.LBB62_1832:
	s_mov_b64 s[0:1], 0
.LBB62_1833:
	s_andn2_b64 vcc, exec, s[0:1]
	s_cbranch_vccnz .LBB62_1835
; %bb.1834:
	v_cvt_f32_i32_e32 v1, v0
	v_cvt_f16_f32_e32 v1, v1
	global_store_dword v[2:3], v1, off
.LBB62_1835:
	s_mov_b64 s[0:1], 0
.LBB62_1836:
	s_andn2_b64 vcc, exec, s[0:1]
	s_cbranch_vccnz .LBB62_1845
; %bb.1837:
	s_cmp_lt_i32 s10, 6
	s_mov_b64 s[0:1], -1
	s_cbranch_scc1 .LBB62_1843
; %bb.1838:
	s_cmp_gt_i32 s10, 6
	s_cbranch_scc0 .LBB62_1840
; %bb.1839:
	v_cvt_f64_i32_e32 v[6:7], v0
	s_mov_b64 s[0:1], 0
	global_store_dwordx2 v[2:3], v[6:7], off
.LBB62_1840:
	s_andn2_b64 vcc, exec, s[0:1]
	s_cbranch_vccnz .LBB62_1842
; %bb.1841:
	v_cvt_f32_i32_e32 v1, v0
	global_store_dword v[2:3], v1, off
.LBB62_1842:
	s_mov_b64 s[0:1], 0
.LBB62_1843:
	s_andn2_b64 vcc, exec, s[0:1]
	s_cbranch_vccnz .LBB62_1845
; %bb.1844:
	v_cvt_f32_i32_e32 v1, v0
	v_cvt_f16_f32_e32 v1, v1
	global_store_short v[2:3], v1, off
.LBB62_1845:
	s_mov_b64 s[0:1], 0
.LBB62_1846:
	s_andn2_b64 vcc, exec, s[0:1]
	s_cbranch_vccnz .LBB62_1862
; %bb.1847:
	s_cmp_lt_i32 s10, 2
	s_mov_b64 s[0:1], -1
	s_cbranch_scc1 .LBB62_1857
; %bb.1848:
	s_cmp_lt_i32 s10, 3
	s_cbranch_scc1 .LBB62_1854
; %bb.1849:
	s_cmp_gt_i32 s10, 3
	s_cbranch_scc0 .LBB62_1851
; %bb.1850:
	v_ashrrev_i32_e32 v1, 31, v0
	global_store_dwordx2 v[2:3], v[0:1], off
	s_mov_b64 s[0:1], 0
.LBB62_1851:
	s_andn2_b64 vcc, exec, s[0:1]
	s_cbranch_vccnz .LBB62_1853
; %bb.1852:
	global_store_dword v[2:3], v0, off
.LBB62_1853:
	s_mov_b64 s[0:1], 0
.LBB62_1854:
	s_andn2_b64 vcc, exec, s[0:1]
	s_cbranch_vccnz .LBB62_1856
; %bb.1855:
	global_store_short v[2:3], v0, off
.LBB62_1856:
	s_mov_b64 s[0:1], 0
.LBB62_1857:
	s_andn2_b64 vcc, exec, s[0:1]
	s_cbranch_vccnz .LBB62_1862
; %bb.1858:
	s_cmp_gt_i32 s10, 0
	s_mov_b64 s[0:1], -1
	s_cbranch_scc0 .LBB62_1860
; %bb.1859:
	global_store_byte v[2:3], v0, off
	s_mov_b64 s[0:1], 0
.LBB62_1860:
	s_andn2_b64 vcc, exec, s[0:1]
	s_cbranch_vccnz .LBB62_1862
; %bb.1861:
	global_store_byte v[2:3], v0, off
.LBB62_1862:
	s_mov_b64 s[12:13], -1
.LBB62_1863:
	s_andn2_b64 vcc, exec, s[12:13]
	s_cbranch_vccnz .LBB62_1940
; %bb.1864:
	v_add_u32_e32 v1, s3, v4
	v_lshlrev_b32_e32 v0, s2, v5
	v_ashrrev_i32_e32 v3, 31, v1
	v_mov_b32_e32 v4, s9
	v_add_co_u32_e32 v2, vcc, s8, v1
	v_cndmask_b32_e64 v0, v0, 0, s[4:5]
	s_cmp_lt_i32 s24, 11
	v_addc_co_u32_e32 v3, vcc, v4, v3, vcc
	s_cbranch_scc1 .LBB62_1985
; %bb.1865:
	s_and_b32 s12, 0xffff, s24
	s_mov_b64 s[4:5], -1
	s_mov_b64 s[2:3], 0
	s_cmp_gt_i32 s12, 25
	s_mov_b64 s[0:1], 0
	s_cbranch_scc0 .LBB62_1898
; %bb.1866:
	s_cmp_gt_i32 s12, 28
	s_cbranch_scc0 .LBB62_1882
; %bb.1867:
	s_cmp_gt_i32 s12, 43
	;; [unrolled: 3-line block ×3, first 2 shown]
	s_cbranch_scc0 .LBB62_1872
; %bb.1869:
	s_cmp_eq_u32 s12, 46
	s_mov_b64 s[0:1], -1
	s_cbranch_scc0 .LBB62_1871
; %bb.1870:
	v_cvt_f32_i32_e32 v1, v0
	s_movk_i32 s0, 0x7fff
	v_bfe_u32 v4, v1, 16, 1
	v_add3_u32 v1, v1, v4, s0
	v_lshrrev_b32_e32 v1, 16, v1
	global_store_dword v[2:3], v1, off
	s_mov_b64 s[0:1], 0
.LBB62_1871:
	s_mov_b64 s[4:5], 0
.LBB62_1872:
	s_and_b64 vcc, exec, s[4:5]
	s_cbranch_vccz .LBB62_1877
; %bb.1873:
	s_cmp_eq_u32 s12, 44
	s_mov_b64 s[0:1], -1
	s_cbranch_scc0 .LBB62_1877
; %bb.1874:
	v_cvt_f32_i32_e32 v1, v0
	s_movk_i32 s0, 0xff
	v_mov_b32_e32 v5, 0xff
	v_bfe_u32 v4, v1, 23, 8
	v_cmp_ne_u32_e32 vcc, s0, v4
	s_and_saveexec_b64 s[4:5], vcc
; %bb.1875:
	s_mov_b32 s0, 0x3fffff
	v_lshrrev_b32_e32 v5, 23, v1
	v_and_b32_e32 v6, 0x400000, v1
	v_and_or_b32 v1, v1, s0, v4
	v_cmp_ne_u32_e32 vcc, 0, v6
	v_cmp_ne_u32_e64 s[0:1], 0, v1
	s_and_b64 s[0:1], vcc, s[0:1]
	v_cndmask_b32_e64 v1, 0, 1, s[0:1]
	v_add_u32_e32 v5, v5, v1
; %bb.1876:
	s_or_b64 exec, exec, s[4:5]
	s_mov_b64 s[0:1], 0
	global_store_byte v[2:3], v5, off
.LBB62_1877:
	s_mov_b64 s[4:5], 0
.LBB62_1878:
	s_and_b64 vcc, exec, s[4:5]
	s_cbranch_vccz .LBB62_1881
; %bb.1879:
	s_cmp_eq_u32 s12, 29
	s_mov_b64 s[0:1], -1
	s_cbranch_scc0 .LBB62_1881
; %bb.1880:
	v_ashrrev_i32_e32 v1, 31, v0
	global_store_dwordx2 v[2:3], v[0:1], off
	s_mov_b64 s[0:1], 0
.LBB62_1881:
	s_mov_b64 s[4:5], 0
.LBB62_1882:
	s_and_b64 vcc, exec, s[4:5]
	s_cbranch_vccz .LBB62_1897
; %bb.1883:
	s_cmp_lt_i32 s12, 27
	s_mov_b64 s[4:5], -1
	s_cbranch_scc1 .LBB62_1889
; %bb.1884:
	s_cmp_gt_i32 s12, 27
	s_cbranch_scc0 .LBB62_1886
; %bb.1885:
	global_store_dword v[2:3], v0, off
	s_mov_b64 s[4:5], 0
.LBB62_1886:
	s_andn2_b64 vcc, exec, s[4:5]
	s_cbranch_vccnz .LBB62_1888
; %bb.1887:
	global_store_short v[2:3], v0, off
.LBB62_1888:
	s_mov_b64 s[4:5], 0
.LBB62_1889:
	s_andn2_b64 vcc, exec, s[4:5]
	s_cbranch_vccnz .LBB62_1897
; %bb.1890:
	v_cvt_f32_i32_e32 v1, v0
	s_mov_b32 s4, 0x43800000
	v_mov_b32_e32 v5, 0x80
	v_and_b32_e32 v4, 0x7fffffff, v1
	v_cmp_gt_u32_e32 vcc, s4, v4
	s_and_saveexec_b64 s[4:5], vcc
	s_cbranch_execz .LBB62_1896
; %bb.1891:
	s_mov_b32 s8, 0x3bffffff
	v_cmp_lt_u32_e32 vcc, s8, v4
	s_mov_b64 s[8:9], 0
                                        ; implicit-def: $vgpr4
	s_and_saveexec_b64 s[10:11], vcc
	s_xor_b64 s[10:11], exec, s[10:11]
	s_cbranch_execz .LBB62_2002
; %bb.1892:
	v_bfe_u32 v4, v1, 20, 1
	s_mov_b32 s13, 0x487ffff
	v_add3_u32 v4, v1, v4, s13
	s_mov_b64 s[8:9], exec
	v_lshrrev_b32_e32 v4, 20, v4
	s_andn2_saveexec_b64 s[10:11], s[10:11]
	s_cbranch_execnz .LBB62_2003
.LBB62_1893:
	s_or_b64 exec, exec, s[10:11]
	v_mov_b32_e32 v5, 0
	s_and_saveexec_b64 s[10:11], s[8:9]
.LBB62_1894:
	v_lshrrev_b32_e32 v1, 24, v1
	s_movk_i32 s8, 0x80
	v_and_or_b32 v5, v1, s8, v4
.LBB62_1895:
	s_or_b64 exec, exec, s[10:11]
.LBB62_1896:
	s_or_b64 exec, exec, s[4:5]
	global_store_byte v[2:3], v5, off
.LBB62_1897:
	s_mov_b64 s[4:5], 0
.LBB62_1898:
	s_and_b64 vcc, exec, s[4:5]
	s_cbranch_vccz .LBB62_1938
; %bb.1899:
	s_cmp_gt_i32 s12, 22
	s_mov_b64 s[2:3], -1
	s_cbranch_scc0 .LBB62_1931
; %bb.1900:
	s_cmp_lt_i32 s12, 24
	s_cbranch_scc1 .LBB62_1920
; %bb.1901:
	s_cmp_gt_i32 s12, 24
	s_cbranch_scc0 .LBB62_1909
; %bb.1902:
	v_cvt_f32_i32_e32 v1, v0
	s_mov_b32 s2, 0x47800000
	v_mov_b32_e32 v5, 0x80
	v_and_b32_e32 v4, 0x7fffffff, v1
	v_cmp_gt_u32_e32 vcc, s2, v4
	s_and_saveexec_b64 s[2:3], vcc
	s_cbranch_execz .LBB62_1908
; %bb.1903:
	s_mov_b32 s4, 0x37ffffff
	v_cmp_lt_u32_e32 vcc, s4, v4
	s_mov_b64 s[4:5], 0
                                        ; implicit-def: $vgpr4
	s_and_saveexec_b64 s[8:9], vcc
	s_xor_b64 s[8:9], exec, s[8:9]
	s_cbranch_execz .LBB62_2005
; %bb.1904:
	v_bfe_u32 v4, v1, 21, 1
	s_mov_b32 s10, 0x88fffff
	v_add3_u32 v4, v1, v4, s10
	s_mov_b64 s[4:5], exec
	v_lshrrev_b32_e32 v4, 21, v4
	s_andn2_saveexec_b64 s[8:9], s[8:9]
	s_cbranch_execnz .LBB62_2006
.LBB62_1905:
	s_or_b64 exec, exec, s[8:9]
	v_mov_b32_e32 v5, 0
	s_and_saveexec_b64 s[8:9], s[4:5]
.LBB62_1906:
	v_lshrrev_b32_e32 v1, 24, v1
	s_movk_i32 s4, 0x80
	v_and_or_b32 v5, v1, s4, v4
.LBB62_1907:
	s_or_b64 exec, exec, s[8:9]
.LBB62_1908:
	s_or_b64 exec, exec, s[2:3]
	s_mov_b64 s[2:3], 0
	global_store_byte v[2:3], v5, off
.LBB62_1909:
	s_and_b64 vcc, exec, s[2:3]
	s_cbranch_vccz .LBB62_1919
; %bb.1910:
	v_cvt_f32_i32_e32 v1, v0
	s_mov_b32 s2, 0x43f00000
                                        ; implicit-def: $vgpr4
	v_and_b32_e32 v5, 0x7fffffff, v1
	v_cmp_gt_u32_e32 vcc, s2, v5
	s_and_saveexec_b64 s[2:3], vcc
	s_xor_b64 s[2:3], exec, s[2:3]
	s_cbranch_execz .LBB62_1916
; %bb.1911:
	s_mov_b32 s4, 0x3c7fffff
	v_cmp_lt_u32_e32 vcc, s4, v5
                                        ; implicit-def: $vgpr4
	s_and_saveexec_b64 s[4:5], vcc
	s_xor_b64 s[4:5], exec, s[4:5]
; %bb.1912:
	v_bfe_u32 v4, v1, 20, 1
	s_mov_b32 s8, 0x407ffff
	v_add3_u32 v4, v1, v4, s8
	v_lshrrev_b32_e32 v5, 20, v4
	v_and_b32_e32 v4, 0xff00000, v4
	s_mov_b32 s8, 0x7f00000
	v_mov_b32_e32 v6, 0x7e
	v_cmp_ne_u32_e32 vcc, s8, v4
	v_cndmask_b32_e32 v4, v6, v5, vcc
; %bb.1913:
	s_andn2_saveexec_b64 s[4:5], s[4:5]
; %bb.1914:
	s_mov_b32 s8, 0x46800000
	v_add_f32_e64 v4, |v1|, s8
; %bb.1915:
	s_or_b64 exec, exec, s[4:5]
                                        ; implicit-def: $vgpr5
.LBB62_1916:
	s_andn2_saveexec_b64 s[2:3], s[2:3]
; %bb.1917:
	s_mov_b32 s4, 0x7f800000
	v_mov_b32_e32 v4, 0x7e
	v_mov_b32_e32 v6, 0x7f
	v_cmp_lt_u32_e32 vcc, s4, v5
	v_cndmask_b32_e32 v4, v4, v6, vcc
; %bb.1918:
	s_or_b64 exec, exec, s[2:3]
	v_lshrrev_b32_e32 v1, 24, v1
	s_movk_i32 s2, 0x80
	v_and_or_b32 v1, v1, s2, v4
	global_store_byte v[2:3], v1, off
.LBB62_1919:
	s_mov_b64 s[2:3], 0
.LBB62_1920:
	s_andn2_b64 vcc, exec, s[2:3]
	s_cbranch_vccnz .LBB62_1930
; %bb.1921:
	v_cvt_f32_i32_e32 v1, v0
	s_mov_b32 s2, 0x47800000
                                        ; implicit-def: $vgpr4
	v_and_b32_e32 v5, 0x7fffffff, v1
	v_cmp_gt_u32_e32 vcc, s2, v5
	s_and_saveexec_b64 s[2:3], vcc
	s_xor_b64 s[2:3], exec, s[2:3]
	s_cbranch_execz .LBB62_1927
; %bb.1922:
	s_mov_b32 s4, 0x387fffff
	v_cmp_lt_u32_e32 vcc, s4, v5
                                        ; implicit-def: $vgpr4
	s_and_saveexec_b64 s[4:5], vcc
	s_xor_b64 s[4:5], exec, s[4:5]
; %bb.1923:
	v_bfe_u32 v4, v1, 21, 1
	s_mov_b32 s8, 0x80fffff
	v_add3_u32 v4, v1, v4, s8
	v_lshrrev_b32_e32 v4, 21, v4
; %bb.1924:
	s_andn2_saveexec_b64 s[4:5], s[4:5]
; %bb.1925:
	s_mov_b32 s8, 0x43000000
	v_add_f32_e64 v4, |v1|, s8
; %bb.1926:
	s_or_b64 exec, exec, s[4:5]
                                        ; implicit-def: $vgpr5
.LBB62_1927:
	s_andn2_saveexec_b64 s[2:3], s[2:3]
; %bb.1928:
	s_mov_b32 s4, 0x7f800000
	v_mov_b32_e32 v4, 0x7c
	v_mov_b32_e32 v6, 0x7f
	v_cmp_lt_u32_e32 vcc, s4, v5
	v_cndmask_b32_e32 v4, v4, v6, vcc
; %bb.1929:
	s_or_b64 exec, exec, s[2:3]
	v_lshrrev_b32_e32 v1, 24, v1
	s_movk_i32 s2, 0x80
	v_and_or_b32 v1, v1, s2, v4
	global_store_byte v[2:3], v1, off
.LBB62_1930:
	s_mov_b64 s[2:3], 0
.LBB62_1931:
	s_andn2_b64 vcc, exec, s[2:3]
	s_mov_b64 s[2:3], 0
	s_cbranch_vccnz .LBB62_1938
; %bb.1932:
	s_cmp_gt_i32 s12, 14
	s_mov_b64 s[4:5], -1
	s_cbranch_scc0 .LBB62_1936
; %bb.1933:
	s_cmp_eq_u32 s12, 15
	s_mov_b64 s[0:1], -1
	s_cbranch_scc0 .LBB62_1935
; %bb.1934:
	v_cvt_f32_i32_e32 v1, v0
	s_movk_i32 s0, 0x7fff
	v_bfe_u32 v4, v1, 16, 1
	v_add3_u32 v1, v1, v4, s0
	global_store_short_d16_hi v[2:3], v1, off
	s_mov_b64 s[0:1], 0
.LBB62_1935:
	s_mov_b64 s[4:5], 0
.LBB62_1936:
	s_and_b64 vcc, exec, s[4:5]
	s_cbranch_vccz .LBB62_1938
; %bb.1937:
	s_cmp_lg_u32 s12, 11
	s_mov_b64 s[2:3], -1
	s_cselect_b64 s[0:1], -1, 0
.LBB62_1938:
	s_and_b64 vcc, exec, s[0:1]
	s_cbranch_vccnz .LBB62_2004
.LBB62_1939:
	s_mov_b64 s[0:1], 0
	s_branch .LBB62_1941
.LBB62_1940:
	s_mov_b64 s[0:1], 0
	s_mov_b64 s[2:3], 0
                                        ; implicit-def: $sgpr24
                                        ; implicit-def: $vgpr2_vgpr3
                                        ; implicit-def: $vgpr0
.LBB62_1941:
	s_and_b64 s[4:5], s[2:3], exec
	s_andn2_b64 s[2:3], s[14:15], exec
	s_and_b64 s[8:9], s[16:17], exec
	s_and_b64 s[0:1], s[0:1], exec
	s_or_b64 s[14:15], s[2:3], s[8:9]
.LBB62_1942:
	s_or_b64 exec, exec, s[6:7]
	s_and_saveexec_b64 s[2:3], s[14:15]
	s_cbranch_execz .LBB62_1945
; %bb.1943:
	; divergent unreachable
	s_or_b64 exec, exec, s[2:3]
	s_and_saveexec_b64 s[2:3], s[4:5]
	s_xor_b64 s[2:3], exec, s[2:3]
	s_cbranch_execnz .LBB62_1946
.LBB62_1944:
	s_or_b64 exec, exec, s[2:3]
	s_and_saveexec_b64 s[2:3], s[0:1]
	s_cbranch_execnz .LBB62_1947
	s_branch .LBB62_1984
.LBB62_1945:
	s_or_b64 exec, exec, s[2:3]
	s_and_saveexec_b64 s[2:3], s[4:5]
	s_xor_b64 s[2:3], exec, s[2:3]
	s_cbranch_execz .LBB62_1944
.LBB62_1946:
	v_cmp_ne_u32_e32 vcc, 0, v0
	v_cndmask_b32_e64 v1, 0, 1, vcc
	s_waitcnt vmcnt(0)
	global_store_byte v[2:3], v1, off
	s_or_b64 exec, exec, s[2:3]
	s_and_saveexec_b64 s[2:3], s[0:1]
	s_cbranch_execz .LBB62_1984
.LBB62_1947:
	s_sext_i32_i16 s2, s24
	s_cmp_lt_i32 s2, 5
	s_mov_b64 s[0:1], -1
	s_cbranch_scc1 .LBB62_1968
; %bb.1948:
	s_cmp_lt_i32 s2, 8
	s_cbranch_scc1 .LBB62_1958
; %bb.1949:
	s_cmp_lt_i32 s2, 9
	s_cbranch_scc1 .LBB62_1955
; %bb.1950:
	s_cmp_gt_i32 s2, 9
	s_cbranch_scc0 .LBB62_1952
; %bb.1951:
	s_waitcnt vmcnt(0)
	v_cvt_f64_i32_e32 v[4:5], v0
	v_mov_b32_e32 v6, 0
	v_mov_b32_e32 v7, v6
	s_mov_b64 s[0:1], 0
	global_store_dwordx4 v[2:3], v[4:7], off
.LBB62_1952:
	s_andn2_b64 vcc, exec, s[0:1]
	s_cbranch_vccnz .LBB62_1954
; %bb.1953:
	v_cvt_f32_i32_e32 v4, v0
	s_waitcnt vmcnt(0)
	v_mov_b32_e32 v5, 0
	global_store_dwordx2 v[2:3], v[4:5], off
.LBB62_1954:
	s_mov_b64 s[0:1], 0
.LBB62_1955:
	s_andn2_b64 vcc, exec, s[0:1]
	s_cbranch_vccnz .LBB62_1957
; %bb.1956:
	v_cvt_f32_i32_e32 v1, v0
	v_cvt_f16_f32_e32 v1, v1
	s_waitcnt vmcnt(0)
	global_store_dword v[2:3], v1, off
.LBB62_1957:
	s_mov_b64 s[0:1], 0
.LBB62_1958:
	s_andn2_b64 vcc, exec, s[0:1]
	s_cbranch_vccnz .LBB62_1967
; %bb.1959:
	s_sext_i32_i16 s2, s24
	s_cmp_lt_i32 s2, 6
	s_mov_b64 s[0:1], -1
	s_cbranch_scc1 .LBB62_1965
; %bb.1960:
	s_cmp_gt_i32 s2, 6
	s_cbranch_scc0 .LBB62_1962
; %bb.1961:
	s_waitcnt vmcnt(0)
	v_cvt_f64_i32_e32 v[4:5], v0
	s_mov_b64 s[0:1], 0
	global_store_dwordx2 v[2:3], v[4:5], off
.LBB62_1962:
	s_andn2_b64 vcc, exec, s[0:1]
	s_cbranch_vccnz .LBB62_1964
; %bb.1963:
	v_cvt_f32_i32_e32 v1, v0
	s_waitcnt vmcnt(0)
	global_store_dword v[2:3], v1, off
.LBB62_1964:
	s_mov_b64 s[0:1], 0
.LBB62_1965:
	s_andn2_b64 vcc, exec, s[0:1]
	s_cbranch_vccnz .LBB62_1967
; %bb.1966:
	v_cvt_f32_i32_e32 v1, v0
	v_cvt_f16_f32_e32 v1, v1
	s_waitcnt vmcnt(0)
	global_store_short v[2:3], v1, off
.LBB62_1967:
	s_mov_b64 s[0:1], 0
.LBB62_1968:
	s_andn2_b64 vcc, exec, s[0:1]
	s_cbranch_vccnz .LBB62_1984
; %bb.1969:
	s_sext_i32_i16 s2, s24
	s_cmp_lt_i32 s2, 2
	s_mov_b64 s[0:1], -1
	s_cbranch_scc1 .LBB62_1979
; %bb.1970:
	s_cmp_lt_i32 s2, 3
	s_cbranch_scc1 .LBB62_1976
; %bb.1971:
	s_cmp_gt_i32 s2, 3
	s_cbranch_scc0 .LBB62_1973
; %bb.1972:
	v_ashrrev_i32_e32 v1, 31, v0
	s_waitcnt vmcnt(0)
	global_store_dwordx2 v[2:3], v[0:1], off
	s_mov_b64 s[0:1], 0
.LBB62_1973:
	s_andn2_b64 vcc, exec, s[0:1]
	s_cbranch_vccnz .LBB62_1975
; %bb.1974:
	s_waitcnt vmcnt(0)
	global_store_dword v[2:3], v0, off
.LBB62_1975:
	s_mov_b64 s[0:1], 0
.LBB62_1976:
	s_andn2_b64 vcc, exec, s[0:1]
	s_cbranch_vccnz .LBB62_1978
; %bb.1977:
	s_waitcnt vmcnt(0)
	global_store_short v[2:3], v0, off
.LBB62_1978:
	s_mov_b64 s[0:1], 0
.LBB62_1979:
	s_andn2_b64 vcc, exec, s[0:1]
	s_cbranch_vccnz .LBB62_1984
; %bb.1980:
	s_sext_i32_i16 s0, s24
	s_cmp_gt_i32 s0, 0
	s_mov_b64 s[0:1], -1
	s_cbranch_scc0 .LBB62_1982
; %bb.1981:
	s_waitcnt vmcnt(0)
	global_store_byte v[2:3], v0, off
	s_mov_b64 s[0:1], 0
.LBB62_1982:
	s_andn2_b64 vcc, exec, s[0:1]
	s_cbranch_vccnz .LBB62_1984
; %bb.1983:
	s_waitcnt vmcnt(0)
	global_store_byte v[2:3], v0, off
	s_endpgm
.LBB62_1984:
	s_endpgm
.LBB62_1985:
	s_mov_b64 s[2:3], 0
	s_mov_b64 s[0:1], -1
	s_branch .LBB62_1941
.LBB62_1986:
	s_trap 2
	s_or_b64 s[16:17], s[16:17], exec
	s_cbranch_execz .LBB62_1455
	s_branch .LBB62_1456
.LBB62_1987:
	s_andn2_saveexec_b64 s[22:23], s[22:23]
	s_cbranch_execz .LBB62_1535
.LBB62_1988:
	s_mov_b32 s13, 0x46000000
	v_add_f32_e64 v8, |v1|, s13
	v_and_b32_e32 v8, 0xff, v8
	v_cmp_ne_u32_e32 vcc, 0, v8
	s_andn2_b64 s[20:21], s[20:21], exec
	s_and_b64 s[26:27], vcc, exec
	s_or_b64 s[20:21], s[20:21], s[26:27]
	s_or_b64 exec, exec, s[22:23]
	v_mov_b32_e32 v9, 0
	s_and_saveexec_b64 s[22:23], s[20:21]
	s_cbranch_execnz .LBB62_1536
	s_branch .LBB62_1537
.LBB62_1989:
	s_trap 2
	s_or_b64 s[16:17], s[16:17], exec
	s_cbranch_execz .LBB62_1583
	s_branch .LBB62_1584
.LBB62_1990:
	s_andn2_saveexec_b64 s[20:21], s[20:21]
	s_cbranch_execz .LBB62_1548
.LBB62_1991:
	s_mov_b32 s13, 0x42800000
	v_add_f32_e64 v8, |v1|, s13
	v_and_b32_e32 v8, 0xff, v8
	v_cmp_ne_u32_e32 vcc, 0, v8
	s_andn2_b64 s[18:19], s[18:19], exec
	s_and_b64 s[22:23], vcc, exec
	s_or_b64 s[18:19], s[18:19], s[22:23]
	s_or_b64 exec, exec, s[20:21]
	v_mov_b32_e32 v9, 0
	s_and_saveexec_b64 s[20:21], s[18:19]
	s_cbranch_execnz .LBB62_1549
	s_branch .LBB62_1550
.LBB62_1992:
	s_andn2_saveexec_b64 s[20:21], s[20:21]
	s_cbranch_execz .LBB62_1654
.LBB62_1993:
	s_mov_b32 s23, 0x46000000
	v_add_f32_e64 v7, |v1|, s23
	v_and_b32_e32 v7, 0xff, v7
	v_cmp_ne_u32_e32 vcc, 0, v7
	s_andn2_b64 s[18:19], s[18:19], exec
	s_and_b64 s[26:27], vcc, exec
	s_or_b64 s[18:19], s[18:19], s[26:27]
	s_or_b64 exec, exec, s[20:21]
	v_mov_b32_e32 v8, 0
	s_and_saveexec_b64 s[20:21], s[18:19]
	s_cbranch_execnz .LBB62_1655
	s_branch .LBB62_1656
.LBB62_1994:
	s_trap 2
	s_or_b64 s[16:17], s[16:17], exec
	s_cbranch_execz .LBB62_1702
	s_branch .LBB62_1703
.LBB62_1995:
	s_andn2_saveexec_b64 s[18:19], s[18:19]
	s_cbranch_execz .LBB62_1667
.LBB62_1996:
	s_mov_b32 s20, 0x42800000
	v_add_f32_e64 v7, |v1|, s20
	v_and_b32_e32 v7, 0xff, v7
	v_cmp_ne_u32_e32 vcc, 0, v7
	s_andn2_b64 s[12:13], s[12:13], exec
	s_and_b64 s[20:21], vcc, exec
	s_or_b64 s[12:13], s[12:13], s[20:21]
	s_or_b64 exec, exec, s[18:19]
	v_mov_b32_e32 v8, 0
	s_and_saveexec_b64 s[18:19], s[12:13]
	s_cbranch_execnz .LBB62_1668
	s_branch .LBB62_1669
.LBB62_1997:
	s_andn2_saveexec_b64 s[20:21], s[20:21]
	s_cbranch_execz .LBB62_1773
.LBB62_1998:
	s_mov_b32 s23, 0x46000000
	v_add_f32_e64 v6, |v1|, s23
	v_and_b32_e32 v6, 0xff, v6
	v_cmp_ne_u32_e32 vcc, 0, v6
	s_andn2_b64 s[18:19], s[18:19], exec
	s_and_b64 s[26:27], vcc, exec
	s_or_b64 s[18:19], s[18:19], s[26:27]
	s_or_b64 exec, exec, s[20:21]
	v_mov_b32_e32 v7, 0
	s_and_saveexec_b64 s[20:21], s[18:19]
	s_cbranch_execnz .LBB62_1774
	s_branch .LBB62_1775
.LBB62_1999:
	s_trap 2
	s_or_b64 s[16:17], s[16:17], exec
	s_cbranch_execz .LBB62_1821
	s_branch .LBB62_1822
.LBB62_2000:
	s_andn2_saveexec_b64 s[18:19], s[18:19]
	s_cbranch_execz .LBB62_1786
.LBB62_2001:
	s_mov_b32 s20, 0x42800000
	v_add_f32_e64 v6, |v1|, s20
	v_and_b32_e32 v6, 0xff, v6
	v_cmp_ne_u32_e32 vcc, 0, v6
	s_andn2_b64 s[12:13], s[12:13], exec
	s_and_b64 s[20:21], vcc, exec
	s_or_b64 s[12:13], s[12:13], s[20:21]
	s_or_b64 exec, exec, s[18:19]
	v_mov_b32_e32 v7, 0
	s_and_saveexec_b64 s[18:19], s[12:13]
	s_cbranch_execnz .LBB62_1787
	s_branch .LBB62_1788
.LBB62_2002:
	s_andn2_saveexec_b64 s[10:11], s[10:11]
	s_cbranch_execz .LBB62_1893
.LBB62_2003:
	s_mov_b32 s13, 0x46000000
	v_add_f32_e64 v4, |v1|, s13
	v_and_b32_e32 v4, 0xff, v4
	v_cmp_ne_u32_e32 vcc, 0, v4
	s_andn2_b64 s[8:9], s[8:9], exec
	s_and_b64 s[18:19], vcc, exec
	s_or_b64 s[8:9], s[8:9], s[18:19]
	s_or_b64 exec, exec, s[10:11]
	v_mov_b32_e32 v5, 0
	s_and_saveexec_b64 s[10:11], s[8:9]
	s_cbranch_execnz .LBB62_1894
	s_branch .LBB62_1895
.LBB62_2004:
	s_mov_b64 s[2:3], 0
	s_or_b64 s[16:17], s[16:17], exec
	s_trap 2
	s_branch .LBB62_1939
.LBB62_2005:
	s_andn2_saveexec_b64 s[8:9], s[8:9]
	s_cbranch_execz .LBB62_1905
.LBB62_2006:
	s_mov_b32 s10, 0x42800000
	v_add_f32_e64 v4, |v1|, s10
	v_and_b32_e32 v4, 0xff, v4
	v_cmp_ne_u32_e32 vcc, 0, v4
	s_andn2_b64 s[4:5], s[4:5], exec
	s_and_b64 s[10:11], vcc, exec
	s_or_b64 s[4:5], s[4:5], s[10:11]
	s_or_b64 exec, exec, s[8:9]
	v_mov_b32_e32 v5, 0
	s_and_saveexec_b64 s[8:9], s[4:5]
	s_cbranch_execnz .LBB62_1906
	s_branch .LBB62_1907
	.section	.rodata,"a",@progbits
	.p2align	6, 0x0
	.amdhsa_kernel _ZN2at6native32elementwise_kernel_manual_unrollILi128ELi4EZNS0_15gpu_kernel_implINS0_13BUnaryFunctorIiiiZZZNS0_18lshift_kernel_cudaERNS_18TensorIteratorBaseEENKUlvE_clEvENKUlvE1_clEvEUliiE_EEEEvS5_RKT_EUlibE_EEviT1_
		.amdhsa_group_segment_fixed_size 0
		.amdhsa_private_segment_fixed_size 0
		.amdhsa_kernarg_size 48
		.amdhsa_user_sgpr_count 6
		.amdhsa_user_sgpr_private_segment_buffer 1
		.amdhsa_user_sgpr_dispatch_ptr 0
		.amdhsa_user_sgpr_queue_ptr 0
		.amdhsa_user_sgpr_kernarg_segment_ptr 1
		.amdhsa_user_sgpr_dispatch_id 0
		.amdhsa_user_sgpr_flat_scratch_init 0
		.amdhsa_user_sgpr_private_segment_size 0
		.amdhsa_uses_dynamic_stack 0
		.amdhsa_system_sgpr_private_segment_wavefront_offset 0
		.amdhsa_system_sgpr_workgroup_id_x 1
		.amdhsa_system_sgpr_workgroup_id_y 0
		.amdhsa_system_sgpr_workgroup_id_z 0
		.amdhsa_system_sgpr_workgroup_info 0
		.amdhsa_system_vgpr_workitem_id 0
		.amdhsa_next_free_vgpr 12
		.amdhsa_next_free_sgpr 48
		.amdhsa_reserve_vcc 1
		.amdhsa_reserve_flat_scratch 0
		.amdhsa_float_round_mode_32 0
		.amdhsa_float_round_mode_16_64 0
		.amdhsa_float_denorm_mode_32 3
		.amdhsa_float_denorm_mode_16_64 3
		.amdhsa_dx10_clamp 1
		.amdhsa_ieee_mode 1
		.amdhsa_fp16_overflow 0
		.amdhsa_exception_fp_ieee_invalid_op 0
		.amdhsa_exception_fp_denorm_src 0
		.amdhsa_exception_fp_ieee_div_zero 0
		.amdhsa_exception_fp_ieee_overflow 0
		.amdhsa_exception_fp_ieee_underflow 0
		.amdhsa_exception_fp_ieee_inexact 0
		.amdhsa_exception_int_div_zero 0
	.end_amdhsa_kernel
	.section	.text._ZN2at6native32elementwise_kernel_manual_unrollILi128ELi4EZNS0_15gpu_kernel_implINS0_13BUnaryFunctorIiiiZZZNS0_18lshift_kernel_cudaERNS_18TensorIteratorBaseEENKUlvE_clEvENKUlvE1_clEvEUliiE_EEEEvS5_RKT_EUlibE_EEviT1_,"axG",@progbits,_ZN2at6native32elementwise_kernel_manual_unrollILi128ELi4EZNS0_15gpu_kernel_implINS0_13BUnaryFunctorIiiiZZZNS0_18lshift_kernel_cudaERNS_18TensorIteratorBaseEENKUlvE_clEvENKUlvE1_clEvEUliiE_EEEEvS5_RKT_EUlibE_EEviT1_,comdat
.Lfunc_end62:
	.size	_ZN2at6native32elementwise_kernel_manual_unrollILi128ELi4EZNS0_15gpu_kernel_implINS0_13BUnaryFunctorIiiiZZZNS0_18lshift_kernel_cudaERNS_18TensorIteratorBaseEENKUlvE_clEvENKUlvE1_clEvEUliiE_EEEEvS5_RKT_EUlibE_EEviT1_, .Lfunc_end62-_ZN2at6native32elementwise_kernel_manual_unrollILi128ELi4EZNS0_15gpu_kernel_implINS0_13BUnaryFunctorIiiiZZZNS0_18lshift_kernel_cudaERNS_18TensorIteratorBaseEENKUlvE_clEvENKUlvE1_clEvEUliiE_EEEEvS5_RKT_EUlibE_EEviT1_
                                        ; -- End function
	.set _ZN2at6native32elementwise_kernel_manual_unrollILi128ELi4EZNS0_15gpu_kernel_implINS0_13BUnaryFunctorIiiiZZZNS0_18lshift_kernel_cudaERNS_18TensorIteratorBaseEENKUlvE_clEvENKUlvE1_clEvEUliiE_EEEEvS5_RKT_EUlibE_EEviT1_.num_vgpr, 12
	.set _ZN2at6native32elementwise_kernel_manual_unrollILi128ELi4EZNS0_15gpu_kernel_implINS0_13BUnaryFunctorIiiiZZZNS0_18lshift_kernel_cudaERNS_18TensorIteratorBaseEENKUlvE_clEvENKUlvE1_clEvEUliiE_EEEEvS5_RKT_EUlibE_EEviT1_.num_agpr, 0
	.set _ZN2at6native32elementwise_kernel_manual_unrollILi128ELi4EZNS0_15gpu_kernel_implINS0_13BUnaryFunctorIiiiZZZNS0_18lshift_kernel_cudaERNS_18TensorIteratorBaseEENKUlvE_clEvENKUlvE1_clEvEUliiE_EEEEvS5_RKT_EUlibE_EEviT1_.numbered_sgpr, 48
	.set _ZN2at6native32elementwise_kernel_manual_unrollILi128ELi4EZNS0_15gpu_kernel_implINS0_13BUnaryFunctorIiiiZZZNS0_18lshift_kernel_cudaERNS_18TensorIteratorBaseEENKUlvE_clEvENKUlvE1_clEvEUliiE_EEEEvS5_RKT_EUlibE_EEviT1_.num_named_barrier, 0
	.set _ZN2at6native32elementwise_kernel_manual_unrollILi128ELi4EZNS0_15gpu_kernel_implINS0_13BUnaryFunctorIiiiZZZNS0_18lshift_kernel_cudaERNS_18TensorIteratorBaseEENKUlvE_clEvENKUlvE1_clEvEUliiE_EEEEvS5_RKT_EUlibE_EEviT1_.private_seg_size, 0
	.set _ZN2at6native32elementwise_kernel_manual_unrollILi128ELi4EZNS0_15gpu_kernel_implINS0_13BUnaryFunctorIiiiZZZNS0_18lshift_kernel_cudaERNS_18TensorIteratorBaseEENKUlvE_clEvENKUlvE1_clEvEUliiE_EEEEvS5_RKT_EUlibE_EEviT1_.uses_vcc, 1
	.set _ZN2at6native32elementwise_kernel_manual_unrollILi128ELi4EZNS0_15gpu_kernel_implINS0_13BUnaryFunctorIiiiZZZNS0_18lshift_kernel_cudaERNS_18TensorIteratorBaseEENKUlvE_clEvENKUlvE1_clEvEUliiE_EEEEvS5_RKT_EUlibE_EEviT1_.uses_flat_scratch, 0
	.set _ZN2at6native32elementwise_kernel_manual_unrollILi128ELi4EZNS0_15gpu_kernel_implINS0_13BUnaryFunctorIiiiZZZNS0_18lshift_kernel_cudaERNS_18TensorIteratorBaseEENKUlvE_clEvENKUlvE1_clEvEUliiE_EEEEvS5_RKT_EUlibE_EEviT1_.has_dyn_sized_stack, 0
	.set _ZN2at6native32elementwise_kernel_manual_unrollILi128ELi4EZNS0_15gpu_kernel_implINS0_13BUnaryFunctorIiiiZZZNS0_18lshift_kernel_cudaERNS_18TensorIteratorBaseEENKUlvE_clEvENKUlvE1_clEvEUliiE_EEEEvS5_RKT_EUlibE_EEviT1_.has_recursion, 0
	.set _ZN2at6native32elementwise_kernel_manual_unrollILi128ELi4EZNS0_15gpu_kernel_implINS0_13BUnaryFunctorIiiiZZZNS0_18lshift_kernel_cudaERNS_18TensorIteratorBaseEENKUlvE_clEvENKUlvE1_clEvEUliiE_EEEEvS5_RKT_EUlibE_EEviT1_.has_indirect_call, 0
	.section	.AMDGPU.csdata,"",@progbits
; Kernel info:
; codeLenInByte = 29388
; TotalNumSgprs: 52
; NumVgprs: 12
; ScratchSize: 0
; MemoryBound: 1
; FloatMode: 240
; IeeeMode: 1
; LDSByteSize: 0 bytes/workgroup (compile time only)
; SGPRBlocks: 6
; VGPRBlocks: 2
; NumSGPRsForWavesPerEU: 52
; NumVGPRsForWavesPerEU: 12
; Occupancy: 10
; WaveLimiterHint : 0
; COMPUTE_PGM_RSRC2:SCRATCH_EN: 0
; COMPUTE_PGM_RSRC2:USER_SGPR: 6
; COMPUTE_PGM_RSRC2:TRAP_HANDLER: 0
; COMPUTE_PGM_RSRC2:TGID_X_EN: 1
; COMPUTE_PGM_RSRC2:TGID_Y_EN: 0
; COMPUTE_PGM_RSRC2:TGID_Z_EN: 0
; COMPUTE_PGM_RSRC2:TIDIG_COMP_CNT: 0
	.section	.text._ZN2at6native32elementwise_kernel_manual_unrollILi128ELi4EZNS0_15gpu_kernel_implINS0_13BUnaryFunctorIiiiZZZNS0_18lshift_kernel_cudaERNS_18TensorIteratorBaseEENKUlvE_clEvENKUlvE1_clEvEUliiE_EEEEvS5_RKT_EUlibE0_EEviT1_,"axG",@progbits,_ZN2at6native32elementwise_kernel_manual_unrollILi128ELi4EZNS0_15gpu_kernel_implINS0_13BUnaryFunctorIiiiZZZNS0_18lshift_kernel_cudaERNS_18TensorIteratorBaseEENKUlvE_clEvENKUlvE1_clEvEUliiE_EEEEvS5_RKT_EUlibE0_EEviT1_,comdat
	.globl	_ZN2at6native32elementwise_kernel_manual_unrollILi128ELi4EZNS0_15gpu_kernel_implINS0_13BUnaryFunctorIiiiZZZNS0_18lshift_kernel_cudaERNS_18TensorIteratorBaseEENKUlvE_clEvENKUlvE1_clEvEUliiE_EEEEvS5_RKT_EUlibE0_EEviT1_ ; -- Begin function _ZN2at6native32elementwise_kernel_manual_unrollILi128ELi4EZNS0_15gpu_kernel_implINS0_13BUnaryFunctorIiiiZZZNS0_18lshift_kernel_cudaERNS_18TensorIteratorBaseEENKUlvE_clEvENKUlvE1_clEvEUliiE_EEEEvS5_RKT_EUlibE0_EEviT1_
	.p2align	8
	.type	_ZN2at6native32elementwise_kernel_manual_unrollILi128ELi4EZNS0_15gpu_kernel_implINS0_13BUnaryFunctorIiiiZZZNS0_18lshift_kernel_cudaERNS_18TensorIteratorBaseEENKUlvE_clEvENKUlvE1_clEvEUliiE_EEEEvS5_RKT_EUlibE0_EEviT1_,@function
_ZN2at6native32elementwise_kernel_manual_unrollILi128ELi4EZNS0_15gpu_kernel_implINS0_13BUnaryFunctorIiiiZZZNS0_18lshift_kernel_cudaERNS_18TensorIteratorBaseEENKUlvE_clEvENKUlvE1_clEvEUliiE_EEEEvS5_RKT_EUlibE0_EEviT1_: ; @_ZN2at6native32elementwise_kernel_manual_unrollILi128ELi4EZNS0_15gpu_kernel_implINS0_13BUnaryFunctorIiiiZZZNS0_18lshift_kernel_cudaERNS_18TensorIteratorBaseEENKUlvE_clEvENKUlvE1_clEvEUliiE_EEEEvS5_RKT_EUlibE0_EEviT1_
; %bb.0:
	s_load_dword s74, s[4:5], 0x0
	s_load_dword s33, s[4:5], 0x8
	s_add_u32 s34, s4, 8
	s_addc_u32 s35, s5, 0
	v_lshl_or_b32 v8, s6, 9, v0
	v_or_b32_e32 v15, 0x180, v8
	s_waitcnt lgkmcnt(0)
	s_add_i32 s76, s33, -1
	s_cmp_gt_u32 s76, 1
	v_cmp_le_i32_e32 vcc, s74, v15
	s_cselect_b64 s[40:41], -1, 0
	s_mov_b64 s[6:7], 0
	s_mov_b64 s[28:29], 0
	s_and_saveexec_b64 s[0:1], vcc
	s_xor_b64 s[42:43], exec, s[0:1]
	s_cbranch_execz .LBB63_1070
; %bb.1:
	s_load_dwordx4 s[28:31], s[34:35], 0x4
	s_load_dwordx2 s[48:49], s[34:35], 0x14
	s_load_dwordx2 s[44:45], s[34:35], 0x15c
	s_cmp_lg_u32 s33, 0
	s_cselect_b64 s[54:55], -1, 0
	s_add_u32 s52, s34, 0xc4
	s_addc_u32 s53, s35, 0
	s_min_u32 s78, s76, 15
	s_load_dwordx4 s[36:39], s[34:35], 0xc4
	s_load_dwordx4 s[24:27], s[34:35], 0x148
	s_cmp_gt_u32 s33, 1
	s_cselect_b64 s[50:51], -1, 0
	s_waitcnt lgkmcnt(0)
	s_bfe_u32 s77, s45, 0x80008
	s_cmp_gt_u32 s44, 31
	s_cselect_b64 s[46:47], -1, 0
	v_cmp_gt_i32_e32 vcc, s74, v8
	s_mov_b64 s[2:3], -1
	s_mov_b64 s[64:65], 0
	s_mov_b64 s[58:59], 0
	;; [unrolled: 1-line block ×3, first 2 shown]
	s_and_saveexec_b64 s[60:61], vcc
	s_cbranch_execz .LBB63_262
; %bb.2:
	s_andn2_b64 vcc, exec, s[40:41]
	s_cbranch_vccnz .LBB63_7
; %bb.3:
	s_andn2_b64 vcc, exec, s[54:55]
	s_cbranch_vccnz .LBB63_8
; %bb.4:
	s_add_i32 s63, s78, 1
	s_cmp_eq_u32 s76, 2
	s_cbranch_scc1 .LBB63_9
; %bb.5:
	s_and_b32 s62, s63, 28
	v_mov_b32_e32 v2, 0
	s_mov_b32 s66, 0
	s_mov_b64 s[56:57], s[34:35]
	s_mov_b64 s[58:59], s[52:53]
	v_mov_b32_e32 v0, 0
	v_mov_b32_e32 v1, v8
.LBB63_6:                               ; =>This Inner Loop Header: Depth=1
	s_load_dwordx8 s[16:23], s[56:57], 0x4
	s_load_dwordx4 s[0:3], s[56:57], 0x24
	s_load_dwordx8 s[8:15], s[58:59], 0x0
	s_add_u32 s56, s56, 48
	s_addc_u32 s57, s57, 0
	s_waitcnt lgkmcnt(0)
	v_mul_hi_u32 v3, s17, v1
	s_add_i32 s66, s66, 4
	s_add_u32 s58, s58, 32
	s_addc_u32 s59, s59, 0
	v_add_u32_e32 v3, v1, v3
	v_lshrrev_b32_e32 v3, s18, v3
	v_mul_lo_u32 v4, v3, s16
	v_mul_hi_u32 v5, s20, v3
	s_cmp_lg_u32 s62, s66
	v_sub_u32_e32 v1, v1, v4
	v_add_u32_e32 v4, v3, v5
	v_mul_lo_u32 v5, v1, s8
	v_mul_lo_u32 v6, v1, s9
	v_lshrrev_b32_e32 v1, s21, v4
	v_mul_lo_u32 v4, v1, s19
	v_mul_hi_u32 v7, s23, v1
	v_sub_u32_e32 v3, v3, v4
	v_add_u32_e32 v4, v1, v7
	v_lshrrev_b32_e32 v4, s0, v4
	v_mul_hi_u32 v9, s2, v4
	v_mul_lo_u32 v10, v4, s22
	v_mul_lo_u32 v7, v3, s10
	;; [unrolled: 1-line block ×3, first 2 shown]
	v_sub_u32_e32 v10, v1, v10
	v_add_u32_e32 v1, v4, v9
	v_lshrrev_b32_e32 v1, s3, v1
	v_mul_lo_u32 v9, v1, s1
	v_mul_lo_u32 v11, v10, s12
	v_mul_lo_u32 v10, v10, s13
	v_add3_u32 v0, v5, v0, v7
	v_sub_u32_e32 v4, v4, v9
	v_mul_lo_u32 v9, v4, s14
	v_mul_lo_u32 v4, v4, s15
	v_add3_u32 v2, v6, v2, v3
	v_add3_u32 v0, v11, v0, v9
	;; [unrolled: 1-line block ×3, first 2 shown]
	s_cbranch_scc1 .LBB63_6
	s_branch .LBB63_10
.LBB63_7:
                                        ; implicit-def: $vgpr0
                                        ; implicit-def: $vgpr2
	s_branch .LBB63_14
.LBB63_8:
	v_mov_b32_e32 v0, 0
	v_mov_b32_e32 v2, 0
	s_branch .LBB63_13
.LBB63_9:
	s_mov_b32 s62, 0
	v_mov_b32_e32 v0, 0
	v_mov_b32_e32 v2, 0
	;; [unrolled: 1-line block ×3, first 2 shown]
.LBB63_10:
	s_and_b32 s8, s63, 3
	s_cmp_eq_u32 s8, 0
	s_cbranch_scc1 .LBB63_13
; %bb.11:
	s_lshl_b32 s0, s62, 3
	s_add_u32 s0, s34, s0
	s_addc_u32 s1, s35, 0
	s_add_u32 s0, s0, 0xc4
	s_addc_u32 s1, s1, 0
	s_mul_i32 s2, s62, 12
	s_add_u32 s2, s34, s2
	s_addc_u32 s3, s35, 0
.LBB63_12:                              ; =>This Inner Loop Header: Depth=1
	s_load_dwordx2 s[10:11], s[2:3], 0x4
	s_load_dword s9, s[2:3], 0xc
	s_load_dwordx2 s[12:13], s[0:1], 0x0
	s_add_u32 s2, s2, 12
	s_addc_u32 s3, s3, 0
	s_waitcnt lgkmcnt(0)
	v_mul_hi_u32 v3, s11, v1
	s_add_u32 s0, s0, 8
	s_addc_u32 s1, s1, 0
	s_add_i32 s8, s8, -1
	v_add_u32_e32 v3, v1, v3
	v_lshrrev_b32_e32 v4, s9, v3
	v_mul_lo_u32 v3, v4, s10
	s_cmp_lg_u32 s8, 0
	v_sub_u32_e32 v3, v1, v3
	v_mad_u64_u32 v[0:1], s[10:11], v3, s12, v[0:1]
	v_mad_u64_u32 v[2:3], s[10:11], v3, s13, v[2:3]
	v_mov_b32_e32 v1, v4
	s_cbranch_scc1 .LBB63_12
.LBB63_13:
	s_cbranch_execnz .LBB63_16
.LBB63_14:
	v_mul_hi_u32 v0, s29, v8
	s_andn2_b64 vcc, exec, s[50:51]
	v_add_u32_e32 v0, v8, v0
	v_lshrrev_b32_e32 v1, s30, v0
	v_mul_lo_u32 v0, v1, s28
	v_sub_u32_e32 v2, v8, v0
	v_mul_lo_u32 v0, v2, s36
	v_mul_lo_u32 v2, v2, s37
	s_cbranch_vccnz .LBB63_16
; %bb.15:
	v_mul_hi_u32 v3, s48, v1
	v_add_u32_e32 v3, v1, v3
	v_lshrrev_b32_e32 v3, s49, v3
	v_mul_lo_u32 v3, v3, s31
	v_sub_u32_e32 v3, v1, v3
	v_mad_u64_u32 v[0:1], s[0:1], v3, s38, v[0:1]
	v_mad_u64_u32 v[2:3], s[0:1], v3, s39, v[2:3]
.LBB63_16:
	v_mov_b32_e32 v3, s27
	s_and_b32 s10, 0xffff, s77
	v_add_co_u32_e32 v1, vcc, s26, v2
	s_cmp_lt_i32 s10, 11
	v_addc_co_u32_e32 v2, vcc, 0, v3, vcc
	s_cbranch_scc1 .LBB63_23
; %bb.17:
	s_cmp_gt_i32 s10, 25
	s_cbranch_scc0 .LBB63_32
; %bb.18:
	s_cmp_gt_i32 s10, 28
	s_cbranch_scc0 .LBB63_35
	;; [unrolled: 3-line block ×4, first 2 shown]
; %bb.21:
	s_cmp_eq_u32 s10, 46
	s_mov_b64 s[8:9], 0
	s_cbranch_scc0 .LBB63_41
; %bb.22:
	global_load_dword v3, v[1:2], off
	s_mov_b64 s[0:1], -1
	s_mov_b64 s[2:3], 0
	s_waitcnt vmcnt(0)
	v_lshlrev_b32_e32 v3, 16, v3
	v_cvt_i32_f32_e32 v3, v3
	s_branch .LBB63_43
.LBB63_23:
	s_mov_b64 s[2:3], 0
                                        ; implicit-def: $vgpr3
	s_mov_b64 s[0:1], 0
	s_cbranch_execnz .LBB63_212
.LBB63_24:
	s_andn2_b64 vcc, exec, s[0:1]
	s_cbranch_vccnz .LBB63_259
.LBB63_25:
	s_waitcnt vmcnt(0)
	v_lshlrev_b32_e32 v1, s44, v3
	v_mov_b32_e32 v2, s25
	s_and_b32 s14, s45, 0xff
	v_add_co_u32_e32 v3, vcc, s24, v0
	v_cndmask_b32_e64 v1, v1, 0, s[46:47]
	s_cmp_lt_i32 s14, 11
	v_addc_co_u32_e32 v4, vcc, 0, v2, vcc
	s_cbranch_scc1 .LBB63_33
; %bb.26:
	s_and_b32 s15, 0xffff, s14
	s_cmp_gt_i32 s15, 25
	s_cbranch_scc0 .LBB63_36
; %bb.27:
	s_cmp_gt_i32 s15, 28
	s_cbranch_scc0 .LBB63_38
; %bb.28:
	;; [unrolled: 3-line block ×4, first 2 shown]
	s_mov_b64 s[10:11], 0
	s_mov_b64 s[0:1], -1
	s_cmp_eq_u32 s15, 46
	s_mov_b64 s[8:9], 0
	s_cbranch_scc0 .LBB63_47
; %bb.31:
	v_cvt_f32_i32_e32 v0, v1
	s_movk_i32 s0, 0x7fff
	s_mov_b64 s[8:9], -1
	v_bfe_u32 v2, v0, 16, 1
	v_add3_u32 v0, v0, v2, s0
	v_lshrrev_b32_e32 v0, 16, v0
	global_store_dword v[3:4], v0, off
	s_mov_b64 s[0:1], 0
	s_branch .LBB63_47
.LBB63_32:
	s_mov_b64 s[2:3], 0
	s_mov_b64 s[0:1], 0
                                        ; implicit-def: $vgpr3
	s_cbranch_execnz .LBB63_179
	s_branch .LBB63_211
.LBB63_33:
	s_mov_b64 s[0:1], 0
	s_mov_b64 s[8:9], 0
	s_cbranch_execnz .LBB63_116
.LBB63_34:
	s_andn2_b64 vcc, exec, s[8:9]
	s_cbranch_vccnz .LBB63_260
	s_branch .LBB63_154
.LBB63_35:
	s_mov_b64 s[8:9], -1
	s_mov_b64 s[2:3], 0
	s_mov_b64 s[0:1], 0
                                        ; implicit-def: $vgpr3
	s_branch .LBB63_162
.LBB63_36:
	s_mov_b64 s[10:11], -1
	s_mov_b64 s[0:1], 0
	s_mov_b64 s[8:9], 0
	s_branch .LBB63_74
.LBB63_37:
	s_mov_b64 s[8:9], -1
	s_mov_b64 s[2:3], 0
	s_mov_b64 s[0:1], 0
                                        ; implicit-def: $vgpr3
	s_branch .LBB63_157
.LBB63_38:
	s_mov_b64 s[10:11], -1
	s_mov_b64 s[0:1], 0
	s_mov_b64 s[8:9], 0
	s_branch .LBB63_57
.LBB63_39:
	s_mov_b64 s[8:9], -1
	s_mov_b64 s[2:3], 0
	s_branch .LBB63_42
.LBB63_40:
	s_mov_b64 s[10:11], -1
	s_mov_b64 s[0:1], 0
	s_mov_b64 s[8:9], 0
	s_branch .LBB63_53
.LBB63_41:
	s_mov_b64 s[2:3], -1
.LBB63_42:
	s_mov_b64 s[0:1], 0
                                        ; implicit-def: $vgpr3
.LBB63_43:
	s_and_b64 vcc, exec, s[8:9]
	s_cbranch_vccz .LBB63_156
; %bb.44:
	s_cmp_eq_u32 s10, 44
	s_cbranch_scc0 .LBB63_155
; %bb.45:
	global_load_ubyte v3, v[1:2], off
	s_mov_b64 s[0:1], -1
	s_mov_b64 s[2:3], 0
	s_waitcnt vmcnt(0)
	v_lshlrev_b32_e32 v4, 23, v3
	v_cvt_i32_f32_e32 v4, v4
	v_cmp_ne_u32_e32 vcc, 0, v3
	v_cndmask_b32_e32 v3, 0, v4, vcc
	s_branch .LBB63_156
.LBB63_46:
	s_mov_b64 s[10:11], -1
	s_mov_b64 s[0:1], 0
	s_mov_b64 s[8:9], 0
.LBB63_47:
	s_and_b64 vcc, exec, s[10:11]
	s_cbranch_vccz .LBB63_52
; %bb.48:
	s_cmp_eq_u32 s15, 44
	s_mov_b64 s[0:1], -1
	s_cbranch_scc0 .LBB63_52
; %bb.49:
	v_cvt_f32_i32_e32 v0, v1
	s_movk_i32 s0, 0xff
	v_mov_b32_e32 v5, 0xff
	v_bfe_u32 v2, v0, 23, 8
	v_cmp_ne_u32_e32 vcc, s0, v2
	s_and_saveexec_b64 s[8:9], vcc
; %bb.50:
	s_mov_b32 s0, 0x3fffff
	v_lshrrev_b32_e32 v5, 23, v0
	v_and_b32_e32 v6, 0x400000, v0
	v_and_or_b32 v0, v0, s0, v2
	v_cmp_ne_u32_e32 vcc, 0, v6
	v_cmp_ne_u32_e64 s[0:1], 0, v0
	s_and_b64 s[0:1], vcc, s[0:1]
	v_cndmask_b32_e64 v0, 0, 1, s[0:1]
	v_add_u32_e32 v5, v5, v0
; %bb.51:
	s_or_b64 exec, exec, s[8:9]
	s_mov_b64 s[8:9], -1
	s_mov_b64 s[0:1], 0
	global_store_byte v[3:4], v5, off
.LBB63_52:
	s_mov_b64 s[10:11], 0
.LBB63_53:
	s_and_b64 vcc, exec, s[10:11]
	s_cbranch_vccz .LBB63_56
; %bb.54:
	s_cmp_eq_u32 s15, 29
	s_mov_b64 s[0:1], -1
	s_cbranch_scc0 .LBB63_56
; %bb.55:
	v_ashrrev_i32_e32 v2, 31, v1
	global_store_dwordx2 v[3:4], v[1:2], off
	s_mov_b64 s[8:9], -1
	s_mov_b64 s[0:1], 0
.LBB63_56:
	s_mov_b64 s[10:11], 0
.LBB63_57:
	s_and_b64 vcc, exec, s[10:11]
	s_cbranch_vccz .LBB63_73
; %bb.58:
	s_cmp_lt_i32 s15, 27
	s_mov_b64 s[8:9], -1
	s_cbranch_scc1 .LBB63_64
; %bb.59:
	s_cmp_gt_i32 s15, 27
	s_cbranch_scc0 .LBB63_61
; %bb.60:
	s_mov_b64 s[8:9], 0
	global_store_dword v[3:4], v1, off
.LBB63_61:
	s_andn2_b64 vcc, exec, s[8:9]
	s_cbranch_vccnz .LBB63_63
; %bb.62:
	global_store_short v[3:4], v1, off
.LBB63_63:
	s_mov_b64 s[8:9], 0
.LBB63_64:
	s_andn2_b64 vcc, exec, s[8:9]
	s_cbranch_vccnz .LBB63_72
; %bb.65:
	v_cvt_f32_i32_e32 v0, v1
	s_mov_b32 s8, 0x43800000
	v_mov_b32_e32 v5, 0x80
	v_and_b32_e32 v2, 0x7fffffff, v0
	v_cmp_gt_u32_e32 vcc, s8, v2
	s_and_saveexec_b64 s[8:9], vcc
	s_cbranch_execz .LBB63_71
; %bb.66:
	s_mov_b32 s10, 0x3bffffff
	v_cmp_lt_u32_e32 vcc, s10, v2
	s_mov_b64 s[10:11], 0
                                        ; implicit-def: $vgpr2
	s_and_saveexec_b64 s[12:13], vcc
	s_xor_b64 s[12:13], exec, s[12:13]
	s_cbranch_execz .LBB63_303
; %bb.67:
	v_bfe_u32 v2, v0, 20, 1
	s_mov_b32 s16, 0x487ffff
	v_add3_u32 v2, v0, v2, s16
	s_mov_b64 s[10:11], exec
	v_lshrrev_b32_e32 v2, 20, v2
	s_andn2_saveexec_b64 s[12:13], s[12:13]
	s_cbranch_execnz .LBB63_304
.LBB63_68:
	s_or_b64 exec, exec, s[12:13]
	v_mov_b32_e32 v5, 0
	s_and_saveexec_b64 s[12:13], s[10:11]
.LBB63_69:
	v_lshrrev_b32_e32 v0, 24, v0
	s_movk_i32 s10, 0x80
	v_and_or_b32 v5, v0, s10, v2
.LBB63_70:
	s_or_b64 exec, exec, s[12:13]
.LBB63_71:
	s_or_b64 exec, exec, s[8:9]
	global_store_byte v[3:4], v5, off
.LBB63_72:
	s_mov_b64 s[8:9], -1
.LBB63_73:
	s_mov_b64 s[10:11], 0
.LBB63_74:
	s_and_b64 vcc, exec, s[10:11]
	s_cbranch_vccz .LBB63_115
; %bb.75:
	s_cmp_gt_i32 s15, 22
	s_mov_b64 s[10:11], -1
	s_cbranch_scc0 .LBB63_107
; %bb.76:
	s_cmp_lt_i32 s15, 24
	s_mov_b64 s[8:9], -1
	s_cbranch_scc1 .LBB63_96
; %bb.77:
	s_cmp_gt_i32 s15, 24
	s_cbranch_scc0 .LBB63_85
; %bb.78:
	v_cvt_f32_i32_e32 v0, v1
	s_mov_b32 s8, 0x47800000
	v_mov_b32_e32 v5, 0x80
	v_and_b32_e32 v2, 0x7fffffff, v0
	v_cmp_gt_u32_e32 vcc, s8, v2
	s_and_saveexec_b64 s[8:9], vcc
	s_cbranch_execz .LBB63_84
; %bb.79:
	s_mov_b32 s10, 0x37ffffff
	v_cmp_lt_u32_e32 vcc, s10, v2
	s_mov_b64 s[10:11], 0
                                        ; implicit-def: $vgpr2
	s_and_saveexec_b64 s[12:13], vcc
	s_xor_b64 s[12:13], exec, s[12:13]
	s_cbranch_execz .LBB63_307
; %bb.80:
	v_bfe_u32 v2, v0, 21, 1
	s_mov_b32 s16, 0x88fffff
	v_add3_u32 v2, v0, v2, s16
	s_mov_b64 s[10:11], exec
	v_lshrrev_b32_e32 v2, 21, v2
	s_andn2_saveexec_b64 s[12:13], s[12:13]
	s_cbranch_execnz .LBB63_308
.LBB63_81:
	s_or_b64 exec, exec, s[12:13]
	v_mov_b32_e32 v5, 0
	s_and_saveexec_b64 s[12:13], s[10:11]
.LBB63_82:
	v_lshrrev_b32_e32 v0, 24, v0
	s_movk_i32 s10, 0x80
	v_and_or_b32 v5, v0, s10, v2
.LBB63_83:
	s_or_b64 exec, exec, s[12:13]
.LBB63_84:
	s_or_b64 exec, exec, s[8:9]
	s_mov_b64 s[8:9], 0
	global_store_byte v[3:4], v5, off
.LBB63_85:
	s_and_b64 vcc, exec, s[8:9]
	s_cbranch_vccz .LBB63_95
; %bb.86:
	v_cvt_f32_i32_e32 v0, v1
	s_mov_b32 s8, 0x43f00000
                                        ; implicit-def: $vgpr2
	v_and_b32_e32 v5, 0x7fffffff, v0
	v_cmp_gt_u32_e32 vcc, s8, v5
	s_and_saveexec_b64 s[8:9], vcc
	s_xor_b64 s[8:9], exec, s[8:9]
	s_cbranch_execz .LBB63_92
; %bb.87:
	s_mov_b32 s10, 0x3c7fffff
	v_cmp_lt_u32_e32 vcc, s10, v5
                                        ; implicit-def: $vgpr2
	s_and_saveexec_b64 s[10:11], vcc
	s_xor_b64 s[10:11], exec, s[10:11]
; %bb.88:
	v_bfe_u32 v2, v0, 20, 1
	s_mov_b32 s12, 0x407ffff
	v_add3_u32 v2, v0, v2, s12
	v_lshrrev_b32_e32 v5, 20, v2
	v_and_b32_e32 v2, 0xff00000, v2
	s_mov_b32 s12, 0x7f00000
	v_mov_b32_e32 v6, 0x7e
	v_cmp_ne_u32_e32 vcc, s12, v2
	v_cndmask_b32_e32 v2, v6, v5, vcc
; %bb.89:
	s_andn2_saveexec_b64 s[10:11], s[10:11]
; %bb.90:
	s_mov_b32 s12, 0x46800000
	v_add_f32_e64 v2, |v0|, s12
; %bb.91:
	s_or_b64 exec, exec, s[10:11]
                                        ; implicit-def: $vgpr5
.LBB63_92:
	s_andn2_saveexec_b64 s[8:9], s[8:9]
; %bb.93:
	s_mov_b32 s10, 0x7f800000
	v_mov_b32_e32 v2, 0x7e
	v_mov_b32_e32 v6, 0x7f
	v_cmp_lt_u32_e32 vcc, s10, v5
	v_cndmask_b32_e32 v2, v2, v6, vcc
; %bb.94:
	s_or_b64 exec, exec, s[8:9]
	v_lshrrev_b32_e32 v0, 24, v0
	s_movk_i32 s8, 0x80
	v_and_or_b32 v0, v0, s8, v2
	global_store_byte v[3:4], v0, off
.LBB63_95:
	s_mov_b64 s[8:9], 0
.LBB63_96:
	s_andn2_b64 vcc, exec, s[8:9]
	s_cbranch_vccnz .LBB63_106
; %bb.97:
	v_cvt_f32_i32_e32 v0, v1
	s_mov_b32 s8, 0x47800000
                                        ; implicit-def: $vgpr2
	v_and_b32_e32 v5, 0x7fffffff, v0
	v_cmp_gt_u32_e32 vcc, s8, v5
	s_and_saveexec_b64 s[8:9], vcc
	s_xor_b64 s[8:9], exec, s[8:9]
	s_cbranch_execz .LBB63_103
; %bb.98:
	s_mov_b32 s10, 0x387fffff
	v_cmp_lt_u32_e32 vcc, s10, v5
                                        ; implicit-def: $vgpr2
	s_and_saveexec_b64 s[10:11], vcc
	s_xor_b64 s[10:11], exec, s[10:11]
; %bb.99:
	v_bfe_u32 v2, v0, 21, 1
	s_mov_b32 s12, 0x80fffff
	v_add3_u32 v2, v0, v2, s12
	v_lshrrev_b32_e32 v2, 21, v2
; %bb.100:
	s_andn2_saveexec_b64 s[10:11], s[10:11]
; %bb.101:
	s_mov_b32 s12, 0x43000000
	v_add_f32_e64 v2, |v0|, s12
; %bb.102:
	s_or_b64 exec, exec, s[10:11]
                                        ; implicit-def: $vgpr5
.LBB63_103:
	s_andn2_saveexec_b64 s[8:9], s[8:9]
; %bb.104:
	s_mov_b32 s10, 0x7f800000
	v_mov_b32_e32 v2, 0x7c
	v_mov_b32_e32 v6, 0x7f
	v_cmp_lt_u32_e32 vcc, s10, v5
	v_cndmask_b32_e32 v2, v2, v6, vcc
; %bb.105:
	s_or_b64 exec, exec, s[8:9]
	v_lshrrev_b32_e32 v0, 24, v0
	s_movk_i32 s8, 0x80
	v_and_or_b32 v0, v0, s8, v2
	global_store_byte v[3:4], v0, off
.LBB63_106:
	s_mov_b64 s[10:11], 0
	s_mov_b64 s[8:9], -1
.LBB63_107:
	s_andn2_b64 vcc, exec, s[10:11]
	s_cbranch_vccnz .LBB63_115
; %bb.108:
	s_cmp_gt_i32 s15, 14
	s_mov_b64 s[10:11], -1
	s_cbranch_scc0 .LBB63_112
; %bb.109:
	s_cmp_eq_u32 s15, 15
	s_mov_b64 s[0:1], -1
	s_cbranch_scc0 .LBB63_111
; %bb.110:
	v_cvt_f32_i32_e32 v0, v1
	s_movk_i32 s0, 0x7fff
	s_mov_b64 s[8:9], -1
	v_bfe_u32 v2, v0, 16, 1
	v_add3_u32 v0, v0, v2, s0
	global_store_short_d16_hi v[3:4], v0, off
	s_mov_b64 s[0:1], 0
.LBB63_111:
	s_mov_b64 s[10:11], 0
.LBB63_112:
	s_and_b64 vcc, exec, s[10:11]
	s_cbranch_vccz .LBB63_115
; %bb.113:
	s_cmp_eq_u32 s15, 11
	s_mov_b64 s[0:1], -1
	s_cbranch_scc0 .LBB63_115
; %bb.114:
	v_cmp_ne_u32_e32 vcc, 0, v1
	v_cndmask_b32_e64 v0, 0, 1, vcc
	s_mov_b64 s[8:9], -1
	s_mov_b64 s[0:1], 0
	global_store_byte v[3:4], v0, off
.LBB63_115:
	s_branch .LBB63_34
.LBB63_116:
	s_and_b32 s10, 0xffff, s14
	s_cmp_lt_i32 s10, 5
	s_mov_b64 s[8:9], -1
	s_cbranch_scc1 .LBB63_137
; %bb.117:
	s_cmp_lt_i32 s10, 8
	s_cbranch_scc1 .LBB63_127
; %bb.118:
	s_cmp_lt_i32 s10, 9
	s_cbranch_scc1 .LBB63_124
; %bb.119:
	s_cmp_gt_i32 s10, 9
	s_cbranch_scc0 .LBB63_121
; %bb.120:
	v_cvt_f64_i32_e32 v[9:10], v1
	v_mov_b32_e32 v11, 0
	v_mov_b32_e32 v12, v11
	s_mov_b64 s[8:9], 0
	global_store_dwordx4 v[3:4], v[9:12], off
.LBB63_121:
	s_andn2_b64 vcc, exec, s[8:9]
	s_cbranch_vccnz .LBB63_123
; %bb.122:
	v_cvt_f32_i32_e32 v5, v1
	v_mov_b32_e32 v6, 0
	global_store_dwordx2 v[3:4], v[5:6], off
.LBB63_123:
	s_mov_b64 s[8:9], 0
.LBB63_124:
	s_andn2_b64 vcc, exec, s[8:9]
	s_cbranch_vccnz .LBB63_126
; %bb.125:
	v_cvt_f32_i32_e32 v0, v1
	v_cvt_f16_f32_e32 v0, v0
	global_store_dword v[3:4], v0, off
.LBB63_126:
	s_mov_b64 s[8:9], 0
.LBB63_127:
	s_andn2_b64 vcc, exec, s[8:9]
	s_cbranch_vccnz .LBB63_136
; %bb.128:
	s_cmp_lt_i32 s10, 6
	s_mov_b64 s[8:9], -1
	s_cbranch_scc1 .LBB63_134
; %bb.129:
	s_cmp_gt_i32 s10, 6
	s_cbranch_scc0 .LBB63_131
; %bb.130:
	v_cvt_f64_i32_e32 v[5:6], v1
	s_mov_b64 s[8:9], 0
	global_store_dwordx2 v[3:4], v[5:6], off
.LBB63_131:
	s_andn2_b64 vcc, exec, s[8:9]
	s_cbranch_vccnz .LBB63_133
; %bb.132:
	v_cvt_f32_i32_e32 v0, v1
	global_store_dword v[3:4], v0, off
.LBB63_133:
	s_mov_b64 s[8:9], 0
.LBB63_134:
	s_andn2_b64 vcc, exec, s[8:9]
	s_cbranch_vccnz .LBB63_136
; %bb.135:
	v_cvt_f32_i32_e32 v0, v1
	v_cvt_f16_f32_e32 v0, v0
	global_store_short v[3:4], v0, off
.LBB63_136:
	s_mov_b64 s[8:9], 0
.LBB63_137:
	s_andn2_b64 vcc, exec, s[8:9]
	s_cbranch_vccnz .LBB63_153
; %bb.138:
	s_cmp_lt_i32 s10, 2
	s_mov_b64 s[8:9], -1
	s_cbranch_scc1 .LBB63_148
; %bb.139:
	s_cmp_lt_i32 s10, 3
	s_cbranch_scc1 .LBB63_145
; %bb.140:
	s_cmp_gt_i32 s10, 3
	s_cbranch_scc0 .LBB63_142
; %bb.141:
	v_ashrrev_i32_e32 v2, 31, v1
	global_store_dwordx2 v[3:4], v[1:2], off
	s_mov_b64 s[8:9], 0
.LBB63_142:
	s_andn2_b64 vcc, exec, s[8:9]
	s_cbranch_vccnz .LBB63_144
; %bb.143:
	global_store_dword v[3:4], v1, off
.LBB63_144:
	s_mov_b64 s[8:9], 0
.LBB63_145:
	s_andn2_b64 vcc, exec, s[8:9]
	s_cbranch_vccnz .LBB63_147
; %bb.146:
	global_store_short v[3:4], v1, off
.LBB63_147:
	s_mov_b64 s[8:9], 0
.LBB63_148:
	s_andn2_b64 vcc, exec, s[8:9]
	s_cbranch_vccnz .LBB63_153
; %bb.149:
	s_cmp_gt_i32 s10, 0
	s_mov_b64 s[8:9], -1
	s_cbranch_scc0 .LBB63_151
; %bb.150:
	global_store_byte v[3:4], v1, off
	s_mov_b64 s[8:9], 0
.LBB63_151:
	s_andn2_b64 vcc, exec, s[8:9]
	s_cbranch_vccnz .LBB63_153
; %bb.152:
	global_store_byte v[3:4], v1, off
.LBB63_153:
.LBB63_154:
	v_add_u32_e32 v8, 0x80, v8
	s_mov_b64 s[8:9], -1
	s_branch .LBB63_261
.LBB63_155:
	s_mov_b64 s[2:3], -1
                                        ; implicit-def: $vgpr3
.LBB63_156:
	s_mov_b64 s[8:9], 0
.LBB63_157:
	s_and_b64 vcc, exec, s[8:9]
	s_cbranch_vccz .LBB63_161
; %bb.158:
	s_cmp_eq_u32 s10, 29
	s_cbranch_scc0 .LBB63_160
; %bb.159:
	global_load_dword v3, v[1:2], off
	s_mov_b64 s[0:1], -1
	s_mov_b64 s[2:3], 0
	s_branch .LBB63_161
.LBB63_160:
	s_mov_b64 s[2:3], -1
                                        ; implicit-def: $vgpr3
.LBB63_161:
	s_mov_b64 s[8:9], 0
.LBB63_162:
	s_and_b64 vcc, exec, s[8:9]
	s_cbranch_vccz .LBB63_178
; %bb.163:
	s_cmp_lt_i32 s10, 27
	s_cbranch_scc1 .LBB63_166
; %bb.164:
	s_cmp_gt_i32 s10, 27
	s_cbranch_scc0 .LBB63_167
; %bb.165:
	global_load_dword v3, v[1:2], off
	s_mov_b64 s[0:1], 0
	s_branch .LBB63_168
.LBB63_166:
	s_mov_b64 s[0:1], -1
                                        ; implicit-def: $vgpr3
	s_branch .LBB63_171
.LBB63_167:
	s_mov_b64 s[0:1], -1
                                        ; implicit-def: $vgpr3
.LBB63_168:
	s_andn2_b64 vcc, exec, s[0:1]
	s_cbranch_vccnz .LBB63_170
; %bb.169:
	global_load_ushort v3, v[1:2], off
.LBB63_170:
	s_mov_b64 s[0:1], 0
.LBB63_171:
	s_andn2_b64 vcc, exec, s[0:1]
	s_cbranch_vccnz .LBB63_177
; %bb.172:
	global_load_ubyte v4, v[1:2], off
	s_movk_i32 s0, 0x7f
	s_mov_b64 s[8:9], 0
	s_waitcnt vmcnt(0)
	v_cmp_lt_i16_e32 vcc, s0, v4
	s_and_saveexec_b64 s[0:1], vcc
	s_xor_b64 s[0:1], exec, s[0:1]
	s_cbranch_execz .LBB63_188
; %bb.173:
	s_movk_i32 s8, 0x80
	v_cmp_ne_u16_e32 vcc, s8, v4
	s_and_b64 s[8:9], vcc, exec
	s_andn2_saveexec_b64 s[0:1], s[0:1]
	s_cbranch_execnz .LBB63_189
.LBB63_174:
	s_or_b64 exec, exec, s[0:1]
	v_mov_b32_e32 v3, 0
	s_and_saveexec_b64 s[0:1], s[8:9]
	s_cbranch_execz .LBB63_176
.LBB63_175:
	v_lshlrev_b32_e32 v3, 24, v4
	v_and_b32_e32 v4, 0xffff, v4
	v_and_b32_e32 v5, 7, v4
	v_ffbh_u32_e32 v7, v5
	v_min_u32_e32 v7, 32, v7
	v_subrev_u32_e32 v9, 28, v7
	v_bfe_u32 v6, v4, 3, 4
	v_lshlrev_b32_e32 v4, v9, v4
	v_sub_u32_e32 v7, 29, v7
	v_and_b32_e32 v4, 7, v4
	v_cmp_eq_u32_e32 vcc, 0, v6
	v_cndmask_b32_e32 v6, v6, v7, vcc
	v_cndmask_b32_e32 v4, v5, v4, vcc
	v_mov_b32_e32 v5, 0x3b800000
	v_lshlrev_b32_e32 v4, 20, v4
	v_and_b32_e32 v3, 0x80000000, v3
	v_lshl_add_u32 v5, v6, 23, v5
	v_or3_b32 v3, v3, v5, v4
	v_cvt_i32_f32_e32 v3, v3
.LBB63_176:
	s_or_b64 exec, exec, s[0:1]
.LBB63_177:
	s_mov_b64 s[0:1], -1
.LBB63_178:
	s_branch .LBB63_211
.LBB63_179:
	s_cmp_gt_i32 s10, 22
	s_cbranch_scc0 .LBB63_187
; %bb.180:
	s_cmp_lt_i32 s10, 24
	s_cbranch_scc1 .LBB63_190
; %bb.181:
	s_cmp_gt_i32 s10, 24
	s_cbranch_scc0 .LBB63_191
; %bb.182:
	global_load_ubyte v4, v[1:2], off
	s_movk_i32 s0, 0x7f
	s_mov_b64 s[8:9], 0
	s_waitcnt vmcnt(0)
	v_cmp_lt_i16_e32 vcc, s0, v4
	s_and_saveexec_b64 s[0:1], vcc
	s_xor_b64 s[0:1], exec, s[0:1]
	s_cbranch_execz .LBB63_203
; %bb.183:
	s_movk_i32 s8, 0x80
	v_cmp_ne_u16_e32 vcc, s8, v4
	s_and_b64 s[8:9], vcc, exec
	s_andn2_saveexec_b64 s[0:1], s[0:1]
	s_cbranch_execnz .LBB63_204
.LBB63_184:
	s_or_b64 exec, exec, s[0:1]
	v_mov_b32_e32 v3, 0
	s_and_saveexec_b64 s[0:1], s[8:9]
	s_cbranch_execz .LBB63_186
.LBB63_185:
	v_lshlrev_b32_e32 v3, 24, v4
	v_and_b32_e32 v4, 0xffff, v4
	v_and_b32_e32 v5, 3, v4
	v_ffbh_u32_e32 v7, v5
	v_min_u32_e32 v7, 32, v7
	v_subrev_u32_e32 v9, 29, v7
	v_bfe_u32 v6, v4, 2, 5
	v_lshlrev_b32_e32 v4, v9, v4
	v_sub_u32_e32 v7, 30, v7
	v_and_b32_e32 v4, 3, v4
	v_cmp_eq_u32_e32 vcc, 0, v6
	v_cndmask_b32_e32 v6, v6, v7, vcc
	v_cndmask_b32_e32 v4, v5, v4, vcc
	v_mov_b32_e32 v5, 0x37800000
	v_lshlrev_b32_e32 v4, 21, v4
	v_and_b32_e32 v3, 0x80000000, v3
	v_lshl_add_u32 v5, v6, 23, v5
	v_or3_b32 v3, v3, v5, v4
	v_cvt_i32_f32_e32 v3, v3
.LBB63_186:
	s_or_b64 exec, exec, s[0:1]
	s_mov_b64 s[0:1], 0
	s_branch .LBB63_192
.LBB63_187:
	s_mov_b64 s[8:9], -1
                                        ; implicit-def: $vgpr3
	s_branch .LBB63_198
.LBB63_188:
	s_andn2_saveexec_b64 s[0:1], s[0:1]
	s_cbranch_execz .LBB63_174
.LBB63_189:
	v_cmp_ne_u16_e32 vcc, 0, v4
	s_andn2_b64 s[8:9], s[8:9], exec
	s_and_b64 s[12:13], vcc, exec
	s_or_b64 s[8:9], s[8:9], s[12:13]
	s_or_b64 exec, exec, s[0:1]
	v_mov_b32_e32 v3, 0
	s_and_saveexec_b64 s[0:1], s[8:9]
	s_cbranch_execnz .LBB63_175
	s_branch .LBB63_176
.LBB63_190:
	s_mov_b64 s[0:1], -1
                                        ; implicit-def: $vgpr3
	s_branch .LBB63_195
.LBB63_191:
	s_mov_b64 s[0:1], -1
                                        ; implicit-def: $vgpr3
.LBB63_192:
	s_and_b64 vcc, exec, s[0:1]
	s_cbranch_vccz .LBB63_194
; %bb.193:
	global_load_ubyte v3, v[1:2], off
	s_mov_b32 s0, 0x7f800000
	s_waitcnt vmcnt(0)
	v_lshlrev_b32_e32 v3, 24, v3
	v_and_b32_e32 v4, 0x7f000000, v3
	v_ffbh_u32_e32 v5, v4
	v_min_u32_e32 v5, 32, v5
	v_sub_u32_e64 v5, v5, 4 clamp
	v_lshlrev_b32_e32 v7, v5, v4
	v_lshlrev_b32_e32 v5, 23, v5
	v_lshrrev_b32_e32 v7, 4, v7
	v_add_u32_e32 v6, 0x1000000, v4
	v_sub_u32_e32 v5, v7, v5
	v_ashrrev_i32_e32 v6, 8, v6
	v_add_u32_e32 v5, 0x3c000000, v5
	v_and_or_b32 v5, v6, s0, v5
	v_cmp_ne_u32_e32 vcc, 0, v4
	v_cndmask_b32_e32 v4, 0, v5, vcc
	s_brev_b32 s0, 1
	v_and_or_b32 v3, v3, s0, v4
	v_cvt_i32_f32_e32 v3, v3
.LBB63_194:
	s_mov_b64 s[0:1], 0
.LBB63_195:
	s_andn2_b64 vcc, exec, s[0:1]
	s_cbranch_vccnz .LBB63_197
; %bb.196:
	global_load_ubyte v3, v[1:2], off
	s_movk_i32 s0, 0x7f00
	s_brev_b32 s1, 16
	s_waitcnt vmcnt(0)
	v_lshlrev_b16_e32 v4, 8, v3
	v_lshlrev_b32_e32 v3, 25, v3
	v_lshrrev_b32_e32 v5, 4, v3
	v_and_or_b32 v6, v4, s0, 0.5
	v_or_b32_e32 v5, 0x70000000, v5
	v_add_f32_e32 v6, -0.5, v6
	v_mul_f32_e32 v5, 0x7800000, v5
	v_cmp_gt_u32_e32 vcc, s1, v3
	v_bfe_i32 v4, v4, 0, 16
	v_cndmask_b32_e32 v3, v5, v6, vcc
	s_brev_b32 s0, 1
	v_and_or_b32 v3, v4, s0, v3
	v_cvt_i32_f32_e32 v3, v3
.LBB63_197:
	s_mov_b64 s[8:9], 0
	s_mov_b64 s[0:1], -1
.LBB63_198:
	s_andn2_b64 vcc, exec, s[8:9]
	s_cbranch_vccnz .LBB63_211
; %bb.199:
	s_cmp_gt_i32 s10, 14
	s_cbranch_scc0 .LBB63_202
; %bb.200:
	s_cmp_eq_u32 s10, 15
	s_cbranch_scc0 .LBB63_205
; %bb.201:
	global_load_ushort v3, v[1:2], off
	s_mov_b64 s[0:1], -1
	s_mov_b64 s[2:3], 0
	s_waitcnt vmcnt(0)
	v_lshlrev_b32_e32 v3, 16, v3
	v_cvt_i32_f32_e32 v3, v3
	s_branch .LBB63_206
.LBB63_202:
	s_mov_b64 s[8:9], -1
                                        ; implicit-def: $vgpr3
	s_branch .LBB63_207
.LBB63_203:
	s_andn2_saveexec_b64 s[0:1], s[0:1]
	s_cbranch_execz .LBB63_184
.LBB63_204:
	v_cmp_ne_u16_e32 vcc, 0, v4
	s_andn2_b64 s[8:9], s[8:9], exec
	s_and_b64 s[12:13], vcc, exec
	s_or_b64 s[8:9], s[8:9], s[12:13]
	s_or_b64 exec, exec, s[0:1]
	v_mov_b32_e32 v3, 0
	s_and_saveexec_b64 s[0:1], s[8:9]
	s_cbranch_execnz .LBB63_185
	s_branch .LBB63_186
.LBB63_205:
	s_mov_b64 s[2:3], -1
                                        ; implicit-def: $vgpr3
.LBB63_206:
	s_mov_b64 s[8:9], 0
.LBB63_207:
	s_and_b64 vcc, exec, s[8:9]
	s_cbranch_vccz .LBB63_211
; %bb.208:
	s_cmp_eq_u32 s10, 11
	s_cbranch_scc0 .LBB63_210
; %bb.209:
	global_load_ubyte v3, v[1:2], off
	s_mov_b64 s[0:1], -1
	s_mov_b64 s[2:3], 0
	s_waitcnt vmcnt(0)
	v_cmp_ne_u16_e32 vcc, 0, v3
	v_cndmask_b32_e64 v3, 0, 1, vcc
	s_branch .LBB63_211
.LBB63_210:
	s_mov_b64 s[2:3], -1
                                        ; implicit-def: $vgpr3
.LBB63_211:
	s_branch .LBB63_24
.LBB63_212:
	s_cmp_lt_i32 s10, 5
	s_cbranch_scc1 .LBB63_217
; %bb.213:
	s_cmp_lt_i32 s10, 8
	s_cbranch_scc1 .LBB63_218
; %bb.214:
	;; [unrolled: 3-line block ×3, first 2 shown]
	s_cmp_gt_i32 s10, 9
	s_cbranch_scc0 .LBB63_220
; %bb.216:
	global_load_dwordx2 v[3:4], v[1:2], off
	s_mov_b64 s[0:1], 0
	s_waitcnt vmcnt(0)
	v_cvt_i32_f64_e32 v3, v[3:4]
	s_branch .LBB63_221
.LBB63_217:
                                        ; implicit-def: $vgpr3
	s_branch .LBB63_239
.LBB63_218:
	s_mov_b64 s[0:1], -1
                                        ; implicit-def: $vgpr3
	s_branch .LBB63_227
.LBB63_219:
	s_mov_b64 s[0:1], -1
                                        ; implicit-def: $vgpr3
	s_branch .LBB63_224
.LBB63_220:
	s_mov_b64 s[0:1], -1
                                        ; implicit-def: $vgpr3
.LBB63_221:
	s_andn2_b64 vcc, exec, s[0:1]
	s_cbranch_vccnz .LBB63_223
; %bb.222:
	global_load_dword v3, v[1:2], off
	s_waitcnt vmcnt(0)
	v_cvt_i32_f32_e32 v3, v3
.LBB63_223:
	s_mov_b64 s[0:1], 0
.LBB63_224:
	s_andn2_b64 vcc, exec, s[0:1]
	s_cbranch_vccnz .LBB63_226
; %bb.225:
	global_load_dword v3, v[1:2], off
	s_waitcnt vmcnt(0)
	v_cvt_f32_f16_e32 v3, v3
	v_cvt_i32_f32_e32 v3, v3
.LBB63_226:
	s_mov_b64 s[0:1], 0
.LBB63_227:
	s_andn2_b64 vcc, exec, s[0:1]
	s_cbranch_vccnz .LBB63_238
; %bb.228:
	s_cmp_lt_i32 s10, 6
	s_cbranch_scc1 .LBB63_231
; %bb.229:
	s_cmp_gt_i32 s10, 6
	s_cbranch_scc0 .LBB63_232
; %bb.230:
	global_load_dwordx2 v[3:4], v[1:2], off
	s_mov_b64 s[0:1], 0
	s_waitcnt vmcnt(0)
	v_cvt_i32_f64_e32 v3, v[3:4]
	s_branch .LBB63_233
.LBB63_231:
	s_mov_b64 s[0:1], -1
                                        ; implicit-def: $vgpr3
	s_branch .LBB63_236
.LBB63_232:
	s_mov_b64 s[0:1], -1
                                        ; implicit-def: $vgpr3
.LBB63_233:
	s_andn2_b64 vcc, exec, s[0:1]
	s_cbranch_vccnz .LBB63_235
; %bb.234:
	global_load_dword v3, v[1:2], off
	s_waitcnt vmcnt(0)
	v_cvt_i32_f32_e32 v3, v3
.LBB63_235:
	s_mov_b64 s[0:1], 0
.LBB63_236:
	s_andn2_b64 vcc, exec, s[0:1]
	s_cbranch_vccnz .LBB63_238
; %bb.237:
	global_load_ushort v3, v[1:2], off
	s_waitcnt vmcnt(0)
	v_cvt_f32_f16_e32 v3, v3
	v_cvt_i32_f32_e32 v3, v3
.LBB63_238:
	s_cbranch_execnz .LBB63_258
.LBB63_239:
	s_cmp_lt_i32 s10, 2
	s_cbranch_scc1 .LBB63_243
; %bb.240:
	s_cmp_lt_i32 s10, 3
	s_cbranch_scc1 .LBB63_244
; %bb.241:
	s_cmp_gt_i32 s10, 3
	s_cbranch_scc0 .LBB63_245
; %bb.242:
	global_load_dword v3, v[1:2], off
	s_mov_b64 s[0:1], 0
	s_branch .LBB63_246
.LBB63_243:
	s_mov_b64 s[0:1], -1
                                        ; implicit-def: $vgpr3
	s_branch .LBB63_252
.LBB63_244:
	s_mov_b64 s[0:1], -1
                                        ; implicit-def: $vgpr3
	s_branch .LBB63_249
.LBB63_245:
	s_mov_b64 s[0:1], -1
                                        ; implicit-def: $vgpr3
.LBB63_246:
	s_andn2_b64 vcc, exec, s[0:1]
	s_cbranch_vccnz .LBB63_248
; %bb.247:
	global_load_dword v3, v[1:2], off
.LBB63_248:
	s_mov_b64 s[0:1], 0
.LBB63_249:
	s_andn2_b64 vcc, exec, s[0:1]
	s_cbranch_vccnz .LBB63_251
; %bb.250:
	global_load_sshort v3, v[1:2], off
.LBB63_251:
	s_mov_b64 s[0:1], 0
.LBB63_252:
	s_andn2_b64 vcc, exec, s[0:1]
	s_cbranch_vccnz .LBB63_258
; %bb.253:
	s_cmp_gt_i32 s10, 0
	s_cbranch_scc0 .LBB63_255
; %bb.254:
	global_load_sbyte v3, v[1:2], off
	s_mov_b64 s[0:1], 0
	s_branch .LBB63_256
.LBB63_255:
	s_mov_b64 s[0:1], -1
                                        ; implicit-def: $vgpr3
.LBB63_256:
	s_andn2_b64 vcc, exec, s[0:1]
	s_cbranch_vccnz .LBB63_258
; %bb.257:
	global_load_ubyte v3, v[1:2], off
.LBB63_258:
	s_branch .LBB63_25
.LBB63_259:
	s_mov_b64 s[0:1], 0
.LBB63_260:
	s_mov_b64 s[8:9], 0
                                        ; implicit-def: $vgpr8
.LBB63_261:
	s_and_b64 s[56:57], s[0:1], exec
	s_and_b64 s[58:59], s[2:3], exec
	s_orn2_b64 s[2:3], s[8:9], exec
.LBB63_262:
	s_or_b64 exec, exec, s[60:61]
	s_mov_b64 s[10:11], 0
	s_mov_b64 s[0:1], 0
                                        ; implicit-def: $vgpr1_vgpr2
                                        ; implicit-def: $vgpr0
                                        ; implicit-def: $vgpr5
	s_and_saveexec_b64 s[60:61], s[2:3]
	s_cbranch_execz .LBB63_269
; %bb.263:
	v_cmp_gt_i32_e32 vcc, s74, v8
	s_mov_b64 s[0:1], -1
	s_mov_b64 s[62:63], s[58:59]
	s_mov_b64 s[64:65], s[56:57]
	s_and_saveexec_b64 s[66:67], vcc
	s_cbranch_execz .LBB63_534
; %bb.264:
	s_andn2_b64 vcc, exec, s[40:41]
	s_cbranch_vccnz .LBB63_272
; %bb.265:
	s_andn2_b64 vcc, exec, s[54:55]
	s_cbranch_vccnz .LBB63_273
; %bb.266:
	s_add_i32 s69, s78, 1
	s_cmp_eq_u32 s76, 2
	s_cbranch_scc1 .LBB63_274
; %bb.267:
	s_and_b32 s68, s69, 28
	v_mov_b32_e32 v2, 0
	s_mov_b32 s70, 0
	s_mov_b64 s[62:63], s[34:35]
	s_mov_b64 s[64:65], s[52:53]
	v_mov_b32_e32 v0, 0
	v_mov_b32_e32 v1, v8
.LBB63_268:                             ; =>This Inner Loop Header: Depth=1
	s_load_dwordx8 s[16:23], s[62:63], 0x4
	s_load_dwordx4 s[0:3], s[62:63], 0x24
	s_load_dwordx8 s[8:15], s[64:65], 0x0
	s_add_u32 s62, s62, 48
	s_addc_u32 s63, s63, 0
	s_waitcnt vmcnt(0) lgkmcnt(0)
	v_mul_hi_u32 v3, s17, v1
	s_add_i32 s70, s70, 4
	s_add_u32 s64, s64, 32
	s_addc_u32 s65, s65, 0
	v_add_u32_e32 v3, v1, v3
	v_lshrrev_b32_e32 v3, s18, v3
	v_mul_lo_u32 v4, v3, s16
	v_mul_hi_u32 v5, s20, v3
	s_cmp_eq_u32 s68, s70
	v_sub_u32_e32 v1, v1, v4
	v_add_u32_e32 v4, v3, v5
	v_mul_lo_u32 v5, v1, s8
	v_mul_lo_u32 v6, v1, s9
	v_lshrrev_b32_e32 v1, s21, v4
	v_mul_lo_u32 v4, v1, s19
	v_mul_hi_u32 v7, s23, v1
	v_sub_u32_e32 v3, v3, v4
	v_add_u32_e32 v4, v1, v7
	v_lshrrev_b32_e32 v4, s0, v4
	v_mul_hi_u32 v9, s2, v4
	v_mul_lo_u32 v10, v4, s22
	v_mul_lo_u32 v7, v3, s10
	;; [unrolled: 1-line block ×3, first 2 shown]
	v_sub_u32_e32 v10, v1, v10
	v_add_u32_e32 v1, v4, v9
	v_lshrrev_b32_e32 v1, s3, v1
	v_mul_lo_u32 v9, v1, s1
	v_mul_lo_u32 v11, v10, s12
	;; [unrolled: 1-line block ×3, first 2 shown]
	v_add3_u32 v0, v5, v0, v7
	v_sub_u32_e32 v4, v4, v9
	v_mul_lo_u32 v9, v4, s14
	v_mul_lo_u32 v4, v4, s15
	v_add3_u32 v2, v6, v2, v3
	v_add3_u32 v0, v11, v0, v9
	;; [unrolled: 1-line block ×3, first 2 shown]
	s_cbranch_scc0 .LBB63_268
	s_branch .LBB63_275
.LBB63_269:
	s_or_b64 exec, exec, s[60:61]
	s_mov_b64 s[2:3], 0
	s_and_saveexec_b64 s[8:9], s[58:59]
	s_cbranch_execnz .LBB63_902
.LBB63_270:
	s_or_b64 exec, exec, s[8:9]
	s_and_saveexec_b64 s[8:9], s[64:65]
	s_xor_b64 s[8:9], exec, s[8:9]
	s_cbranch_execz .LBB63_903
.LBB63_271:
	global_load_ubyte v3, v[1:2], off
	s_or_b64 s[0:1], s[0:1], exec
	s_waitcnt vmcnt(0)
	v_cmp_ne_u16_e32 vcc, 0, v3
	v_cndmask_b32_e64 v5, 0, 1, vcc
	s_or_b64 exec, exec, s[8:9]
	s_and_saveexec_b64 s[8:9], s[10:11]
	s_cbranch_execz .LBB63_949
	s_branch .LBB63_904
.LBB63_272:
                                        ; implicit-def: $vgpr0
                                        ; implicit-def: $vgpr2
	s_andn2_b64 vcc, exec, s[0:1]
	s_cbranch_vccz .LBB63_279
	s_branch .LBB63_281
.LBB63_273:
	v_mov_b32_e32 v0, 0
	v_mov_b32_e32 v2, 0
	s_branch .LBB63_278
.LBB63_274:
	s_mov_b32 s68, 0
	v_mov_b32_e32 v0, 0
	v_mov_b32_e32 v2, 0
	;; [unrolled: 1-line block ×3, first 2 shown]
.LBB63_275:
	s_and_b32 s8, s69, 3
	s_cmp_eq_u32 s8, 0
	s_cbranch_scc1 .LBB63_278
; %bb.276:
	s_lshl_b32 s0, s68, 3
	s_add_u32 s0, s34, s0
	s_addc_u32 s1, s35, 0
	s_add_u32 s0, s0, 0xc4
	s_addc_u32 s1, s1, 0
	s_mul_i32 s2, s68, 12
	s_add_u32 s2, s34, s2
	s_addc_u32 s3, s35, 0
.LBB63_277:                             ; =>This Inner Loop Header: Depth=1
	s_load_dwordx2 s[10:11], s[2:3], 0x4
	s_load_dword s9, s[2:3], 0xc
	s_load_dwordx2 s[12:13], s[0:1], 0x0
	s_add_u32 s2, s2, 12
	s_addc_u32 s3, s3, 0
	s_waitcnt vmcnt(0) lgkmcnt(0)
	v_mul_hi_u32 v3, s11, v1
	s_add_u32 s0, s0, 8
	s_addc_u32 s1, s1, 0
	s_add_i32 s8, s8, -1
	v_add_u32_e32 v3, v1, v3
	v_lshrrev_b32_e32 v4, s9, v3
	v_mul_lo_u32 v3, v4, s10
	s_cmp_lg_u32 s8, 0
	v_sub_u32_e32 v3, v1, v3
	v_mad_u64_u32 v[0:1], s[10:11], v3, s12, v[0:1]
	v_mad_u64_u32 v[2:3], s[10:11], v3, s13, v[2:3]
	v_mov_b32_e32 v1, v4
	s_cbranch_scc1 .LBB63_277
.LBB63_278:
	s_cbranch_execnz .LBB63_281
.LBB63_279:
	v_mul_hi_u32 v0, s29, v8
	s_andn2_b64 vcc, exec, s[50:51]
	v_add_u32_e32 v0, v8, v0
	v_lshrrev_b32_e32 v1, s30, v0
	v_mul_lo_u32 v0, v1, s28
	v_sub_u32_e32 v2, v8, v0
	v_mul_lo_u32 v0, v2, s36
	v_mul_lo_u32 v2, v2, s37
	s_cbranch_vccnz .LBB63_281
; %bb.280:
	s_waitcnt vmcnt(0)
	v_mul_hi_u32 v3, s48, v1
	v_add_u32_e32 v3, v1, v3
	v_lshrrev_b32_e32 v3, s49, v3
	v_mul_lo_u32 v3, v3, s31
	v_sub_u32_e32 v3, v1, v3
	v_mad_u64_u32 v[0:1], s[0:1], v3, s38, v[0:1]
	v_mad_u64_u32 v[2:3], s[0:1], v3, s39, v[2:3]
.LBB63_281:
	s_waitcnt vmcnt(0)
	v_mov_b32_e32 v3, s27
	s_and_b32 s10, 0xffff, s77
	v_add_co_u32_e32 v1, vcc, s26, v2
	s_cmp_lt_i32 s10, 11
	v_addc_co_u32_e32 v2, vcc, 0, v3, vcc
	s_cbranch_scc1 .LBB63_288
; %bb.282:
	s_cmp_gt_i32 s10, 25
	s_cbranch_scc0 .LBB63_297
; %bb.283:
	s_cmp_gt_i32 s10, 28
	s_cbranch_scc0 .LBB63_299
	;; [unrolled: 3-line block ×4, first 2 shown]
; %bb.286:
	s_cmp_eq_u32 s10, 46
	s_mov_b64 s[8:9], 0
	s_cbranch_scc0 .LBB63_309
; %bb.287:
	global_load_dword v3, v[1:2], off
	s_mov_b64 s[0:1], -1
	s_mov_b64 s[2:3], 0
	s_waitcnt vmcnt(0)
	v_lshlrev_b32_e32 v3, 16, v3
	v_cvt_i32_f32_e32 v3, v3
	s_branch .LBB63_310
.LBB63_288:
	s_mov_b64 s[0:1], 0
                                        ; implicit-def: $vgpr3
	s_mov_b64 s[2:3], s[58:59]
	s_cbranch_execnz .LBB63_483
.LBB63_289:
	s_andn2_b64 vcc, exec, s[0:1]
	s_cbranch_vccnz .LBB63_531
.LBB63_290:
	s_waitcnt vmcnt(0)
	v_lshlrev_b32_e32 v1, s44, v3
	v_mov_b32_e32 v2, s25
	s_and_b32 s14, s45, 0xff
	v_add_co_u32_e32 v3, vcc, s24, v0
	v_cndmask_b32_e64 v1, v1, 0, s[46:47]
	s_cmp_lt_i32 s14, 11
	v_addc_co_u32_e32 v4, vcc, 0, v2, vcc
	s_cbranch_scc1 .LBB63_298
; %bb.291:
	s_and_b32 s15, 0xffff, s14
	s_cmp_gt_i32 s15, 25
	s_cbranch_scc0 .LBB63_300
; %bb.292:
	s_cmp_gt_i32 s15, 28
	s_cbranch_scc0 .LBB63_302
; %bb.293:
	;; [unrolled: 3-line block ×4, first 2 shown]
	s_mov_b64 s[10:11], 0
	s_mov_b64 s[0:1], -1
	s_cmp_eq_u32 s15, 46
	s_mov_b64 s[8:9], 0
	s_cbranch_scc0 .LBB63_314
; %bb.296:
	v_cvt_f32_i32_e32 v0, v1
	s_movk_i32 s0, 0x7fff
	s_mov_b64 s[8:9], -1
	v_bfe_u32 v2, v0, 16, 1
	v_add3_u32 v0, v0, v2, s0
	v_lshrrev_b32_e32 v0, 16, v0
	global_store_dword v[3:4], v0, off
	s_mov_b64 s[0:1], 0
	s_branch .LBB63_314
.LBB63_297:
	s_mov_b64 s[8:9], -1
	s_mov_b64 s[0:1], 0
	s_mov_b64 s[2:3], s[58:59]
                                        ; implicit-def: $vgpr3
	s_branch .LBB63_449
.LBB63_298:
	s_mov_b64 s[10:11], -1
	s_mov_b64 s[8:9], 0
	s_mov_b64 s[0:1], s[56:57]
	s_branch .LBB63_383
.LBB63_299:
	s_mov_b64 s[8:9], -1
	s_mov_b64 s[0:1], 0
	s_mov_b64 s[2:3], s[58:59]
                                        ; implicit-def: $vgpr3
	s_branch .LBB63_432
.LBB63_300:
	s_mov_b64 s[10:11], -1
	s_mov_b64 s[8:9], 0
	s_mov_b64 s[0:1], s[56:57]
	s_branch .LBB63_341
.LBB63_301:
	s_mov_b64 s[8:9], -1
	s_mov_b64 s[0:1], 0
	s_mov_b64 s[2:3], s[58:59]
                                        ; implicit-def: $vgpr3
	s_branch .LBB63_427
.LBB63_302:
	s_mov_b64 s[10:11], -1
	s_mov_b64 s[8:9], 0
	s_mov_b64 s[0:1], s[56:57]
	s_branch .LBB63_324
.LBB63_303:
	s_andn2_saveexec_b64 s[12:13], s[12:13]
	s_cbranch_execz .LBB63_68
.LBB63_304:
	s_mov_b32 s16, 0x46000000
	v_add_f32_e64 v2, |v0|, s16
	v_and_b32_e32 v2, 0xff, v2
	v_cmp_ne_u32_e32 vcc, 0, v2
	s_andn2_b64 s[10:11], s[10:11], exec
	s_and_b64 s[16:17], vcc, exec
	s_or_b64 s[10:11], s[10:11], s[16:17]
	s_or_b64 exec, exec, s[12:13]
	v_mov_b32_e32 v5, 0
	s_and_saveexec_b64 s[12:13], s[10:11]
	s_cbranch_execnz .LBB63_69
	s_branch .LBB63_70
.LBB63_305:
	s_mov_b64 s[8:9], -1
	s_mov_b64 s[0:1], 0
	s_mov_b64 s[2:3], s[58:59]
                                        ; implicit-def: $vgpr3
	s_branch .LBB63_310
.LBB63_306:
	s_mov_b64 s[10:11], -1
	s_mov_b64 s[8:9], 0
	s_mov_b64 s[0:1], s[56:57]
	s_branch .LBB63_320
.LBB63_307:
	s_andn2_saveexec_b64 s[12:13], s[12:13]
	s_cbranch_execz .LBB63_81
.LBB63_308:
	s_mov_b32 s16, 0x42800000
	v_add_f32_e64 v2, |v0|, s16
	v_and_b32_e32 v2, 0xff, v2
	v_cmp_ne_u32_e32 vcc, 0, v2
	s_andn2_b64 s[10:11], s[10:11], exec
	s_and_b64 s[16:17], vcc, exec
	s_or_b64 s[10:11], s[10:11], s[16:17]
	s_or_b64 exec, exec, s[12:13]
	v_mov_b32_e32 v5, 0
	s_and_saveexec_b64 s[12:13], s[10:11]
	s_cbranch_execnz .LBB63_82
	s_branch .LBB63_83
.LBB63_309:
	s_mov_b64 s[2:3], -1
                                        ; implicit-def: $vgpr3
	s_mov_b64 s[0:1], 0
.LBB63_310:
	s_and_b64 vcc, exec, s[8:9]
	s_cbranch_vccz .LBB63_426
; %bb.311:
	s_cmp_eq_u32 s10, 44
	s_cbranch_scc0 .LBB63_425
; %bb.312:
	global_load_ubyte v3, v[1:2], off
	s_mov_b64 s[0:1], -1
	s_mov_b64 s[2:3], 0
	s_waitcnt vmcnt(0)
	v_lshlrev_b32_e32 v4, 23, v3
	v_cvt_i32_f32_e32 v4, v4
	v_cmp_ne_u32_e32 vcc, 0, v3
	v_cndmask_b32_e32 v3, 0, v4, vcc
	s_branch .LBB63_426
.LBB63_313:
	s_mov_b64 s[10:11], -1
	s_mov_b64 s[8:9], 0
	s_mov_b64 s[0:1], s[56:57]
.LBB63_314:
	s_and_b64 vcc, exec, s[10:11]
	s_cbranch_vccz .LBB63_319
; %bb.315:
	s_cmp_eq_u32 s15, 44
	s_mov_b64 s[0:1], -1
	s_cbranch_scc0 .LBB63_319
; %bb.316:
	v_cvt_f32_i32_e32 v0, v1
	s_movk_i32 s0, 0xff
	v_mov_b32_e32 v5, 0xff
	v_bfe_u32 v2, v0, 23, 8
	v_cmp_ne_u32_e32 vcc, s0, v2
	s_and_saveexec_b64 s[8:9], vcc
; %bb.317:
	s_mov_b32 s0, 0x3fffff
	v_lshrrev_b32_e32 v5, 23, v0
	v_and_b32_e32 v6, 0x400000, v0
	v_and_or_b32 v0, v0, s0, v2
	v_cmp_ne_u32_e32 vcc, 0, v6
	v_cmp_ne_u32_e64 s[0:1], 0, v0
	s_and_b64 s[0:1], vcc, s[0:1]
	v_cndmask_b32_e64 v0, 0, 1, s[0:1]
	v_add_u32_e32 v5, v5, v0
; %bb.318:
	s_or_b64 exec, exec, s[8:9]
	s_mov_b64 s[8:9], -1
	s_mov_b64 s[0:1], 0
	global_store_byte v[3:4], v5, off
.LBB63_319:
	s_mov_b64 s[10:11], 0
.LBB63_320:
	s_and_b64 vcc, exec, s[10:11]
	s_cbranch_vccz .LBB63_323
; %bb.321:
	s_cmp_eq_u32 s15, 29
	s_mov_b64 s[0:1], -1
	s_cbranch_scc0 .LBB63_323
; %bb.322:
	v_ashrrev_i32_e32 v2, 31, v1
	global_store_dwordx2 v[3:4], v[1:2], off
	s_mov_b64 s[8:9], -1
	s_mov_b64 s[0:1], 0
.LBB63_323:
	s_mov_b64 s[10:11], 0
.LBB63_324:
	s_and_b64 vcc, exec, s[10:11]
	s_cbranch_vccz .LBB63_340
; %bb.325:
	s_cmp_lt_i32 s15, 27
	s_mov_b64 s[8:9], -1
	s_cbranch_scc1 .LBB63_331
; %bb.326:
	s_cmp_gt_i32 s15, 27
	s_cbranch_scc0 .LBB63_328
; %bb.327:
	s_mov_b64 s[8:9], 0
	global_store_dword v[3:4], v1, off
.LBB63_328:
	s_andn2_b64 vcc, exec, s[8:9]
	s_cbranch_vccnz .LBB63_330
; %bb.329:
	global_store_short v[3:4], v1, off
.LBB63_330:
	s_mov_b64 s[8:9], 0
.LBB63_331:
	s_andn2_b64 vcc, exec, s[8:9]
	s_cbranch_vccnz .LBB63_339
; %bb.332:
	v_cvt_f32_i32_e32 v0, v1
	s_mov_b32 s8, 0x43800000
	v_mov_b32_e32 v5, 0x80
	v_and_b32_e32 v2, 0x7fffffff, v0
	v_cmp_gt_u32_e32 vcc, s8, v2
	s_and_saveexec_b64 s[8:9], vcc
	s_cbranch_execz .LBB63_338
; %bb.333:
	s_mov_b32 s10, 0x3bffffff
	v_cmp_lt_u32_e32 vcc, s10, v2
	s_mov_b64 s[10:11], 0
                                        ; implicit-def: $vgpr2
	s_and_saveexec_b64 s[12:13], vcc
	s_xor_b64 s[12:13], exec, s[12:13]
	s_cbranch_execz .LBB63_562
; %bb.334:
	v_bfe_u32 v2, v0, 20, 1
	s_mov_b32 s16, 0x487ffff
	v_add3_u32 v2, v0, v2, s16
	s_mov_b64 s[10:11], exec
	v_lshrrev_b32_e32 v2, 20, v2
	s_andn2_saveexec_b64 s[12:13], s[12:13]
	s_cbranch_execnz .LBB63_563
.LBB63_335:
	s_or_b64 exec, exec, s[12:13]
	v_mov_b32_e32 v5, 0
	s_and_saveexec_b64 s[12:13], s[10:11]
.LBB63_336:
	v_lshrrev_b32_e32 v0, 24, v0
	s_movk_i32 s10, 0x80
	v_and_or_b32 v5, v0, s10, v2
.LBB63_337:
	s_or_b64 exec, exec, s[12:13]
.LBB63_338:
	s_or_b64 exec, exec, s[8:9]
	global_store_byte v[3:4], v5, off
.LBB63_339:
	s_mov_b64 s[8:9], -1
.LBB63_340:
	s_mov_b64 s[10:11], 0
.LBB63_341:
	s_and_b64 vcc, exec, s[10:11]
	s_cbranch_vccz .LBB63_382
; %bb.342:
	s_cmp_gt_i32 s15, 22
	s_mov_b64 s[10:11], -1
	s_cbranch_scc0 .LBB63_374
; %bb.343:
	s_cmp_lt_i32 s15, 24
	s_mov_b64 s[8:9], -1
	s_cbranch_scc1 .LBB63_363
; %bb.344:
	s_cmp_gt_i32 s15, 24
	s_cbranch_scc0 .LBB63_352
; %bb.345:
	v_cvt_f32_i32_e32 v0, v1
	s_mov_b32 s8, 0x47800000
	v_mov_b32_e32 v5, 0x80
	v_and_b32_e32 v2, 0x7fffffff, v0
	v_cmp_gt_u32_e32 vcc, s8, v2
	s_and_saveexec_b64 s[8:9], vcc
	s_cbranch_execz .LBB63_351
; %bb.346:
	s_mov_b32 s10, 0x37ffffff
	v_cmp_lt_u32_e32 vcc, s10, v2
	s_mov_b64 s[10:11], 0
                                        ; implicit-def: $vgpr2
	s_and_saveexec_b64 s[12:13], vcc
	s_xor_b64 s[12:13], exec, s[12:13]
	s_cbranch_execz .LBB63_565
; %bb.347:
	v_bfe_u32 v2, v0, 21, 1
	s_mov_b32 s16, 0x88fffff
	v_add3_u32 v2, v0, v2, s16
	s_mov_b64 s[10:11], exec
	v_lshrrev_b32_e32 v2, 21, v2
	s_andn2_saveexec_b64 s[12:13], s[12:13]
	s_cbranch_execnz .LBB63_566
.LBB63_348:
	s_or_b64 exec, exec, s[12:13]
	v_mov_b32_e32 v5, 0
	s_and_saveexec_b64 s[12:13], s[10:11]
.LBB63_349:
	v_lshrrev_b32_e32 v0, 24, v0
	s_movk_i32 s10, 0x80
	v_and_or_b32 v5, v0, s10, v2
.LBB63_350:
	s_or_b64 exec, exec, s[12:13]
.LBB63_351:
	s_or_b64 exec, exec, s[8:9]
	s_mov_b64 s[8:9], 0
	global_store_byte v[3:4], v5, off
.LBB63_352:
	s_and_b64 vcc, exec, s[8:9]
	s_cbranch_vccz .LBB63_362
; %bb.353:
	v_cvt_f32_i32_e32 v0, v1
	s_mov_b32 s8, 0x43f00000
                                        ; implicit-def: $vgpr2
	v_and_b32_e32 v5, 0x7fffffff, v0
	v_cmp_gt_u32_e32 vcc, s8, v5
	s_and_saveexec_b64 s[8:9], vcc
	s_xor_b64 s[8:9], exec, s[8:9]
	s_cbranch_execz .LBB63_359
; %bb.354:
	s_mov_b32 s10, 0x3c7fffff
	v_cmp_lt_u32_e32 vcc, s10, v5
                                        ; implicit-def: $vgpr2
	s_and_saveexec_b64 s[10:11], vcc
	s_xor_b64 s[10:11], exec, s[10:11]
; %bb.355:
	v_bfe_u32 v2, v0, 20, 1
	s_mov_b32 s12, 0x407ffff
	v_add3_u32 v2, v0, v2, s12
	v_lshrrev_b32_e32 v5, 20, v2
	v_and_b32_e32 v2, 0xff00000, v2
	s_mov_b32 s12, 0x7f00000
	v_mov_b32_e32 v6, 0x7e
	v_cmp_ne_u32_e32 vcc, s12, v2
	v_cndmask_b32_e32 v2, v6, v5, vcc
; %bb.356:
	s_andn2_saveexec_b64 s[10:11], s[10:11]
; %bb.357:
	s_mov_b32 s12, 0x46800000
	v_add_f32_e64 v2, |v0|, s12
; %bb.358:
	s_or_b64 exec, exec, s[10:11]
                                        ; implicit-def: $vgpr5
.LBB63_359:
	s_andn2_saveexec_b64 s[8:9], s[8:9]
; %bb.360:
	s_mov_b32 s10, 0x7f800000
	v_mov_b32_e32 v2, 0x7e
	v_mov_b32_e32 v6, 0x7f
	v_cmp_lt_u32_e32 vcc, s10, v5
	v_cndmask_b32_e32 v2, v2, v6, vcc
; %bb.361:
	s_or_b64 exec, exec, s[8:9]
	v_lshrrev_b32_e32 v0, 24, v0
	s_movk_i32 s8, 0x80
	v_and_or_b32 v0, v0, s8, v2
	global_store_byte v[3:4], v0, off
.LBB63_362:
	s_mov_b64 s[8:9], 0
.LBB63_363:
	s_andn2_b64 vcc, exec, s[8:9]
	s_cbranch_vccnz .LBB63_373
; %bb.364:
	v_cvt_f32_i32_e32 v0, v1
	s_mov_b32 s8, 0x47800000
                                        ; implicit-def: $vgpr2
	v_and_b32_e32 v5, 0x7fffffff, v0
	v_cmp_gt_u32_e32 vcc, s8, v5
	s_and_saveexec_b64 s[8:9], vcc
	s_xor_b64 s[8:9], exec, s[8:9]
	s_cbranch_execz .LBB63_370
; %bb.365:
	s_mov_b32 s10, 0x387fffff
	v_cmp_lt_u32_e32 vcc, s10, v5
                                        ; implicit-def: $vgpr2
	s_and_saveexec_b64 s[10:11], vcc
	s_xor_b64 s[10:11], exec, s[10:11]
; %bb.366:
	v_bfe_u32 v2, v0, 21, 1
	s_mov_b32 s12, 0x80fffff
	v_add3_u32 v2, v0, v2, s12
	v_lshrrev_b32_e32 v2, 21, v2
; %bb.367:
	s_andn2_saveexec_b64 s[10:11], s[10:11]
; %bb.368:
	s_mov_b32 s12, 0x43000000
	v_add_f32_e64 v2, |v0|, s12
; %bb.369:
	s_or_b64 exec, exec, s[10:11]
                                        ; implicit-def: $vgpr5
.LBB63_370:
	s_andn2_saveexec_b64 s[8:9], s[8:9]
; %bb.371:
	s_mov_b32 s10, 0x7f800000
	v_mov_b32_e32 v2, 0x7c
	v_mov_b32_e32 v6, 0x7f
	v_cmp_lt_u32_e32 vcc, s10, v5
	v_cndmask_b32_e32 v2, v2, v6, vcc
; %bb.372:
	s_or_b64 exec, exec, s[8:9]
	v_lshrrev_b32_e32 v0, 24, v0
	s_movk_i32 s8, 0x80
	v_and_or_b32 v0, v0, s8, v2
	global_store_byte v[3:4], v0, off
.LBB63_373:
	s_mov_b64 s[10:11], 0
	s_mov_b64 s[8:9], -1
.LBB63_374:
	s_andn2_b64 vcc, exec, s[10:11]
	s_cbranch_vccnz .LBB63_382
; %bb.375:
	s_cmp_gt_i32 s15, 14
	s_mov_b64 s[10:11], -1
	s_cbranch_scc0 .LBB63_379
; %bb.376:
	s_cmp_eq_u32 s15, 15
	s_mov_b64 s[0:1], -1
	s_cbranch_scc0 .LBB63_378
; %bb.377:
	v_cvt_f32_i32_e32 v0, v1
	s_movk_i32 s0, 0x7fff
	s_mov_b64 s[8:9], -1
	v_bfe_u32 v2, v0, 16, 1
	v_add3_u32 v0, v0, v2, s0
	global_store_short_d16_hi v[3:4], v0, off
	s_mov_b64 s[0:1], 0
.LBB63_378:
	s_mov_b64 s[10:11], 0
.LBB63_379:
	s_and_b64 vcc, exec, s[10:11]
	s_cbranch_vccz .LBB63_382
; %bb.380:
	s_cmp_eq_u32 s15, 11
	s_mov_b64 s[0:1], -1
	s_cbranch_scc0 .LBB63_382
; %bb.381:
	v_cmp_ne_u32_e32 vcc, 0, v1
	v_cndmask_b32_e64 v0, 0, 1, vcc
	s_mov_b64 s[8:9], -1
	s_mov_b64 s[0:1], 0
	global_store_byte v[3:4], v0, off
.LBB63_382:
	s_mov_b64 s[10:11], 0
.LBB63_383:
	s_and_b64 vcc, exec, s[10:11]
	s_cbranch_vccz .LBB63_422
; %bb.384:
	s_and_b32 s10, 0xffff, s14
	s_cmp_lt_i32 s10, 5
	s_mov_b64 s[8:9], -1
	s_cbranch_scc1 .LBB63_405
; %bb.385:
	s_cmp_lt_i32 s10, 8
	s_cbranch_scc1 .LBB63_395
; %bb.386:
	s_cmp_lt_i32 s10, 9
	s_cbranch_scc1 .LBB63_392
; %bb.387:
	s_cmp_gt_i32 s10, 9
	s_cbranch_scc0 .LBB63_389
; %bb.388:
	v_cvt_f64_i32_e32 v[9:10], v1
	v_mov_b32_e32 v11, 0
	v_mov_b32_e32 v12, v11
	s_mov_b64 s[8:9], 0
	global_store_dwordx4 v[3:4], v[9:12], off
.LBB63_389:
	s_andn2_b64 vcc, exec, s[8:9]
	s_cbranch_vccnz .LBB63_391
; %bb.390:
	v_cvt_f32_i32_e32 v5, v1
	v_mov_b32_e32 v6, 0
	global_store_dwordx2 v[3:4], v[5:6], off
.LBB63_391:
	s_mov_b64 s[8:9], 0
.LBB63_392:
	s_andn2_b64 vcc, exec, s[8:9]
	s_cbranch_vccnz .LBB63_394
; %bb.393:
	v_cvt_f32_i32_e32 v0, v1
	v_cvt_f16_f32_e32 v0, v0
	global_store_dword v[3:4], v0, off
.LBB63_394:
	s_mov_b64 s[8:9], 0
.LBB63_395:
	s_andn2_b64 vcc, exec, s[8:9]
	s_cbranch_vccnz .LBB63_404
; %bb.396:
	s_cmp_lt_i32 s10, 6
	s_mov_b64 s[8:9], -1
	s_cbranch_scc1 .LBB63_402
; %bb.397:
	s_cmp_gt_i32 s10, 6
	s_cbranch_scc0 .LBB63_399
; %bb.398:
	v_cvt_f64_i32_e32 v[5:6], v1
	s_mov_b64 s[8:9], 0
	global_store_dwordx2 v[3:4], v[5:6], off
.LBB63_399:
	s_andn2_b64 vcc, exec, s[8:9]
	s_cbranch_vccnz .LBB63_401
; %bb.400:
	v_cvt_f32_i32_e32 v0, v1
	global_store_dword v[3:4], v0, off
.LBB63_401:
	s_mov_b64 s[8:9], 0
.LBB63_402:
	s_andn2_b64 vcc, exec, s[8:9]
	s_cbranch_vccnz .LBB63_404
; %bb.403:
	v_cvt_f32_i32_e32 v0, v1
	v_cvt_f16_f32_e32 v0, v0
	global_store_short v[3:4], v0, off
.LBB63_404:
	s_mov_b64 s[8:9], 0
.LBB63_405:
	s_andn2_b64 vcc, exec, s[8:9]
	s_cbranch_vccnz .LBB63_421
; %bb.406:
	s_cmp_lt_i32 s10, 2
	s_mov_b64 s[8:9], -1
	s_cbranch_scc1 .LBB63_416
; %bb.407:
	s_cmp_lt_i32 s10, 3
	s_cbranch_scc1 .LBB63_413
; %bb.408:
	s_cmp_gt_i32 s10, 3
	s_cbranch_scc0 .LBB63_410
; %bb.409:
	v_ashrrev_i32_e32 v2, 31, v1
	s_mov_b64 s[8:9], 0
	global_store_dwordx2 v[3:4], v[1:2], off
.LBB63_410:
	s_andn2_b64 vcc, exec, s[8:9]
	s_cbranch_vccnz .LBB63_412
; %bb.411:
	global_store_dword v[3:4], v1, off
.LBB63_412:
	s_mov_b64 s[8:9], 0
.LBB63_413:
	s_andn2_b64 vcc, exec, s[8:9]
	s_cbranch_vccnz .LBB63_415
; %bb.414:
	global_store_short v[3:4], v1, off
.LBB63_415:
	s_mov_b64 s[8:9], 0
.LBB63_416:
	s_andn2_b64 vcc, exec, s[8:9]
	s_cbranch_vccnz .LBB63_421
; %bb.417:
	s_cmp_gt_i32 s10, 0
	s_mov_b64 s[8:9], -1
	s_cbranch_scc0 .LBB63_419
; %bb.418:
	s_mov_b64 s[8:9], 0
	global_store_byte v[3:4], v1, off
.LBB63_419:
	s_andn2_b64 vcc, exec, s[8:9]
	s_cbranch_vccnz .LBB63_421
; %bb.420:
	global_store_byte v[3:4], v1, off
.LBB63_421:
	s_mov_b64 s[8:9], -1
.LBB63_422:
	s_andn2_b64 vcc, exec, s[8:9]
	s_cbranch_vccnz .LBB63_424
; %bb.423:
	v_add_u32_e32 v8, 0x80, v8
	s_mov_b64 s[8:9], -1
	s_branch .LBB63_533
.LBB63_424:
	s_mov_b64 s[8:9], 0
	s_branch .LBB63_532
.LBB63_425:
	s_mov_b64 s[2:3], -1
                                        ; implicit-def: $vgpr3
.LBB63_426:
	s_mov_b64 s[8:9], 0
.LBB63_427:
	s_and_b64 vcc, exec, s[8:9]
	s_cbranch_vccz .LBB63_431
; %bb.428:
	s_cmp_eq_u32 s10, 29
	s_cbranch_scc0 .LBB63_430
; %bb.429:
	global_load_dword v3, v[1:2], off
	s_mov_b64 s[0:1], -1
	s_mov_b64 s[2:3], 0
	s_branch .LBB63_431
.LBB63_430:
	s_mov_b64 s[2:3], -1
                                        ; implicit-def: $vgpr3
.LBB63_431:
	s_mov_b64 s[8:9], 0
.LBB63_432:
	s_and_b64 vcc, exec, s[8:9]
	s_cbranch_vccz .LBB63_448
; %bb.433:
	s_cmp_lt_i32 s10, 27
	s_cbranch_scc1 .LBB63_436
; %bb.434:
	s_cmp_gt_i32 s10, 27
	s_cbranch_scc0 .LBB63_437
; %bb.435:
	global_load_dword v3, v[1:2], off
	s_mov_b64 s[0:1], 0
	s_branch .LBB63_438
.LBB63_436:
	s_mov_b64 s[0:1], -1
                                        ; implicit-def: $vgpr3
	s_branch .LBB63_441
.LBB63_437:
	s_mov_b64 s[0:1], -1
                                        ; implicit-def: $vgpr3
.LBB63_438:
	s_andn2_b64 vcc, exec, s[0:1]
	s_cbranch_vccnz .LBB63_440
; %bb.439:
	global_load_ushort v3, v[1:2], off
.LBB63_440:
	s_mov_b64 s[0:1], 0
.LBB63_441:
	s_andn2_b64 vcc, exec, s[0:1]
	s_cbranch_vccnz .LBB63_447
; %bb.442:
	global_load_ubyte v4, v[1:2], off
	s_movk_i32 s0, 0x7f
	s_mov_b64 s[8:9], 0
	s_waitcnt vmcnt(0)
	v_cmp_lt_i16_e32 vcc, s0, v4
	s_and_saveexec_b64 s[0:1], vcc
	s_xor_b64 s[0:1], exec, s[0:1]
	s_cbranch_execz .LBB63_459
; %bb.443:
	s_movk_i32 s8, 0x80
	v_cmp_ne_u16_e32 vcc, s8, v4
	s_and_b64 s[8:9], vcc, exec
	s_andn2_saveexec_b64 s[0:1], s[0:1]
	s_cbranch_execnz .LBB63_460
.LBB63_444:
	s_or_b64 exec, exec, s[0:1]
	v_mov_b32_e32 v3, 0
	s_and_saveexec_b64 s[0:1], s[8:9]
	s_cbranch_execz .LBB63_446
.LBB63_445:
	v_lshlrev_b32_e32 v3, 24, v4
	v_and_b32_e32 v4, 0xffff, v4
	v_and_b32_e32 v5, 7, v4
	v_ffbh_u32_e32 v7, v5
	v_min_u32_e32 v7, 32, v7
	v_subrev_u32_e32 v9, 28, v7
	v_bfe_u32 v6, v4, 3, 4
	v_lshlrev_b32_e32 v4, v9, v4
	v_sub_u32_e32 v7, 29, v7
	v_and_b32_e32 v4, 7, v4
	v_cmp_eq_u32_e32 vcc, 0, v6
	v_cndmask_b32_e32 v6, v6, v7, vcc
	v_cndmask_b32_e32 v4, v5, v4, vcc
	v_mov_b32_e32 v5, 0x3b800000
	v_lshlrev_b32_e32 v4, 20, v4
	v_and_b32_e32 v3, 0x80000000, v3
	v_lshl_add_u32 v5, v6, 23, v5
	v_or3_b32 v3, v3, v5, v4
	v_cvt_i32_f32_e32 v3, v3
.LBB63_446:
	s_or_b64 exec, exec, s[0:1]
.LBB63_447:
	s_mov_b64 s[0:1], -1
.LBB63_448:
	s_mov_b64 s[8:9], 0
.LBB63_449:
	s_and_b64 vcc, exec, s[8:9]
	s_cbranch_vccz .LBB63_482
; %bb.450:
	s_cmp_gt_i32 s10, 22
	s_cbranch_scc0 .LBB63_458
; %bb.451:
	s_cmp_lt_i32 s10, 24
	s_cbranch_scc1 .LBB63_461
; %bb.452:
	s_cmp_gt_i32 s10, 24
	s_cbranch_scc0 .LBB63_462
; %bb.453:
	global_load_ubyte v4, v[1:2], off
	s_movk_i32 s0, 0x7f
	s_mov_b64 s[8:9], 0
	s_waitcnt vmcnt(0)
	v_cmp_lt_i16_e32 vcc, s0, v4
	s_and_saveexec_b64 s[0:1], vcc
	s_xor_b64 s[0:1], exec, s[0:1]
	s_cbranch_execz .LBB63_474
; %bb.454:
	s_movk_i32 s8, 0x80
	v_cmp_ne_u16_e32 vcc, s8, v4
	s_and_b64 s[8:9], vcc, exec
	s_andn2_saveexec_b64 s[0:1], s[0:1]
	s_cbranch_execnz .LBB63_475
.LBB63_455:
	s_or_b64 exec, exec, s[0:1]
	v_mov_b32_e32 v3, 0
	s_and_saveexec_b64 s[0:1], s[8:9]
	s_cbranch_execz .LBB63_457
.LBB63_456:
	v_lshlrev_b32_e32 v3, 24, v4
	v_and_b32_e32 v4, 0xffff, v4
	v_and_b32_e32 v5, 3, v4
	v_ffbh_u32_e32 v7, v5
	v_min_u32_e32 v7, 32, v7
	v_subrev_u32_e32 v9, 29, v7
	v_bfe_u32 v6, v4, 2, 5
	v_lshlrev_b32_e32 v4, v9, v4
	v_sub_u32_e32 v7, 30, v7
	v_and_b32_e32 v4, 3, v4
	v_cmp_eq_u32_e32 vcc, 0, v6
	v_cndmask_b32_e32 v6, v6, v7, vcc
	v_cndmask_b32_e32 v4, v5, v4, vcc
	v_mov_b32_e32 v5, 0x37800000
	v_lshlrev_b32_e32 v4, 21, v4
	v_and_b32_e32 v3, 0x80000000, v3
	v_lshl_add_u32 v5, v6, 23, v5
	v_or3_b32 v3, v3, v5, v4
	v_cvt_i32_f32_e32 v3, v3
.LBB63_457:
	s_or_b64 exec, exec, s[0:1]
	s_mov_b64 s[0:1], 0
	s_branch .LBB63_463
.LBB63_458:
	s_mov_b64 s[8:9], -1
                                        ; implicit-def: $vgpr3
	s_branch .LBB63_469
.LBB63_459:
	s_andn2_saveexec_b64 s[0:1], s[0:1]
	s_cbranch_execz .LBB63_444
.LBB63_460:
	v_cmp_ne_u16_e32 vcc, 0, v4
	s_andn2_b64 s[8:9], s[8:9], exec
	s_and_b64 s[12:13], vcc, exec
	s_or_b64 s[8:9], s[8:9], s[12:13]
	s_or_b64 exec, exec, s[0:1]
	v_mov_b32_e32 v3, 0
	s_and_saveexec_b64 s[0:1], s[8:9]
	s_cbranch_execnz .LBB63_445
	s_branch .LBB63_446
.LBB63_461:
	s_mov_b64 s[0:1], -1
                                        ; implicit-def: $vgpr3
	s_branch .LBB63_466
.LBB63_462:
	s_mov_b64 s[0:1], -1
                                        ; implicit-def: $vgpr3
.LBB63_463:
	s_and_b64 vcc, exec, s[0:1]
	s_cbranch_vccz .LBB63_465
; %bb.464:
	global_load_ubyte v3, v[1:2], off
	s_mov_b32 s0, 0x7f800000
	s_waitcnt vmcnt(0)
	v_lshlrev_b32_e32 v3, 24, v3
	v_and_b32_e32 v4, 0x7f000000, v3
	v_ffbh_u32_e32 v5, v4
	v_min_u32_e32 v5, 32, v5
	v_sub_u32_e64 v5, v5, 4 clamp
	v_lshlrev_b32_e32 v7, v5, v4
	v_lshlrev_b32_e32 v5, 23, v5
	v_lshrrev_b32_e32 v7, 4, v7
	v_add_u32_e32 v6, 0x1000000, v4
	v_sub_u32_e32 v5, v7, v5
	v_ashrrev_i32_e32 v6, 8, v6
	v_add_u32_e32 v5, 0x3c000000, v5
	v_and_or_b32 v5, v6, s0, v5
	v_cmp_ne_u32_e32 vcc, 0, v4
	v_cndmask_b32_e32 v4, 0, v5, vcc
	s_brev_b32 s0, 1
	v_and_or_b32 v3, v3, s0, v4
	v_cvt_i32_f32_e32 v3, v3
.LBB63_465:
	s_mov_b64 s[0:1], 0
.LBB63_466:
	s_andn2_b64 vcc, exec, s[0:1]
	s_cbranch_vccnz .LBB63_468
; %bb.467:
	global_load_ubyte v3, v[1:2], off
	s_movk_i32 s0, 0x7f00
	s_brev_b32 s1, 16
	s_waitcnt vmcnt(0)
	v_lshlrev_b16_e32 v4, 8, v3
	v_lshlrev_b32_e32 v3, 25, v3
	v_lshrrev_b32_e32 v5, 4, v3
	v_and_or_b32 v6, v4, s0, 0.5
	v_or_b32_e32 v5, 0x70000000, v5
	v_add_f32_e32 v6, -0.5, v6
	v_mul_f32_e32 v5, 0x7800000, v5
	v_cmp_gt_u32_e32 vcc, s1, v3
	v_bfe_i32 v4, v4, 0, 16
	v_cndmask_b32_e32 v3, v5, v6, vcc
	s_brev_b32 s0, 1
	v_and_or_b32 v3, v4, s0, v3
	v_cvt_i32_f32_e32 v3, v3
.LBB63_468:
	s_mov_b64 s[8:9], 0
	s_mov_b64 s[0:1], -1
.LBB63_469:
	s_andn2_b64 vcc, exec, s[8:9]
	s_cbranch_vccnz .LBB63_482
; %bb.470:
	s_cmp_gt_i32 s10, 14
	s_cbranch_scc0 .LBB63_473
; %bb.471:
	s_cmp_eq_u32 s10, 15
	s_cbranch_scc0 .LBB63_476
; %bb.472:
	global_load_ushort v3, v[1:2], off
	s_mov_b64 s[0:1], -1
	s_mov_b64 s[2:3], 0
	s_waitcnt vmcnt(0)
	v_lshlrev_b32_e32 v3, 16, v3
	v_cvt_i32_f32_e32 v3, v3
	s_branch .LBB63_477
.LBB63_473:
	s_mov_b64 s[8:9], -1
                                        ; implicit-def: $vgpr3
	s_branch .LBB63_478
.LBB63_474:
	s_andn2_saveexec_b64 s[0:1], s[0:1]
	s_cbranch_execz .LBB63_455
.LBB63_475:
	v_cmp_ne_u16_e32 vcc, 0, v4
	s_andn2_b64 s[8:9], s[8:9], exec
	s_and_b64 s[12:13], vcc, exec
	s_or_b64 s[8:9], s[8:9], s[12:13]
	s_or_b64 exec, exec, s[0:1]
	v_mov_b32_e32 v3, 0
	s_and_saveexec_b64 s[0:1], s[8:9]
	s_cbranch_execnz .LBB63_456
	s_branch .LBB63_457
.LBB63_476:
	s_mov_b64 s[2:3], -1
                                        ; implicit-def: $vgpr3
.LBB63_477:
	s_mov_b64 s[8:9], 0
.LBB63_478:
	s_and_b64 vcc, exec, s[8:9]
	s_cbranch_vccz .LBB63_482
; %bb.479:
	s_cmp_eq_u32 s10, 11
	s_cbranch_scc0 .LBB63_481
; %bb.480:
	global_load_ubyte v3, v[1:2], off
	s_mov_b64 s[0:1], -1
	s_mov_b64 s[2:3], 0
	s_waitcnt vmcnt(0)
	v_cmp_ne_u16_e32 vcc, 0, v3
	v_cndmask_b32_e64 v3, 0, 1, vcc
	s_branch .LBB63_482
.LBB63_481:
	s_mov_b64 s[2:3], -1
                                        ; implicit-def: $vgpr3
.LBB63_482:
	s_branch .LBB63_289
.LBB63_483:
	s_cmp_lt_i32 s10, 5
	s_cbranch_scc1 .LBB63_488
; %bb.484:
	s_cmp_lt_i32 s10, 8
	s_cbranch_scc1 .LBB63_489
; %bb.485:
	;; [unrolled: 3-line block ×3, first 2 shown]
	s_cmp_gt_i32 s10, 9
	s_cbranch_scc0 .LBB63_491
; %bb.487:
	global_load_dwordx2 v[3:4], v[1:2], off
	s_mov_b64 s[0:1], 0
	s_waitcnt vmcnt(0)
	v_cvt_i32_f64_e32 v3, v[3:4]
	s_branch .LBB63_492
.LBB63_488:
	s_mov_b64 s[0:1], -1
                                        ; implicit-def: $vgpr3
	s_branch .LBB63_510
.LBB63_489:
	s_mov_b64 s[0:1], -1
                                        ; implicit-def: $vgpr3
	s_branch .LBB63_498
.LBB63_490:
	s_mov_b64 s[0:1], -1
                                        ; implicit-def: $vgpr3
	s_branch .LBB63_495
.LBB63_491:
	s_mov_b64 s[0:1], -1
                                        ; implicit-def: $vgpr3
.LBB63_492:
	s_andn2_b64 vcc, exec, s[0:1]
	s_cbranch_vccnz .LBB63_494
; %bb.493:
	global_load_dword v3, v[1:2], off
	s_waitcnt vmcnt(0)
	v_cvt_i32_f32_e32 v3, v3
.LBB63_494:
	s_mov_b64 s[0:1], 0
.LBB63_495:
	s_andn2_b64 vcc, exec, s[0:1]
	s_cbranch_vccnz .LBB63_497
; %bb.496:
	global_load_dword v3, v[1:2], off
	s_waitcnt vmcnt(0)
	v_cvt_f32_f16_e32 v3, v3
	v_cvt_i32_f32_e32 v3, v3
.LBB63_497:
	s_mov_b64 s[0:1], 0
.LBB63_498:
	s_andn2_b64 vcc, exec, s[0:1]
	s_cbranch_vccnz .LBB63_509
; %bb.499:
	s_cmp_lt_i32 s10, 6
	s_cbranch_scc1 .LBB63_502
; %bb.500:
	s_cmp_gt_i32 s10, 6
	s_cbranch_scc0 .LBB63_503
; %bb.501:
	global_load_dwordx2 v[3:4], v[1:2], off
	s_mov_b64 s[0:1], 0
	s_waitcnt vmcnt(0)
	v_cvt_i32_f64_e32 v3, v[3:4]
	s_branch .LBB63_504
.LBB63_502:
	s_mov_b64 s[0:1], -1
                                        ; implicit-def: $vgpr3
	s_branch .LBB63_507
.LBB63_503:
	s_mov_b64 s[0:1], -1
                                        ; implicit-def: $vgpr3
.LBB63_504:
	s_andn2_b64 vcc, exec, s[0:1]
	s_cbranch_vccnz .LBB63_506
; %bb.505:
	global_load_dword v3, v[1:2], off
	s_waitcnt vmcnt(0)
	v_cvt_i32_f32_e32 v3, v3
.LBB63_506:
	s_mov_b64 s[0:1], 0
.LBB63_507:
	s_andn2_b64 vcc, exec, s[0:1]
	s_cbranch_vccnz .LBB63_509
; %bb.508:
	global_load_ushort v3, v[1:2], off
	s_waitcnt vmcnt(0)
	v_cvt_f32_f16_e32 v3, v3
	v_cvt_i32_f32_e32 v3, v3
.LBB63_509:
	s_mov_b64 s[0:1], 0
.LBB63_510:
	s_andn2_b64 vcc, exec, s[0:1]
	s_cbranch_vccnz .LBB63_530
; %bb.511:
	s_cmp_lt_i32 s10, 2
	s_cbranch_scc1 .LBB63_515
; %bb.512:
	s_cmp_lt_i32 s10, 3
	s_cbranch_scc1 .LBB63_516
; %bb.513:
	s_cmp_gt_i32 s10, 3
	s_cbranch_scc0 .LBB63_517
; %bb.514:
	global_load_dword v3, v[1:2], off
	s_mov_b64 s[0:1], 0
	s_branch .LBB63_518
.LBB63_515:
	s_mov_b64 s[0:1], -1
                                        ; implicit-def: $vgpr3
	s_branch .LBB63_524
.LBB63_516:
	s_mov_b64 s[0:1], -1
                                        ; implicit-def: $vgpr3
	s_branch .LBB63_521
.LBB63_517:
	s_mov_b64 s[0:1], -1
                                        ; implicit-def: $vgpr3
.LBB63_518:
	s_andn2_b64 vcc, exec, s[0:1]
	s_cbranch_vccnz .LBB63_520
; %bb.519:
	global_load_dword v3, v[1:2], off
.LBB63_520:
	s_mov_b64 s[0:1], 0
.LBB63_521:
	s_andn2_b64 vcc, exec, s[0:1]
	s_cbranch_vccnz .LBB63_523
; %bb.522:
	global_load_sshort v3, v[1:2], off
.LBB63_523:
	s_mov_b64 s[0:1], 0
.LBB63_524:
	s_andn2_b64 vcc, exec, s[0:1]
	s_cbranch_vccnz .LBB63_530
; %bb.525:
	s_cmp_gt_i32 s10, 0
	s_cbranch_scc0 .LBB63_527
; %bb.526:
	global_load_sbyte v3, v[1:2], off
	s_mov_b64 s[0:1], 0
	s_branch .LBB63_528
.LBB63_527:
	s_mov_b64 s[0:1], -1
                                        ; implicit-def: $vgpr3
.LBB63_528:
	s_andn2_b64 vcc, exec, s[0:1]
	s_cbranch_vccnz .LBB63_530
; %bb.529:
	global_load_ubyte v3, v[1:2], off
.LBB63_530:
	s_branch .LBB63_290
.LBB63_531:
	s_mov_b64 s[8:9], 0
	s_mov_b64 s[0:1], s[56:57]
.LBB63_532:
                                        ; implicit-def: $vgpr8
.LBB63_533:
	s_andn2_b64 s[10:11], s[56:57], exec
	s_and_b64 s[0:1], s[0:1], exec
	s_or_b64 s[64:65], s[10:11], s[0:1]
	s_andn2_b64 s[0:1], s[58:59], exec
	s_and_b64 s[2:3], s[2:3], exec
	s_or_b64 s[62:63], s[0:1], s[2:3]
	s_orn2_b64 s[0:1], s[8:9], exec
.LBB63_534:
	s_or_b64 exec, exec, s[66:67]
	s_mov_b64 s[2:3], 0
	s_mov_b64 s[8:9], 0
	;; [unrolled: 1-line block ×3, first 2 shown]
                                        ; implicit-def: $vgpr1_vgpr2
                                        ; implicit-def: $vgpr0
                                        ; implicit-def: $vgpr5
	s_and_saveexec_b64 s[66:67], s[0:1]
	s_cbranch_execz .LBB63_901
; %bb.535:
	v_cmp_gt_i32_e32 vcc, s74, v8
	s_mov_b64 s[2:3], -1
	s_mov_b64 s[70:71], s[62:63]
	s_mov_b64 s[72:73], s[64:65]
	s_and_saveexec_b64 s[68:69], vcc
	s_cbranch_execz .LBB63_805
; %bb.536:
	s_andn2_b64 vcc, exec, s[40:41]
	s_cbranch_vccnz .LBB63_541
; %bb.537:
	s_andn2_b64 vcc, exec, s[54:55]
	s_cbranch_vccnz .LBB63_542
; %bb.538:
	s_add_i32 s79, s78, 1
	s_cmp_eq_u32 s76, 2
	s_cbranch_scc1 .LBB63_543
; %bb.539:
	s_and_b32 s75, s79, 28
	v_mov_b32_e32 v2, 0
	s_mov_b32 s80, 0
	s_mov_b64 s[70:71], s[34:35]
	s_mov_b64 s[72:73], s[52:53]
	v_mov_b32_e32 v0, 0
	v_mov_b32_e32 v1, v8
.LBB63_540:                             ; =>This Inner Loop Header: Depth=1
	s_load_dwordx8 s[16:23], s[70:71], 0x4
	s_load_dwordx4 s[0:3], s[70:71], 0x24
	s_load_dwordx8 s[8:15], s[72:73], 0x0
	s_add_u32 s70, s70, 48
	s_addc_u32 s71, s71, 0
	s_waitcnt vmcnt(0) lgkmcnt(0)
	v_mul_hi_u32 v3, s17, v1
	s_add_i32 s80, s80, 4
	s_add_u32 s72, s72, 32
	s_addc_u32 s73, s73, 0
	v_add_u32_e32 v3, v1, v3
	v_lshrrev_b32_e32 v3, s18, v3
	v_mul_lo_u32 v4, v3, s16
	v_mul_hi_u32 v5, s20, v3
	s_cmp_eq_u32 s75, s80
	v_sub_u32_e32 v1, v1, v4
	v_add_u32_e32 v4, v3, v5
	v_mul_lo_u32 v5, v1, s8
	v_mul_lo_u32 v6, v1, s9
	v_lshrrev_b32_e32 v1, s21, v4
	v_mul_lo_u32 v4, v1, s19
	v_mul_hi_u32 v7, s23, v1
	v_sub_u32_e32 v3, v3, v4
	v_add_u32_e32 v4, v1, v7
	v_lshrrev_b32_e32 v4, s0, v4
	v_mul_hi_u32 v9, s2, v4
	v_mul_lo_u32 v10, v4, s22
	v_mul_lo_u32 v7, v3, s10
	;; [unrolled: 1-line block ×3, first 2 shown]
	v_sub_u32_e32 v10, v1, v10
	v_add_u32_e32 v1, v4, v9
	v_lshrrev_b32_e32 v1, s3, v1
	v_mul_lo_u32 v9, v1, s1
	v_mul_lo_u32 v11, v10, s12
	;; [unrolled: 1-line block ×3, first 2 shown]
	v_add3_u32 v0, v5, v0, v7
	v_sub_u32_e32 v4, v4, v9
	v_mul_lo_u32 v9, v4, s14
	v_mul_lo_u32 v4, v4, s15
	v_add3_u32 v2, v6, v2, v3
	v_add3_u32 v0, v11, v0, v9
	;; [unrolled: 1-line block ×3, first 2 shown]
	s_cbranch_scc0 .LBB63_540
	s_branch .LBB63_544
.LBB63_541:
	s_mov_b64 s[0:1], -1
                                        ; implicit-def: $vgpr0
                                        ; implicit-def: $vgpr2
	s_branch .LBB63_548
.LBB63_542:
	v_mov_b32_e32 v0, 0
	v_mov_b32_e32 v2, 0
	s_branch .LBB63_547
.LBB63_543:
	s_mov_b32 s75, 0
	v_mov_b32_e32 v0, 0
	v_mov_b32_e32 v2, 0
	;; [unrolled: 1-line block ×3, first 2 shown]
.LBB63_544:
	s_and_b32 s8, s79, 3
	s_cmp_eq_u32 s8, 0
	s_cbranch_scc1 .LBB63_547
; %bb.545:
	s_lshl_b32 s0, s75, 3
	s_add_u32 s0, s34, s0
	s_addc_u32 s1, s35, 0
	s_add_u32 s0, s0, 0xc4
	s_addc_u32 s1, s1, 0
	s_mul_i32 s2, s75, 12
	s_add_u32 s2, s34, s2
	s_addc_u32 s3, s35, 0
.LBB63_546:                             ; =>This Inner Loop Header: Depth=1
	s_load_dwordx2 s[10:11], s[2:3], 0x4
	s_load_dword s9, s[2:3], 0xc
	s_load_dwordx2 s[12:13], s[0:1], 0x0
	s_add_u32 s2, s2, 12
	s_addc_u32 s3, s3, 0
	s_waitcnt vmcnt(0) lgkmcnt(0)
	v_mul_hi_u32 v3, s11, v1
	s_add_u32 s0, s0, 8
	s_addc_u32 s1, s1, 0
	s_add_i32 s8, s8, -1
	v_add_u32_e32 v3, v1, v3
	v_lshrrev_b32_e32 v4, s9, v3
	v_mul_lo_u32 v3, v4, s10
	s_cmp_lg_u32 s8, 0
	v_sub_u32_e32 v3, v1, v3
	v_mad_u64_u32 v[0:1], s[10:11], v3, s12, v[0:1]
	v_mad_u64_u32 v[2:3], s[10:11], v3, s13, v[2:3]
	v_mov_b32_e32 v1, v4
	s_cbranch_scc1 .LBB63_546
.LBB63_547:
	s_mov_b64 s[0:1], 0
.LBB63_548:
	s_andn2_b64 vcc, exec, s[0:1]
	s_cbranch_vccnz .LBB63_551
; %bb.549:
	v_mul_hi_u32 v0, s29, v8
	s_andn2_b64 vcc, exec, s[50:51]
	v_add_u32_e32 v0, v8, v0
	v_lshrrev_b32_e32 v1, s30, v0
	v_mul_lo_u32 v0, v1, s28
	v_sub_u32_e32 v2, v8, v0
	v_mul_lo_u32 v0, v2, s36
	v_mul_lo_u32 v2, v2, s37
	s_cbranch_vccnz .LBB63_551
; %bb.550:
	s_waitcnt vmcnt(0)
	v_mul_hi_u32 v3, s48, v1
	v_add_u32_e32 v3, v1, v3
	v_lshrrev_b32_e32 v3, s49, v3
	v_mul_lo_u32 v3, v3, s31
	v_sub_u32_e32 v3, v1, v3
	v_mad_u64_u32 v[0:1], s[0:1], v3, s38, v[0:1]
	v_mad_u64_u32 v[2:3], s[0:1], v3, s39, v[2:3]
.LBB63_551:
	s_waitcnt vmcnt(0)
	v_mov_b32_e32 v3, s27
	s_and_b32 s10, 0xffff, s77
	v_add_co_u32_e32 v1, vcc, s26, v2
	s_cmp_lt_i32 s10, 11
	v_addc_co_u32_e32 v2, vcc, 0, v3, vcc
	s_cbranch_scc1 .LBB63_558
; %bb.552:
	s_cmp_gt_i32 s10, 25
	s_cbranch_scc0 .LBB63_559
; %bb.553:
	s_cmp_gt_i32 s10, 28
	s_cbranch_scc0 .LBB63_560
; %bb.554:
	s_cmp_gt_i32 s10, 43
	s_cbranch_scc0 .LBB63_561
; %bb.555:
	s_cmp_gt_i32 s10, 45
	s_cbranch_scc0 .LBB63_564
; %bb.556:
	s_cmp_eq_u32 s10, 46
	s_mov_b64 s[8:9], 0
	s_cbranch_scc0 .LBB63_567
; %bb.557:
	global_load_dword v3, v[1:2], off
	s_mov_b64 s[0:1], -1
	s_mov_b64 s[2:3], 0
	s_waitcnt vmcnt(0)
	v_lshlrev_b32_e32 v3, 16, v3
	v_cvt_i32_f32_e32 v3, v3
	s_branch .LBB63_568
.LBB63_558:
	s_mov_b64 s[8:9], -1
	s_mov_b64 s[0:1], 0
                                        ; implicit-def: $vgpr3
	s_mov_b64 s[2:3], s[62:63]
	s_branch .LBB63_629
.LBB63_559:
	s_mov_b64 s[8:9], -1
	s_mov_b64 s[0:1], 0
	s_mov_b64 s[2:3], s[62:63]
                                        ; implicit-def: $vgpr3
	s_branch .LBB63_595
.LBB63_560:
	s_mov_b64 s[8:9], -1
	s_mov_b64 s[0:1], 0
	s_mov_b64 s[2:3], s[62:63]
                                        ; implicit-def: $vgpr3
	s_branch .LBB63_578
.LBB63_561:
	s_mov_b64 s[8:9], -1
	s_mov_b64 s[0:1], 0
	s_mov_b64 s[2:3], s[62:63]
                                        ; implicit-def: $vgpr3
	s_branch .LBB63_573
.LBB63_562:
	s_andn2_saveexec_b64 s[12:13], s[12:13]
	s_cbranch_execz .LBB63_335
.LBB63_563:
	s_mov_b32 s16, 0x46000000
	v_add_f32_e64 v2, |v0|, s16
	v_and_b32_e32 v2, 0xff, v2
	v_cmp_ne_u32_e32 vcc, 0, v2
	s_andn2_b64 s[10:11], s[10:11], exec
	s_and_b64 s[16:17], vcc, exec
	s_or_b64 s[10:11], s[10:11], s[16:17]
	s_or_b64 exec, exec, s[12:13]
	v_mov_b32_e32 v5, 0
	s_and_saveexec_b64 s[12:13], s[10:11]
	s_cbranch_execnz .LBB63_336
	s_branch .LBB63_337
.LBB63_564:
	s_mov_b64 s[8:9], -1
	s_mov_b64 s[0:1], 0
	s_mov_b64 s[2:3], s[62:63]
                                        ; implicit-def: $vgpr3
	s_branch .LBB63_568
.LBB63_565:
	s_andn2_saveexec_b64 s[12:13], s[12:13]
	s_cbranch_execz .LBB63_348
.LBB63_566:
	s_mov_b32 s16, 0x42800000
	v_add_f32_e64 v2, |v0|, s16
	v_and_b32_e32 v2, 0xff, v2
	v_cmp_ne_u32_e32 vcc, 0, v2
	s_andn2_b64 s[10:11], s[10:11], exec
	s_and_b64 s[16:17], vcc, exec
	s_or_b64 s[10:11], s[10:11], s[16:17]
	s_or_b64 exec, exec, s[12:13]
	v_mov_b32_e32 v5, 0
	s_and_saveexec_b64 s[12:13], s[10:11]
	s_cbranch_execnz .LBB63_349
	s_branch .LBB63_350
.LBB63_567:
	s_mov_b64 s[2:3], -1
                                        ; implicit-def: $vgpr3
	s_mov_b64 s[0:1], 0
.LBB63_568:
	s_and_b64 vcc, exec, s[8:9]
	s_cbranch_vccz .LBB63_572
; %bb.569:
	s_cmp_eq_u32 s10, 44
	s_cbranch_scc0 .LBB63_571
; %bb.570:
	global_load_ubyte v3, v[1:2], off
	s_mov_b64 s[0:1], -1
	s_mov_b64 s[2:3], 0
	s_waitcnt vmcnt(0)
	v_lshlrev_b32_e32 v4, 23, v3
	v_cvt_i32_f32_e32 v4, v4
	v_cmp_ne_u32_e32 vcc, 0, v3
	v_cndmask_b32_e32 v3, 0, v4, vcc
	s_branch .LBB63_572
.LBB63_571:
	s_mov_b64 s[2:3], -1
                                        ; implicit-def: $vgpr3
.LBB63_572:
	s_mov_b64 s[8:9], 0
.LBB63_573:
	s_and_b64 vcc, exec, s[8:9]
	s_cbranch_vccz .LBB63_577
; %bb.574:
	s_cmp_eq_u32 s10, 29
	s_cbranch_scc0 .LBB63_576
; %bb.575:
	global_load_dword v3, v[1:2], off
	s_mov_b64 s[0:1], -1
	s_mov_b64 s[2:3], 0
	s_branch .LBB63_577
.LBB63_576:
	s_mov_b64 s[2:3], -1
                                        ; implicit-def: $vgpr3
.LBB63_577:
	s_mov_b64 s[8:9], 0
.LBB63_578:
	s_and_b64 vcc, exec, s[8:9]
	s_cbranch_vccz .LBB63_594
; %bb.579:
	s_cmp_lt_i32 s10, 27
	s_cbranch_scc1 .LBB63_582
; %bb.580:
	s_cmp_gt_i32 s10, 27
	s_cbranch_scc0 .LBB63_583
; %bb.581:
	global_load_dword v3, v[1:2], off
	s_mov_b64 s[0:1], 0
	s_branch .LBB63_584
.LBB63_582:
	s_mov_b64 s[0:1], -1
                                        ; implicit-def: $vgpr3
	s_branch .LBB63_587
.LBB63_583:
	s_mov_b64 s[0:1], -1
                                        ; implicit-def: $vgpr3
.LBB63_584:
	s_andn2_b64 vcc, exec, s[0:1]
	s_cbranch_vccnz .LBB63_586
; %bb.585:
	global_load_ushort v3, v[1:2], off
.LBB63_586:
	s_mov_b64 s[0:1], 0
.LBB63_587:
	s_andn2_b64 vcc, exec, s[0:1]
	s_cbranch_vccnz .LBB63_593
; %bb.588:
	global_load_ubyte v4, v[1:2], off
	s_movk_i32 s0, 0x7f
	s_mov_b64 s[8:9], 0
	s_waitcnt vmcnt(0)
	v_cmp_lt_i16_e32 vcc, s0, v4
	s_and_saveexec_b64 s[0:1], vcc
	s_xor_b64 s[0:1], exec, s[0:1]
	s_cbranch_execz .LBB63_605
; %bb.589:
	s_movk_i32 s8, 0x80
	v_cmp_ne_u16_e32 vcc, s8, v4
	s_and_b64 s[8:9], vcc, exec
	s_andn2_saveexec_b64 s[0:1], s[0:1]
	s_cbranch_execnz .LBB63_606
.LBB63_590:
	s_or_b64 exec, exec, s[0:1]
	v_mov_b32_e32 v3, 0
	s_and_saveexec_b64 s[0:1], s[8:9]
	s_cbranch_execz .LBB63_592
.LBB63_591:
	v_lshlrev_b32_e32 v3, 24, v4
	v_and_b32_e32 v4, 0xffff, v4
	v_and_b32_e32 v5, 7, v4
	v_ffbh_u32_e32 v7, v5
	v_min_u32_e32 v7, 32, v7
	v_subrev_u32_e32 v9, 28, v7
	v_bfe_u32 v6, v4, 3, 4
	v_lshlrev_b32_e32 v4, v9, v4
	v_sub_u32_e32 v7, 29, v7
	v_and_b32_e32 v4, 7, v4
	v_cmp_eq_u32_e32 vcc, 0, v6
	v_cndmask_b32_e32 v6, v6, v7, vcc
	v_cndmask_b32_e32 v4, v5, v4, vcc
	v_mov_b32_e32 v5, 0x3b800000
	v_lshlrev_b32_e32 v4, 20, v4
	v_and_b32_e32 v3, 0x80000000, v3
	v_lshl_add_u32 v5, v6, 23, v5
	v_or3_b32 v3, v3, v5, v4
	v_cvt_i32_f32_e32 v3, v3
.LBB63_592:
	s_or_b64 exec, exec, s[0:1]
.LBB63_593:
	s_mov_b64 s[0:1], -1
.LBB63_594:
	s_mov_b64 s[8:9], 0
.LBB63_595:
	s_and_b64 vcc, exec, s[8:9]
	s_cbranch_vccz .LBB63_628
; %bb.596:
	s_cmp_gt_i32 s10, 22
	s_cbranch_scc0 .LBB63_604
; %bb.597:
	s_cmp_lt_i32 s10, 24
	s_cbranch_scc1 .LBB63_607
; %bb.598:
	s_cmp_gt_i32 s10, 24
	s_cbranch_scc0 .LBB63_608
; %bb.599:
	global_load_ubyte v4, v[1:2], off
	s_movk_i32 s0, 0x7f
	s_mov_b64 s[8:9], 0
	s_waitcnt vmcnt(0)
	v_cmp_lt_i16_e32 vcc, s0, v4
	s_and_saveexec_b64 s[0:1], vcc
	s_xor_b64 s[0:1], exec, s[0:1]
	s_cbranch_execz .LBB63_620
; %bb.600:
	s_movk_i32 s8, 0x80
	v_cmp_ne_u16_e32 vcc, s8, v4
	s_and_b64 s[8:9], vcc, exec
	s_andn2_saveexec_b64 s[0:1], s[0:1]
	s_cbranch_execnz .LBB63_621
.LBB63_601:
	s_or_b64 exec, exec, s[0:1]
	v_mov_b32_e32 v3, 0
	s_and_saveexec_b64 s[0:1], s[8:9]
	s_cbranch_execz .LBB63_603
.LBB63_602:
	v_lshlrev_b32_e32 v3, 24, v4
	v_and_b32_e32 v4, 0xffff, v4
	v_and_b32_e32 v5, 3, v4
	v_ffbh_u32_e32 v7, v5
	v_min_u32_e32 v7, 32, v7
	v_subrev_u32_e32 v9, 29, v7
	v_bfe_u32 v6, v4, 2, 5
	v_lshlrev_b32_e32 v4, v9, v4
	v_sub_u32_e32 v7, 30, v7
	v_and_b32_e32 v4, 3, v4
	v_cmp_eq_u32_e32 vcc, 0, v6
	v_cndmask_b32_e32 v6, v6, v7, vcc
	v_cndmask_b32_e32 v4, v5, v4, vcc
	v_mov_b32_e32 v5, 0x37800000
	v_lshlrev_b32_e32 v4, 21, v4
	v_and_b32_e32 v3, 0x80000000, v3
	v_lshl_add_u32 v5, v6, 23, v5
	v_or3_b32 v3, v3, v5, v4
	v_cvt_i32_f32_e32 v3, v3
.LBB63_603:
	s_or_b64 exec, exec, s[0:1]
	s_mov_b64 s[0:1], 0
	s_branch .LBB63_609
.LBB63_604:
	s_mov_b64 s[8:9], -1
                                        ; implicit-def: $vgpr3
	s_branch .LBB63_615
.LBB63_605:
	s_andn2_saveexec_b64 s[0:1], s[0:1]
	s_cbranch_execz .LBB63_590
.LBB63_606:
	v_cmp_ne_u16_e32 vcc, 0, v4
	s_andn2_b64 s[8:9], s[8:9], exec
	s_and_b64 s[12:13], vcc, exec
	s_or_b64 s[8:9], s[8:9], s[12:13]
	s_or_b64 exec, exec, s[0:1]
	v_mov_b32_e32 v3, 0
	s_and_saveexec_b64 s[0:1], s[8:9]
	s_cbranch_execnz .LBB63_591
	s_branch .LBB63_592
.LBB63_607:
	s_mov_b64 s[0:1], -1
                                        ; implicit-def: $vgpr3
	s_branch .LBB63_612
.LBB63_608:
	s_mov_b64 s[0:1], -1
                                        ; implicit-def: $vgpr3
.LBB63_609:
	s_and_b64 vcc, exec, s[0:1]
	s_cbranch_vccz .LBB63_611
; %bb.610:
	global_load_ubyte v3, v[1:2], off
	s_mov_b32 s0, 0x7f800000
	s_waitcnt vmcnt(0)
	v_lshlrev_b32_e32 v3, 24, v3
	v_and_b32_e32 v4, 0x7f000000, v3
	v_ffbh_u32_e32 v5, v4
	v_min_u32_e32 v5, 32, v5
	v_sub_u32_e64 v5, v5, 4 clamp
	v_lshlrev_b32_e32 v7, v5, v4
	v_lshlrev_b32_e32 v5, 23, v5
	v_lshrrev_b32_e32 v7, 4, v7
	v_add_u32_e32 v6, 0x1000000, v4
	v_sub_u32_e32 v5, v7, v5
	v_ashrrev_i32_e32 v6, 8, v6
	v_add_u32_e32 v5, 0x3c000000, v5
	v_and_or_b32 v5, v6, s0, v5
	v_cmp_ne_u32_e32 vcc, 0, v4
	v_cndmask_b32_e32 v4, 0, v5, vcc
	s_brev_b32 s0, 1
	v_and_or_b32 v3, v3, s0, v4
	v_cvt_i32_f32_e32 v3, v3
.LBB63_611:
	s_mov_b64 s[0:1], 0
.LBB63_612:
	s_andn2_b64 vcc, exec, s[0:1]
	s_cbranch_vccnz .LBB63_614
; %bb.613:
	global_load_ubyte v3, v[1:2], off
	s_movk_i32 s0, 0x7f00
	s_brev_b32 s1, 16
	s_waitcnt vmcnt(0)
	v_lshlrev_b16_e32 v4, 8, v3
	v_lshlrev_b32_e32 v3, 25, v3
	v_lshrrev_b32_e32 v5, 4, v3
	v_and_or_b32 v6, v4, s0, 0.5
	v_or_b32_e32 v5, 0x70000000, v5
	v_add_f32_e32 v6, -0.5, v6
	v_mul_f32_e32 v5, 0x7800000, v5
	v_cmp_gt_u32_e32 vcc, s1, v3
	v_bfe_i32 v4, v4, 0, 16
	v_cndmask_b32_e32 v3, v5, v6, vcc
	s_brev_b32 s0, 1
	v_and_or_b32 v3, v4, s0, v3
	v_cvt_i32_f32_e32 v3, v3
.LBB63_614:
	s_mov_b64 s[8:9], 0
	s_mov_b64 s[0:1], -1
.LBB63_615:
	s_andn2_b64 vcc, exec, s[8:9]
	s_cbranch_vccnz .LBB63_628
; %bb.616:
	s_cmp_gt_i32 s10, 14
	s_cbranch_scc0 .LBB63_619
; %bb.617:
	s_cmp_eq_u32 s10, 15
	s_cbranch_scc0 .LBB63_622
; %bb.618:
	global_load_ushort v3, v[1:2], off
	s_mov_b64 s[0:1], -1
	s_mov_b64 s[2:3], 0
	s_waitcnt vmcnt(0)
	v_lshlrev_b32_e32 v3, 16, v3
	v_cvt_i32_f32_e32 v3, v3
	s_branch .LBB63_623
.LBB63_619:
	s_mov_b64 s[8:9], -1
                                        ; implicit-def: $vgpr3
	s_branch .LBB63_624
.LBB63_620:
	s_andn2_saveexec_b64 s[0:1], s[0:1]
	s_cbranch_execz .LBB63_601
.LBB63_621:
	v_cmp_ne_u16_e32 vcc, 0, v4
	s_andn2_b64 s[8:9], s[8:9], exec
	s_and_b64 s[12:13], vcc, exec
	s_or_b64 s[8:9], s[8:9], s[12:13]
	s_or_b64 exec, exec, s[0:1]
	v_mov_b32_e32 v3, 0
	s_and_saveexec_b64 s[0:1], s[8:9]
	s_cbranch_execnz .LBB63_602
	s_branch .LBB63_603
.LBB63_622:
	s_mov_b64 s[2:3], -1
                                        ; implicit-def: $vgpr3
.LBB63_623:
	s_mov_b64 s[8:9], 0
.LBB63_624:
	s_and_b64 vcc, exec, s[8:9]
	s_cbranch_vccz .LBB63_628
; %bb.625:
	s_cmp_eq_u32 s10, 11
	s_cbranch_scc0 .LBB63_627
; %bb.626:
	global_load_ubyte v3, v[1:2], off
	s_mov_b64 s[0:1], -1
	s_mov_b64 s[2:3], 0
	s_waitcnt vmcnt(0)
	v_cmp_ne_u16_e32 vcc, 0, v3
	v_cndmask_b32_e64 v3, 0, 1, vcc
	s_branch .LBB63_628
.LBB63_627:
	s_mov_b64 s[2:3], -1
                                        ; implicit-def: $vgpr3
.LBB63_628:
	s_mov_b64 s[8:9], 0
.LBB63_629:
	s_and_b64 vcc, exec, s[8:9]
	s_cbranch_vccz .LBB63_678
; %bb.630:
	s_cmp_lt_i32 s10, 5
	s_cbranch_scc1 .LBB63_635
; %bb.631:
	s_cmp_lt_i32 s10, 8
	s_cbranch_scc1 .LBB63_636
	;; [unrolled: 3-line block ×3, first 2 shown]
; %bb.633:
	s_cmp_gt_i32 s10, 9
	s_cbranch_scc0 .LBB63_638
; %bb.634:
	global_load_dwordx2 v[3:4], v[1:2], off
	s_mov_b64 s[0:1], 0
	s_waitcnt vmcnt(0)
	v_cvt_i32_f64_e32 v3, v[3:4]
	s_branch .LBB63_639
.LBB63_635:
	s_mov_b64 s[0:1], -1
                                        ; implicit-def: $vgpr3
	s_branch .LBB63_657
.LBB63_636:
	s_mov_b64 s[0:1], -1
                                        ; implicit-def: $vgpr3
	s_branch .LBB63_645
.LBB63_637:
	s_mov_b64 s[0:1], -1
                                        ; implicit-def: $vgpr3
	s_branch .LBB63_642
.LBB63_638:
	s_mov_b64 s[0:1], -1
                                        ; implicit-def: $vgpr3
.LBB63_639:
	s_andn2_b64 vcc, exec, s[0:1]
	s_cbranch_vccnz .LBB63_641
; %bb.640:
	global_load_dword v3, v[1:2], off
	s_waitcnt vmcnt(0)
	v_cvt_i32_f32_e32 v3, v3
.LBB63_641:
	s_mov_b64 s[0:1], 0
.LBB63_642:
	s_andn2_b64 vcc, exec, s[0:1]
	s_cbranch_vccnz .LBB63_644
; %bb.643:
	global_load_dword v3, v[1:2], off
	s_waitcnt vmcnt(0)
	v_cvt_f32_f16_e32 v3, v3
	v_cvt_i32_f32_e32 v3, v3
.LBB63_644:
	s_mov_b64 s[0:1], 0
.LBB63_645:
	s_andn2_b64 vcc, exec, s[0:1]
	s_cbranch_vccnz .LBB63_656
; %bb.646:
	s_cmp_lt_i32 s10, 6
	s_cbranch_scc1 .LBB63_649
; %bb.647:
	s_cmp_gt_i32 s10, 6
	s_cbranch_scc0 .LBB63_650
; %bb.648:
	global_load_dwordx2 v[3:4], v[1:2], off
	s_mov_b64 s[0:1], 0
	s_waitcnt vmcnt(0)
	v_cvt_i32_f64_e32 v3, v[3:4]
	s_branch .LBB63_651
.LBB63_649:
	s_mov_b64 s[0:1], -1
                                        ; implicit-def: $vgpr3
	s_branch .LBB63_654
.LBB63_650:
	s_mov_b64 s[0:1], -1
                                        ; implicit-def: $vgpr3
.LBB63_651:
	s_andn2_b64 vcc, exec, s[0:1]
	s_cbranch_vccnz .LBB63_653
; %bb.652:
	global_load_dword v3, v[1:2], off
	s_waitcnt vmcnt(0)
	v_cvt_i32_f32_e32 v3, v3
.LBB63_653:
	s_mov_b64 s[0:1], 0
.LBB63_654:
	s_andn2_b64 vcc, exec, s[0:1]
	s_cbranch_vccnz .LBB63_656
; %bb.655:
	global_load_ushort v3, v[1:2], off
	s_waitcnt vmcnt(0)
	v_cvt_f32_f16_e32 v3, v3
	v_cvt_i32_f32_e32 v3, v3
.LBB63_656:
	s_mov_b64 s[0:1], 0
.LBB63_657:
	s_andn2_b64 vcc, exec, s[0:1]
	s_cbranch_vccnz .LBB63_677
; %bb.658:
	s_cmp_lt_i32 s10, 2
	s_cbranch_scc1 .LBB63_662
; %bb.659:
	s_cmp_lt_i32 s10, 3
	s_cbranch_scc1 .LBB63_663
; %bb.660:
	s_cmp_gt_i32 s10, 3
	s_cbranch_scc0 .LBB63_664
; %bb.661:
	global_load_dword v3, v[1:2], off
	s_mov_b64 s[0:1], 0
	s_branch .LBB63_665
.LBB63_662:
	s_mov_b64 s[0:1], -1
                                        ; implicit-def: $vgpr3
	s_branch .LBB63_671
.LBB63_663:
	s_mov_b64 s[0:1], -1
                                        ; implicit-def: $vgpr3
	s_branch .LBB63_668
.LBB63_664:
	s_mov_b64 s[0:1], -1
                                        ; implicit-def: $vgpr3
.LBB63_665:
	s_andn2_b64 vcc, exec, s[0:1]
	s_cbranch_vccnz .LBB63_667
; %bb.666:
	global_load_dword v3, v[1:2], off
.LBB63_667:
	s_mov_b64 s[0:1], 0
.LBB63_668:
	s_andn2_b64 vcc, exec, s[0:1]
	s_cbranch_vccnz .LBB63_670
; %bb.669:
	global_load_sshort v3, v[1:2], off
.LBB63_670:
	s_mov_b64 s[0:1], 0
.LBB63_671:
	s_andn2_b64 vcc, exec, s[0:1]
	s_cbranch_vccnz .LBB63_677
; %bb.672:
	s_cmp_gt_i32 s10, 0
	s_cbranch_scc0 .LBB63_674
; %bb.673:
	global_load_sbyte v3, v[1:2], off
	s_mov_b64 s[0:1], 0
	s_branch .LBB63_675
.LBB63_674:
	s_mov_b64 s[0:1], -1
                                        ; implicit-def: $vgpr3
.LBB63_675:
	s_andn2_b64 vcc, exec, s[0:1]
	s_cbranch_vccnz .LBB63_677
; %bb.676:
	global_load_ubyte v3, v[1:2], off
.LBB63_677:
	s_mov_b64 s[0:1], -1
.LBB63_678:
	s_andn2_b64 vcc, exec, s[0:1]
	s_cbranch_vccnz .LBB63_686
; %bb.679:
	s_waitcnt vmcnt(0)
	v_lshlrev_b32_e32 v1, s44, v3
	v_mov_b32_e32 v2, s25
	s_and_b32 s14, s45, 0xff
	v_add_co_u32_e32 v3, vcc, s24, v0
	v_cndmask_b32_e64 v1, v1, 0, s[46:47]
	s_cmp_lt_i32 s14, 11
	v_addc_co_u32_e32 v4, vcc, 0, v2, vcc
	s_cbranch_scc1 .LBB63_687
; %bb.680:
	s_and_b32 s15, 0xffff, s14
	s_cmp_gt_i32 s15, 25
	s_cbranch_scc0 .LBB63_688
; %bb.681:
	s_cmp_gt_i32 s15, 28
	s_cbranch_scc0 .LBB63_689
; %bb.682:
	;; [unrolled: 3-line block ×4, first 2 shown]
	s_mov_b64 s[10:11], 0
	s_mov_b64 s[0:1], -1
	s_cmp_eq_u32 s15, 46
	s_mov_b64 s[8:9], 0
	s_cbranch_scc0 .LBB63_692
; %bb.685:
	v_cvt_f32_i32_e32 v0, v1
	s_movk_i32 s0, 0x7fff
	s_mov_b64 s[8:9], -1
	v_bfe_u32 v2, v0, 16, 1
	v_add3_u32 v0, v0, v2, s0
	v_lshrrev_b32_e32 v0, 16, v0
	global_store_dword v[3:4], v0, off
	s_mov_b64 s[0:1], 0
	s_branch .LBB63_692
.LBB63_686:
	s_mov_b64 s[8:9], 0
	s_mov_b64 s[0:1], s[64:65]
	s_branch .LBB63_803
.LBB63_687:
	s_mov_b64 s[10:11], -1
	s_mov_b64 s[8:9], 0
	s_mov_b64 s[0:1], s[64:65]
	s_branch .LBB63_761
.LBB63_688:
	s_mov_b64 s[10:11], -1
	s_mov_b64 s[8:9], 0
	s_mov_b64 s[0:1], s[64:65]
	s_branch .LBB63_719
.LBB63_689:
	s_mov_b64 s[10:11], -1
	s_mov_b64 s[8:9], 0
	s_mov_b64 s[0:1], s[64:65]
	s_branch .LBB63_702
.LBB63_690:
	s_mov_b64 s[10:11], -1
	s_mov_b64 s[8:9], 0
	s_mov_b64 s[0:1], s[64:65]
	s_branch .LBB63_698
.LBB63_691:
	s_mov_b64 s[10:11], -1
	s_mov_b64 s[8:9], 0
	s_mov_b64 s[0:1], s[64:65]
.LBB63_692:
	s_and_b64 vcc, exec, s[10:11]
	s_cbranch_vccz .LBB63_697
; %bb.693:
	s_cmp_eq_u32 s15, 44
	s_mov_b64 s[0:1], -1
	s_cbranch_scc0 .LBB63_697
; %bb.694:
	v_cvt_f32_i32_e32 v0, v1
	s_movk_i32 s0, 0xff
	v_mov_b32_e32 v5, 0xff
	v_bfe_u32 v2, v0, 23, 8
	v_cmp_ne_u32_e32 vcc, s0, v2
	s_and_saveexec_b64 s[8:9], vcc
; %bb.695:
	s_mov_b32 s0, 0x3fffff
	v_lshrrev_b32_e32 v5, 23, v0
	v_and_b32_e32 v6, 0x400000, v0
	v_and_or_b32 v0, v0, s0, v2
	v_cmp_ne_u32_e32 vcc, 0, v6
	v_cmp_ne_u32_e64 s[0:1], 0, v0
	s_and_b64 s[0:1], vcc, s[0:1]
	v_cndmask_b32_e64 v0, 0, 1, s[0:1]
	v_add_u32_e32 v5, v5, v0
; %bb.696:
	s_or_b64 exec, exec, s[8:9]
	s_mov_b64 s[8:9], -1
	s_mov_b64 s[0:1], 0
	global_store_byte v[3:4], v5, off
.LBB63_697:
	s_mov_b64 s[10:11], 0
.LBB63_698:
	s_and_b64 vcc, exec, s[10:11]
	s_cbranch_vccz .LBB63_701
; %bb.699:
	s_cmp_eq_u32 s15, 29
	s_mov_b64 s[0:1], -1
	s_cbranch_scc0 .LBB63_701
; %bb.700:
	v_ashrrev_i32_e32 v2, 31, v1
	global_store_dwordx2 v[3:4], v[1:2], off
	s_mov_b64 s[8:9], -1
	s_mov_b64 s[0:1], 0
.LBB63_701:
	s_mov_b64 s[10:11], 0
.LBB63_702:
	s_and_b64 vcc, exec, s[10:11]
	s_cbranch_vccz .LBB63_718
; %bb.703:
	s_cmp_lt_i32 s15, 27
	s_mov_b64 s[8:9], -1
	s_cbranch_scc1 .LBB63_709
; %bb.704:
	s_cmp_gt_i32 s15, 27
	s_cbranch_scc0 .LBB63_706
; %bb.705:
	s_mov_b64 s[8:9], 0
	global_store_dword v[3:4], v1, off
.LBB63_706:
	s_andn2_b64 vcc, exec, s[8:9]
	s_cbranch_vccnz .LBB63_708
; %bb.707:
	global_store_short v[3:4], v1, off
.LBB63_708:
	s_mov_b64 s[8:9], 0
.LBB63_709:
	s_andn2_b64 vcc, exec, s[8:9]
	s_cbranch_vccnz .LBB63_717
; %bb.710:
	v_cvt_f32_i32_e32 v0, v1
	s_mov_b32 s8, 0x43800000
	v_mov_b32_e32 v5, 0x80
	v_and_b32_e32 v2, 0x7fffffff, v0
	v_cmp_gt_u32_e32 vcc, s8, v2
	s_and_saveexec_b64 s[8:9], vcc
	s_cbranch_execz .LBB63_716
; %bb.711:
	s_mov_b32 s10, 0x3bffffff
	v_cmp_lt_u32_e32 vcc, s10, v2
	s_mov_b64 s[10:11], 0
                                        ; implicit-def: $vgpr2
	s_and_saveexec_b64 s[12:13], vcc
	s_xor_b64 s[12:13], exec, s[12:13]
	s_cbranch_execz .LBB63_833
; %bb.712:
	v_bfe_u32 v2, v0, 20, 1
	s_mov_b32 s16, 0x487ffff
	v_add3_u32 v2, v0, v2, s16
	s_mov_b64 s[10:11], exec
	v_lshrrev_b32_e32 v2, 20, v2
	s_andn2_saveexec_b64 s[12:13], s[12:13]
	s_cbranch_execnz .LBB63_834
.LBB63_713:
	s_or_b64 exec, exec, s[12:13]
	v_mov_b32_e32 v5, 0
	s_and_saveexec_b64 s[12:13], s[10:11]
.LBB63_714:
	v_lshrrev_b32_e32 v0, 24, v0
	s_movk_i32 s10, 0x80
	v_and_or_b32 v5, v0, s10, v2
.LBB63_715:
	s_or_b64 exec, exec, s[12:13]
.LBB63_716:
	s_or_b64 exec, exec, s[8:9]
	global_store_byte v[3:4], v5, off
.LBB63_717:
	s_mov_b64 s[8:9], -1
.LBB63_718:
	s_mov_b64 s[10:11], 0
.LBB63_719:
	s_and_b64 vcc, exec, s[10:11]
	s_cbranch_vccz .LBB63_760
; %bb.720:
	s_cmp_gt_i32 s15, 22
	s_mov_b64 s[10:11], -1
	s_cbranch_scc0 .LBB63_752
; %bb.721:
	s_cmp_lt_i32 s15, 24
	s_mov_b64 s[8:9], -1
	s_cbranch_scc1 .LBB63_741
; %bb.722:
	s_cmp_gt_i32 s15, 24
	s_cbranch_scc0 .LBB63_730
; %bb.723:
	v_cvt_f32_i32_e32 v0, v1
	s_mov_b32 s8, 0x47800000
	v_mov_b32_e32 v5, 0x80
	v_and_b32_e32 v2, 0x7fffffff, v0
	v_cmp_gt_u32_e32 vcc, s8, v2
	s_and_saveexec_b64 s[8:9], vcc
	s_cbranch_execz .LBB63_729
; %bb.724:
	s_mov_b32 s10, 0x37ffffff
	v_cmp_lt_u32_e32 vcc, s10, v2
	s_mov_b64 s[10:11], 0
                                        ; implicit-def: $vgpr2
	s_and_saveexec_b64 s[12:13], vcc
	s_xor_b64 s[12:13], exec, s[12:13]
	s_cbranch_execz .LBB63_836
; %bb.725:
	v_bfe_u32 v2, v0, 21, 1
	s_mov_b32 s16, 0x88fffff
	v_add3_u32 v2, v0, v2, s16
	s_mov_b64 s[10:11], exec
	v_lshrrev_b32_e32 v2, 21, v2
	s_andn2_saveexec_b64 s[12:13], s[12:13]
	s_cbranch_execnz .LBB63_837
.LBB63_726:
	s_or_b64 exec, exec, s[12:13]
	v_mov_b32_e32 v5, 0
	s_and_saveexec_b64 s[12:13], s[10:11]
.LBB63_727:
	v_lshrrev_b32_e32 v0, 24, v0
	s_movk_i32 s10, 0x80
	v_and_or_b32 v5, v0, s10, v2
.LBB63_728:
	s_or_b64 exec, exec, s[12:13]
.LBB63_729:
	s_or_b64 exec, exec, s[8:9]
	s_mov_b64 s[8:9], 0
	global_store_byte v[3:4], v5, off
.LBB63_730:
	s_and_b64 vcc, exec, s[8:9]
	s_cbranch_vccz .LBB63_740
; %bb.731:
	v_cvt_f32_i32_e32 v0, v1
	s_mov_b32 s8, 0x43f00000
                                        ; implicit-def: $vgpr2
	v_and_b32_e32 v5, 0x7fffffff, v0
	v_cmp_gt_u32_e32 vcc, s8, v5
	s_and_saveexec_b64 s[8:9], vcc
	s_xor_b64 s[8:9], exec, s[8:9]
	s_cbranch_execz .LBB63_737
; %bb.732:
	s_mov_b32 s10, 0x3c7fffff
	v_cmp_lt_u32_e32 vcc, s10, v5
                                        ; implicit-def: $vgpr2
	s_and_saveexec_b64 s[10:11], vcc
	s_xor_b64 s[10:11], exec, s[10:11]
; %bb.733:
	v_bfe_u32 v2, v0, 20, 1
	s_mov_b32 s12, 0x407ffff
	v_add3_u32 v2, v0, v2, s12
	v_lshrrev_b32_e32 v5, 20, v2
	v_and_b32_e32 v2, 0xff00000, v2
	s_mov_b32 s12, 0x7f00000
	v_mov_b32_e32 v6, 0x7e
	v_cmp_ne_u32_e32 vcc, s12, v2
	v_cndmask_b32_e32 v2, v6, v5, vcc
; %bb.734:
	s_andn2_saveexec_b64 s[10:11], s[10:11]
; %bb.735:
	s_mov_b32 s12, 0x46800000
	v_add_f32_e64 v2, |v0|, s12
; %bb.736:
	s_or_b64 exec, exec, s[10:11]
                                        ; implicit-def: $vgpr5
.LBB63_737:
	s_andn2_saveexec_b64 s[8:9], s[8:9]
; %bb.738:
	s_mov_b32 s10, 0x7f800000
	v_mov_b32_e32 v2, 0x7e
	v_mov_b32_e32 v6, 0x7f
	v_cmp_lt_u32_e32 vcc, s10, v5
	v_cndmask_b32_e32 v2, v2, v6, vcc
; %bb.739:
	s_or_b64 exec, exec, s[8:9]
	v_lshrrev_b32_e32 v0, 24, v0
	s_movk_i32 s8, 0x80
	v_and_or_b32 v0, v0, s8, v2
	global_store_byte v[3:4], v0, off
.LBB63_740:
	s_mov_b64 s[8:9], 0
.LBB63_741:
	s_andn2_b64 vcc, exec, s[8:9]
	s_cbranch_vccnz .LBB63_751
; %bb.742:
	v_cvt_f32_i32_e32 v0, v1
	s_mov_b32 s8, 0x47800000
                                        ; implicit-def: $vgpr2
	v_and_b32_e32 v5, 0x7fffffff, v0
	v_cmp_gt_u32_e32 vcc, s8, v5
	s_and_saveexec_b64 s[8:9], vcc
	s_xor_b64 s[8:9], exec, s[8:9]
	s_cbranch_execz .LBB63_748
; %bb.743:
	s_mov_b32 s10, 0x387fffff
	v_cmp_lt_u32_e32 vcc, s10, v5
                                        ; implicit-def: $vgpr2
	s_and_saveexec_b64 s[10:11], vcc
	s_xor_b64 s[10:11], exec, s[10:11]
; %bb.744:
	v_bfe_u32 v2, v0, 21, 1
	s_mov_b32 s12, 0x80fffff
	v_add3_u32 v2, v0, v2, s12
	v_lshrrev_b32_e32 v2, 21, v2
; %bb.745:
	s_andn2_saveexec_b64 s[10:11], s[10:11]
; %bb.746:
	s_mov_b32 s12, 0x43000000
	v_add_f32_e64 v2, |v0|, s12
; %bb.747:
	s_or_b64 exec, exec, s[10:11]
                                        ; implicit-def: $vgpr5
.LBB63_748:
	s_andn2_saveexec_b64 s[8:9], s[8:9]
; %bb.749:
	s_mov_b32 s10, 0x7f800000
	v_mov_b32_e32 v2, 0x7c
	v_mov_b32_e32 v6, 0x7f
	v_cmp_lt_u32_e32 vcc, s10, v5
	v_cndmask_b32_e32 v2, v2, v6, vcc
; %bb.750:
	s_or_b64 exec, exec, s[8:9]
	v_lshrrev_b32_e32 v0, 24, v0
	s_movk_i32 s8, 0x80
	v_and_or_b32 v0, v0, s8, v2
	global_store_byte v[3:4], v0, off
.LBB63_751:
	s_mov_b64 s[10:11], 0
	s_mov_b64 s[8:9], -1
.LBB63_752:
	s_andn2_b64 vcc, exec, s[10:11]
	s_cbranch_vccnz .LBB63_760
; %bb.753:
	s_cmp_gt_i32 s15, 14
	s_mov_b64 s[10:11], -1
	s_cbranch_scc0 .LBB63_757
; %bb.754:
	s_cmp_eq_u32 s15, 15
	s_mov_b64 s[0:1], -1
	s_cbranch_scc0 .LBB63_756
; %bb.755:
	v_cvt_f32_i32_e32 v0, v1
	s_movk_i32 s0, 0x7fff
	s_mov_b64 s[8:9], -1
	v_bfe_u32 v2, v0, 16, 1
	v_add3_u32 v0, v0, v2, s0
	global_store_short_d16_hi v[3:4], v0, off
	s_mov_b64 s[0:1], 0
.LBB63_756:
	s_mov_b64 s[10:11], 0
.LBB63_757:
	s_and_b64 vcc, exec, s[10:11]
	s_cbranch_vccz .LBB63_760
; %bb.758:
	s_cmp_eq_u32 s15, 11
	s_mov_b64 s[0:1], -1
	s_cbranch_scc0 .LBB63_760
; %bb.759:
	v_cmp_ne_u32_e32 vcc, 0, v1
	v_cndmask_b32_e64 v0, 0, 1, vcc
	s_mov_b64 s[8:9], -1
	s_mov_b64 s[0:1], 0
	global_store_byte v[3:4], v0, off
.LBB63_760:
	s_mov_b64 s[10:11], 0
.LBB63_761:
	s_and_b64 vcc, exec, s[10:11]
	s_cbranch_vccz .LBB63_800
; %bb.762:
	s_and_b32 s10, 0xffff, s14
	s_cmp_lt_i32 s10, 5
	s_mov_b64 s[8:9], -1
	s_cbranch_scc1 .LBB63_783
; %bb.763:
	s_cmp_lt_i32 s10, 8
	s_cbranch_scc1 .LBB63_773
; %bb.764:
	s_cmp_lt_i32 s10, 9
	s_cbranch_scc1 .LBB63_770
; %bb.765:
	s_cmp_gt_i32 s10, 9
	s_cbranch_scc0 .LBB63_767
; %bb.766:
	v_cvt_f64_i32_e32 v[9:10], v1
	v_mov_b32_e32 v11, 0
	v_mov_b32_e32 v12, v11
	s_mov_b64 s[8:9], 0
	global_store_dwordx4 v[3:4], v[9:12], off
.LBB63_767:
	s_andn2_b64 vcc, exec, s[8:9]
	s_cbranch_vccnz .LBB63_769
; %bb.768:
	v_cvt_f32_i32_e32 v5, v1
	v_mov_b32_e32 v6, 0
	global_store_dwordx2 v[3:4], v[5:6], off
.LBB63_769:
	s_mov_b64 s[8:9], 0
.LBB63_770:
	s_andn2_b64 vcc, exec, s[8:9]
	s_cbranch_vccnz .LBB63_772
; %bb.771:
	v_cvt_f32_i32_e32 v0, v1
	v_cvt_f16_f32_e32 v0, v0
	global_store_dword v[3:4], v0, off
.LBB63_772:
	s_mov_b64 s[8:9], 0
.LBB63_773:
	s_andn2_b64 vcc, exec, s[8:9]
	s_cbranch_vccnz .LBB63_782
; %bb.774:
	s_cmp_lt_i32 s10, 6
	s_mov_b64 s[8:9], -1
	s_cbranch_scc1 .LBB63_780
; %bb.775:
	s_cmp_gt_i32 s10, 6
	s_cbranch_scc0 .LBB63_777
; %bb.776:
	v_cvt_f64_i32_e32 v[5:6], v1
	s_mov_b64 s[8:9], 0
	global_store_dwordx2 v[3:4], v[5:6], off
.LBB63_777:
	s_andn2_b64 vcc, exec, s[8:9]
	s_cbranch_vccnz .LBB63_779
; %bb.778:
	v_cvt_f32_i32_e32 v0, v1
	global_store_dword v[3:4], v0, off
.LBB63_779:
	s_mov_b64 s[8:9], 0
.LBB63_780:
	s_andn2_b64 vcc, exec, s[8:9]
	s_cbranch_vccnz .LBB63_782
; %bb.781:
	v_cvt_f32_i32_e32 v0, v1
	v_cvt_f16_f32_e32 v0, v0
	global_store_short v[3:4], v0, off
.LBB63_782:
	s_mov_b64 s[8:9], 0
.LBB63_783:
	s_andn2_b64 vcc, exec, s[8:9]
	s_cbranch_vccnz .LBB63_799
; %bb.784:
	s_cmp_lt_i32 s10, 2
	s_mov_b64 s[8:9], -1
	s_cbranch_scc1 .LBB63_794
; %bb.785:
	s_cmp_lt_i32 s10, 3
	s_cbranch_scc1 .LBB63_791
; %bb.786:
	s_cmp_gt_i32 s10, 3
	s_cbranch_scc0 .LBB63_788
; %bb.787:
	v_ashrrev_i32_e32 v2, 31, v1
	s_mov_b64 s[8:9], 0
	global_store_dwordx2 v[3:4], v[1:2], off
.LBB63_788:
	s_andn2_b64 vcc, exec, s[8:9]
	s_cbranch_vccnz .LBB63_790
; %bb.789:
	global_store_dword v[3:4], v1, off
.LBB63_790:
	s_mov_b64 s[8:9], 0
.LBB63_791:
	s_andn2_b64 vcc, exec, s[8:9]
	s_cbranch_vccnz .LBB63_793
; %bb.792:
	global_store_short v[3:4], v1, off
.LBB63_793:
	s_mov_b64 s[8:9], 0
.LBB63_794:
	s_andn2_b64 vcc, exec, s[8:9]
	s_cbranch_vccnz .LBB63_799
; %bb.795:
	s_cmp_gt_i32 s10, 0
	s_mov_b64 s[8:9], -1
	s_cbranch_scc0 .LBB63_797
; %bb.796:
	s_mov_b64 s[8:9], 0
	global_store_byte v[3:4], v1, off
.LBB63_797:
	s_andn2_b64 vcc, exec, s[8:9]
	s_cbranch_vccnz .LBB63_799
; %bb.798:
	global_store_byte v[3:4], v1, off
.LBB63_799:
	s_mov_b64 s[8:9], -1
.LBB63_800:
	s_andn2_b64 vcc, exec, s[8:9]
	s_cbranch_vccnz .LBB63_802
; %bb.801:
	v_add_u32_e32 v8, 0x80, v8
	s_mov_b64 s[8:9], -1
	s_branch .LBB63_804
.LBB63_802:
	s_mov_b64 s[8:9], 0
.LBB63_803:
                                        ; implicit-def: $vgpr8
.LBB63_804:
	s_andn2_b64 s[10:11], s[64:65], exec
	s_and_b64 s[0:1], s[0:1], exec
	s_or_b64 s[72:73], s[10:11], s[0:1]
	s_andn2_b64 s[0:1], s[62:63], exec
	s_and_b64 s[2:3], s[2:3], exec
	s_or_b64 s[70:71], s[0:1], s[2:3]
	s_orn2_b64 s[2:3], s[8:9], exec
.LBB63_805:
	s_or_b64 exec, exec, s[68:69]
	s_mov_b64 s[0:1], 0
	s_mov_b64 s[8:9], 0
	;; [unrolled: 1-line block ×3, first 2 shown]
                                        ; implicit-def: $vgpr1_vgpr2
                                        ; implicit-def: $vgpr0
                                        ; implicit-def: $vgpr5
	s_and_saveexec_b64 s[68:69], s[2:3]
	s_cbranch_execz .LBB63_900
; %bb.806:
	v_cmp_gt_i32_e32 vcc, s74, v8
	s_mov_b64 s[2:3], 0
	s_mov_b64 s[12:13], s[70:71]
                                        ; implicit-def: $vgpr1_vgpr2
                                        ; implicit-def: $vgpr0
                                        ; implicit-def: $vgpr5
	s_and_saveexec_b64 s[74:75], vcc
	s_cbranch_execz .LBB63_899
; %bb.807:
	s_andn2_b64 vcc, exec, s[40:41]
	s_cbranch_vccnz .LBB63_812
; %bb.808:
	s_andn2_b64 vcc, exec, s[54:55]
	s_cbranch_vccnz .LBB63_813
; %bb.809:
	s_add_i32 s79, s78, 1
	s_cmp_eq_u32 s76, 2
	s_cbranch_scc1 .LBB63_814
; %bb.810:
	s_and_b32 s78, s79, 28
	v_mov_b32_e32 v2, 0
	s_mov_b32 s80, 0
	s_mov_b64 s[54:55], s[34:35]
	v_mov_b32_e32 v0, 0
	v_mov_b32_e32 v1, v8
.LBB63_811:                             ; =>This Inner Loop Header: Depth=1
	s_load_dwordx8 s[16:23], s[54:55], 0x4
	s_load_dwordx4 s[0:3], s[54:55], 0x24
	s_load_dwordx8 s[8:15], s[52:53], 0x0
	s_add_u32 s54, s54, 48
	s_addc_u32 s55, s55, 0
	s_waitcnt vmcnt(0) lgkmcnt(0)
	v_mul_hi_u32 v3, s17, v1
	s_add_i32 s80, s80, 4
	s_add_u32 s52, s52, 32
	s_addc_u32 s53, s53, 0
	v_add_u32_e32 v3, v1, v3
	v_lshrrev_b32_e32 v3, s18, v3
	v_mul_lo_u32 v4, v3, s16
	v_mul_hi_u32 v5, s20, v3
	s_cmp_eq_u32 s78, s80
	v_sub_u32_e32 v1, v1, v4
	v_add_u32_e32 v4, v3, v5
	v_mul_lo_u32 v5, v1, s8
	v_mul_lo_u32 v6, v1, s9
	v_lshrrev_b32_e32 v1, s21, v4
	v_mul_lo_u32 v4, v1, s19
	v_mul_hi_u32 v7, s23, v1
	v_sub_u32_e32 v3, v3, v4
	v_add_u32_e32 v4, v1, v7
	v_lshrrev_b32_e32 v4, s0, v4
	v_mul_hi_u32 v9, s2, v4
	v_mul_lo_u32 v10, v4, s22
	v_mul_lo_u32 v7, v3, s10
	;; [unrolled: 1-line block ×3, first 2 shown]
	v_sub_u32_e32 v10, v1, v10
	v_add_u32_e32 v1, v4, v9
	v_lshrrev_b32_e32 v1, s3, v1
	v_mul_lo_u32 v9, v1, s1
	v_mul_lo_u32 v11, v10, s12
	;; [unrolled: 1-line block ×3, first 2 shown]
	v_add3_u32 v0, v5, v0, v7
	v_sub_u32_e32 v4, v4, v9
	v_mul_lo_u32 v9, v4, s14
	v_mul_lo_u32 v4, v4, s15
	v_add3_u32 v2, v6, v2, v3
	v_add3_u32 v0, v11, v0, v9
	;; [unrolled: 1-line block ×3, first 2 shown]
	s_cbranch_scc0 .LBB63_811
	s_branch .LBB63_815
.LBB63_812:
	s_mov_b64 s[0:1], -1
                                        ; implicit-def: $vgpr0
                                        ; implicit-def: $vgpr2
	s_branch .LBB63_819
.LBB63_813:
	v_mov_b32_e32 v0, 0
	v_mov_b32_e32 v2, 0
	s_branch .LBB63_818
.LBB63_814:
	s_mov_b32 s78, 0
	v_mov_b32_e32 v0, 0
	v_mov_b32_e32 v2, 0
	;; [unrolled: 1-line block ×3, first 2 shown]
.LBB63_815:
	s_and_b32 s8, s79, 3
	s_cmp_eq_u32 s8, 0
	s_cbranch_scc1 .LBB63_818
; %bb.816:
	s_lshl_b32 s0, s78, 3
	s_add_u32 s0, s34, s0
	s_addc_u32 s1, s35, 0
	s_add_u32 s0, s0, 0xc4
	s_addc_u32 s1, s1, 0
	s_mul_i32 s2, s78, 12
	s_add_u32 s2, s34, s2
	s_addc_u32 s3, s35, 0
.LBB63_817:                             ; =>This Inner Loop Header: Depth=1
	s_load_dwordx2 s[10:11], s[2:3], 0x4
	s_load_dword s9, s[2:3], 0xc
	s_load_dwordx2 s[12:13], s[0:1], 0x0
	s_add_u32 s2, s2, 12
	s_addc_u32 s3, s3, 0
	s_waitcnt vmcnt(0) lgkmcnt(0)
	v_mul_hi_u32 v3, s11, v1
	s_add_u32 s0, s0, 8
	s_addc_u32 s1, s1, 0
	s_add_i32 s8, s8, -1
	v_add_u32_e32 v3, v1, v3
	v_lshrrev_b32_e32 v4, s9, v3
	v_mul_lo_u32 v3, v4, s10
	s_cmp_lg_u32 s8, 0
	v_sub_u32_e32 v3, v1, v3
	v_mad_u64_u32 v[0:1], s[10:11], v3, s12, v[0:1]
	v_mad_u64_u32 v[2:3], s[10:11], v3, s13, v[2:3]
	v_mov_b32_e32 v1, v4
	s_cbranch_scc1 .LBB63_817
.LBB63_818:
	s_mov_b64 s[0:1], 0
.LBB63_819:
	s_andn2_b64 vcc, exec, s[0:1]
	s_cbranch_vccnz .LBB63_822
; %bb.820:
	v_mul_hi_u32 v0, s29, v8
	s_andn2_b64 vcc, exec, s[50:51]
	v_add_u32_e32 v0, v8, v0
	v_lshrrev_b32_e32 v1, s30, v0
	v_mul_lo_u32 v0, v1, s28
	v_sub_u32_e32 v2, v8, v0
	v_mul_lo_u32 v0, v2, s36
	v_mul_lo_u32 v2, v2, s37
	s_cbranch_vccnz .LBB63_822
; %bb.821:
	s_waitcnt vmcnt(0)
	v_mul_hi_u32 v3, s48, v1
	v_add_u32_e32 v3, v1, v3
	v_lshrrev_b32_e32 v3, s49, v3
	v_mul_lo_u32 v3, v3, s31
	v_sub_u32_e32 v3, v1, v3
	v_mad_u64_u32 v[0:1], s[0:1], v3, s38, v[0:1]
	v_mad_u64_u32 v[2:3], s[0:1], v3, s39, v[2:3]
.LBB63_822:
	s_waitcnt vmcnt(0)
	v_mov_b32_e32 v3, s27
	s_and_b32 s12, 0xffff, s77
	v_add_co_u32_e32 v1, vcc, s26, v2
	s_cmp_lt_i32 s12, 11
	v_addc_co_u32_e32 v2, vcc, 0, v3, vcc
	s_cbranch_scc1 .LBB63_829
; %bb.823:
	s_cmp_gt_i32 s12, 25
	s_mov_b64 s[2:3], 0
	s_cbranch_scc0 .LBB63_830
; %bb.824:
	s_cmp_gt_i32 s12, 28
	s_cbranch_scc0 .LBB63_831
; %bb.825:
	s_cmp_gt_i32 s12, 43
	;; [unrolled: 3-line block ×3, first 2 shown]
	s_cbranch_scc0 .LBB63_835
; %bb.827:
	s_cmp_eq_u32 s12, 46
	s_mov_b64 s[10:11], 0
	s_cbranch_scc0 .LBB63_838
; %bb.828:
	global_load_dword v3, v[1:2], off
	s_mov_b64 s[0:1], 0
	s_mov_b64 s[8:9], -1
	s_waitcnt vmcnt(0)
	v_lshlrev_b32_e32 v3, 16, v3
	v_cvt_i32_f32_e32 v5, v3
	s_branch .LBB63_839
.LBB63_829:
	s_mov_b64 s[12:13], -1
	s_mov_b64 s[8:9], 0
	s_mov_b64 s[2:3], 0
	;; [unrolled: 1-line block ×3, first 2 shown]
                                        ; implicit-def: $vgpr5
	s_branch .LBB63_898
.LBB63_830:
	s_mov_b64 s[10:11], -1
	s_mov_b64 s[8:9], 0
	s_mov_b64 s[0:1], s[70:71]
                                        ; implicit-def: $vgpr5
	s_branch .LBB63_866
.LBB63_831:
	s_mov_b64 s[10:11], -1
	s_mov_b64 s[8:9], 0
	s_mov_b64 s[0:1], s[70:71]
                                        ; implicit-def: $vgpr5
	s_branch .LBB63_849
.LBB63_832:
	s_mov_b64 s[10:11], -1
	s_mov_b64 s[8:9], 0
	s_mov_b64 s[0:1], s[70:71]
                                        ; implicit-def: $vgpr5
	s_branch .LBB63_844
.LBB63_833:
	s_andn2_saveexec_b64 s[12:13], s[12:13]
	s_cbranch_execz .LBB63_713
.LBB63_834:
	s_mov_b32 s16, 0x46000000
	v_add_f32_e64 v2, |v0|, s16
	v_and_b32_e32 v2, 0xff, v2
	v_cmp_ne_u32_e32 vcc, 0, v2
	s_andn2_b64 s[10:11], s[10:11], exec
	s_and_b64 s[16:17], vcc, exec
	s_or_b64 s[10:11], s[10:11], s[16:17]
	s_or_b64 exec, exec, s[12:13]
	v_mov_b32_e32 v5, 0
	s_and_saveexec_b64 s[12:13], s[10:11]
	s_cbranch_execnz .LBB63_714
	s_branch .LBB63_715
.LBB63_835:
	s_mov_b64 s[10:11], -1
	s_mov_b64 s[8:9], 0
	s_mov_b64 s[0:1], s[70:71]
                                        ; implicit-def: $vgpr5
	s_branch .LBB63_839
.LBB63_836:
	s_andn2_saveexec_b64 s[12:13], s[12:13]
	s_cbranch_execz .LBB63_726
.LBB63_837:
	s_mov_b32 s16, 0x42800000
	v_add_f32_e64 v2, |v0|, s16
	v_and_b32_e32 v2, 0xff, v2
	v_cmp_ne_u32_e32 vcc, 0, v2
	s_andn2_b64 s[10:11], s[10:11], exec
	s_and_b64 s[16:17], vcc, exec
	s_or_b64 s[10:11], s[10:11], s[16:17]
	s_or_b64 exec, exec, s[12:13]
	v_mov_b32_e32 v5, 0
	s_and_saveexec_b64 s[12:13], s[10:11]
	s_cbranch_execnz .LBB63_727
	s_branch .LBB63_728
.LBB63_838:
	s_mov_b64 s[0:1], -1
                                        ; implicit-def: $vgpr5
	s_mov_b64 s[8:9], 0
.LBB63_839:
	s_and_b64 vcc, exec, s[10:11]
	s_cbranch_vccz .LBB63_843
; %bb.840:
	s_cmp_eq_u32 s12, 44
	s_cbranch_scc0 .LBB63_842
; %bb.841:
	global_load_ubyte v3, v[1:2], off
	s_mov_b64 s[0:1], 0
	s_mov_b64 s[8:9], -1
	s_waitcnt vmcnt(0)
	v_lshlrev_b32_e32 v4, 23, v3
	v_cvt_i32_f32_e32 v4, v4
	v_cmp_ne_u32_e32 vcc, 0, v3
	v_cndmask_b32_e32 v5, 0, v4, vcc
	s_branch .LBB63_843
.LBB63_842:
	s_mov_b64 s[0:1], -1
                                        ; implicit-def: $vgpr5
.LBB63_843:
	s_mov_b64 s[10:11], 0
.LBB63_844:
	s_and_b64 vcc, exec, s[10:11]
	s_cbranch_vccz .LBB63_848
; %bb.845:
	s_cmp_eq_u32 s12, 29
	s_cbranch_scc0 .LBB63_847
; %bb.846:
	global_load_dword v5, v[1:2], off
	s_mov_b64 s[0:1], 0
	s_mov_b64 s[8:9], -1
	s_branch .LBB63_848
.LBB63_847:
	s_mov_b64 s[0:1], -1
                                        ; implicit-def: $vgpr5
.LBB63_848:
	s_mov_b64 s[10:11], 0
.LBB63_849:
	s_and_b64 vcc, exec, s[10:11]
	s_cbranch_vccz .LBB63_865
; %bb.850:
	s_cmp_lt_i32 s12, 27
	s_cbranch_scc1 .LBB63_853
; %bb.851:
	s_cmp_gt_i32 s12, 27
	s_cbranch_scc0 .LBB63_854
; %bb.852:
	global_load_dword v5, v[1:2], off
	s_mov_b64 s[8:9], 0
	s_branch .LBB63_855
.LBB63_853:
	s_mov_b64 s[8:9], -1
                                        ; implicit-def: $vgpr5
	s_branch .LBB63_858
.LBB63_854:
	s_mov_b64 s[8:9], -1
                                        ; implicit-def: $vgpr5
.LBB63_855:
	s_andn2_b64 vcc, exec, s[8:9]
	s_cbranch_vccnz .LBB63_857
; %bb.856:
	global_load_ushort v5, v[1:2], off
.LBB63_857:
	s_mov_b64 s[8:9], 0
.LBB63_858:
	s_andn2_b64 vcc, exec, s[8:9]
	s_cbranch_vccnz .LBB63_864
; %bb.859:
	global_load_ubyte v3, v[1:2], off
	s_movk_i32 s8, 0x7f
	s_mov_b64 s[10:11], 0
	s_waitcnt vmcnt(0)
	v_cmp_lt_i16_e32 vcc, s8, v3
	s_and_saveexec_b64 s[8:9], vcc
	s_xor_b64 s[8:9], exec, s[8:9]
	s_cbranch_execz .LBB63_876
; %bb.860:
	s_movk_i32 s10, 0x80
	v_cmp_ne_u16_e32 vcc, s10, v3
	s_and_b64 s[10:11], vcc, exec
	s_andn2_saveexec_b64 s[8:9], s[8:9]
	s_cbranch_execnz .LBB63_877
.LBB63_861:
	s_or_b64 exec, exec, s[8:9]
	v_mov_b32_e32 v5, 0
	s_and_saveexec_b64 s[8:9], s[10:11]
	s_cbranch_execz .LBB63_863
.LBB63_862:
	v_lshlrev_b32_e32 v4, 24, v3
	v_and_b32_e32 v3, 0xffff, v3
	v_and_b32_e32 v5, 7, v3
	v_ffbh_u32_e32 v7, v5
	v_min_u32_e32 v7, 32, v7
	v_subrev_u32_e32 v8, 28, v7
	v_bfe_u32 v6, v3, 3, 4
	v_lshlrev_b32_e32 v3, v8, v3
	v_sub_u32_e32 v7, 29, v7
	v_and_b32_e32 v3, 7, v3
	v_cmp_eq_u32_e32 vcc, 0, v6
	v_cndmask_b32_e32 v6, v6, v7, vcc
	v_cndmask_b32_e32 v3, v5, v3, vcc
	v_mov_b32_e32 v5, 0x3b800000
	v_lshlrev_b32_e32 v3, 20, v3
	v_and_b32_e32 v4, 0x80000000, v4
	v_lshl_add_u32 v5, v6, 23, v5
	v_or3_b32 v3, v4, v5, v3
	v_cvt_i32_f32_e32 v5, v3
.LBB63_863:
	s_or_b64 exec, exec, s[8:9]
.LBB63_864:
	s_mov_b64 s[8:9], -1
.LBB63_865:
	s_mov_b64 s[10:11], 0
.LBB63_866:
	s_and_b64 vcc, exec, s[10:11]
	s_cbranch_vccz .LBB63_897
; %bb.867:
	s_cmp_gt_i32 s12, 22
	s_cbranch_scc0 .LBB63_875
; %bb.868:
	s_cmp_lt_i32 s12, 24
	s_cbranch_scc1 .LBB63_878
; %bb.869:
	s_cmp_gt_i32 s12, 24
	s_cbranch_scc0 .LBB63_879
; %bb.870:
	global_load_ubyte v3, v[1:2], off
	s_movk_i32 s2, 0x7f
	s_mov_b64 s[8:9], 0
	s_waitcnt vmcnt(0)
	v_cmp_lt_i16_e32 vcc, s2, v3
	s_and_saveexec_b64 s[2:3], vcc
	s_xor_b64 s[2:3], exec, s[2:3]
	s_cbranch_execz .LBB63_891
; %bb.871:
	s_movk_i32 s8, 0x80
	v_cmp_ne_u16_e32 vcc, s8, v3
	s_and_b64 s[8:9], vcc, exec
	s_andn2_saveexec_b64 s[2:3], s[2:3]
	s_cbranch_execnz .LBB63_892
.LBB63_872:
	s_or_b64 exec, exec, s[2:3]
	v_mov_b32_e32 v5, 0
	s_and_saveexec_b64 s[2:3], s[8:9]
	s_cbranch_execz .LBB63_874
.LBB63_873:
	v_lshlrev_b32_e32 v4, 24, v3
	v_and_b32_e32 v3, 0xffff, v3
	v_and_b32_e32 v5, 3, v3
	v_ffbh_u32_e32 v7, v5
	v_min_u32_e32 v7, 32, v7
	v_subrev_u32_e32 v8, 29, v7
	v_bfe_u32 v6, v3, 2, 5
	v_lshlrev_b32_e32 v3, v8, v3
	v_sub_u32_e32 v7, 30, v7
	v_and_b32_e32 v3, 3, v3
	v_cmp_eq_u32_e32 vcc, 0, v6
	v_cndmask_b32_e32 v6, v6, v7, vcc
	v_cndmask_b32_e32 v3, v5, v3, vcc
	v_mov_b32_e32 v5, 0x37800000
	v_lshlrev_b32_e32 v3, 21, v3
	v_and_b32_e32 v4, 0x80000000, v4
	v_lshl_add_u32 v5, v6, 23, v5
	v_or3_b32 v3, v4, v5, v3
	v_cvt_i32_f32_e32 v5, v3
.LBB63_874:
	s_or_b64 exec, exec, s[2:3]
	s_mov_b64 s[2:3], 0
	s_branch .LBB63_880
.LBB63_875:
	s_mov_b64 s[2:3], -1
                                        ; implicit-def: $vgpr5
	s_branch .LBB63_886
.LBB63_876:
	s_andn2_saveexec_b64 s[8:9], s[8:9]
	s_cbranch_execz .LBB63_861
.LBB63_877:
	v_cmp_ne_u16_e32 vcc, 0, v3
	s_andn2_b64 s[10:11], s[10:11], exec
	s_and_b64 s[14:15], vcc, exec
	s_or_b64 s[10:11], s[10:11], s[14:15]
	s_or_b64 exec, exec, s[8:9]
	v_mov_b32_e32 v5, 0
	s_and_saveexec_b64 s[8:9], s[10:11]
	s_cbranch_execnz .LBB63_862
	s_branch .LBB63_863
.LBB63_878:
	s_mov_b64 s[2:3], -1
                                        ; implicit-def: $vgpr5
	s_branch .LBB63_883
.LBB63_879:
	s_mov_b64 s[2:3], -1
                                        ; implicit-def: $vgpr5
.LBB63_880:
	s_and_b64 vcc, exec, s[2:3]
	s_cbranch_vccz .LBB63_882
; %bb.881:
	global_load_ubyte v3, v[1:2], off
	s_mov_b32 s2, 0x7f800000
	s_waitcnt vmcnt(0)
	v_lshlrev_b32_e32 v3, 24, v3
	v_and_b32_e32 v4, 0x7f000000, v3
	v_ffbh_u32_e32 v5, v4
	v_min_u32_e32 v5, 32, v5
	v_sub_u32_e64 v5, v5, 4 clamp
	v_lshlrev_b32_e32 v7, v5, v4
	v_lshlrev_b32_e32 v5, 23, v5
	v_lshrrev_b32_e32 v7, 4, v7
	v_add_u32_e32 v6, 0x1000000, v4
	v_sub_u32_e32 v5, v7, v5
	v_ashrrev_i32_e32 v6, 8, v6
	v_add_u32_e32 v5, 0x3c000000, v5
	v_and_or_b32 v5, v6, s2, v5
	v_cmp_ne_u32_e32 vcc, 0, v4
	v_cndmask_b32_e32 v4, 0, v5, vcc
	s_brev_b32 s2, 1
	v_and_or_b32 v3, v3, s2, v4
	v_cvt_i32_f32_e32 v5, v3
.LBB63_882:
	s_mov_b64 s[2:3], 0
.LBB63_883:
	s_andn2_b64 vcc, exec, s[2:3]
	s_cbranch_vccnz .LBB63_885
; %bb.884:
	global_load_ubyte v3, v[1:2], off
	s_movk_i32 s2, 0x7f00
	s_brev_b32 s3, 16
	s_waitcnt vmcnt(0)
	v_lshlrev_b16_e32 v4, 8, v3
	v_lshlrev_b32_e32 v3, 25, v3
	v_lshrrev_b32_e32 v5, 4, v3
	v_and_or_b32 v6, v4, s2, 0.5
	v_or_b32_e32 v5, 0x70000000, v5
	v_add_f32_e32 v6, -0.5, v6
	v_mul_f32_e32 v5, 0x7800000, v5
	v_cmp_gt_u32_e32 vcc, s3, v3
	v_bfe_i32 v4, v4, 0, 16
	v_cndmask_b32_e32 v3, v5, v6, vcc
	s_brev_b32 s2, 1
	v_and_or_b32 v3, v4, s2, v3
	v_cvt_i32_f32_e32 v5, v3
.LBB63_885:
	s_mov_b64 s[2:3], 0
	s_mov_b64 s[8:9], -1
.LBB63_886:
	s_andn2_b64 vcc, exec, s[2:3]
	s_mov_b64 s[2:3], 0
	s_cbranch_vccnz .LBB63_897
; %bb.887:
	s_cmp_gt_i32 s12, 14
	s_cbranch_scc0 .LBB63_890
; %bb.888:
	s_cmp_eq_u32 s12, 15
	s_cbranch_scc0 .LBB63_893
; %bb.889:
	global_load_ushort v3, v[1:2], off
	s_mov_b64 s[0:1], 0
	s_mov_b64 s[8:9], -1
	s_waitcnt vmcnt(0)
	v_lshlrev_b32_e32 v3, 16, v3
	v_cvt_i32_f32_e32 v5, v3
	s_branch .LBB63_894
.LBB63_890:
	s_mov_b64 s[10:11], -1
                                        ; implicit-def: $vgpr5
	s_branch .LBB63_895
.LBB63_891:
	s_andn2_saveexec_b64 s[2:3], s[2:3]
	s_cbranch_execz .LBB63_872
.LBB63_892:
	v_cmp_ne_u16_e32 vcc, 0, v3
	s_andn2_b64 s[8:9], s[8:9], exec
	s_and_b64 s[10:11], vcc, exec
	s_or_b64 s[8:9], s[8:9], s[10:11]
	s_or_b64 exec, exec, s[2:3]
	v_mov_b32_e32 v5, 0
	s_and_saveexec_b64 s[2:3], s[8:9]
	s_cbranch_execnz .LBB63_873
	s_branch .LBB63_874
.LBB63_893:
	s_mov_b64 s[0:1], -1
                                        ; implicit-def: $vgpr5
.LBB63_894:
	s_mov_b64 s[10:11], 0
.LBB63_895:
	s_and_b64 vcc, exec, s[10:11]
	s_cbranch_vccz .LBB63_897
; %bb.896:
	s_cmp_lg_u32 s12, 11
	s_cselect_b64 s[10:11], -1, 0
	s_andn2_b64 s[0:1], s[0:1], exec
	s_and_b64 s[10:11], s[10:11], exec
	s_mov_b64 s[2:3], -1
	s_or_b64 s[0:1], s[0:1], s[10:11]
.LBB63_897:
	s_mov_b64 s[12:13], 0
.LBB63_898:
	s_and_b64 s[10:11], s[8:9], exec
	s_and_b64 s[8:9], s[12:13], exec
	s_andn2_b64 s[12:13], s[70:71], exec
	s_and_b64 s[0:1], s[0:1], exec
	s_and_b64 s[2:3], s[2:3], exec
	s_or_b64 s[12:13], s[12:13], s[0:1]
.LBB63_899:
	s_or_b64 exec, exec, s[74:75]
	s_and_b64 s[0:1], s[2:3], exec
	s_andn2_b64 s[2:3], s[70:71], exec
	s_and_b64 s[12:13], s[12:13], exec
	s_and_b64 s[10:11], s[10:11], exec
	;; [unrolled: 1-line block ×3, first 2 shown]
	s_or_b64 s[70:71], s[2:3], s[12:13]
.LBB63_900:
	s_or_b64 exec, exec, s[68:69]
	s_andn2_b64 s[2:3], s[64:65], exec
	s_and_b64 s[12:13], s[72:73], exec
	s_or_b64 s[64:65], s[2:3], s[12:13]
	s_and_b64 s[2:3], s[0:1], exec
	s_andn2_b64 s[0:1], s[62:63], exec
	s_and_b64 s[12:13], s[70:71], exec
	s_and_b64 s[10:11], s[10:11], exec
	s_and_b64 s[8:9], s[8:9], exec
	s_or_b64 s[62:63], s[0:1], s[12:13]
.LBB63_901:
	s_or_b64 exec, exec, s[66:67]
	s_andn2_b64 s[0:1], s[56:57], exec
	s_and_b64 s[12:13], s[64:65], exec
	s_or_b64 s[56:57], s[0:1], s[12:13]
	s_and_b64 s[0:1], s[10:11], exec
	s_and_b64 s[10:11], s[8:9], exec
	;; [unrolled: 1-line block ×3, first 2 shown]
	s_andn2_b64 s[2:3], s[58:59], exec
	s_and_b64 s[8:9], s[62:63], exec
	s_or_b64 s[58:59], s[2:3], s[8:9]
	s_or_b64 exec, exec, s[60:61]
	s_mov_b64 s[2:3], 0
	s_and_saveexec_b64 s[8:9], s[58:59]
	s_cbranch_execz .LBB63_270
.LBB63_902:
	s_mov_b64 s[2:3], exec
	s_andn2_b64 s[64:65], s[64:65], exec
	s_trap 2
	s_or_b64 exec, exec, s[8:9]
	s_and_saveexec_b64 s[8:9], s[64:65]
	s_xor_b64 s[8:9], exec, s[8:9]
	s_cbranch_execnz .LBB63_271
.LBB63_903:
	s_or_b64 exec, exec, s[8:9]
	s_and_saveexec_b64 s[8:9], s[10:11]
	s_cbranch_execz .LBB63_949
.LBB63_904:
	s_sext_i32_i16 s10, s77
	s_cmp_lt_i32 s10, 5
	s_cbranch_scc1 .LBB63_909
; %bb.905:
	s_cmp_lt_i32 s10, 8
	s_cbranch_scc1 .LBB63_910
; %bb.906:
	;; [unrolled: 3-line block ×3, first 2 shown]
	s_cmp_gt_i32 s10, 9
	s_cbranch_scc0 .LBB63_912
; %bb.908:
	global_load_dwordx2 v[3:4], v[1:2], off
	s_mov_b64 s[10:11], 0
	s_waitcnt vmcnt(0)
	v_cvt_i32_f64_e32 v5, v[3:4]
	s_branch .LBB63_913
.LBB63_909:
                                        ; implicit-def: $vgpr5
	s_branch .LBB63_930
.LBB63_910:
                                        ; implicit-def: $vgpr5
	s_branch .LBB63_919
.LBB63_911:
	s_mov_b64 s[10:11], -1
                                        ; implicit-def: $vgpr5
	s_branch .LBB63_916
.LBB63_912:
	s_mov_b64 s[10:11], -1
                                        ; implicit-def: $vgpr5
.LBB63_913:
	s_andn2_b64 vcc, exec, s[10:11]
	s_cbranch_vccnz .LBB63_915
; %bb.914:
	global_load_dword v3, v[1:2], off
	s_waitcnt vmcnt(0)
	v_cvt_i32_f32_e32 v5, v3
.LBB63_915:
	s_mov_b64 s[10:11], 0
.LBB63_916:
	s_andn2_b64 vcc, exec, s[10:11]
	s_cbranch_vccnz .LBB63_918
; %bb.917:
	global_load_dword v3, v[1:2], off
	s_waitcnt vmcnt(0)
	v_cvt_f32_f16_e32 v3, v3
	v_cvt_i32_f32_e32 v5, v3
.LBB63_918:
	s_cbranch_execnz .LBB63_929
.LBB63_919:
	s_sext_i32_i16 s10, s77
	s_cmp_lt_i32 s10, 6
	s_cbranch_scc1 .LBB63_922
; %bb.920:
	s_cmp_gt_i32 s10, 6
	s_cbranch_scc0 .LBB63_923
; %bb.921:
	global_load_dwordx2 v[3:4], v[1:2], off
	s_mov_b64 s[10:11], 0
	s_waitcnt vmcnt(0)
	v_cvt_i32_f64_e32 v5, v[3:4]
	s_branch .LBB63_924
.LBB63_922:
	s_mov_b64 s[10:11], -1
                                        ; implicit-def: $vgpr5
	s_branch .LBB63_927
.LBB63_923:
	s_mov_b64 s[10:11], -1
                                        ; implicit-def: $vgpr5
.LBB63_924:
	s_andn2_b64 vcc, exec, s[10:11]
	s_cbranch_vccnz .LBB63_926
; %bb.925:
	global_load_dword v3, v[1:2], off
	s_waitcnt vmcnt(0)
	v_cvt_i32_f32_e32 v5, v3
.LBB63_926:
	s_mov_b64 s[10:11], 0
.LBB63_927:
	s_andn2_b64 vcc, exec, s[10:11]
	s_cbranch_vccnz .LBB63_929
; %bb.928:
	global_load_ushort v3, v[1:2], off
	s_waitcnt vmcnt(0)
	v_cvt_f32_f16_e32 v3, v3
	v_cvt_i32_f32_e32 v5, v3
.LBB63_929:
	s_cbranch_execnz .LBB63_948
.LBB63_930:
	s_sext_i32_i16 s10, s77
	s_cmp_lt_i32 s10, 2
	s_cbranch_scc1 .LBB63_934
; %bb.931:
	s_cmp_lt_i32 s10, 3
	s_cbranch_scc1 .LBB63_935
; %bb.932:
	s_cmp_gt_i32 s10, 3
	s_cbranch_scc0 .LBB63_936
; %bb.933:
	global_load_dword v5, v[1:2], off
	s_mov_b64 s[10:11], 0
	s_branch .LBB63_937
.LBB63_934:
                                        ; implicit-def: $vgpr5
	s_branch .LBB63_943
.LBB63_935:
	s_mov_b64 s[10:11], -1
                                        ; implicit-def: $vgpr5
	s_branch .LBB63_940
.LBB63_936:
	s_mov_b64 s[10:11], -1
                                        ; implicit-def: $vgpr5
.LBB63_937:
	s_andn2_b64 vcc, exec, s[10:11]
	s_cbranch_vccnz .LBB63_939
; %bb.938:
	global_load_dword v5, v[1:2], off
.LBB63_939:
	s_mov_b64 s[10:11], 0
.LBB63_940:
	s_andn2_b64 vcc, exec, s[10:11]
	s_cbranch_vccnz .LBB63_942
; %bb.941:
	global_load_sshort v5, v[1:2], off
.LBB63_942:
	s_cbranch_execnz .LBB63_948
.LBB63_943:
	s_sext_i32_i16 s10, s77
	s_cmp_gt_i32 s10, 0
	s_cbranch_scc0 .LBB63_945
; %bb.944:
	global_load_sbyte v5, v[1:2], off
	s_mov_b64 s[10:11], 0
	s_branch .LBB63_946
.LBB63_945:
	s_mov_b64 s[10:11], -1
                                        ; implicit-def: $vgpr5
.LBB63_946:
	s_andn2_b64 vcc, exec, s[10:11]
	s_cbranch_vccnz .LBB63_948
; %bb.947:
	global_load_ubyte v5, v[1:2], off
.LBB63_948:
	s_or_b64 s[0:1], s[0:1], exec
.LBB63_949:
	s_or_b64 exec, exec, s[8:9]
	s_mov_b64 s[12:13], 0
	s_mov_b64 s[10:11], 0
                                        ; implicit-def: $sgpr18
                                        ; implicit-def: $vgpr3_vgpr4
                                        ; implicit-def: $vgpr1
	s_and_saveexec_b64 s[8:9], s[0:1]
	s_cbranch_execz .LBB63_957
; %bb.950:
	s_waitcnt vmcnt(0)
	v_lshlrev_b32_e32 v1, s44, v5
	v_mov_b32_e32 v2, s25
	s_and_b32 s18, s45, 0xff
	v_add_co_u32_e32 v3, vcc, s24, v0
	v_cndmask_b32_e64 v1, v1, 0, s[46:47]
	s_cmp_lt_i32 s18, 11
	v_addc_co_u32_e32 v4, vcc, 0, v2, vcc
	s_cbranch_scc1 .LBB63_960
; %bb.951:
	s_and_b32 s19, 0xffff, s18
	s_mov_b64 s[12:13], -1
	s_cmp_gt_i32 s19, 25
	s_mov_b64 s[0:1], s[56:57]
	s_cbranch_scc0 .LBB63_988
; %bb.952:
	s_mov_b64 s[10:11], -1
	s_cmp_gt_i32 s19, 28
	s_mov_b64 s[0:1], s[56:57]
	s_cbranch_scc0 .LBB63_972
; %bb.953:
	s_cmp_gt_i32 s19, 43
	s_mov_b64 s[0:1], s[56:57]
	s_cbranch_scc0 .LBB63_968
; %bb.954:
	;; [unrolled: 4-line block ×3, first 2 shown]
	s_cmp_eq_u32 s19, 46
	s_mov_b64 s[0:1], -1
	s_cbranch_scc0 .LBB63_961
; %bb.956:
	v_cvt_f32_i32_e32 v0, v1
	s_movk_i32 s0, 0x7fff
	s_mov_b64 s[10:11], 0
	v_bfe_u32 v2, v0, 16, 1
	v_add3_u32 v0, v0, v2, s0
	v_lshrrev_b32_e32 v0, 16, v0
	global_store_dword v[3:4], v0, off
	s_mov_b64 s[0:1], 0
	s_branch .LBB63_962
.LBB63_957:
	s_or_b64 exec, exec, s[8:9]
	s_and_saveexec_b64 s[0:1], s[56:57]
	s_cbranch_execnz .LBB63_1030
.LBB63_958:
	s_or_b64 exec, exec, s[0:1]
	s_and_saveexec_b64 s[0:1], s[12:13]
	s_xor_b64 s[0:1], exec, s[0:1]
	s_cbranch_execz .LBB63_1031
.LBB63_959:
	v_cmp_ne_u32_e32 vcc, 0, v1
	v_cndmask_b32_e64 v0, 0, 1, vcc
	s_waitcnt vmcnt(0)
	global_store_byte v[3:4], v0, off
	s_or_b64 exec, exec, s[0:1]
	s_and_saveexec_b64 s[0:1], s[10:11]
	s_xor_b64 s[0:1], exec, s[0:1]
	s_cbranch_execz .LBB63_1069
	s_branch .LBB63_1032
.LBB63_960:
	s_mov_b64 s[10:11], -1
	s_mov_b64 s[0:1], s[56:57]
	s_branch .LBB63_1029
.LBB63_961:
	s_mov_b64 s[10:11], 0
.LBB63_962:
	s_and_b64 vcc, exec, s[10:11]
	s_cbranch_vccz .LBB63_967
; %bb.963:
	s_cmp_eq_u32 s19, 44
	s_mov_b64 s[0:1], -1
	s_cbranch_scc0 .LBB63_967
; %bb.964:
	v_cvt_f32_i32_e32 v0, v1
	s_movk_i32 s0, 0xff
	v_mov_b32_e32 v5, 0xff
	v_bfe_u32 v2, v0, 23, 8
	v_cmp_ne_u32_e32 vcc, s0, v2
	s_and_saveexec_b64 s[10:11], vcc
; %bb.965:
	s_mov_b32 s0, 0x3fffff
	v_lshrrev_b32_e32 v5, 23, v0
	v_and_b32_e32 v6, 0x400000, v0
	v_and_or_b32 v0, v0, s0, v2
	v_cmp_ne_u32_e32 vcc, 0, v6
	v_cmp_ne_u32_e64 s[0:1], 0, v0
	s_and_b64 s[0:1], vcc, s[0:1]
	v_cndmask_b32_e64 v0, 0, 1, s[0:1]
	v_add_u32_e32 v5, v5, v0
; %bb.966:
	s_or_b64 exec, exec, s[10:11]
	s_mov_b64 s[0:1], 0
	global_store_byte v[3:4], v5, off
.LBB63_967:
	s_mov_b64 s[10:11], 0
.LBB63_968:
	s_and_b64 vcc, exec, s[10:11]
	s_cbranch_vccz .LBB63_971
; %bb.969:
	s_cmp_eq_u32 s19, 29
	s_mov_b64 s[0:1], -1
	s_cbranch_scc0 .LBB63_971
; %bb.970:
	v_ashrrev_i32_e32 v2, 31, v1
	global_store_dwordx2 v[3:4], v[1:2], off
	s_mov_b64 s[0:1], 0
.LBB63_971:
	s_mov_b64 s[10:11], 0
.LBB63_972:
	s_and_b64 vcc, exec, s[10:11]
	s_cbranch_vccz .LBB63_987
; %bb.973:
	s_cmp_lt_i32 s19, 27
	s_mov_b64 s[10:11], -1
	s_cbranch_scc1 .LBB63_979
; %bb.974:
	s_cmp_gt_i32 s19, 27
	s_cbranch_scc0 .LBB63_976
; %bb.975:
	s_mov_b64 s[10:11], 0
	global_store_dword v[3:4], v1, off
.LBB63_976:
	s_andn2_b64 vcc, exec, s[10:11]
	s_cbranch_vccnz .LBB63_978
; %bb.977:
	global_store_short v[3:4], v1, off
.LBB63_978:
	s_mov_b64 s[10:11], 0
.LBB63_979:
	s_andn2_b64 vcc, exec, s[10:11]
	s_cbranch_vccnz .LBB63_987
; %bb.980:
	v_cvt_f32_i32_e32 v0, v1
	s_mov_b32 s10, 0x43800000
	v_mov_b32_e32 v5, 0x80
	v_and_b32_e32 v2, 0x7fffffff, v0
	v_cmp_gt_u32_e32 vcc, s10, v2
	s_and_saveexec_b64 s[10:11], vcc
	s_cbranch_execz .LBB63_986
; %bb.981:
	s_mov_b32 s12, 0x3bffffff
	v_cmp_lt_u32_e32 vcc, s12, v2
	s_mov_b64 s[12:13], 0
                                        ; implicit-def: $vgpr2
	s_and_saveexec_b64 s[14:15], vcc
	s_xor_b64 s[14:15], exec, s[14:15]
	s_cbranch_execz .LBB63_1140
; %bb.982:
	v_bfe_u32 v2, v0, 20, 1
	s_mov_b32 s16, 0x487ffff
	v_add3_u32 v2, v0, v2, s16
	s_mov_b64 s[12:13], exec
	v_lshrrev_b32_e32 v2, 20, v2
	s_andn2_saveexec_b64 s[14:15], s[14:15]
	s_cbranch_execnz .LBB63_1141
.LBB63_983:
	s_or_b64 exec, exec, s[14:15]
	v_mov_b32_e32 v5, 0
	s_and_saveexec_b64 s[14:15], s[12:13]
.LBB63_984:
	v_lshrrev_b32_e32 v0, 24, v0
	s_movk_i32 s12, 0x80
	v_and_or_b32 v5, v0, s12, v2
.LBB63_985:
	s_or_b64 exec, exec, s[14:15]
.LBB63_986:
	s_or_b64 exec, exec, s[10:11]
	global_store_byte v[3:4], v5, off
.LBB63_987:
	s_mov_b64 s[12:13], 0
.LBB63_988:
	s_mov_b64 s[10:11], 0
	s_and_b64 vcc, exec, s[12:13]
	s_cbranch_vccz .LBB63_1028
; %bb.989:
	s_cmp_gt_i32 s19, 22
	s_mov_b64 s[12:13], -1
	s_cbranch_scc0 .LBB63_1021
; %bb.990:
	s_cmp_lt_i32 s19, 24
	s_cbranch_scc1 .LBB63_1010
; %bb.991:
	s_cmp_gt_i32 s19, 24
	s_cbranch_scc0 .LBB63_999
; %bb.992:
	v_cvt_f32_i32_e32 v0, v1
	s_mov_b32 s12, 0x47800000
	v_mov_b32_e32 v5, 0x80
	v_and_b32_e32 v2, 0x7fffffff, v0
	v_cmp_gt_u32_e32 vcc, s12, v2
	s_and_saveexec_b64 s[12:13], vcc
	s_cbranch_execz .LBB63_998
; %bb.993:
	s_mov_b32 s14, 0x37ffffff
	v_cmp_lt_u32_e32 vcc, s14, v2
	s_mov_b64 s[14:15], 0
                                        ; implicit-def: $vgpr2
	s_and_saveexec_b64 s[16:17], vcc
	s_xor_b64 s[16:17], exec, s[16:17]
	s_cbranch_execz .LBB63_1260
; %bb.994:
	v_bfe_u32 v2, v0, 21, 1
	s_mov_b32 s20, 0x88fffff
	v_add3_u32 v2, v0, v2, s20
	s_mov_b64 s[14:15], exec
	v_lshrrev_b32_e32 v2, 21, v2
	s_andn2_saveexec_b64 s[16:17], s[16:17]
	s_cbranch_execnz .LBB63_1261
.LBB63_995:
	s_or_b64 exec, exec, s[16:17]
	v_mov_b32_e32 v5, 0
	s_and_saveexec_b64 s[16:17], s[14:15]
.LBB63_996:
	v_lshrrev_b32_e32 v0, 24, v0
	s_movk_i32 s14, 0x80
	v_and_or_b32 v5, v0, s14, v2
.LBB63_997:
	s_or_b64 exec, exec, s[16:17]
.LBB63_998:
	s_or_b64 exec, exec, s[12:13]
	s_mov_b64 s[12:13], 0
	global_store_byte v[3:4], v5, off
.LBB63_999:
	s_and_b64 vcc, exec, s[12:13]
	s_cbranch_vccz .LBB63_1009
; %bb.1000:
	v_cvt_f32_i32_e32 v0, v1
	s_mov_b32 s12, 0x43f00000
                                        ; implicit-def: $vgpr2
	v_and_b32_e32 v5, 0x7fffffff, v0
	v_cmp_gt_u32_e32 vcc, s12, v5
	s_and_saveexec_b64 s[12:13], vcc
	s_xor_b64 s[12:13], exec, s[12:13]
	s_cbranch_execz .LBB63_1006
; %bb.1001:
	s_mov_b32 s14, 0x3c7fffff
	v_cmp_lt_u32_e32 vcc, s14, v5
                                        ; implicit-def: $vgpr2
	s_and_saveexec_b64 s[14:15], vcc
	s_xor_b64 s[14:15], exec, s[14:15]
; %bb.1002:
	v_bfe_u32 v2, v0, 20, 1
	s_mov_b32 s16, 0x407ffff
	v_add3_u32 v2, v0, v2, s16
	v_lshrrev_b32_e32 v5, 20, v2
	v_and_b32_e32 v2, 0xff00000, v2
	s_mov_b32 s16, 0x7f00000
	v_mov_b32_e32 v6, 0x7e
	v_cmp_ne_u32_e32 vcc, s16, v2
	v_cndmask_b32_e32 v2, v6, v5, vcc
; %bb.1003:
	s_andn2_saveexec_b64 s[14:15], s[14:15]
; %bb.1004:
	s_mov_b32 s16, 0x46800000
	v_add_f32_e64 v2, |v0|, s16
; %bb.1005:
	s_or_b64 exec, exec, s[14:15]
                                        ; implicit-def: $vgpr5
.LBB63_1006:
	s_andn2_saveexec_b64 s[12:13], s[12:13]
; %bb.1007:
	s_mov_b32 s14, 0x7f800000
	v_mov_b32_e32 v2, 0x7e
	v_mov_b32_e32 v6, 0x7f
	v_cmp_lt_u32_e32 vcc, s14, v5
	v_cndmask_b32_e32 v2, v2, v6, vcc
; %bb.1008:
	s_or_b64 exec, exec, s[12:13]
	v_lshrrev_b32_e32 v0, 24, v0
	s_movk_i32 s12, 0x80
	v_and_or_b32 v0, v0, s12, v2
	global_store_byte v[3:4], v0, off
.LBB63_1009:
	s_mov_b64 s[12:13], 0
.LBB63_1010:
	s_andn2_b64 vcc, exec, s[12:13]
	s_cbranch_vccnz .LBB63_1020
; %bb.1011:
	v_cvt_f32_i32_e32 v0, v1
	s_mov_b32 s12, 0x47800000
                                        ; implicit-def: $vgpr2
	v_and_b32_e32 v5, 0x7fffffff, v0
	v_cmp_gt_u32_e32 vcc, s12, v5
	s_and_saveexec_b64 s[12:13], vcc
	s_xor_b64 s[12:13], exec, s[12:13]
	s_cbranch_execz .LBB63_1017
; %bb.1012:
	s_mov_b32 s14, 0x387fffff
	v_cmp_lt_u32_e32 vcc, s14, v5
                                        ; implicit-def: $vgpr2
	s_and_saveexec_b64 s[14:15], vcc
	s_xor_b64 s[14:15], exec, s[14:15]
; %bb.1013:
	v_bfe_u32 v2, v0, 21, 1
	s_mov_b32 s16, 0x80fffff
	v_add3_u32 v2, v0, v2, s16
	v_lshrrev_b32_e32 v2, 21, v2
; %bb.1014:
	s_andn2_saveexec_b64 s[14:15], s[14:15]
; %bb.1015:
	s_mov_b32 s16, 0x43000000
	v_add_f32_e64 v2, |v0|, s16
; %bb.1016:
	s_or_b64 exec, exec, s[14:15]
                                        ; implicit-def: $vgpr5
.LBB63_1017:
	s_andn2_saveexec_b64 s[12:13], s[12:13]
; %bb.1018:
	s_mov_b32 s14, 0x7f800000
	v_mov_b32_e32 v2, 0x7c
	v_mov_b32_e32 v6, 0x7f
	v_cmp_lt_u32_e32 vcc, s14, v5
	v_cndmask_b32_e32 v2, v2, v6, vcc
; %bb.1019:
	s_or_b64 exec, exec, s[12:13]
	v_lshrrev_b32_e32 v0, 24, v0
	s_movk_i32 s12, 0x80
	v_and_or_b32 v0, v0, s12, v2
	global_store_byte v[3:4], v0, off
.LBB63_1020:
	s_mov_b64 s[12:13], 0
.LBB63_1021:
	s_andn2_b64 vcc, exec, s[12:13]
	s_mov_b64 s[12:13], 0
	s_cbranch_vccnz .LBB63_1029
; %bb.1022:
	s_cmp_gt_i32 s19, 14
	s_mov_b64 s[14:15], -1
	s_cbranch_scc0 .LBB63_1026
; %bb.1023:
	s_cmp_eq_u32 s19, 15
	s_mov_b64 s[0:1], -1
	s_cbranch_scc0 .LBB63_1025
; %bb.1024:
	v_cvt_f32_i32_e32 v0, v1
	s_movk_i32 s0, 0x7fff
	v_bfe_u32 v2, v0, 16, 1
	v_add3_u32 v0, v0, v2, s0
	global_store_short_d16_hi v[3:4], v0, off
	s_mov_b64 s[0:1], 0
.LBB63_1025:
	s_mov_b64 s[14:15], 0
.LBB63_1026:
	s_and_b64 vcc, exec, s[14:15]
	s_cbranch_vccz .LBB63_1029
; %bb.1027:
	s_cmp_lg_u32 s19, 11
	s_cselect_b64 s[14:15], -1, 0
	s_andn2_b64 s[0:1], s[0:1], exec
	s_and_b64 s[14:15], s[14:15], exec
	s_mov_b64 s[12:13], -1
	s_or_b64 s[0:1], s[0:1], s[14:15]
	s_branch .LBB63_1029
.LBB63_1028:
	s_mov_b64 s[12:13], 0
.LBB63_1029:
	s_andn2_b64 s[14:15], s[56:57], exec
	s_and_b64 s[0:1], s[0:1], exec
	s_and_b64 s[10:11], s[10:11], exec
	;; [unrolled: 1-line block ×3, first 2 shown]
	s_or_b64 s[56:57], s[14:15], s[0:1]
	s_or_b64 exec, exec, s[8:9]
	s_and_saveexec_b64 s[0:1], s[56:57]
	s_cbranch_execz .LBB63_958
.LBB63_1030:
	s_or_b64 s[2:3], s[2:3], exec
	s_andn2_b64 s[12:13], s[12:13], exec
	s_trap 2
	s_or_b64 exec, exec, s[0:1]
	s_and_saveexec_b64 s[0:1], s[12:13]
	s_xor_b64 s[0:1], exec, s[0:1]
	s_cbranch_execnz .LBB63_959
.LBB63_1031:
	s_or_b64 exec, exec, s[0:1]
	s_and_saveexec_b64 s[0:1], s[10:11]
	s_xor_b64 s[0:1], exec, s[0:1]
	s_cbranch_execz .LBB63_1069
.LBB63_1032:
	s_sext_i32_i16 s10, s18
	s_cmp_lt_i32 s10, 5
	s_mov_b64 s[8:9], -1
	s_cbranch_scc1 .LBB63_1053
; %bb.1033:
	s_cmp_lt_i32 s10, 8
	s_cbranch_scc1 .LBB63_1043
; %bb.1034:
	s_cmp_lt_i32 s10, 9
	s_cbranch_scc1 .LBB63_1040
; %bb.1035:
	s_cmp_gt_i32 s10, 9
	s_cbranch_scc0 .LBB63_1037
; %bb.1036:
	s_waitcnt vmcnt(0)
	v_cvt_f64_i32_e32 v[5:6], v1
	v_mov_b32_e32 v7, 0
	v_mov_b32_e32 v8, v7
	s_mov_b64 s[8:9], 0
	global_store_dwordx4 v[3:4], v[5:8], off
.LBB63_1037:
	s_andn2_b64 vcc, exec, s[8:9]
	s_cbranch_vccnz .LBB63_1039
; %bb.1038:
	s_waitcnt vmcnt(0)
	v_cvt_f32_i32_e32 v5, v1
	v_mov_b32_e32 v6, 0
	global_store_dwordx2 v[3:4], v[5:6], off
.LBB63_1039:
	s_mov_b64 s[8:9], 0
.LBB63_1040:
	s_andn2_b64 vcc, exec, s[8:9]
	s_cbranch_vccnz .LBB63_1042
; %bb.1041:
	v_cvt_f32_i32_e32 v0, v1
	v_cvt_f16_f32_e32 v0, v0
	s_waitcnt vmcnt(0)
	global_store_dword v[3:4], v0, off
.LBB63_1042:
	s_mov_b64 s[8:9], 0
.LBB63_1043:
	s_andn2_b64 vcc, exec, s[8:9]
	s_cbranch_vccnz .LBB63_1052
; %bb.1044:
	s_sext_i32_i16 s10, s18
	s_cmp_lt_i32 s10, 6
	s_mov_b64 s[8:9], -1
	s_cbranch_scc1 .LBB63_1050
; %bb.1045:
	s_cmp_gt_i32 s10, 6
	s_cbranch_scc0 .LBB63_1047
; %bb.1046:
	s_waitcnt vmcnt(0)
	v_cvt_f64_i32_e32 v[5:6], v1
	s_mov_b64 s[8:9], 0
	global_store_dwordx2 v[3:4], v[5:6], off
.LBB63_1047:
	s_andn2_b64 vcc, exec, s[8:9]
	s_cbranch_vccnz .LBB63_1049
; %bb.1048:
	v_cvt_f32_i32_e32 v0, v1
	s_waitcnt vmcnt(0)
	global_store_dword v[3:4], v0, off
.LBB63_1049:
	s_mov_b64 s[8:9], 0
.LBB63_1050:
	s_andn2_b64 vcc, exec, s[8:9]
	s_cbranch_vccnz .LBB63_1052
; %bb.1051:
	v_cvt_f32_i32_e32 v0, v1
	v_cvt_f16_f32_e32 v0, v0
	s_waitcnt vmcnt(0)
	global_store_short v[3:4], v0, off
.LBB63_1052:
	s_mov_b64 s[8:9], 0
.LBB63_1053:
	s_andn2_b64 vcc, exec, s[8:9]
	s_cbranch_vccnz .LBB63_1069
; %bb.1054:
	s_sext_i32_i16 s10, s18
	s_cmp_lt_i32 s10, 2
	s_mov_b64 s[8:9], -1
	s_cbranch_scc1 .LBB63_1064
; %bb.1055:
	s_cmp_lt_i32 s10, 3
	s_cbranch_scc1 .LBB63_1061
; %bb.1056:
	s_cmp_gt_i32 s10, 3
	s_cbranch_scc0 .LBB63_1058
; %bb.1057:
	v_ashrrev_i32_e32 v2, 31, v1
	s_mov_b64 s[8:9], 0
	s_waitcnt vmcnt(0)
	global_store_dwordx2 v[3:4], v[1:2], off
.LBB63_1058:
	s_andn2_b64 vcc, exec, s[8:9]
	s_cbranch_vccnz .LBB63_1060
; %bb.1059:
	s_waitcnt vmcnt(0)
	global_store_dword v[3:4], v1, off
.LBB63_1060:
	s_mov_b64 s[8:9], 0
.LBB63_1061:
	s_andn2_b64 vcc, exec, s[8:9]
	s_cbranch_vccnz .LBB63_1063
; %bb.1062:
	s_waitcnt vmcnt(0)
	global_store_short v[3:4], v1, off
.LBB63_1063:
	s_mov_b64 s[8:9], 0
.LBB63_1064:
	s_andn2_b64 vcc, exec, s[8:9]
	s_cbranch_vccnz .LBB63_1069
; %bb.1065:
	s_sext_i32_i16 s8, s18
	s_cmp_gt_i32 s8, 0
	s_mov_b64 s[8:9], -1
	s_cbranch_scc0 .LBB63_1067
; %bb.1066:
	s_mov_b64 s[8:9], 0
	s_waitcnt vmcnt(0)
	global_store_byte v[3:4], v1, off
.LBB63_1067:
	s_andn2_b64 vcc, exec, s[8:9]
	s_cbranch_vccnz .LBB63_1069
; %bb.1068:
	s_waitcnt vmcnt(0)
	global_store_byte v[3:4], v1, off
.LBB63_1069:
	s_or_b64 exec, exec, s[0:1]
	s_and_b64 s[28:29], s[2:3], exec
                                        ; implicit-def: $vgpr15
                                        ; implicit-def: $vgpr8
.LBB63_1070:
	s_or_saveexec_b64 s[30:31], s[42:43]
	s_mov_b64 s[0:1], 0
                                        ; implicit-def: $vgpr0_vgpr1
                                        ; implicit-def: $sgpr18
                                        ; implicit-def: $vgpr2
	s_xor_b64 exec, exec, s[30:31]
	s_cbranch_execz .LBB63_2057
; %bb.1071:
	v_cndmask_b32_e64 v0, 0, 1, s[40:41]
	v_cmp_ne_u32_e64 s[0:1], 1, v0
	s_andn2_b64 vcc, exec, s[40:41]
	s_cbranch_vccnz .LBB63_1077
; %bb.1072:
	s_cmp_lg_u32 s33, 0
	s_mov_b32 s36, 0
	s_cbranch_scc0 .LBB63_1078
; %bb.1073:
	s_min_u32 s37, s76, 15
	s_add_i32 s37, s37, 1
	s_cmp_eq_u32 s76, 2
	s_cbranch_scc1 .LBB63_1079
; %bb.1074:
	s_and_b32 s36, s37, 28
	s_add_u32 s2, s34, 0xc4
	s_addc_u32 s3, s35, 0
	v_mov_b32_e32 v13, 0
	s_mov_b32 s38, 0
	s_mov_b64 s[6:7], s[34:35]
	v_mov_b32_e32 v6, 0
	v_mov_b32_e32 v0, v8
.LBB63_1075:                            ; =>This Inner Loop Header: Depth=1
	s_load_dwordx8 s[16:23], s[6:7], 0x4
	s_load_dwordx4 s[24:27], s[6:7], 0x24
	s_load_dwordx8 s[8:15], s[2:3], 0x0
	s_add_u32 s6, s6, 48
	s_addc_u32 s7, s7, 0
	s_waitcnt lgkmcnt(0)
	v_mul_hi_u32 v1, s17, v0
	s_add_i32 s38, s38, 4
	s_add_u32 s2, s2, 32
	s_addc_u32 s3, s3, 0
	v_add_u32_e32 v1, v0, v1
	v_lshrrev_b32_e32 v1, s18, v1
	v_mul_lo_u32 v2, v1, s16
	s_waitcnt vmcnt(0)
	v_mul_hi_u32 v3, s20, v1
	s_cmp_lg_u32 s36, s38
	v_sub_u32_e32 v0, v0, v2
	v_add_u32_e32 v2, v1, v3
	v_mul_lo_u32 v3, v0, s8
	v_mul_lo_u32 v4, v0, s9
	v_lshrrev_b32_e32 v0, s21, v2
	v_mul_lo_u32 v2, v0, s19
	v_mul_hi_u32 v5, s23, v0
	v_sub_u32_e32 v1, v1, v2
	v_add_u32_e32 v2, v0, v5
	v_lshrrev_b32_e32 v2, s24, v2
	v_mul_hi_u32 v7, s26, v2
	v_mul_lo_u32 v9, v2, s22
	v_mul_lo_u32 v5, v1, s10
	;; [unrolled: 1-line block ×3, first 2 shown]
	v_sub_u32_e32 v9, v0, v9
	v_add_u32_e32 v0, v2, v7
	v_lshrrev_b32_e32 v0, s27, v0
	v_mul_lo_u32 v7, v0, s25
	v_mul_lo_u32 v10, v9, s12
	;; [unrolled: 1-line block ×3, first 2 shown]
	v_add3_u32 v3, v3, v6, v5
	v_sub_u32_e32 v2, v2, v7
	v_mul_lo_u32 v7, v2, s14
	v_mul_lo_u32 v2, v2, s15
	v_add3_u32 v1, v4, v13, v1
	v_add3_u32 v6, v10, v3, v7
	;; [unrolled: 1-line block ×3, first 2 shown]
	s_cbranch_scc1 .LBB63_1075
; %bb.1076:
	s_and_b32 s8, s37, 3
	s_cmp_eq_u32 s8, 0
	s_cbranch_scc0 .LBB63_1080
	s_branch .LBB63_1082
.LBB63_1077:
                                        ; implicit-def: $vgpr6
                                        ; implicit-def: $vgpr13
	s_branch .LBB63_1083
.LBB63_1078:
	v_mov_b32_e32 v6, 0
	v_mov_b32_e32 v13, 0
	s_branch .LBB63_1082
.LBB63_1079:
	v_mov_b32_e32 v6, 0
	v_mov_b32_e32 v13, 0
	;; [unrolled: 1-line block ×3, first 2 shown]
	s_and_b32 s8, s37, 3
	s_cmp_eq_u32 s8, 0
	s_cbranch_scc1 .LBB63_1082
.LBB63_1080:
	s_lshl_b32 s2, s36, 3
	s_add_u32 s2, s34, s2
	s_addc_u32 s3, s35, 0
	s_add_u32 s2, s2, 0xc4
	s_addc_u32 s3, s3, 0
	s_mul_i32 s6, s36, 12
	s_add_u32 s6, s34, s6
	s_addc_u32 s7, s35, 0
.LBB63_1081:                            ; =>This Inner Loop Header: Depth=1
	s_load_dwordx2 s[10:11], s[6:7], 0x4
	s_load_dword s9, s[6:7], 0xc
	s_load_dwordx2 s[12:13], s[2:3], 0x0
	s_add_u32 s6, s6, 12
	s_addc_u32 s7, s7, 0
	s_waitcnt lgkmcnt(0)
	v_mul_hi_u32 v1, s11, v0
	s_add_u32 s2, s2, 8
	s_addc_u32 s3, s3, 0
	s_add_i32 s8, s8, -1
	v_add_u32_e32 v1, v0, v1
	v_lshrrev_b32_e32 v1, s9, v1
	v_mul_lo_u32 v2, v1, s10
	s_cmp_lg_u32 s8, 0
	v_sub_u32_e32 v0, v0, v2
	v_mad_u64_u32 v[6:7], s[10:11], v0, s12, v[6:7]
	v_mad_u64_u32 v[13:14], s[10:11], v0, s13, v[13:14]
	v_mov_b32_e32 v0, v1
	s_cbranch_scc1 .LBB63_1081
.LBB63_1082:
	s_cbranch_execnz .LBB63_1085
.LBB63_1083:
	s_load_dwordx4 s[8:11], s[34:35], 0x4
	s_load_dwordx2 s[2:3], s[34:35], 0xc4
	s_cmp_lt_u32 s33, 2
	s_waitcnt lgkmcnt(0)
	v_mul_hi_u32 v0, s9, v8
	v_add_u32_e32 v0, v8, v0
	v_lshrrev_b32_e32 v0, s10, v0
	v_mul_lo_u32 v1, v0, s8
	v_sub_u32_e32 v1, v8, v1
	v_mul_lo_u32 v6, v1, s2
	v_mul_lo_u32 v13, v1, s3
	s_cbranch_scc1 .LBB63_1085
; %bb.1084:
	s_load_dwordx4 s[8:11], s[34:35], 0x10
	s_load_dwordx2 s[2:3], s[34:35], 0xcc
	s_waitcnt lgkmcnt(0)
	v_mul_hi_u32 v1, s9, v0
	v_add_u32_e32 v1, v0, v1
	v_lshrrev_b32_e32 v1, s10, v1
	v_mul_lo_u32 v1, v1, s8
	v_sub_u32_e32 v0, v0, v1
	v_mad_u64_u32 v[6:7], s[6:7], v0, s2, v[6:7]
	v_mad_u64_u32 v[13:14], s[2:3], v0, s3, v[13:14]
.LBB63_1085:
	s_and_b64 vcc, exec, s[0:1]
	v_add_u32_e32 v0, 0x80, v8
	s_cbranch_vccnz .LBB63_1091
; %bb.1086:
	s_cmp_lg_u32 s33, 0
	s_mov_b32 s36, 0
	s_cbranch_scc0 .LBB63_1092
; %bb.1087:
	s_min_u32 s37, s76, 15
	s_add_i32 s37, s37, 1
	s_cmp_eq_u32 s76, 2
	s_cbranch_scc1 .LBB63_1093
; %bb.1088:
	s_and_b32 s36, s37, 28
	s_add_u32 s2, s34, 0xc4
	s_addc_u32 s3, s35, 0
	v_mov_b32_e32 v11, 0
	s_mov_b32 s38, 0
	s_mov_b64 s[6:7], s[34:35]
	v_mov_b32_e32 v4, 0
	v_mov_b32_e32 v1, v0
.LBB63_1089:                            ; =>This Inner Loop Header: Depth=1
	s_load_dwordx8 s[16:23], s[6:7], 0x4
	s_load_dwordx4 s[24:27], s[6:7], 0x24
	s_load_dwordx8 s[8:15], s[2:3], 0x0
	s_add_u32 s6, s6, 48
	s_addc_u32 s7, s7, 0
	s_waitcnt lgkmcnt(0)
	v_mul_hi_u32 v2, s17, v1
	s_add_i32 s38, s38, 4
	s_add_u32 s2, s2, 32
	s_addc_u32 s3, s3, 0
	v_add_u32_e32 v2, v1, v2
	v_lshrrev_b32_e32 v2, s18, v2
	s_waitcnt vmcnt(0)
	v_mul_lo_u32 v3, v2, s16
	v_mul_hi_u32 v5, s20, v2
	s_cmp_lg_u32 s36, s38
	v_sub_u32_e32 v1, v1, v3
	v_add_u32_e32 v3, v2, v5
	v_mul_lo_u32 v5, v1, s8
	v_mul_lo_u32 v7, v1, s9
	v_lshrrev_b32_e32 v1, s21, v3
	v_mul_lo_u32 v3, v1, s19
	v_mul_hi_u32 v9, s23, v1
	v_sub_u32_e32 v2, v2, v3
	v_add_u32_e32 v3, v1, v9
	v_lshrrev_b32_e32 v3, s24, v3
	v_mul_hi_u32 v10, s26, v3
	v_mul_lo_u32 v12, v3, s22
	v_mul_lo_u32 v9, v2, s10
	;; [unrolled: 1-line block ×3, first 2 shown]
	v_sub_u32_e32 v12, v1, v12
	v_add_u32_e32 v1, v3, v10
	v_lshrrev_b32_e32 v1, s27, v1
	v_mul_lo_u32 v10, v1, s25
	v_mul_lo_u32 v14, v12, s12
	;; [unrolled: 1-line block ×3, first 2 shown]
	v_add3_u32 v4, v5, v4, v9
	v_sub_u32_e32 v3, v3, v10
	v_mul_lo_u32 v10, v3, s14
	v_mul_lo_u32 v3, v3, s15
	v_add3_u32 v2, v7, v11, v2
	v_add3_u32 v4, v14, v4, v10
	;; [unrolled: 1-line block ×3, first 2 shown]
	s_cbranch_scc1 .LBB63_1089
; %bb.1090:
	s_and_b32 s8, s37, 3
	s_cmp_eq_u32 s8, 0
	s_cbranch_scc0 .LBB63_1094
	s_branch .LBB63_1096
.LBB63_1091:
                                        ; implicit-def: $vgpr4
                                        ; implicit-def: $vgpr11
	s_branch .LBB63_1097
.LBB63_1092:
	v_mov_b32_e32 v4, 0
	v_mov_b32_e32 v11, 0
	s_branch .LBB63_1096
.LBB63_1093:
	v_mov_b32_e32 v4, 0
	v_mov_b32_e32 v11, 0
	;; [unrolled: 1-line block ×3, first 2 shown]
	s_and_b32 s8, s37, 3
	s_cmp_eq_u32 s8, 0
	s_cbranch_scc1 .LBB63_1096
.LBB63_1094:
	s_lshl_b32 s2, s36, 3
	s_add_u32 s2, s34, s2
	s_addc_u32 s3, s35, 0
	s_add_u32 s2, s2, 0xc4
	s_addc_u32 s3, s3, 0
	s_mul_i32 s6, s36, 12
	s_add_u32 s6, s34, s6
	s_addc_u32 s7, s35, 0
.LBB63_1095:                            ; =>This Inner Loop Header: Depth=1
	s_load_dwordx2 s[10:11], s[6:7], 0x4
	s_load_dword s9, s[6:7], 0xc
	s_load_dwordx2 s[12:13], s[2:3], 0x0
	s_add_u32 s6, s6, 12
	s_addc_u32 s7, s7, 0
	s_waitcnt lgkmcnt(0)
	v_mul_hi_u32 v2, s11, v1
	s_add_u32 s2, s2, 8
	s_addc_u32 s3, s3, 0
	s_add_i32 s8, s8, -1
	v_add_u32_e32 v2, v1, v2
	v_lshrrev_b32_e32 v2, s9, v2
	s_waitcnt vmcnt(0)
	v_mul_lo_u32 v3, v2, s10
	s_cmp_lg_u32 s8, 0
	v_sub_u32_e32 v1, v1, v3
	v_mad_u64_u32 v[4:5], s[10:11], v1, s12, v[4:5]
	v_mad_u64_u32 v[11:12], s[10:11], v1, s13, v[11:12]
	v_mov_b32_e32 v1, v2
	s_cbranch_scc1 .LBB63_1095
.LBB63_1096:
	s_cbranch_execnz .LBB63_1099
.LBB63_1097:
	s_load_dwordx4 s[8:11], s[34:35], 0x4
	s_load_dwordx2 s[2:3], s[34:35], 0xc4
	s_cmp_lt_u32 s33, 2
	s_waitcnt lgkmcnt(0)
	v_mul_hi_u32 v1, s9, v0
	v_add_u32_e32 v1, v0, v1
	v_lshrrev_b32_e32 v1, s10, v1
	v_mul_lo_u32 v2, v1, s8
	v_sub_u32_e32 v0, v0, v2
	v_mul_lo_u32 v4, v0, s2
	v_mul_lo_u32 v11, v0, s3
	s_cbranch_scc1 .LBB63_1099
; %bb.1098:
	s_load_dwordx4 s[8:11], s[34:35], 0x10
	s_load_dwordx2 s[2:3], s[34:35], 0xcc
	s_waitcnt lgkmcnt(0)
	v_mul_hi_u32 v0, s9, v1
	v_add_u32_e32 v0, v1, v0
	v_lshrrev_b32_e32 v0, s10, v0
	v_mul_lo_u32 v0, v0, s8
	v_sub_u32_e32 v0, v1, v0
	s_waitcnt vmcnt(0)
	v_mad_u64_u32 v[4:5], s[6:7], v0, s2, v[4:5]
	v_mad_u64_u32 v[11:12], s[2:3], v0, s3, v[11:12]
.LBB63_1099:
	s_and_b64 vcc, exec, s[0:1]
	v_add_u32_e32 v0, 0x100, v8
	s_cbranch_vccnz .LBB63_1105
; %bb.1100:
	s_cmp_lg_u32 s33, 0
	s_mov_b32 s36, 0
	s_cbranch_scc0 .LBB63_1106
; %bb.1101:
	s_min_u32 s37, s76, 15
	s_add_i32 s37, s37, 1
	s_cmp_eq_u32 s76, 2
	s_cbranch_scc1 .LBB63_1107
; %bb.1102:
	s_and_b32 s36, s37, 28
	s_add_u32 s2, s34, 0xc4
	s_addc_u32 s3, s35, 0
	v_mov_b32_e32 v9, 0
	s_mov_b32 s38, 0
	s_mov_b64 s[6:7], s[34:35]
	v_mov_b32_e32 v2, 0
	v_mov_b32_e32 v1, v0
.LBB63_1103:                            ; =>This Inner Loop Header: Depth=1
	s_load_dwordx8 s[16:23], s[6:7], 0x4
	s_load_dwordx4 s[24:27], s[6:7], 0x24
	s_load_dwordx8 s[8:15], s[2:3], 0x0
	s_add_u32 s6, s6, 48
	s_addc_u32 s7, s7, 0
	s_waitcnt vmcnt(0) lgkmcnt(0)
	v_mul_hi_u32 v3, s17, v1
	s_add_i32 s38, s38, 4
	s_add_u32 s2, s2, 32
	s_addc_u32 s3, s3, 0
	v_add_u32_e32 v3, v1, v3
	v_lshrrev_b32_e32 v3, s18, v3
	v_mul_lo_u32 v5, v3, s16
	v_mul_hi_u32 v7, s20, v3
	s_cmp_lg_u32 s36, s38
	v_sub_u32_e32 v1, v1, v5
	v_add_u32_e32 v5, v3, v7
	v_mul_lo_u32 v7, v1, s8
	v_mul_lo_u32 v8, v1, s9
	v_lshrrev_b32_e32 v1, s21, v5
	v_mul_lo_u32 v5, v1, s19
	v_mul_hi_u32 v10, s23, v1
	v_sub_u32_e32 v3, v3, v5
	v_add_u32_e32 v5, v1, v10
	v_lshrrev_b32_e32 v5, s24, v5
	v_mul_hi_u32 v12, s26, v5
	v_mul_lo_u32 v14, v5, s22
	v_mul_lo_u32 v10, v3, s10
	;; [unrolled: 1-line block ×3, first 2 shown]
	v_sub_u32_e32 v14, v1, v14
	v_add_u32_e32 v1, v5, v12
	v_lshrrev_b32_e32 v1, s27, v1
	v_mul_lo_u32 v12, v1, s25
	v_mul_lo_u32 v16, v14, s12
	v_mul_lo_u32 v14, v14, s13
	v_add3_u32 v2, v7, v2, v10
	v_sub_u32_e32 v5, v5, v12
	v_mul_lo_u32 v12, v5, s14
	v_mul_lo_u32 v5, v5, s15
	v_add3_u32 v3, v8, v9, v3
	v_add3_u32 v2, v16, v2, v12
	;; [unrolled: 1-line block ×3, first 2 shown]
	s_cbranch_scc1 .LBB63_1103
; %bb.1104:
	s_and_b32 s8, s37, 3
	s_cmp_eq_u32 s8, 0
	s_cbranch_scc0 .LBB63_1108
	s_branch .LBB63_1110
.LBB63_1105:
                                        ; implicit-def: $vgpr2
                                        ; implicit-def: $vgpr9
	s_branch .LBB63_1111
.LBB63_1106:
	v_mov_b32_e32 v2, 0
	v_mov_b32_e32 v9, 0
	s_branch .LBB63_1110
.LBB63_1107:
	v_mov_b32_e32 v2, 0
	v_mov_b32_e32 v9, 0
	;; [unrolled: 1-line block ×3, first 2 shown]
	s_and_b32 s8, s37, 3
	s_cmp_eq_u32 s8, 0
	s_cbranch_scc1 .LBB63_1110
.LBB63_1108:
	s_lshl_b32 s2, s36, 3
	s_add_u32 s2, s34, s2
	s_addc_u32 s3, s35, 0
	s_add_u32 s2, s2, 0xc4
	s_addc_u32 s3, s3, 0
	s_mul_i32 s6, s36, 12
	s_add_u32 s6, s34, s6
	s_addc_u32 s7, s35, 0
.LBB63_1109:                            ; =>This Inner Loop Header: Depth=1
	s_load_dwordx2 s[10:11], s[6:7], 0x4
	s_load_dword s9, s[6:7], 0xc
	s_load_dwordx2 s[12:13], s[2:3], 0x0
	s_add_u32 s6, s6, 12
	s_addc_u32 s7, s7, 0
	s_waitcnt vmcnt(0) lgkmcnt(0)
	v_mul_hi_u32 v3, s11, v1
	s_add_u32 s2, s2, 8
	s_addc_u32 s3, s3, 0
	s_add_i32 s8, s8, -1
	v_add_u32_e32 v3, v1, v3
	v_lshrrev_b32_e32 v5, s9, v3
	v_mul_lo_u32 v3, v5, s10
	s_cmp_lg_u32 s8, 0
	v_sub_u32_e32 v1, v1, v3
	v_mad_u64_u32 v[2:3], s[10:11], v1, s12, v[2:3]
	v_mad_u64_u32 v[9:10], s[10:11], v1, s13, v[9:10]
	v_mov_b32_e32 v1, v5
	s_cbranch_scc1 .LBB63_1109
.LBB63_1110:
	s_cbranch_execnz .LBB63_1113
.LBB63_1111:
	s_load_dwordx4 s[8:11], s[34:35], 0x4
	s_load_dwordx2 s[2:3], s[34:35], 0xc4
	s_cmp_lt_u32 s33, 2
	s_waitcnt lgkmcnt(0)
	v_mul_hi_u32 v1, s9, v0
	v_add_u32_e32 v1, v0, v1
	v_lshrrev_b32_e32 v1, s10, v1
	v_mul_lo_u32 v2, v1, s8
	v_sub_u32_e32 v0, v0, v2
	v_mul_lo_u32 v2, v0, s2
	v_mul_lo_u32 v9, v0, s3
	s_cbranch_scc1 .LBB63_1113
; %bb.1112:
	s_load_dwordx4 s[8:11], s[34:35], 0x10
	s_load_dwordx2 s[2:3], s[34:35], 0xcc
	s_waitcnt lgkmcnt(0)
	v_mul_hi_u32 v0, s9, v1
	v_add_u32_e32 v0, v1, v0
	v_lshrrev_b32_e32 v0, s10, v0
	v_mul_lo_u32 v0, v0, s8
	v_sub_u32_e32 v0, v1, v0
	s_waitcnt vmcnt(0)
	v_mad_u64_u32 v[2:3], s[6:7], v0, s2, v[2:3]
	v_mad_u64_u32 v[9:10], s[2:3], v0, s3, v[9:10]
.LBB63_1113:
	s_and_b64 vcc, exec, s[0:1]
	s_cbranch_vccnz .LBB63_1119
; %bb.1114:
	s_cmp_lg_u32 s33, 0
	s_mov_b32 s26, 0
	s_cbranch_scc0 .LBB63_1120
; %bb.1115:
	s_min_u32 s27, s76, 15
	s_add_i32 s27, s27, 1
	s_cmp_eq_u32 s76, 2
	s_cbranch_scc1 .LBB63_1121
; %bb.1116:
	s_and_b32 s26, s27, 28
	s_add_u32 s6, s34, 0xc4
	s_addc_u32 s7, s35, 0
	v_mov_b32_e32 v7, 0
	s_mov_b32 s36, 0
	s_mov_b64 s[24:25], s[34:35]
	v_mov_b32_e32 v0, 0
	v_mov_b32_e32 v1, v15
.LBB63_1117:                            ; =>This Inner Loop Header: Depth=1
	s_load_dwordx8 s[16:23], s[24:25], 0x4
	s_load_dwordx4 s[0:3], s[24:25], 0x24
	s_load_dwordx8 s[8:15], s[6:7], 0x0
	s_add_u32 s24, s24, 48
	s_addc_u32 s25, s25, 0
	s_waitcnt vmcnt(0) lgkmcnt(0)
	v_mul_hi_u32 v3, s17, v1
	s_add_i32 s36, s36, 4
	s_add_u32 s6, s6, 32
	s_addc_u32 s7, s7, 0
	v_add_u32_e32 v3, v1, v3
	v_lshrrev_b32_e32 v3, s18, v3
	v_mul_lo_u32 v5, v3, s16
	v_mul_hi_u32 v8, s20, v3
	s_cmp_lg_u32 s26, s36
	v_sub_u32_e32 v1, v1, v5
	v_add_u32_e32 v5, v3, v8
	v_mul_lo_u32 v8, v1, s8
	v_mul_lo_u32 v10, v1, s9
	v_lshrrev_b32_e32 v1, s21, v5
	v_mul_lo_u32 v5, v1, s19
	v_mul_hi_u32 v12, s23, v1
	v_sub_u32_e32 v3, v3, v5
	v_add_u32_e32 v5, v1, v12
	v_lshrrev_b32_e32 v5, s0, v5
	v_mul_hi_u32 v14, s2, v5
	v_mul_lo_u32 v16, v5, s22
	v_mul_lo_u32 v12, v3, s10
	;; [unrolled: 1-line block ×3, first 2 shown]
	v_sub_u32_e32 v16, v1, v16
	v_add_u32_e32 v1, v5, v14
	v_lshrrev_b32_e32 v1, s3, v1
	v_mul_lo_u32 v14, v1, s1
	v_mul_lo_u32 v17, v16, s12
	;; [unrolled: 1-line block ×3, first 2 shown]
	v_add3_u32 v0, v8, v0, v12
	v_sub_u32_e32 v5, v5, v14
	v_mul_lo_u32 v14, v5, s14
	v_mul_lo_u32 v5, v5, s15
	v_add3_u32 v3, v10, v7, v3
	v_add3_u32 v0, v17, v0, v14
	;; [unrolled: 1-line block ×3, first 2 shown]
	s_cbranch_scc1 .LBB63_1117
; %bb.1118:
	s_and_b32 s6, s27, 3
	s_cmp_eq_u32 s6, 0
	s_cbranch_scc0 .LBB63_1122
	s_branch .LBB63_1124
.LBB63_1119:
                                        ; implicit-def: $vgpr0
                                        ; implicit-def: $vgpr7
	s_branch .LBB63_1125
.LBB63_1120:
	v_mov_b32_e32 v0, 0
	v_mov_b32_e32 v7, 0
	s_branch .LBB63_1124
.LBB63_1121:
	v_mov_b32_e32 v0, 0
	v_mov_b32_e32 v7, 0
	;; [unrolled: 1-line block ×3, first 2 shown]
	s_and_b32 s6, s27, 3
	s_cmp_eq_u32 s6, 0
	s_cbranch_scc1 .LBB63_1124
.LBB63_1122:
	s_lshl_b32 s0, s26, 3
	s_add_u32 s0, s34, s0
	s_addc_u32 s1, s35, 0
	s_add_u32 s0, s0, 0xc4
	s_addc_u32 s1, s1, 0
	s_mul_i32 s2, s26, 12
	s_add_u32 s2, s34, s2
	s_addc_u32 s3, s35, 0
.LBB63_1123:                            ; =>This Inner Loop Header: Depth=1
	s_load_dwordx2 s[8:9], s[2:3], 0x4
	s_load_dword s7, s[2:3], 0xc
	s_load_dwordx2 s[10:11], s[0:1], 0x0
	s_add_u32 s2, s2, 12
	s_addc_u32 s3, s3, 0
	s_waitcnt vmcnt(0) lgkmcnt(0)
	v_mul_hi_u32 v3, s9, v1
	s_add_u32 s0, s0, 8
	s_addc_u32 s1, s1, 0
	s_add_i32 s6, s6, -1
	v_add_u32_e32 v3, v1, v3
	v_lshrrev_b32_e32 v3, s7, v3
	v_mul_lo_u32 v5, v3, s8
	s_cmp_lg_u32 s6, 0
	v_sub_u32_e32 v5, v1, v5
	v_mad_u64_u32 v[0:1], s[8:9], v5, s10, v[0:1]
	v_mad_u64_u32 v[7:8], s[8:9], v5, s11, v[7:8]
	v_mov_b32_e32 v1, v3
	s_cbranch_scc1 .LBB63_1123
.LBB63_1124:
	s_cbranch_execnz .LBB63_1127
.LBB63_1125:
	s_load_dwordx4 s[0:3], s[34:35], 0x4
	s_load_dwordx2 s[6:7], s[34:35], 0xc4
	s_cmp_lt_u32 s33, 2
	s_waitcnt lgkmcnt(0)
	v_mul_hi_u32 v0, s1, v15
	v_add_u32_e32 v0, v15, v0
	v_lshrrev_b32_e32 v1, s2, v0
	v_mul_lo_u32 v0, v1, s0
	s_waitcnt vmcnt(0)
	v_sub_u32_e32 v3, v15, v0
	v_mul_lo_u32 v0, v3, s6
	v_mul_lo_u32 v7, v3, s7
	s_cbranch_scc1 .LBB63_1127
; %bb.1126:
	s_load_dwordx4 s[0:3], s[34:35], 0x10
	s_load_dwordx2 s[6:7], s[34:35], 0xcc
	s_waitcnt lgkmcnt(0)
	v_mul_hi_u32 v3, s1, v1
	v_add_u32_e32 v3, v1, v3
	v_lshrrev_b32_e32 v3, s2, v3
	v_mul_lo_u32 v3, v3, s0
	v_sub_u32_e32 v3, v1, v3
	v_mad_u64_u32 v[0:1], s[0:1], v3, s6, v[0:1]
	v_mad_u64_u32 v[7:8], s[0:1], v3, s7, v[7:8]
.LBB63_1127:
	s_load_dwordx4 s[8:11], s[34:35], 0x148
	s_load_dword s12, s[4:5], 0x168
	s_waitcnt lgkmcnt(0)
	v_mov_b32_e32 v1, s11
	s_bfe_u32 s13, s12, 0x80008
	v_add_co_u32_e32 v12, vcc, s10, v13
	s_cmp_lt_i32 s13, 11
	v_addc_co_u32_e32 v13, vcc, 0, v1, vcc
	s_cbranch_scc1 .LBB63_1134
; %bb.1128:
	s_and_b32 s14, 0xffff, s13
	s_cmp_gt_i32 s14, 25
	s_mov_b64 s[4:5], 0
	s_cbranch_scc0 .LBB63_1136
; %bb.1129:
	s_cmp_gt_i32 s14, 28
	s_cbranch_scc0 .LBB63_1137
; %bb.1130:
	s_cmp_gt_i32 s14, 43
	;; [unrolled: 3-line block ×3, first 2 shown]
	s_cbranch_scc0 .LBB63_1139
; %bb.1132:
	s_cmp_eq_u32 s14, 46
	s_mov_b64 s[2:3], 0
	s_cbranch_scc0 .LBB63_1142
; %bb.1133:
	global_load_dword v1, v[12:13], off
	s_mov_b64 s[0:1], 0
	s_mov_b64 s[6:7], -1
	s_waitcnt vmcnt(0)
	v_lshlrev_b32_e32 v1, 16, v1
	v_cvt_i32_f32_e32 v5, v1
	s_branch .LBB63_1143
.LBB63_1134:
	s_mov_b64 s[6:7], 0
                                        ; implicit-def: $vgpr5
	s_mov_b64 s[2:3], s[28:29]
	s_cbranch_execnz .LBB63_1201
.LBB63_1135:
	s_andn2_b64 vcc, exec, s[6:7]
	s_cbranch_vccz .LBB63_1246
	s_branch .LBB63_2055
.LBB63_1136:
	s_mov_b64 s[6:7], 0
	s_mov_b64 s[0:1], 0
                                        ; implicit-def: $vgpr5
	s_cbranch_execnz .LBB63_1168
	s_branch .LBB63_1197
.LBB63_1137:
	s_mov_b64 s[6:7], 0
	s_mov_b64 s[0:1], 0
                                        ; implicit-def: $vgpr5
	s_cbranch_execz .LBB63_1167
	s_branch .LBB63_1152
.LBB63_1138:
	s_mov_b64 s[6:7], 0
	s_mov_b64 s[0:1], 0
                                        ; implicit-def: $vgpr5
	s_cbranch_execnz .LBB63_1148
	s_branch .LBB63_1151
.LBB63_1139:
	s_mov_b64 s[2:3], -1
	s_mov_b64 s[6:7], 0
	s_mov_b64 s[0:1], 0
                                        ; implicit-def: $vgpr5
	s_branch .LBB63_1143
.LBB63_1140:
	s_andn2_saveexec_b64 s[14:15], s[14:15]
	s_cbranch_execz .LBB63_983
.LBB63_1141:
	s_mov_b32 s16, 0x46000000
	v_add_f32_e64 v2, |v0|, s16
	v_and_b32_e32 v2, 0xff, v2
	v_cmp_ne_u32_e32 vcc, 0, v2
	s_andn2_b64 s[12:13], s[12:13], exec
	s_and_b64 s[16:17], vcc, exec
	s_or_b64 s[12:13], s[12:13], s[16:17]
	s_or_b64 exec, exec, s[14:15]
	v_mov_b32_e32 v5, 0
	s_and_saveexec_b64 s[14:15], s[12:13]
	s_cbranch_execnz .LBB63_984
	s_branch .LBB63_985
.LBB63_1142:
	s_mov_b64 s[0:1], -1
                                        ; implicit-def: $vgpr5
	s_mov_b64 s[6:7], 0
.LBB63_1143:
	s_and_b64 vcc, exec, s[2:3]
	s_cbranch_vccz .LBB63_1146
; %bb.1144:
	s_cmp_eq_u32 s14, 44
	s_cbranch_scc0 .LBB63_1147
; %bb.1145:
	global_load_ubyte v1, v[12:13], off
	s_mov_b64 s[0:1], 0
	s_mov_b64 s[6:7], -1
	s_waitcnt vmcnt(0)
	v_lshlrev_b32_e32 v3, 23, v1
	v_cvt_i32_f32_e32 v3, v3
	v_cmp_ne_u32_e32 vcc, 0, v1
	v_cndmask_b32_e32 v5, 0, v3, vcc
.LBB63_1146:
	s_branch .LBB63_1151
.LBB63_1147:
	s_mov_b64 s[0:1], -1
                                        ; implicit-def: $vgpr5
	s_branch .LBB63_1151
.LBB63_1148:
	s_cmp_eq_u32 s14, 29
	s_cbranch_scc0 .LBB63_1150
; %bb.1149:
	global_load_dword v5, v[12:13], off
	s_mov_b64 s[0:1], 0
	s_mov_b64 s[6:7], -1
	s_branch .LBB63_1151
.LBB63_1150:
	s_mov_b64 s[0:1], -1
                                        ; implicit-def: $vgpr5
.LBB63_1151:
	s_branch .LBB63_1167
.LBB63_1152:
	s_cmp_lt_i32 s14, 27
	s_cbranch_scc1 .LBB63_1155
; %bb.1153:
	s_cmp_gt_i32 s14, 27
	s_cbranch_scc0 .LBB63_1156
; %bb.1154:
	global_load_dword v5, v[12:13], off
	s_mov_b64 s[2:3], 0
	s_branch .LBB63_1157
.LBB63_1155:
	s_mov_b64 s[2:3], -1
                                        ; implicit-def: $vgpr5
	s_branch .LBB63_1160
.LBB63_1156:
	s_mov_b64 s[2:3], -1
                                        ; implicit-def: $vgpr5
.LBB63_1157:
	s_andn2_b64 vcc, exec, s[2:3]
	s_cbranch_vccnz .LBB63_1159
; %bb.1158:
	global_load_ushort v5, v[12:13], off
.LBB63_1159:
	s_mov_b64 s[2:3], 0
.LBB63_1160:
	s_andn2_b64 vcc, exec, s[2:3]
	s_cbranch_vccnz .LBB63_1166
; %bb.1161:
	global_load_ubyte v1, v[12:13], off
	s_movk_i32 s2, 0x7f
	s_mov_b64 s[6:7], 0
	s_waitcnt vmcnt(0)
	v_cmp_lt_i16_e32 vcc, s2, v1
	s_and_saveexec_b64 s[2:3], vcc
	s_xor_b64 s[2:3], exec, s[2:3]
	s_cbranch_execz .LBB63_1177
; %bb.1162:
	s_movk_i32 s6, 0x80
	v_cmp_ne_u16_e32 vcc, s6, v1
	s_and_b64 s[6:7], vcc, exec
	s_andn2_saveexec_b64 s[2:3], s[2:3]
	s_cbranch_execnz .LBB63_1178
.LBB63_1163:
	s_or_b64 exec, exec, s[2:3]
	v_mov_b32_e32 v5, 0
	s_and_saveexec_b64 s[2:3], s[6:7]
	s_cbranch_execz .LBB63_1165
.LBB63_1164:
	v_lshlrev_b32_e32 v3, 24, v1
	v_and_b32_e32 v1, 0xffff, v1
	v_and_b32_e32 v5, 7, v1
	v_ffbh_u32_e32 v10, v5
	v_min_u32_e32 v10, 32, v10
	v_subrev_u32_e32 v14, 28, v10
	v_bfe_u32 v8, v1, 3, 4
	v_lshlrev_b32_e32 v1, v14, v1
	v_sub_u32_e32 v10, 29, v10
	v_and_b32_e32 v1, 7, v1
	v_cmp_eq_u32_e32 vcc, 0, v8
	v_cndmask_b32_e32 v8, v8, v10, vcc
	v_cndmask_b32_e32 v1, v5, v1, vcc
	v_mov_b32_e32 v5, 0x3b800000
	v_lshlrev_b32_e32 v1, 20, v1
	v_and_b32_e32 v3, 0x80000000, v3
	v_lshl_add_u32 v5, v8, 23, v5
	v_or3_b32 v1, v3, v5, v1
	v_cvt_i32_f32_e32 v5, v1
.LBB63_1165:
	s_or_b64 exec, exec, s[2:3]
.LBB63_1166:
	s_mov_b64 s[6:7], -1
.LBB63_1167:
	s_branch .LBB63_1197
.LBB63_1168:
	s_cmp_gt_i32 s14, 22
	s_cbranch_scc0 .LBB63_1176
; %bb.1169:
	s_cmp_lt_i32 s14, 24
	s_cbranch_scc1 .LBB63_1179
; %bb.1170:
	s_cmp_gt_i32 s14, 24
	s_cbranch_scc0 .LBB63_1180
; %bb.1171:
	global_load_ubyte v1, v[12:13], off
	s_movk_i32 s2, 0x7f
	s_waitcnt vmcnt(0)
	v_cmp_lt_i16_e32 vcc, s2, v1
	s_and_saveexec_b64 s[2:3], vcc
	s_xor_b64 s[2:3], exec, s[2:3]
	s_cbranch_execz .LBB63_1191
; %bb.1172:
	s_movk_i32 s4, 0x80
	v_cmp_ne_u16_e32 vcc, s4, v1
	s_and_b64 s[4:5], vcc, exec
	s_andn2_saveexec_b64 s[2:3], s[2:3]
	s_cbranch_execnz .LBB63_1192
.LBB63_1173:
	s_or_b64 exec, exec, s[2:3]
	v_mov_b32_e32 v5, 0
	s_and_saveexec_b64 s[2:3], s[4:5]
	s_cbranch_execz .LBB63_1175
.LBB63_1174:
	v_lshlrev_b32_e32 v3, 24, v1
	v_and_b32_e32 v1, 0xffff, v1
	v_and_b32_e32 v5, 3, v1
	v_ffbh_u32_e32 v10, v5
	v_min_u32_e32 v10, 32, v10
	v_subrev_u32_e32 v14, 29, v10
	v_bfe_u32 v8, v1, 2, 5
	v_lshlrev_b32_e32 v1, v14, v1
	v_sub_u32_e32 v10, 30, v10
	v_and_b32_e32 v1, 3, v1
	v_cmp_eq_u32_e32 vcc, 0, v8
	v_cndmask_b32_e32 v8, v8, v10, vcc
	v_cndmask_b32_e32 v1, v5, v1, vcc
	v_mov_b32_e32 v5, 0x37800000
	v_lshlrev_b32_e32 v1, 21, v1
	v_and_b32_e32 v3, 0x80000000, v3
	v_lshl_add_u32 v5, v8, 23, v5
	v_or3_b32 v1, v3, v5, v1
	v_cvt_i32_f32_e32 v5, v1
.LBB63_1175:
	s_or_b64 exec, exec, s[2:3]
	s_mov_b64 s[2:3], 0
	s_branch .LBB63_1181
.LBB63_1176:
                                        ; implicit-def: $vgpr5
	s_mov_b64 s[4:5], 0
	s_branch .LBB63_1187
.LBB63_1177:
	s_andn2_saveexec_b64 s[2:3], s[2:3]
	s_cbranch_execz .LBB63_1163
.LBB63_1178:
	v_cmp_ne_u16_e32 vcc, 0, v1
	s_andn2_b64 s[6:7], s[6:7], exec
	s_and_b64 s[16:17], vcc, exec
	s_or_b64 s[6:7], s[6:7], s[16:17]
	s_or_b64 exec, exec, s[2:3]
	v_mov_b32_e32 v5, 0
	s_and_saveexec_b64 s[2:3], s[6:7]
	s_cbranch_execnz .LBB63_1164
	s_branch .LBB63_1165
.LBB63_1179:
	s_mov_b64 s[2:3], -1
                                        ; implicit-def: $vgpr5
	s_branch .LBB63_1184
.LBB63_1180:
	s_mov_b64 s[2:3], -1
                                        ; implicit-def: $vgpr5
.LBB63_1181:
	s_and_b64 vcc, exec, s[2:3]
	s_cbranch_vccz .LBB63_1183
; %bb.1182:
	global_load_ubyte v1, v[12:13], off
	s_mov_b32 s2, 0x7f800000
	s_waitcnt vmcnt(0)
	v_lshlrev_b32_e32 v1, 24, v1
	v_and_b32_e32 v3, 0x7f000000, v1
	v_ffbh_u32_e32 v5, v3
	v_min_u32_e32 v5, 32, v5
	v_sub_u32_e64 v5, v5, 4 clamp
	v_lshlrev_b32_e32 v10, v5, v3
	v_lshlrev_b32_e32 v5, 23, v5
	v_lshrrev_b32_e32 v10, 4, v10
	v_add_u32_e32 v8, 0x1000000, v3
	v_sub_u32_e32 v5, v10, v5
	v_ashrrev_i32_e32 v8, 8, v8
	v_add_u32_e32 v5, 0x3c000000, v5
	v_and_or_b32 v5, v8, s2, v5
	v_cmp_ne_u32_e32 vcc, 0, v3
	v_cndmask_b32_e32 v3, 0, v5, vcc
	s_brev_b32 s2, 1
	v_and_or_b32 v1, v1, s2, v3
	v_cvt_i32_f32_e32 v5, v1
.LBB63_1183:
	s_mov_b64 s[2:3], 0
.LBB63_1184:
	s_andn2_b64 vcc, exec, s[2:3]
	s_cbranch_vccnz .LBB63_1186
; %bb.1185:
	global_load_ubyte v1, v[12:13], off
	s_movk_i32 s2, 0x7f00
	s_brev_b32 s3, 16
	s_waitcnt vmcnt(0)
	v_lshlrev_b16_e32 v3, 8, v1
	v_lshlrev_b32_e32 v1, 25, v1
	v_lshrrev_b32_e32 v5, 4, v1
	v_and_or_b32 v8, v3, s2, 0.5
	v_or_b32_e32 v5, 0x70000000, v5
	v_add_f32_e32 v8, -0.5, v8
	v_mul_f32_e32 v5, 0x7800000, v5
	v_cmp_gt_u32_e32 vcc, s3, v1
	v_bfe_i32 v3, v3, 0, 16
	v_cndmask_b32_e32 v1, v5, v8, vcc
	s_brev_b32 s2, 1
	v_and_or_b32 v1, v3, s2, v1
	v_cvt_i32_f32_e32 v5, v1
.LBB63_1186:
	s_mov_b64 s[6:7], -1
	s_mov_b64 s[4:5], 0
	s_cbranch_execnz .LBB63_1197
.LBB63_1187:
	s_cmp_gt_i32 s14, 14
	s_cbranch_scc0 .LBB63_1190
; %bb.1188:
	s_cmp_eq_u32 s14, 15
	s_cbranch_scc0 .LBB63_1193
; %bb.1189:
	global_load_ushort v1, v[12:13], off
	s_mov_b64 s[0:1], 0
	s_mov_b64 s[6:7], -1
	s_waitcnt vmcnt(0)
	v_lshlrev_b32_e32 v1, 16, v1
	v_cvt_i32_f32_e32 v5, v1
	s_branch .LBB63_1194
.LBB63_1190:
	s_mov_b64 s[2:3], -1
                                        ; implicit-def: $vgpr5
	s_branch .LBB63_1195
.LBB63_1191:
	s_andn2_saveexec_b64 s[2:3], s[2:3]
	s_cbranch_execz .LBB63_1173
.LBB63_1192:
	v_cmp_ne_u16_e32 vcc, 0, v1
	s_andn2_b64 s[4:5], s[4:5], exec
	s_and_b64 s[6:7], vcc, exec
	s_or_b64 s[4:5], s[4:5], s[6:7]
	s_or_b64 exec, exec, s[2:3]
	v_mov_b32_e32 v5, 0
	s_and_saveexec_b64 s[2:3], s[4:5]
	s_cbranch_execnz .LBB63_1174
	s_branch .LBB63_1175
.LBB63_1193:
	s_mov_b64 s[0:1], -1
                                        ; implicit-def: $vgpr5
.LBB63_1194:
	s_mov_b64 s[2:3], 0
.LBB63_1195:
	s_and_b64 vcc, exec, s[2:3]
	s_cbranch_vccz .LBB63_1197
; %bb.1196:
	s_cmp_lg_u32 s14, 11
	s_mov_b64 s[4:5], -1
	s_cselect_b64 s[0:1], -1, 0
.LBB63_1197:
	s_and_b64 vcc, exec, s[0:1]
	s_mov_b64 s[2:3], s[28:29]
	s_cbranch_vccnz .LBB63_1258
; %bb.1198:
	s_andn2_b64 vcc, exec, s[4:5]
	s_cbranch_vccnz .LBB63_1200
.LBB63_1199:
	global_load_ubyte v1, v[12:13], off
	s_mov_b64 s[6:7], -1
	s_waitcnt vmcnt(0)
	v_cmp_ne_u16_e32 vcc, 0, v1
	v_cndmask_b32_e64 v5, 0, 1, vcc
.LBB63_1200:
	s_branch .LBB63_1135
.LBB63_1201:
	s_and_b32 s4, 0xffff, s13
	s_cmp_lt_i32 s4, 5
	s_cbranch_scc1 .LBB63_1206
; %bb.1202:
	s_cmp_lt_i32 s4, 8
	s_cbranch_scc1 .LBB63_1207
; %bb.1203:
	;; [unrolled: 3-line block ×3, first 2 shown]
	s_cmp_gt_i32 s4, 9
	s_cbranch_scc0 .LBB63_1209
; %bb.1205:
	global_load_dwordx2 v[14:15], v[12:13], off
	s_mov_b64 s[0:1], 0
	s_waitcnt vmcnt(0)
	v_cvt_i32_f64_e32 v5, v[14:15]
	s_branch .LBB63_1210
.LBB63_1206:
                                        ; implicit-def: $vgpr5
	s_branch .LBB63_1227
.LBB63_1207:
                                        ; implicit-def: $vgpr5
	s_branch .LBB63_1216
.LBB63_1208:
	s_mov_b64 s[0:1], -1
                                        ; implicit-def: $vgpr5
	s_branch .LBB63_1213
.LBB63_1209:
	s_mov_b64 s[0:1], -1
                                        ; implicit-def: $vgpr5
.LBB63_1210:
	s_andn2_b64 vcc, exec, s[0:1]
	s_cbranch_vccnz .LBB63_1212
; %bb.1211:
	global_load_dword v1, v[12:13], off
	s_waitcnt vmcnt(0)
	v_cvt_i32_f32_e32 v5, v1
.LBB63_1212:
	s_mov_b64 s[0:1], 0
.LBB63_1213:
	s_andn2_b64 vcc, exec, s[0:1]
	s_cbranch_vccnz .LBB63_1215
; %bb.1214:
	global_load_dword v1, v[12:13], off
	s_waitcnt vmcnt(0)
	v_cvt_f32_f16_e32 v1, v1
	v_cvt_i32_f32_e32 v5, v1
.LBB63_1215:
	s_cbranch_execnz .LBB63_1226
.LBB63_1216:
	s_cmp_lt_i32 s4, 6
	s_cbranch_scc1 .LBB63_1219
; %bb.1217:
	s_cmp_gt_i32 s4, 6
	s_cbranch_scc0 .LBB63_1220
; %bb.1218:
	global_load_dwordx2 v[14:15], v[12:13], off
	s_mov_b64 s[0:1], 0
	s_waitcnt vmcnt(0)
	v_cvt_i32_f64_e32 v5, v[14:15]
	s_branch .LBB63_1221
.LBB63_1219:
	s_mov_b64 s[0:1], -1
                                        ; implicit-def: $vgpr5
	s_branch .LBB63_1224
.LBB63_1220:
	s_mov_b64 s[0:1], -1
                                        ; implicit-def: $vgpr5
.LBB63_1221:
	s_andn2_b64 vcc, exec, s[0:1]
	s_cbranch_vccnz .LBB63_1223
; %bb.1222:
	global_load_dword v1, v[12:13], off
	s_waitcnt vmcnt(0)
	v_cvt_i32_f32_e32 v5, v1
.LBB63_1223:
	s_mov_b64 s[0:1], 0
.LBB63_1224:
	s_andn2_b64 vcc, exec, s[0:1]
	s_cbranch_vccnz .LBB63_1226
; %bb.1225:
	global_load_ushort v1, v[12:13], off
	s_waitcnt vmcnt(0)
	v_cvt_f32_f16_e32 v1, v1
	v_cvt_i32_f32_e32 v5, v1
.LBB63_1226:
	s_cbranch_execnz .LBB63_1245
.LBB63_1227:
	s_cmp_lt_i32 s4, 2
	s_cbranch_scc1 .LBB63_1231
; %bb.1228:
	s_cmp_lt_i32 s4, 3
	s_cbranch_scc1 .LBB63_1232
; %bb.1229:
	s_cmp_gt_i32 s4, 3
	s_cbranch_scc0 .LBB63_1233
; %bb.1230:
	global_load_dword v5, v[12:13], off
	s_mov_b64 s[0:1], 0
	s_branch .LBB63_1234
.LBB63_1231:
                                        ; implicit-def: $vgpr5
	s_branch .LBB63_1240
.LBB63_1232:
	s_mov_b64 s[0:1], -1
                                        ; implicit-def: $vgpr5
	s_branch .LBB63_1237
.LBB63_1233:
	s_mov_b64 s[0:1], -1
                                        ; implicit-def: $vgpr5
.LBB63_1234:
	s_andn2_b64 vcc, exec, s[0:1]
	s_cbranch_vccnz .LBB63_1236
; %bb.1235:
	global_load_dword v5, v[12:13], off
.LBB63_1236:
	s_mov_b64 s[0:1], 0
.LBB63_1237:
	s_andn2_b64 vcc, exec, s[0:1]
	s_cbranch_vccnz .LBB63_1239
; %bb.1238:
	global_load_sshort v5, v[12:13], off
.LBB63_1239:
	s_cbranch_execnz .LBB63_1245
.LBB63_1240:
	s_cmp_gt_i32 s4, 0
	s_cbranch_scc0 .LBB63_1242
; %bb.1241:
	global_load_sbyte v5, v[12:13], off
	s_mov_b64 s[0:1], 0
	s_branch .LBB63_1243
.LBB63_1242:
	s_mov_b64 s[0:1], -1
                                        ; implicit-def: $vgpr5
.LBB63_1243:
	s_andn2_b64 vcc, exec, s[0:1]
	s_cbranch_vccnz .LBB63_1245
; %bb.1244:
	global_load_ubyte v5, v[12:13], off
.LBB63_1245:
.LBB63_1246:
	s_lshr_b32 s0, s12, 8
	v_mov_b32_e32 v1, s11
	s_and_b32 s14, s0, 0xff
	v_add_co_u32_e32 v10, vcc, s10, v11
	s_cmp_lt_i32 s14, 11
	v_addc_co_u32_e32 v11, vcc, 0, v1, vcc
	s_cbranch_scc1 .LBB63_1253
; %bb.1247:
	s_and_b32 s15, 0xffff, s14
	s_cmp_gt_i32 s15, 25
	s_mov_b64 s[4:5], 0
	s_cbranch_scc0 .LBB63_1255
; %bb.1248:
	s_cmp_gt_i32 s15, 28
	s_cbranch_scc0 .LBB63_1256
; %bb.1249:
	s_cmp_gt_i32 s15, 43
	;; [unrolled: 3-line block ×3, first 2 shown]
	s_cbranch_scc0 .LBB63_1259
; %bb.1251:
	s_cmp_eq_u32 s15, 46
	s_mov_b64 s[12:13], 0
	s_cbranch_scc0 .LBB63_1262
; %bb.1252:
	global_load_dword v1, v[10:11], off
	s_mov_b64 s[0:1], 0
	s_mov_b64 s[6:7], -1
	s_waitcnt vmcnt(0)
	v_lshlrev_b32_e32 v1, 16, v1
	v_cvt_i32_f32_e32 v3, v1
	s_branch .LBB63_1263
.LBB63_1253:
	s_mov_b64 s[6:7], 0
                                        ; implicit-def: $vgpr3
	s_cbranch_execnz .LBB63_1324
.LBB63_1254:
	s_andn2_b64 vcc, exec, s[6:7]
	s_cbranch_vccnz .LBB63_2055
	s_branch .LBB63_1371
.LBB63_1255:
	s_mov_b64 s[6:7], 0
	s_mov_b64 s[0:1], 0
                                        ; implicit-def: $vgpr3
	s_cbranch_execnz .LBB63_1290
	s_branch .LBB63_1320
.LBB63_1256:
	s_mov_b64 s[12:13], -1
	s_mov_b64 s[6:7], 0
	s_mov_b64 s[0:1], 0
                                        ; implicit-def: $vgpr3
	s_branch .LBB63_1273
.LBB63_1257:
	s_mov_b64 s[12:13], -1
	s_mov_b64 s[6:7], 0
	s_mov_b64 s[0:1], 0
                                        ; implicit-def: $vgpr3
	s_branch .LBB63_1268
.LBB63_1258:
	s_or_b64 s[2:3], s[28:29], exec
	s_trap 2
	s_cbranch_execz .LBB63_1199
	s_branch .LBB63_1200
.LBB63_1259:
	s_mov_b64 s[12:13], -1
	s_mov_b64 s[6:7], 0
	s_mov_b64 s[0:1], 0
                                        ; implicit-def: $vgpr3
	s_branch .LBB63_1263
.LBB63_1260:
	s_andn2_saveexec_b64 s[16:17], s[16:17]
	s_cbranch_execz .LBB63_995
.LBB63_1261:
	s_mov_b32 s20, 0x42800000
	v_add_f32_e64 v2, |v0|, s20
	v_and_b32_e32 v2, 0xff, v2
	v_cmp_ne_u32_e32 vcc, 0, v2
	s_andn2_b64 s[14:15], s[14:15], exec
	s_and_b64 s[20:21], vcc, exec
	s_or_b64 s[14:15], s[14:15], s[20:21]
	s_or_b64 exec, exec, s[16:17]
	v_mov_b32_e32 v5, 0
	s_and_saveexec_b64 s[16:17], s[14:15]
	s_cbranch_execnz .LBB63_996
	s_branch .LBB63_997
.LBB63_1262:
	s_mov_b64 s[0:1], -1
                                        ; implicit-def: $vgpr3
	s_mov_b64 s[6:7], 0
.LBB63_1263:
	s_and_b64 vcc, exec, s[12:13]
	s_cbranch_vccz .LBB63_1267
; %bb.1264:
	s_cmp_eq_u32 s15, 44
	s_cbranch_scc0 .LBB63_1266
; %bb.1265:
	global_load_ubyte v1, v[10:11], off
	s_mov_b64 s[0:1], 0
	s_mov_b64 s[6:7], -1
	s_waitcnt vmcnt(0)
	v_lshlrev_b32_e32 v3, 23, v1
	v_cvt_i32_f32_e32 v3, v3
	v_cmp_ne_u32_e32 vcc, 0, v1
	v_cndmask_b32_e32 v3, 0, v3, vcc
	s_branch .LBB63_1267
.LBB63_1266:
	s_mov_b64 s[0:1], -1
                                        ; implicit-def: $vgpr3
.LBB63_1267:
	s_mov_b64 s[12:13], 0
.LBB63_1268:
	s_and_b64 vcc, exec, s[12:13]
	s_cbranch_vccz .LBB63_1272
; %bb.1269:
	s_cmp_eq_u32 s15, 29
	s_cbranch_scc0 .LBB63_1271
; %bb.1270:
	global_load_dword v3, v[10:11], off
	s_mov_b64 s[0:1], 0
	s_mov_b64 s[6:7], -1
	s_branch .LBB63_1272
.LBB63_1271:
	s_mov_b64 s[0:1], -1
                                        ; implicit-def: $vgpr3
.LBB63_1272:
	s_mov_b64 s[12:13], 0
.LBB63_1273:
	s_and_b64 vcc, exec, s[12:13]
	s_cbranch_vccz .LBB63_1289
; %bb.1274:
	s_cmp_lt_i32 s15, 27
	s_cbranch_scc1 .LBB63_1277
; %bb.1275:
	s_cmp_gt_i32 s15, 27
	s_cbranch_scc0 .LBB63_1278
; %bb.1276:
	global_load_dword v3, v[10:11], off
	s_mov_b64 s[6:7], 0
	s_branch .LBB63_1279
.LBB63_1277:
	s_mov_b64 s[6:7], -1
                                        ; implicit-def: $vgpr3
	s_branch .LBB63_1282
.LBB63_1278:
	s_mov_b64 s[6:7], -1
                                        ; implicit-def: $vgpr3
.LBB63_1279:
	s_andn2_b64 vcc, exec, s[6:7]
	s_cbranch_vccnz .LBB63_1281
; %bb.1280:
	global_load_ushort v3, v[10:11], off
.LBB63_1281:
	s_mov_b64 s[6:7], 0
.LBB63_1282:
	s_andn2_b64 vcc, exec, s[6:7]
	s_cbranch_vccnz .LBB63_1288
; %bb.1283:
	global_load_ubyte v1, v[10:11], off
	s_movk_i32 s6, 0x7f
	s_mov_b64 s[12:13], 0
	s_waitcnt vmcnt(0)
	v_cmp_lt_i16_e32 vcc, s6, v1
	s_and_saveexec_b64 s[6:7], vcc
	s_xor_b64 s[6:7], exec, s[6:7]
	s_cbranch_execz .LBB63_1299
; %bb.1284:
	s_movk_i32 s12, 0x80
	v_cmp_ne_u16_e32 vcc, s12, v1
	s_and_b64 s[12:13], vcc, exec
	s_andn2_saveexec_b64 s[6:7], s[6:7]
	s_cbranch_execnz .LBB63_1300
.LBB63_1285:
	s_or_b64 exec, exec, s[6:7]
	v_mov_b32_e32 v3, 0
	s_and_saveexec_b64 s[6:7], s[12:13]
	s_cbranch_execz .LBB63_1287
.LBB63_1286:
	v_lshlrev_b32_e32 v3, 24, v1
	v_and_b32_e32 v1, 0xffff, v1
	v_and_b32_e32 v8, 7, v1
	v_ffbh_u32_e32 v13, v8
	v_min_u32_e32 v13, 32, v13
	v_subrev_u32_e32 v14, 28, v13
	v_bfe_u32 v12, v1, 3, 4
	v_lshlrev_b32_e32 v1, v14, v1
	v_sub_u32_e32 v13, 29, v13
	v_and_b32_e32 v1, 7, v1
	v_cmp_eq_u32_e32 vcc, 0, v12
	v_cndmask_b32_e32 v12, v12, v13, vcc
	v_cndmask_b32_e32 v1, v8, v1, vcc
	v_mov_b32_e32 v8, 0x3b800000
	v_lshlrev_b32_e32 v1, 20, v1
	v_and_b32_e32 v3, 0x80000000, v3
	v_lshl_add_u32 v8, v12, 23, v8
	v_or3_b32 v1, v3, v8, v1
	v_cvt_i32_f32_e32 v3, v1
.LBB63_1287:
	s_or_b64 exec, exec, s[6:7]
.LBB63_1288:
	s_mov_b64 s[6:7], -1
.LBB63_1289:
	s_branch .LBB63_1320
.LBB63_1290:
	s_cmp_gt_i32 s15, 22
	s_cbranch_scc0 .LBB63_1298
; %bb.1291:
	s_cmp_lt_i32 s15, 24
	s_cbranch_scc1 .LBB63_1301
; %bb.1292:
	s_cmp_gt_i32 s15, 24
	s_cbranch_scc0 .LBB63_1302
; %bb.1293:
	global_load_ubyte v1, v[10:11], off
	s_movk_i32 s4, 0x7f
	s_mov_b64 s[6:7], 0
	s_waitcnt vmcnt(0)
	v_cmp_lt_i16_e32 vcc, s4, v1
	s_and_saveexec_b64 s[4:5], vcc
	s_xor_b64 s[4:5], exec, s[4:5]
	s_cbranch_execz .LBB63_1314
; %bb.1294:
	s_movk_i32 s6, 0x80
	v_cmp_ne_u16_e32 vcc, s6, v1
	s_and_b64 s[6:7], vcc, exec
	s_andn2_saveexec_b64 s[4:5], s[4:5]
	s_cbranch_execnz .LBB63_1315
.LBB63_1295:
	s_or_b64 exec, exec, s[4:5]
	v_mov_b32_e32 v3, 0
	s_and_saveexec_b64 s[4:5], s[6:7]
	s_cbranch_execz .LBB63_1297
.LBB63_1296:
	v_lshlrev_b32_e32 v3, 24, v1
	v_and_b32_e32 v1, 0xffff, v1
	v_and_b32_e32 v8, 3, v1
	v_ffbh_u32_e32 v13, v8
	v_min_u32_e32 v13, 32, v13
	v_subrev_u32_e32 v14, 29, v13
	v_bfe_u32 v12, v1, 2, 5
	v_lshlrev_b32_e32 v1, v14, v1
	v_sub_u32_e32 v13, 30, v13
	v_and_b32_e32 v1, 3, v1
	v_cmp_eq_u32_e32 vcc, 0, v12
	v_cndmask_b32_e32 v12, v12, v13, vcc
	v_cndmask_b32_e32 v1, v8, v1, vcc
	v_mov_b32_e32 v8, 0x37800000
	v_lshlrev_b32_e32 v1, 21, v1
	v_and_b32_e32 v3, 0x80000000, v3
	v_lshl_add_u32 v8, v12, 23, v8
	v_or3_b32 v1, v3, v8, v1
	v_cvt_i32_f32_e32 v3, v1
.LBB63_1297:
	s_or_b64 exec, exec, s[4:5]
	s_mov_b64 s[4:5], 0
	s_branch .LBB63_1303
.LBB63_1298:
	s_mov_b64 s[4:5], -1
                                        ; implicit-def: $vgpr3
	s_branch .LBB63_1309
.LBB63_1299:
	s_andn2_saveexec_b64 s[6:7], s[6:7]
	s_cbranch_execz .LBB63_1285
.LBB63_1300:
	v_cmp_ne_u16_e32 vcc, 0, v1
	s_andn2_b64 s[12:13], s[12:13], exec
	s_and_b64 s[16:17], vcc, exec
	s_or_b64 s[12:13], s[12:13], s[16:17]
	s_or_b64 exec, exec, s[6:7]
	v_mov_b32_e32 v3, 0
	s_and_saveexec_b64 s[6:7], s[12:13]
	s_cbranch_execnz .LBB63_1286
	s_branch .LBB63_1287
.LBB63_1301:
	s_mov_b64 s[4:5], -1
                                        ; implicit-def: $vgpr3
	s_branch .LBB63_1306
.LBB63_1302:
	s_mov_b64 s[4:5], -1
                                        ; implicit-def: $vgpr3
.LBB63_1303:
	s_and_b64 vcc, exec, s[4:5]
	s_cbranch_vccz .LBB63_1305
; %bb.1304:
	global_load_ubyte v1, v[10:11], off
	s_mov_b32 s4, 0x7f800000
	s_waitcnt vmcnt(0)
	v_lshlrev_b32_e32 v1, 24, v1
	v_and_b32_e32 v3, 0x7f000000, v1
	v_ffbh_u32_e32 v8, v3
	v_min_u32_e32 v8, 32, v8
	v_sub_u32_e64 v8, v8, 4 clamp
	v_lshlrev_b32_e32 v13, v8, v3
	v_lshlrev_b32_e32 v8, 23, v8
	v_lshrrev_b32_e32 v13, 4, v13
	v_add_u32_e32 v12, 0x1000000, v3
	v_sub_u32_e32 v8, v13, v8
	v_ashrrev_i32_e32 v12, 8, v12
	v_add_u32_e32 v8, 0x3c000000, v8
	v_and_or_b32 v8, v12, s4, v8
	v_cmp_ne_u32_e32 vcc, 0, v3
	v_cndmask_b32_e32 v3, 0, v8, vcc
	s_brev_b32 s4, 1
	v_and_or_b32 v1, v1, s4, v3
	v_cvt_i32_f32_e32 v3, v1
.LBB63_1305:
	s_mov_b64 s[4:5], 0
.LBB63_1306:
	s_andn2_b64 vcc, exec, s[4:5]
	s_cbranch_vccnz .LBB63_1308
; %bb.1307:
	global_load_ubyte v1, v[10:11], off
	s_movk_i32 s4, 0x7f00
	s_brev_b32 s5, 16
	s_waitcnt vmcnt(0)
	v_lshlrev_b16_e32 v3, 8, v1
	v_lshlrev_b32_e32 v1, 25, v1
	v_lshrrev_b32_e32 v8, 4, v1
	v_and_or_b32 v12, v3, s4, 0.5
	v_or_b32_e32 v8, 0x70000000, v8
	v_add_f32_e32 v12, -0.5, v12
	v_mul_f32_e32 v8, 0x7800000, v8
	v_cmp_gt_u32_e32 vcc, s5, v1
	v_bfe_i32 v3, v3, 0, 16
	v_cndmask_b32_e32 v1, v8, v12, vcc
	s_brev_b32 s4, 1
	v_and_or_b32 v1, v3, s4, v1
	v_cvt_i32_f32_e32 v3, v1
.LBB63_1308:
	s_mov_b64 s[4:5], 0
	s_mov_b64 s[6:7], -1
.LBB63_1309:
	s_andn2_b64 vcc, exec, s[4:5]
	s_mov_b64 s[4:5], 0
	s_cbranch_vccnz .LBB63_1320
; %bb.1310:
	s_cmp_gt_i32 s15, 14
	s_cbranch_scc0 .LBB63_1313
; %bb.1311:
	s_cmp_eq_u32 s15, 15
	s_cbranch_scc0 .LBB63_1316
; %bb.1312:
	global_load_ushort v1, v[10:11], off
	s_mov_b64 s[0:1], 0
	s_mov_b64 s[6:7], -1
	s_waitcnt vmcnt(0)
	v_lshlrev_b32_e32 v1, 16, v1
	v_cvt_i32_f32_e32 v3, v1
	s_branch .LBB63_1317
.LBB63_1313:
	s_mov_b64 s[12:13], -1
                                        ; implicit-def: $vgpr3
	s_branch .LBB63_1318
.LBB63_1314:
	s_andn2_saveexec_b64 s[4:5], s[4:5]
	s_cbranch_execz .LBB63_1295
.LBB63_1315:
	v_cmp_ne_u16_e32 vcc, 0, v1
	s_andn2_b64 s[6:7], s[6:7], exec
	s_and_b64 s[12:13], vcc, exec
	s_or_b64 s[6:7], s[6:7], s[12:13]
	s_or_b64 exec, exec, s[4:5]
	v_mov_b32_e32 v3, 0
	s_and_saveexec_b64 s[4:5], s[6:7]
	s_cbranch_execnz .LBB63_1296
	s_branch .LBB63_1297
.LBB63_1316:
	s_mov_b64 s[0:1], -1
                                        ; implicit-def: $vgpr3
.LBB63_1317:
	s_mov_b64 s[12:13], 0
.LBB63_1318:
	s_and_b64 vcc, exec, s[12:13]
	s_cbranch_vccz .LBB63_1320
; %bb.1319:
	s_cmp_lg_u32 s15, 11
	s_mov_b64 s[4:5], -1
	s_cselect_b64 s[0:1], -1, 0
.LBB63_1320:
	s_and_b64 vcc, exec, s[0:1]
	s_cbranch_vccnz .LBB63_1383
; %bb.1321:
	s_andn2_b64 vcc, exec, s[4:5]
	s_cbranch_vccnz .LBB63_1323
.LBB63_1322:
	global_load_ubyte v1, v[10:11], off
	s_mov_b64 s[6:7], -1
	s_waitcnt vmcnt(0)
	v_cmp_ne_u16_e32 vcc, 0, v1
	v_cndmask_b32_e64 v3, 0, 1, vcc
.LBB63_1323:
	s_branch .LBB63_1254
.LBB63_1324:
	s_and_b32 s4, 0xffff, s14
	s_cmp_lt_i32 s4, 5
	s_cbranch_scc1 .LBB63_1329
; %bb.1325:
	s_cmp_lt_i32 s4, 8
	s_cbranch_scc1 .LBB63_1330
; %bb.1326:
	;; [unrolled: 3-line block ×3, first 2 shown]
	s_cmp_gt_i32 s4, 9
	s_cbranch_scc0 .LBB63_1332
; %bb.1328:
	global_load_dwordx2 v[12:13], v[10:11], off
	s_mov_b64 s[0:1], 0
	s_waitcnt vmcnt(0)
	v_cvt_i32_f64_e32 v3, v[12:13]
	s_branch .LBB63_1333
.LBB63_1329:
                                        ; implicit-def: $vgpr3
	s_branch .LBB63_1351
.LBB63_1330:
	s_mov_b64 s[0:1], -1
                                        ; implicit-def: $vgpr3
	s_branch .LBB63_1339
.LBB63_1331:
	s_mov_b64 s[0:1], -1
                                        ; implicit-def: $vgpr3
	s_branch .LBB63_1336
.LBB63_1332:
	s_mov_b64 s[0:1], -1
                                        ; implicit-def: $vgpr3
.LBB63_1333:
	s_andn2_b64 vcc, exec, s[0:1]
	s_cbranch_vccnz .LBB63_1335
; %bb.1334:
	global_load_dword v1, v[10:11], off
	s_waitcnt vmcnt(0)
	v_cvt_i32_f32_e32 v3, v1
.LBB63_1335:
	s_mov_b64 s[0:1], 0
.LBB63_1336:
	s_andn2_b64 vcc, exec, s[0:1]
	s_cbranch_vccnz .LBB63_1338
; %bb.1337:
	global_load_dword v1, v[10:11], off
	s_waitcnt vmcnt(0)
	v_cvt_f32_f16_e32 v1, v1
	v_cvt_i32_f32_e32 v3, v1
.LBB63_1338:
	s_mov_b64 s[0:1], 0
.LBB63_1339:
	s_andn2_b64 vcc, exec, s[0:1]
	s_cbranch_vccnz .LBB63_1350
; %bb.1340:
	s_cmp_lt_i32 s4, 6
	s_cbranch_scc1 .LBB63_1343
; %bb.1341:
	s_cmp_gt_i32 s4, 6
	s_cbranch_scc0 .LBB63_1344
; %bb.1342:
	global_load_dwordx2 v[12:13], v[10:11], off
	s_mov_b64 s[0:1], 0
	s_waitcnt vmcnt(0)
	v_cvt_i32_f64_e32 v3, v[12:13]
	s_branch .LBB63_1345
.LBB63_1343:
	s_mov_b64 s[0:1], -1
                                        ; implicit-def: $vgpr3
	s_branch .LBB63_1348
.LBB63_1344:
	s_mov_b64 s[0:1], -1
                                        ; implicit-def: $vgpr3
.LBB63_1345:
	s_andn2_b64 vcc, exec, s[0:1]
	s_cbranch_vccnz .LBB63_1347
; %bb.1346:
	global_load_dword v1, v[10:11], off
	s_waitcnt vmcnt(0)
	v_cvt_i32_f32_e32 v3, v1
.LBB63_1347:
	s_mov_b64 s[0:1], 0
.LBB63_1348:
	s_andn2_b64 vcc, exec, s[0:1]
	s_cbranch_vccnz .LBB63_1350
; %bb.1349:
	global_load_ushort v1, v[10:11], off
	s_waitcnt vmcnt(0)
	v_cvt_f32_f16_e32 v1, v1
	v_cvt_i32_f32_e32 v3, v1
.LBB63_1350:
	s_cbranch_execnz .LBB63_1370
.LBB63_1351:
	s_cmp_lt_i32 s4, 2
	s_cbranch_scc1 .LBB63_1355
; %bb.1352:
	s_cmp_lt_i32 s4, 3
	s_cbranch_scc1 .LBB63_1356
; %bb.1353:
	s_cmp_gt_i32 s4, 3
	s_cbranch_scc0 .LBB63_1357
; %bb.1354:
	global_load_dword v3, v[10:11], off
	s_mov_b64 s[0:1], 0
	s_branch .LBB63_1358
.LBB63_1355:
	s_mov_b64 s[0:1], -1
                                        ; implicit-def: $vgpr3
	s_branch .LBB63_1364
.LBB63_1356:
	s_mov_b64 s[0:1], -1
                                        ; implicit-def: $vgpr3
	s_branch .LBB63_1361
.LBB63_1357:
	s_mov_b64 s[0:1], -1
                                        ; implicit-def: $vgpr3
.LBB63_1358:
	s_andn2_b64 vcc, exec, s[0:1]
	s_cbranch_vccnz .LBB63_1360
; %bb.1359:
	global_load_dword v3, v[10:11], off
.LBB63_1360:
	s_mov_b64 s[0:1], 0
.LBB63_1361:
	s_andn2_b64 vcc, exec, s[0:1]
	s_cbranch_vccnz .LBB63_1363
; %bb.1362:
	global_load_sshort v3, v[10:11], off
.LBB63_1363:
	s_mov_b64 s[0:1], 0
.LBB63_1364:
	s_andn2_b64 vcc, exec, s[0:1]
	s_cbranch_vccnz .LBB63_1370
; %bb.1365:
	s_cmp_gt_i32 s4, 0
	s_cbranch_scc0 .LBB63_1367
; %bb.1366:
	global_load_sbyte v3, v[10:11], off
	s_mov_b64 s[0:1], 0
	s_branch .LBB63_1368
.LBB63_1367:
	s_mov_b64 s[0:1], -1
                                        ; implicit-def: $vgpr3
.LBB63_1368:
	s_andn2_b64 vcc, exec, s[0:1]
	s_cbranch_vccnz .LBB63_1370
; %bb.1369:
	global_load_ubyte v3, v[10:11], off
.LBB63_1370:
.LBB63_1371:
	v_mov_b32_e32 v1, s11
	v_add_co_u32_e32 v8, vcc, s10, v9
	s_cmp_lt_i32 s14, 11
	v_addc_co_u32_e32 v9, vcc, 0, v1, vcc
	s_cbranch_scc1 .LBB63_1378
; %bb.1372:
	s_and_b32 s15, 0xffff, s14
	s_cmp_gt_i32 s15, 25
	s_mov_b64 s[4:5], 0
	s_cbranch_scc0 .LBB63_1380
; %bb.1373:
	s_cmp_gt_i32 s15, 28
	s_cbranch_scc0 .LBB63_1381
; %bb.1374:
	s_cmp_gt_i32 s15, 43
	;; [unrolled: 3-line block ×3, first 2 shown]
	s_cbranch_scc0 .LBB63_1384
; %bb.1376:
	s_cmp_eq_u32 s15, 46
	s_mov_b64 s[12:13], 0
	s_cbranch_scc0 .LBB63_1385
; %bb.1377:
	global_load_dword v1, v[8:9], off
	s_mov_b64 s[0:1], 0
	s_mov_b64 s[6:7], -1
	s_waitcnt vmcnt(0)
	v_lshlrev_b32_e32 v1, 16, v1
	v_cvt_i32_f32_e32 v1, v1
	s_branch .LBB63_1386
.LBB63_1378:
	s_mov_b64 s[6:7], 0
                                        ; implicit-def: $vgpr1
	s_cbranch_execnz .LBB63_1448
.LBB63_1379:
	s_andn2_b64 vcc, exec, s[6:7]
	s_cbranch_vccnz .LBB63_2055
	s_branch .LBB63_1496
.LBB63_1380:
	s_mov_b64 s[12:13], -1
	s_mov_b64 s[6:7], 0
	s_mov_b64 s[0:1], 0
                                        ; implicit-def: $vgpr1
	s_branch .LBB63_1413
.LBB63_1381:
	s_mov_b64 s[12:13], -1
	s_mov_b64 s[6:7], 0
	s_mov_b64 s[0:1], 0
                                        ; implicit-def: $vgpr1
	s_branch .LBB63_1396
.LBB63_1382:
	s_mov_b64 s[12:13], -1
	s_mov_b64 s[6:7], 0
	s_mov_b64 s[0:1], 0
                                        ; implicit-def: $vgpr1
	s_branch .LBB63_1391
.LBB63_1383:
	s_trap 2
	s_or_b64 s[2:3], s[2:3], exec
	s_cbranch_execz .LBB63_1322
	s_branch .LBB63_1323
.LBB63_1384:
	s_mov_b64 s[12:13], -1
	s_mov_b64 s[6:7], 0
	s_mov_b64 s[0:1], 0
                                        ; implicit-def: $vgpr1
	s_branch .LBB63_1386
.LBB63_1385:
	s_mov_b64 s[0:1], -1
                                        ; implicit-def: $vgpr1
	s_mov_b64 s[6:7], 0
.LBB63_1386:
	s_and_b64 vcc, exec, s[12:13]
	s_cbranch_vccz .LBB63_1390
; %bb.1387:
	s_cmp_eq_u32 s15, 44
	s_cbranch_scc0 .LBB63_1389
; %bb.1388:
	global_load_ubyte v1, v[8:9], off
	s_mov_b64 s[0:1], 0
	s_mov_b64 s[6:7], -1
	s_waitcnt vmcnt(0)
	v_lshlrev_b32_e32 v10, 23, v1
	v_cvt_i32_f32_e32 v10, v10
	v_cmp_ne_u32_e32 vcc, 0, v1
	v_cndmask_b32_e32 v1, 0, v10, vcc
	s_branch .LBB63_1390
.LBB63_1389:
	s_mov_b64 s[0:1], -1
                                        ; implicit-def: $vgpr1
.LBB63_1390:
	s_mov_b64 s[12:13], 0
.LBB63_1391:
	s_and_b64 vcc, exec, s[12:13]
	s_cbranch_vccz .LBB63_1395
; %bb.1392:
	s_cmp_eq_u32 s15, 29
	s_cbranch_scc0 .LBB63_1394
; %bb.1393:
	global_load_dword v1, v[8:9], off
	s_mov_b64 s[0:1], 0
	s_mov_b64 s[6:7], -1
	s_branch .LBB63_1395
.LBB63_1394:
	s_mov_b64 s[0:1], -1
                                        ; implicit-def: $vgpr1
.LBB63_1395:
	s_mov_b64 s[12:13], 0
.LBB63_1396:
	s_and_b64 vcc, exec, s[12:13]
	s_cbranch_vccz .LBB63_1412
; %bb.1397:
	s_cmp_lt_i32 s15, 27
	s_cbranch_scc1 .LBB63_1400
; %bb.1398:
	s_cmp_gt_i32 s15, 27
	s_cbranch_scc0 .LBB63_1401
; %bb.1399:
	global_load_dword v1, v[8:9], off
	s_mov_b64 s[6:7], 0
	s_branch .LBB63_1402
.LBB63_1400:
	s_mov_b64 s[6:7], -1
                                        ; implicit-def: $vgpr1
	s_branch .LBB63_1405
.LBB63_1401:
	s_mov_b64 s[6:7], -1
                                        ; implicit-def: $vgpr1
.LBB63_1402:
	s_andn2_b64 vcc, exec, s[6:7]
	s_cbranch_vccnz .LBB63_1404
; %bb.1403:
	global_load_ushort v1, v[8:9], off
.LBB63_1404:
	s_mov_b64 s[6:7], 0
.LBB63_1405:
	s_andn2_b64 vcc, exec, s[6:7]
	s_cbranch_vccnz .LBB63_1411
; %bb.1406:
	global_load_ubyte v10, v[8:9], off
	s_movk_i32 s6, 0x7f
	s_mov_b64 s[12:13], 0
	s_waitcnt vmcnt(0)
	v_cmp_lt_i16_e32 vcc, s6, v10
	s_and_saveexec_b64 s[6:7], vcc
	s_xor_b64 s[6:7], exec, s[6:7]
	s_cbranch_execz .LBB63_1423
; %bb.1407:
	s_movk_i32 s12, 0x80
	v_cmp_ne_u16_e32 vcc, s12, v10
	s_and_b64 s[12:13], vcc, exec
	s_andn2_saveexec_b64 s[6:7], s[6:7]
	s_cbranch_execnz .LBB63_1424
.LBB63_1408:
	s_or_b64 exec, exec, s[6:7]
	v_mov_b32_e32 v1, 0
	s_and_saveexec_b64 s[6:7], s[12:13]
	s_cbranch_execz .LBB63_1410
.LBB63_1409:
	v_lshlrev_b32_e32 v1, 24, v10
	v_and_b32_e32 v10, 0xffff, v10
	v_and_b32_e32 v11, 7, v10
	v_ffbh_u32_e32 v13, v11
	v_min_u32_e32 v13, 32, v13
	v_subrev_u32_e32 v14, 28, v13
	v_bfe_u32 v12, v10, 3, 4
	v_lshlrev_b32_e32 v10, v14, v10
	v_sub_u32_e32 v13, 29, v13
	v_and_b32_e32 v10, 7, v10
	v_cmp_eq_u32_e32 vcc, 0, v12
	v_cndmask_b32_e32 v12, v12, v13, vcc
	v_cndmask_b32_e32 v10, v11, v10, vcc
	v_mov_b32_e32 v11, 0x3b800000
	v_lshlrev_b32_e32 v10, 20, v10
	v_and_b32_e32 v1, 0x80000000, v1
	v_lshl_add_u32 v11, v12, 23, v11
	v_or3_b32 v1, v1, v11, v10
	v_cvt_i32_f32_e32 v1, v1
.LBB63_1410:
	s_or_b64 exec, exec, s[6:7]
.LBB63_1411:
	s_mov_b64 s[6:7], -1
.LBB63_1412:
	s_mov_b64 s[12:13], 0
.LBB63_1413:
	s_and_b64 vcc, exec, s[12:13]
	s_cbranch_vccz .LBB63_1444
; %bb.1414:
	s_cmp_gt_i32 s15, 22
	s_cbranch_scc0 .LBB63_1422
; %bb.1415:
	s_cmp_lt_i32 s15, 24
	s_cbranch_scc1 .LBB63_1425
; %bb.1416:
	s_cmp_gt_i32 s15, 24
	s_cbranch_scc0 .LBB63_1426
; %bb.1417:
	global_load_ubyte v10, v[8:9], off
	s_movk_i32 s4, 0x7f
	s_mov_b64 s[6:7], 0
	s_waitcnt vmcnt(0)
	v_cmp_lt_i16_e32 vcc, s4, v10
	s_and_saveexec_b64 s[4:5], vcc
	s_xor_b64 s[4:5], exec, s[4:5]
	s_cbranch_execz .LBB63_1438
; %bb.1418:
	s_movk_i32 s6, 0x80
	v_cmp_ne_u16_e32 vcc, s6, v10
	s_and_b64 s[6:7], vcc, exec
	s_andn2_saveexec_b64 s[4:5], s[4:5]
	s_cbranch_execnz .LBB63_1439
.LBB63_1419:
	s_or_b64 exec, exec, s[4:5]
	v_mov_b32_e32 v1, 0
	s_and_saveexec_b64 s[4:5], s[6:7]
	s_cbranch_execz .LBB63_1421
.LBB63_1420:
	v_lshlrev_b32_e32 v1, 24, v10
	v_and_b32_e32 v10, 0xffff, v10
	v_and_b32_e32 v11, 3, v10
	v_ffbh_u32_e32 v13, v11
	v_min_u32_e32 v13, 32, v13
	v_subrev_u32_e32 v14, 29, v13
	v_bfe_u32 v12, v10, 2, 5
	v_lshlrev_b32_e32 v10, v14, v10
	v_sub_u32_e32 v13, 30, v13
	v_and_b32_e32 v10, 3, v10
	v_cmp_eq_u32_e32 vcc, 0, v12
	v_cndmask_b32_e32 v12, v12, v13, vcc
	v_cndmask_b32_e32 v10, v11, v10, vcc
	v_mov_b32_e32 v11, 0x37800000
	v_lshlrev_b32_e32 v10, 21, v10
	v_and_b32_e32 v1, 0x80000000, v1
	v_lshl_add_u32 v11, v12, 23, v11
	v_or3_b32 v1, v1, v11, v10
	v_cvt_i32_f32_e32 v1, v1
.LBB63_1421:
	s_or_b64 exec, exec, s[4:5]
	s_mov_b64 s[4:5], 0
	s_branch .LBB63_1427
.LBB63_1422:
	s_mov_b64 s[4:5], -1
                                        ; implicit-def: $vgpr1
	s_branch .LBB63_1433
.LBB63_1423:
	s_andn2_saveexec_b64 s[6:7], s[6:7]
	s_cbranch_execz .LBB63_1408
.LBB63_1424:
	v_cmp_ne_u16_e32 vcc, 0, v10
	s_andn2_b64 s[12:13], s[12:13], exec
	s_and_b64 s[16:17], vcc, exec
	s_or_b64 s[12:13], s[12:13], s[16:17]
	s_or_b64 exec, exec, s[6:7]
	v_mov_b32_e32 v1, 0
	s_and_saveexec_b64 s[6:7], s[12:13]
	s_cbranch_execnz .LBB63_1409
	s_branch .LBB63_1410
.LBB63_1425:
	s_mov_b64 s[4:5], -1
                                        ; implicit-def: $vgpr1
	s_branch .LBB63_1430
.LBB63_1426:
	s_mov_b64 s[4:5], -1
                                        ; implicit-def: $vgpr1
.LBB63_1427:
	s_and_b64 vcc, exec, s[4:5]
	s_cbranch_vccz .LBB63_1429
; %bb.1428:
	global_load_ubyte v1, v[8:9], off
	s_mov_b32 s4, 0x7f800000
	s_waitcnt vmcnt(0)
	v_lshlrev_b32_e32 v1, 24, v1
	v_and_b32_e32 v10, 0x7f000000, v1
	v_ffbh_u32_e32 v11, v10
	v_min_u32_e32 v11, 32, v11
	v_sub_u32_e64 v11, v11, 4 clamp
	v_lshlrev_b32_e32 v13, v11, v10
	v_lshlrev_b32_e32 v11, 23, v11
	v_lshrrev_b32_e32 v13, 4, v13
	v_add_u32_e32 v12, 0x1000000, v10
	v_sub_u32_e32 v11, v13, v11
	v_ashrrev_i32_e32 v12, 8, v12
	v_add_u32_e32 v11, 0x3c000000, v11
	v_and_or_b32 v11, v12, s4, v11
	v_cmp_ne_u32_e32 vcc, 0, v10
	v_cndmask_b32_e32 v10, 0, v11, vcc
	s_brev_b32 s4, 1
	v_and_or_b32 v1, v1, s4, v10
	v_cvt_i32_f32_e32 v1, v1
.LBB63_1429:
	s_mov_b64 s[4:5], 0
.LBB63_1430:
	s_andn2_b64 vcc, exec, s[4:5]
	s_cbranch_vccnz .LBB63_1432
; %bb.1431:
	global_load_ubyte v1, v[8:9], off
	s_movk_i32 s4, 0x7f00
	s_brev_b32 s5, 16
	s_waitcnt vmcnt(0)
	v_lshlrev_b16_e32 v10, 8, v1
	v_lshlrev_b32_e32 v1, 25, v1
	v_lshrrev_b32_e32 v11, 4, v1
	v_and_or_b32 v12, v10, s4, 0.5
	v_or_b32_e32 v11, 0x70000000, v11
	v_add_f32_e32 v12, -0.5, v12
	v_mul_f32_e32 v11, 0x7800000, v11
	v_cmp_gt_u32_e32 vcc, s5, v1
	v_bfe_i32 v10, v10, 0, 16
	v_cndmask_b32_e32 v1, v11, v12, vcc
	s_brev_b32 s4, 1
	v_and_or_b32 v1, v10, s4, v1
	v_cvt_i32_f32_e32 v1, v1
.LBB63_1432:
	s_mov_b64 s[4:5], 0
	s_mov_b64 s[6:7], -1
.LBB63_1433:
	s_andn2_b64 vcc, exec, s[4:5]
	s_mov_b64 s[4:5], 0
	s_cbranch_vccnz .LBB63_1444
; %bb.1434:
	s_cmp_gt_i32 s15, 14
	s_cbranch_scc0 .LBB63_1437
; %bb.1435:
	s_cmp_eq_u32 s15, 15
	s_cbranch_scc0 .LBB63_1440
; %bb.1436:
	global_load_ushort v1, v[8:9], off
	s_mov_b64 s[0:1], 0
	s_mov_b64 s[6:7], -1
	s_waitcnt vmcnt(0)
	v_lshlrev_b32_e32 v1, 16, v1
	v_cvt_i32_f32_e32 v1, v1
	s_branch .LBB63_1441
.LBB63_1437:
	s_mov_b64 s[12:13], -1
                                        ; implicit-def: $vgpr1
	s_branch .LBB63_1442
.LBB63_1438:
	s_andn2_saveexec_b64 s[4:5], s[4:5]
	s_cbranch_execz .LBB63_1419
.LBB63_1439:
	v_cmp_ne_u16_e32 vcc, 0, v10
	s_andn2_b64 s[6:7], s[6:7], exec
	s_and_b64 s[12:13], vcc, exec
	s_or_b64 s[6:7], s[6:7], s[12:13]
	s_or_b64 exec, exec, s[4:5]
	v_mov_b32_e32 v1, 0
	s_and_saveexec_b64 s[4:5], s[6:7]
	s_cbranch_execnz .LBB63_1420
	s_branch .LBB63_1421
.LBB63_1440:
	s_mov_b64 s[0:1], -1
                                        ; implicit-def: $vgpr1
.LBB63_1441:
	s_mov_b64 s[12:13], 0
.LBB63_1442:
	s_and_b64 vcc, exec, s[12:13]
	s_cbranch_vccz .LBB63_1444
; %bb.1443:
	s_cmp_lg_u32 s15, 11
	s_mov_b64 s[4:5], -1
	s_cselect_b64 s[0:1], -1, 0
.LBB63_1444:
	s_and_b64 vcc, exec, s[0:1]
	s_cbranch_vccnz .LBB63_1507
; %bb.1445:
	s_andn2_b64 vcc, exec, s[4:5]
	s_cbranch_vccnz .LBB63_1447
.LBB63_1446:
	global_load_ubyte v1, v[8:9], off
	s_mov_b64 s[6:7], -1
	s_waitcnt vmcnt(0)
	v_cmp_ne_u16_e32 vcc, 0, v1
	v_cndmask_b32_e64 v1, 0, 1, vcc
.LBB63_1447:
	s_branch .LBB63_1379
.LBB63_1448:
	s_and_b32 s4, 0xffff, s14
	s_cmp_lt_i32 s4, 5
	s_cbranch_scc1 .LBB63_1453
; %bb.1449:
	s_cmp_lt_i32 s4, 8
	s_cbranch_scc1 .LBB63_1454
; %bb.1450:
	;; [unrolled: 3-line block ×3, first 2 shown]
	s_cmp_gt_i32 s4, 9
	s_cbranch_scc0 .LBB63_1456
; %bb.1452:
	global_load_dwordx2 v[10:11], v[8:9], off
	s_mov_b64 s[0:1], 0
	s_waitcnt vmcnt(0)
	v_cvt_i32_f64_e32 v1, v[10:11]
	s_branch .LBB63_1457
.LBB63_1453:
	s_mov_b64 s[0:1], -1
                                        ; implicit-def: $vgpr1
	s_branch .LBB63_1475
.LBB63_1454:
	s_mov_b64 s[0:1], -1
                                        ; implicit-def: $vgpr1
	s_branch .LBB63_1463
.LBB63_1455:
	s_mov_b64 s[0:1], -1
                                        ; implicit-def: $vgpr1
	s_branch .LBB63_1460
.LBB63_1456:
	s_mov_b64 s[0:1], -1
                                        ; implicit-def: $vgpr1
.LBB63_1457:
	s_andn2_b64 vcc, exec, s[0:1]
	s_cbranch_vccnz .LBB63_1459
; %bb.1458:
	global_load_dword v1, v[8:9], off
	s_waitcnt vmcnt(0)
	v_cvt_i32_f32_e32 v1, v1
.LBB63_1459:
	s_mov_b64 s[0:1], 0
.LBB63_1460:
	s_andn2_b64 vcc, exec, s[0:1]
	s_cbranch_vccnz .LBB63_1462
; %bb.1461:
	global_load_dword v1, v[8:9], off
	s_waitcnt vmcnt(0)
	v_cvt_f32_f16_e32 v1, v1
	v_cvt_i32_f32_e32 v1, v1
.LBB63_1462:
	s_mov_b64 s[0:1], 0
.LBB63_1463:
	s_andn2_b64 vcc, exec, s[0:1]
	s_cbranch_vccnz .LBB63_1474
; %bb.1464:
	s_cmp_lt_i32 s4, 6
	s_cbranch_scc1 .LBB63_1467
; %bb.1465:
	s_cmp_gt_i32 s4, 6
	s_cbranch_scc0 .LBB63_1468
; %bb.1466:
	global_load_dwordx2 v[10:11], v[8:9], off
	s_mov_b64 s[0:1], 0
	s_waitcnt vmcnt(0)
	v_cvt_i32_f64_e32 v1, v[10:11]
	s_branch .LBB63_1469
.LBB63_1467:
	s_mov_b64 s[0:1], -1
                                        ; implicit-def: $vgpr1
	s_branch .LBB63_1472
.LBB63_1468:
	s_mov_b64 s[0:1], -1
                                        ; implicit-def: $vgpr1
.LBB63_1469:
	s_andn2_b64 vcc, exec, s[0:1]
	s_cbranch_vccnz .LBB63_1471
; %bb.1470:
	global_load_dword v1, v[8:9], off
	s_waitcnt vmcnt(0)
	v_cvt_i32_f32_e32 v1, v1
.LBB63_1471:
	s_mov_b64 s[0:1], 0
.LBB63_1472:
	s_andn2_b64 vcc, exec, s[0:1]
	s_cbranch_vccnz .LBB63_1474
; %bb.1473:
	global_load_ushort v1, v[8:9], off
	s_waitcnt vmcnt(0)
	v_cvt_f32_f16_e32 v1, v1
	v_cvt_i32_f32_e32 v1, v1
.LBB63_1474:
	s_mov_b64 s[0:1], 0
.LBB63_1475:
	s_andn2_b64 vcc, exec, s[0:1]
	s_cbranch_vccnz .LBB63_1495
; %bb.1476:
	s_cmp_lt_i32 s4, 2
	s_cbranch_scc1 .LBB63_1480
; %bb.1477:
	s_cmp_lt_i32 s4, 3
	s_cbranch_scc1 .LBB63_1481
; %bb.1478:
	s_cmp_gt_i32 s4, 3
	s_cbranch_scc0 .LBB63_1482
; %bb.1479:
	global_load_dword v1, v[8:9], off
	s_mov_b64 s[0:1], 0
	s_branch .LBB63_1483
.LBB63_1480:
	s_mov_b64 s[0:1], -1
                                        ; implicit-def: $vgpr1
	s_branch .LBB63_1489
.LBB63_1481:
	s_mov_b64 s[0:1], -1
                                        ; implicit-def: $vgpr1
	s_branch .LBB63_1486
.LBB63_1482:
	s_mov_b64 s[0:1], -1
                                        ; implicit-def: $vgpr1
.LBB63_1483:
	s_andn2_b64 vcc, exec, s[0:1]
	s_cbranch_vccnz .LBB63_1485
; %bb.1484:
	global_load_dword v1, v[8:9], off
.LBB63_1485:
	s_mov_b64 s[0:1], 0
.LBB63_1486:
	s_andn2_b64 vcc, exec, s[0:1]
	s_cbranch_vccnz .LBB63_1488
; %bb.1487:
	global_load_sshort v1, v[8:9], off
.LBB63_1488:
	s_mov_b64 s[0:1], 0
.LBB63_1489:
	s_andn2_b64 vcc, exec, s[0:1]
	s_cbranch_vccnz .LBB63_1495
; %bb.1490:
	s_cmp_gt_i32 s4, 0
	s_cbranch_scc0 .LBB63_1492
; %bb.1491:
	global_load_sbyte v1, v[8:9], off
	s_mov_b64 s[0:1], 0
	s_branch .LBB63_1493
.LBB63_1492:
	s_mov_b64 s[0:1], -1
                                        ; implicit-def: $vgpr1
.LBB63_1493:
	s_andn2_b64 vcc, exec, s[0:1]
	s_cbranch_vccnz .LBB63_1495
; %bb.1494:
	global_load_ubyte v1, v[8:9], off
.LBB63_1495:
.LBB63_1496:
	v_mov_b32_e32 v8, s11
	v_add_co_u32_e32 v7, vcc, s10, v7
	s_cmp_lt_i32 s14, 11
	v_addc_co_u32_e32 v8, vcc, 0, v8, vcc
	s_cbranch_scc1 .LBB63_1503
; %bb.1497:
	s_and_b32 s12, 0xffff, s14
	s_cmp_gt_i32 s12, 25
	s_mov_b64 s[4:5], 0
	s_cbranch_scc0 .LBB63_1504
; %bb.1498:
	s_cmp_gt_i32 s12, 28
	s_cbranch_scc0 .LBB63_1505
; %bb.1499:
	s_cmp_gt_i32 s12, 43
	;; [unrolled: 3-line block ×3, first 2 shown]
	s_cbranch_scc0 .LBB63_1508
; %bb.1501:
	s_cmp_eq_u32 s12, 46
	s_mov_b64 s[10:11], 0
	s_cbranch_scc0 .LBB63_1509
; %bb.1502:
	global_load_dword v9, v[7:8], off
	s_mov_b64 s[0:1], 0
	s_mov_b64 s[6:7], -1
	s_waitcnt vmcnt(0)
	v_lshlrev_b32_e32 v9, 16, v9
	v_cvt_i32_f32_e32 v9, v9
	s_branch .LBB63_1510
.LBB63_1503:
	s_mov_b64 s[0:1], -1
	s_mov_b64 s[6:7], 0
                                        ; implicit-def: $vgpr9
	s_branch .LBB63_1572
.LBB63_1504:
	s_mov_b64 s[10:11], -1
	s_mov_b64 s[6:7], 0
	s_mov_b64 s[0:1], 0
                                        ; implicit-def: $vgpr9
	s_branch .LBB63_1537
.LBB63_1505:
	s_mov_b64 s[10:11], -1
	s_mov_b64 s[6:7], 0
	s_mov_b64 s[0:1], 0
                                        ; implicit-def: $vgpr9
	s_branch .LBB63_1520
.LBB63_1506:
	s_mov_b64 s[10:11], -1
	s_mov_b64 s[6:7], 0
	s_mov_b64 s[0:1], 0
                                        ; implicit-def: $vgpr9
	s_branch .LBB63_1515
.LBB63_1507:
	s_trap 2
	s_or_b64 s[2:3], s[2:3], exec
	s_cbranch_execz .LBB63_1446
	s_branch .LBB63_1447
.LBB63_1508:
	s_mov_b64 s[10:11], -1
	s_mov_b64 s[6:7], 0
	s_mov_b64 s[0:1], 0
                                        ; implicit-def: $vgpr9
	s_branch .LBB63_1510
.LBB63_1509:
	s_mov_b64 s[0:1], -1
                                        ; implicit-def: $vgpr9
	s_mov_b64 s[6:7], 0
.LBB63_1510:
	s_and_b64 vcc, exec, s[10:11]
	s_cbranch_vccz .LBB63_1514
; %bb.1511:
	s_cmp_eq_u32 s12, 44
	s_cbranch_scc0 .LBB63_1513
; %bb.1512:
	global_load_ubyte v9, v[7:8], off
	s_mov_b64 s[0:1], 0
	s_mov_b64 s[6:7], -1
	s_waitcnt vmcnt(0)
	v_lshlrev_b32_e32 v10, 23, v9
	v_cvt_i32_f32_e32 v10, v10
	v_cmp_ne_u32_e32 vcc, 0, v9
	v_cndmask_b32_e32 v9, 0, v10, vcc
	s_branch .LBB63_1514
.LBB63_1513:
	s_mov_b64 s[0:1], -1
                                        ; implicit-def: $vgpr9
.LBB63_1514:
	s_mov_b64 s[10:11], 0
.LBB63_1515:
	s_and_b64 vcc, exec, s[10:11]
	s_cbranch_vccz .LBB63_1519
; %bb.1516:
	s_cmp_eq_u32 s12, 29
	s_cbranch_scc0 .LBB63_1518
; %bb.1517:
	global_load_dword v9, v[7:8], off
	s_mov_b64 s[0:1], 0
	s_mov_b64 s[6:7], -1
	s_branch .LBB63_1519
.LBB63_1518:
	s_mov_b64 s[0:1], -1
                                        ; implicit-def: $vgpr9
.LBB63_1519:
	s_mov_b64 s[10:11], 0
.LBB63_1520:
	s_and_b64 vcc, exec, s[10:11]
	s_cbranch_vccz .LBB63_1536
; %bb.1521:
	s_cmp_lt_i32 s12, 27
	s_cbranch_scc1 .LBB63_1524
; %bb.1522:
	s_cmp_gt_i32 s12, 27
	s_cbranch_scc0 .LBB63_1525
; %bb.1523:
	global_load_dword v9, v[7:8], off
	s_mov_b64 s[6:7], 0
	s_branch .LBB63_1526
.LBB63_1524:
	s_mov_b64 s[6:7], -1
                                        ; implicit-def: $vgpr9
	s_branch .LBB63_1529
.LBB63_1525:
	s_mov_b64 s[6:7], -1
                                        ; implicit-def: $vgpr9
.LBB63_1526:
	s_andn2_b64 vcc, exec, s[6:7]
	s_cbranch_vccnz .LBB63_1528
; %bb.1527:
	global_load_ushort v9, v[7:8], off
.LBB63_1528:
	s_mov_b64 s[6:7], 0
.LBB63_1529:
	s_andn2_b64 vcc, exec, s[6:7]
	s_cbranch_vccnz .LBB63_1535
; %bb.1530:
	global_load_ubyte v10, v[7:8], off
	s_movk_i32 s6, 0x7f
	s_mov_b64 s[10:11], 0
	s_waitcnt vmcnt(0)
	v_cmp_lt_i16_e32 vcc, s6, v10
	s_and_saveexec_b64 s[6:7], vcc
	s_xor_b64 s[6:7], exec, s[6:7]
	s_cbranch_execz .LBB63_1547
; %bb.1531:
	s_movk_i32 s10, 0x80
	v_cmp_ne_u16_e32 vcc, s10, v10
	s_and_b64 s[10:11], vcc, exec
	s_andn2_saveexec_b64 s[6:7], s[6:7]
	s_cbranch_execnz .LBB63_1548
.LBB63_1532:
	s_or_b64 exec, exec, s[6:7]
	v_mov_b32_e32 v9, 0
	s_and_saveexec_b64 s[6:7], s[10:11]
	s_cbranch_execz .LBB63_1534
.LBB63_1533:
	v_lshlrev_b32_e32 v9, 24, v10
	v_and_b32_e32 v10, 0xffff, v10
	v_and_b32_e32 v11, 7, v10
	v_ffbh_u32_e32 v13, v11
	v_min_u32_e32 v13, 32, v13
	v_subrev_u32_e32 v14, 28, v13
	v_bfe_u32 v12, v10, 3, 4
	v_lshlrev_b32_e32 v10, v14, v10
	v_sub_u32_e32 v13, 29, v13
	v_and_b32_e32 v10, 7, v10
	v_cmp_eq_u32_e32 vcc, 0, v12
	v_cndmask_b32_e32 v12, v12, v13, vcc
	v_cndmask_b32_e32 v10, v11, v10, vcc
	v_mov_b32_e32 v11, 0x3b800000
	v_lshlrev_b32_e32 v10, 20, v10
	v_and_b32_e32 v9, 0x80000000, v9
	v_lshl_add_u32 v11, v12, 23, v11
	v_or3_b32 v9, v9, v11, v10
	v_cvt_i32_f32_e32 v9, v9
.LBB63_1534:
	s_or_b64 exec, exec, s[6:7]
.LBB63_1535:
	s_mov_b64 s[6:7], -1
.LBB63_1536:
	s_mov_b64 s[10:11], 0
.LBB63_1537:
	s_and_b64 vcc, exec, s[10:11]
	s_cbranch_vccz .LBB63_1568
; %bb.1538:
	s_cmp_gt_i32 s12, 22
	s_cbranch_scc0 .LBB63_1546
; %bb.1539:
	s_cmp_lt_i32 s12, 24
	s_cbranch_scc1 .LBB63_1549
; %bb.1540:
	s_cmp_gt_i32 s12, 24
	s_cbranch_scc0 .LBB63_1550
; %bb.1541:
	global_load_ubyte v10, v[7:8], off
	s_movk_i32 s4, 0x7f
	s_mov_b64 s[6:7], 0
	s_waitcnt vmcnt(0)
	v_cmp_lt_i16_e32 vcc, s4, v10
	s_and_saveexec_b64 s[4:5], vcc
	s_xor_b64 s[4:5], exec, s[4:5]
	s_cbranch_execz .LBB63_1562
; %bb.1542:
	s_movk_i32 s6, 0x80
	v_cmp_ne_u16_e32 vcc, s6, v10
	s_and_b64 s[6:7], vcc, exec
	s_andn2_saveexec_b64 s[4:5], s[4:5]
	s_cbranch_execnz .LBB63_1563
.LBB63_1543:
	s_or_b64 exec, exec, s[4:5]
	v_mov_b32_e32 v9, 0
	s_and_saveexec_b64 s[4:5], s[6:7]
	s_cbranch_execz .LBB63_1545
.LBB63_1544:
	v_lshlrev_b32_e32 v9, 24, v10
	v_and_b32_e32 v10, 0xffff, v10
	v_and_b32_e32 v11, 3, v10
	v_ffbh_u32_e32 v13, v11
	v_min_u32_e32 v13, 32, v13
	v_subrev_u32_e32 v14, 29, v13
	v_bfe_u32 v12, v10, 2, 5
	v_lshlrev_b32_e32 v10, v14, v10
	v_sub_u32_e32 v13, 30, v13
	v_and_b32_e32 v10, 3, v10
	v_cmp_eq_u32_e32 vcc, 0, v12
	v_cndmask_b32_e32 v12, v12, v13, vcc
	v_cndmask_b32_e32 v10, v11, v10, vcc
	v_mov_b32_e32 v11, 0x37800000
	v_lshlrev_b32_e32 v10, 21, v10
	v_and_b32_e32 v9, 0x80000000, v9
	v_lshl_add_u32 v11, v12, 23, v11
	v_or3_b32 v9, v9, v11, v10
	v_cvt_i32_f32_e32 v9, v9
.LBB63_1545:
	s_or_b64 exec, exec, s[4:5]
	s_mov_b64 s[4:5], 0
	s_branch .LBB63_1551
.LBB63_1546:
	s_mov_b64 s[4:5], -1
                                        ; implicit-def: $vgpr9
	s_branch .LBB63_1557
.LBB63_1547:
	s_andn2_saveexec_b64 s[6:7], s[6:7]
	s_cbranch_execz .LBB63_1532
.LBB63_1548:
	v_cmp_ne_u16_e32 vcc, 0, v10
	s_andn2_b64 s[10:11], s[10:11], exec
	s_and_b64 s[16:17], vcc, exec
	s_or_b64 s[10:11], s[10:11], s[16:17]
	s_or_b64 exec, exec, s[6:7]
	v_mov_b32_e32 v9, 0
	s_and_saveexec_b64 s[6:7], s[10:11]
	s_cbranch_execnz .LBB63_1533
	s_branch .LBB63_1534
.LBB63_1549:
	s_mov_b64 s[4:5], -1
                                        ; implicit-def: $vgpr9
	s_branch .LBB63_1554
.LBB63_1550:
	s_mov_b64 s[4:5], -1
                                        ; implicit-def: $vgpr9
.LBB63_1551:
	s_and_b64 vcc, exec, s[4:5]
	s_cbranch_vccz .LBB63_1553
; %bb.1552:
	global_load_ubyte v9, v[7:8], off
	s_mov_b32 s4, 0x7f800000
	s_waitcnt vmcnt(0)
	v_lshlrev_b32_e32 v9, 24, v9
	v_and_b32_e32 v10, 0x7f000000, v9
	v_ffbh_u32_e32 v11, v10
	v_min_u32_e32 v11, 32, v11
	v_sub_u32_e64 v11, v11, 4 clamp
	v_lshlrev_b32_e32 v13, v11, v10
	v_lshlrev_b32_e32 v11, 23, v11
	v_lshrrev_b32_e32 v13, 4, v13
	v_add_u32_e32 v12, 0x1000000, v10
	v_sub_u32_e32 v11, v13, v11
	v_ashrrev_i32_e32 v12, 8, v12
	v_add_u32_e32 v11, 0x3c000000, v11
	v_and_or_b32 v11, v12, s4, v11
	v_cmp_ne_u32_e32 vcc, 0, v10
	v_cndmask_b32_e32 v10, 0, v11, vcc
	s_brev_b32 s4, 1
	v_and_or_b32 v9, v9, s4, v10
	v_cvt_i32_f32_e32 v9, v9
.LBB63_1553:
	s_mov_b64 s[4:5], 0
.LBB63_1554:
	s_andn2_b64 vcc, exec, s[4:5]
	s_cbranch_vccnz .LBB63_1556
; %bb.1555:
	global_load_ubyte v9, v[7:8], off
	s_movk_i32 s4, 0x7f00
	s_brev_b32 s5, 16
	s_waitcnt vmcnt(0)
	v_lshlrev_b16_e32 v10, 8, v9
	v_lshlrev_b32_e32 v9, 25, v9
	v_lshrrev_b32_e32 v11, 4, v9
	v_and_or_b32 v12, v10, s4, 0.5
	v_or_b32_e32 v11, 0x70000000, v11
	v_add_f32_e32 v12, -0.5, v12
	v_mul_f32_e32 v11, 0x7800000, v11
	v_cmp_gt_u32_e32 vcc, s5, v9
	v_bfe_i32 v10, v10, 0, 16
	v_cndmask_b32_e32 v9, v11, v12, vcc
	s_brev_b32 s4, 1
	v_and_or_b32 v9, v10, s4, v9
	v_cvt_i32_f32_e32 v9, v9
.LBB63_1556:
	s_mov_b64 s[4:5], 0
	s_mov_b64 s[6:7], -1
.LBB63_1557:
	s_andn2_b64 vcc, exec, s[4:5]
	s_mov_b64 s[4:5], 0
	s_cbranch_vccnz .LBB63_1568
; %bb.1558:
	s_cmp_gt_i32 s12, 14
	s_cbranch_scc0 .LBB63_1561
; %bb.1559:
	s_cmp_eq_u32 s12, 15
	s_cbranch_scc0 .LBB63_1564
; %bb.1560:
	global_load_ushort v9, v[7:8], off
	s_mov_b64 s[0:1], 0
	s_mov_b64 s[6:7], -1
	s_waitcnt vmcnt(0)
	v_lshlrev_b32_e32 v9, 16, v9
	v_cvt_i32_f32_e32 v9, v9
	s_branch .LBB63_1565
.LBB63_1561:
	s_mov_b64 s[10:11], -1
                                        ; implicit-def: $vgpr9
	s_branch .LBB63_1566
.LBB63_1562:
	s_andn2_saveexec_b64 s[4:5], s[4:5]
	s_cbranch_execz .LBB63_1543
.LBB63_1563:
	v_cmp_ne_u16_e32 vcc, 0, v10
	s_andn2_b64 s[6:7], s[6:7], exec
	s_and_b64 s[10:11], vcc, exec
	s_or_b64 s[6:7], s[6:7], s[10:11]
	s_or_b64 exec, exec, s[4:5]
	v_mov_b32_e32 v9, 0
	s_and_saveexec_b64 s[4:5], s[6:7]
	s_cbranch_execnz .LBB63_1544
	s_branch .LBB63_1545
.LBB63_1564:
	s_mov_b64 s[0:1], -1
                                        ; implicit-def: $vgpr9
.LBB63_1565:
	s_mov_b64 s[10:11], 0
.LBB63_1566:
	s_and_b64 vcc, exec, s[10:11]
	s_cbranch_vccz .LBB63_1568
; %bb.1567:
	s_cmp_lg_u32 s12, 11
	s_mov_b64 s[4:5], -1
	s_cselect_b64 s[0:1], -1, 0
.LBB63_1568:
	s_and_b64 vcc, exec, s[0:1]
	s_cbranch_vccnz .LBB63_2101
; %bb.1569:
	s_andn2_b64 vcc, exec, s[4:5]
	s_cbranch_vccnz .LBB63_1571
.LBB63_1570:
	global_load_ubyte v9, v[7:8], off
	s_mov_b64 s[6:7], -1
	s_waitcnt vmcnt(0)
	v_cmp_ne_u16_e32 vcc, 0, v9
	v_cndmask_b32_e64 v9, 0, 1, vcc
.LBB63_1571:
	s_mov_b64 s[0:1], 0
.LBB63_1572:
	s_and_b64 vcc, exec, s[0:1]
	s_cbranch_vccz .LBB63_1621
; %bb.1573:
	s_and_b32 s4, 0xffff, s14
	s_cmp_lt_i32 s4, 5
	s_cbranch_scc1 .LBB63_1578
; %bb.1574:
	s_cmp_lt_i32 s4, 8
	s_cbranch_scc1 .LBB63_1579
; %bb.1575:
	s_cmp_lt_i32 s4, 9
	s_cbranch_scc1 .LBB63_1580
; %bb.1576:
	s_cmp_gt_i32 s4, 9
	s_cbranch_scc0 .LBB63_1581
; %bb.1577:
	global_load_dwordx2 v[9:10], v[7:8], off
	s_mov_b64 s[0:1], 0
	s_waitcnt vmcnt(0)
	v_cvt_i32_f64_e32 v9, v[9:10]
	s_branch .LBB63_1582
.LBB63_1578:
	s_mov_b64 s[0:1], -1
                                        ; implicit-def: $vgpr9
	s_branch .LBB63_1600
.LBB63_1579:
	s_mov_b64 s[0:1], -1
                                        ; implicit-def: $vgpr9
	s_branch .LBB63_1588
.LBB63_1580:
	s_mov_b64 s[0:1], -1
                                        ; implicit-def: $vgpr9
	s_branch .LBB63_1585
.LBB63_1581:
	s_mov_b64 s[0:1], -1
                                        ; implicit-def: $vgpr9
.LBB63_1582:
	s_andn2_b64 vcc, exec, s[0:1]
	s_cbranch_vccnz .LBB63_1584
; %bb.1583:
	global_load_dword v9, v[7:8], off
	s_waitcnt vmcnt(0)
	v_cvt_i32_f32_e32 v9, v9
.LBB63_1584:
	s_mov_b64 s[0:1], 0
.LBB63_1585:
	s_andn2_b64 vcc, exec, s[0:1]
	s_cbranch_vccnz .LBB63_1587
; %bb.1586:
	global_load_dword v9, v[7:8], off
	s_waitcnt vmcnt(0)
	v_cvt_f32_f16_e32 v9, v9
	v_cvt_i32_f32_e32 v9, v9
.LBB63_1587:
	s_mov_b64 s[0:1], 0
.LBB63_1588:
	s_andn2_b64 vcc, exec, s[0:1]
	s_cbranch_vccnz .LBB63_1599
; %bb.1589:
	s_cmp_lt_i32 s4, 6
	s_cbranch_scc1 .LBB63_1592
; %bb.1590:
	s_cmp_gt_i32 s4, 6
	s_cbranch_scc0 .LBB63_1593
; %bb.1591:
	global_load_dwordx2 v[9:10], v[7:8], off
	s_mov_b64 s[0:1], 0
	s_waitcnt vmcnt(0)
	v_cvt_i32_f64_e32 v9, v[9:10]
	s_branch .LBB63_1594
.LBB63_1592:
	s_mov_b64 s[0:1], -1
                                        ; implicit-def: $vgpr9
	s_branch .LBB63_1597
.LBB63_1593:
	s_mov_b64 s[0:1], -1
                                        ; implicit-def: $vgpr9
.LBB63_1594:
	s_andn2_b64 vcc, exec, s[0:1]
	s_cbranch_vccnz .LBB63_1596
; %bb.1595:
	global_load_dword v9, v[7:8], off
	s_waitcnt vmcnt(0)
	v_cvt_i32_f32_e32 v9, v9
.LBB63_1596:
	s_mov_b64 s[0:1], 0
.LBB63_1597:
	s_andn2_b64 vcc, exec, s[0:1]
	s_cbranch_vccnz .LBB63_1599
; %bb.1598:
	global_load_ushort v9, v[7:8], off
	s_waitcnt vmcnt(0)
	v_cvt_f32_f16_e32 v9, v9
	v_cvt_i32_f32_e32 v9, v9
.LBB63_1599:
	s_mov_b64 s[0:1], 0
.LBB63_1600:
	s_andn2_b64 vcc, exec, s[0:1]
	s_cbranch_vccnz .LBB63_1620
; %bb.1601:
	s_cmp_lt_i32 s4, 2
	s_cbranch_scc1 .LBB63_1605
; %bb.1602:
	s_cmp_lt_i32 s4, 3
	s_cbranch_scc1 .LBB63_1606
; %bb.1603:
	s_cmp_gt_i32 s4, 3
	s_cbranch_scc0 .LBB63_1607
; %bb.1604:
	global_load_dword v9, v[7:8], off
	s_mov_b64 s[0:1], 0
	s_branch .LBB63_1608
.LBB63_1605:
	s_mov_b64 s[0:1], -1
                                        ; implicit-def: $vgpr9
	s_branch .LBB63_1614
.LBB63_1606:
	s_mov_b64 s[0:1], -1
                                        ; implicit-def: $vgpr9
	s_branch .LBB63_1611
.LBB63_1607:
	s_mov_b64 s[0:1], -1
                                        ; implicit-def: $vgpr9
.LBB63_1608:
	s_andn2_b64 vcc, exec, s[0:1]
	s_cbranch_vccnz .LBB63_1610
; %bb.1609:
	global_load_dword v9, v[7:8], off
.LBB63_1610:
	s_mov_b64 s[0:1], 0
.LBB63_1611:
	s_andn2_b64 vcc, exec, s[0:1]
	s_cbranch_vccnz .LBB63_1613
; %bb.1612:
	global_load_sshort v9, v[7:8], off
.LBB63_1613:
	s_mov_b64 s[0:1], 0
.LBB63_1614:
	s_andn2_b64 vcc, exec, s[0:1]
	s_cbranch_vccnz .LBB63_1620
; %bb.1615:
	s_cmp_gt_i32 s4, 0
	s_cbranch_scc0 .LBB63_1617
; %bb.1616:
	global_load_sbyte v9, v[7:8], off
	s_mov_b64 s[0:1], 0
	s_branch .LBB63_1618
.LBB63_1617:
	s_mov_b64 s[0:1], -1
                                        ; implicit-def: $vgpr9
.LBB63_1618:
	s_andn2_b64 vcc, exec, s[0:1]
	s_cbranch_vccnz .LBB63_1620
; %bb.1619:
	global_load_ubyte v9, v[7:8], off
.LBB63_1620:
	s_mov_b64 s[6:7], -1
.LBB63_1621:
	s_andn2_b64 vcc, exec, s[6:7]
	s_cbranch_vccnz .LBB63_2055
; %bb.1622:
	s_load_dwordx2 s[4:5], s[34:35], 0x15c
	v_mov_b32_e32 v8, s9
	v_add_co_u32_e32 v7, vcc, s8, v6
	v_addc_co_u32_e32 v8, vcc, 0, v8, vcc
	s_waitcnt lgkmcnt(0)
	s_cmp_gt_u32 s4, 31
	s_waitcnt vmcnt(0)
	v_lshlrev_b32_e32 v5, s4, v5
	s_cselect_b64 s[6:7], -1, 0
	s_and_b32 s18, s5, 0xff
	v_cndmask_b32_e64 v5, v5, 0, s[6:7]
	s_cmp_lt_i32 s18, 11
	s_cbranch_scc1 .LBB63_1700
; %bb.1623:
	s_and_b32 s5, 0xffff, s18
	s_mov_b64 s[14:15], -1
	s_mov_b64 s[10:11], 0
	s_cmp_gt_i32 s5, 25
	s_mov_b64 s[12:13], 0
	s_mov_b64 s[0:1], 0
	s_cbranch_scc0 .LBB63_1656
; %bb.1624:
	s_cmp_gt_i32 s5, 28
	s_cbranch_scc0 .LBB63_1639
; %bb.1625:
	s_cmp_gt_i32 s5, 43
	;; [unrolled: 3-line block ×3, first 2 shown]
	s_cbranch_scc0 .LBB63_1629
; %bb.1627:
	s_mov_b64 s[0:1], -1
	s_mov_b64 s[14:15], 0
	s_cmp_eq_u32 s5, 46
	s_cbranch_scc0 .LBB63_1629
; %bb.1628:
	v_cvt_f32_i32_e32 v6, v5
	s_movk_i32 s12, 0x7fff
	s_mov_b64 s[0:1], 0
	v_bfe_u32 v10, v6, 16, 1
	v_add3_u32 v6, v6, v10, s12
	v_lshrrev_b32_e32 v6, 16, v6
	global_store_dword v[7:8], v6, off
	s_mov_b64 s[12:13], -1
.LBB63_1629:
	s_and_b64 vcc, exec, s[14:15]
	s_cbranch_vccz .LBB63_1634
; %bb.1630:
	s_cmp_eq_u32 s5, 44
	s_mov_b64 s[0:1], -1
	s_cbranch_scc0 .LBB63_1634
; %bb.1631:
	v_cvt_f32_i32_e32 v6, v5
	s_movk_i32 s0, 0xff
	v_mov_b32_e32 v11, 0xff
	v_bfe_u32 v10, v6, 23, 8
	v_cmp_ne_u32_e32 vcc, s0, v10
	s_and_saveexec_b64 s[12:13], vcc
; %bb.1632:
	s_mov_b32 s0, 0x3fffff
	v_lshrrev_b32_e32 v11, 23, v6
	v_and_b32_e32 v12, 0x400000, v6
	v_and_or_b32 v6, v6, s0, v10
	v_cmp_ne_u32_e32 vcc, 0, v12
	v_cmp_ne_u32_e64 s[0:1], 0, v6
	s_and_b64 s[0:1], vcc, s[0:1]
	v_cndmask_b32_e64 v6, 0, 1, s[0:1]
	v_add_u32_e32 v11, v11, v6
; %bb.1633:
	s_or_b64 exec, exec, s[12:13]
	s_mov_b64 s[0:1], 0
	s_mov_b64 s[12:13], -1
	global_store_byte v[7:8], v11, off
.LBB63_1634:
	s_mov_b64 s[14:15], 0
.LBB63_1635:
	s_and_b64 vcc, exec, s[14:15]
	s_cbranch_vccz .LBB63_1638
; %bb.1636:
	s_cmp_eq_u32 s5, 29
	s_mov_b64 s[0:1], -1
	s_cbranch_scc0 .LBB63_1638
; %bb.1637:
	v_ashrrev_i32_e32 v6, 31, v5
	global_store_dwordx2 v[7:8], v[5:6], off
	s_mov_b64 s[0:1], 0
	s_mov_b64 s[12:13], -1
.LBB63_1638:
	s_mov_b64 s[14:15], 0
.LBB63_1639:
	s_and_b64 vcc, exec, s[14:15]
	s_cbranch_vccz .LBB63_1655
; %bb.1640:
	s_cmp_lt_i32 s5, 27
	s_mov_b64 s[12:13], -1
	s_cbranch_scc1 .LBB63_1646
; %bb.1641:
	s_cmp_gt_i32 s5, 27
	s_cbranch_scc0 .LBB63_1643
; %bb.1642:
	s_mov_b64 s[12:13], 0
	global_store_dword v[7:8], v5, off
.LBB63_1643:
	s_andn2_b64 vcc, exec, s[12:13]
	s_cbranch_vccnz .LBB63_1645
; %bb.1644:
	global_store_short v[7:8], v5, off
.LBB63_1645:
	s_mov_b64 s[12:13], 0
.LBB63_1646:
	s_andn2_b64 vcc, exec, s[12:13]
	s_cbranch_vccnz .LBB63_1654
; %bb.1647:
	v_cvt_f32_i32_e32 v6, v5
	s_mov_b32 s12, 0x43800000
	v_mov_b32_e32 v11, 0x80
	v_and_b32_e32 v10, 0x7fffffff, v6
	v_cmp_gt_u32_e32 vcc, s12, v10
	s_and_saveexec_b64 s[12:13], vcc
	s_cbranch_execz .LBB63_1653
; %bb.1648:
	s_mov_b32 s14, 0x3bffffff
	v_cmp_lt_u32_e32 vcc, s14, v10
	s_mov_b64 s[14:15], 0
                                        ; implicit-def: $vgpr10
	s_and_saveexec_b64 s[16:17], vcc
	s_xor_b64 s[16:17], exec, s[16:17]
	s_cbranch_execz .LBB63_2102
; %bb.1649:
	v_bfe_u32 v10, v6, 20, 1
	s_mov_b32 s19, 0x487ffff
	v_add3_u32 v10, v6, v10, s19
	s_mov_b64 s[14:15], exec
	v_lshrrev_b32_e32 v10, 20, v10
	s_andn2_saveexec_b64 s[16:17], s[16:17]
	s_cbranch_execnz .LBB63_2103
.LBB63_1650:
	s_or_b64 exec, exec, s[16:17]
	v_mov_b32_e32 v11, 0
	s_and_saveexec_b64 s[16:17], s[14:15]
.LBB63_1651:
	v_lshrrev_b32_e32 v6, 24, v6
	s_movk_i32 s14, 0x80
	v_and_or_b32 v11, v6, s14, v10
.LBB63_1652:
	s_or_b64 exec, exec, s[16:17]
.LBB63_1653:
	s_or_b64 exec, exec, s[12:13]
	global_store_byte v[7:8], v11, off
.LBB63_1654:
	s_mov_b64 s[12:13], -1
.LBB63_1655:
	s_mov_b64 s[14:15], 0
.LBB63_1656:
	s_and_b64 vcc, exec, s[14:15]
	s_cbranch_vccz .LBB63_1696
; %bb.1657:
	s_cmp_gt_i32 s5, 22
	s_mov_b64 s[10:11], -1
	s_cbranch_scc0 .LBB63_1689
; %bb.1658:
	s_cmp_lt_i32 s5, 24
	s_cbranch_scc1 .LBB63_1678
; %bb.1659:
	s_cmp_gt_i32 s5, 24
	s_cbranch_scc0 .LBB63_1667
; %bb.1660:
	v_cvt_f32_i32_e32 v6, v5
	s_mov_b32 s10, 0x47800000
	v_mov_b32_e32 v11, 0x80
	v_and_b32_e32 v10, 0x7fffffff, v6
	v_cmp_gt_u32_e32 vcc, s10, v10
	s_and_saveexec_b64 s[10:11], vcc
	s_cbranch_execz .LBB63_1666
; %bb.1661:
	s_mov_b32 s12, 0x37ffffff
	v_cmp_lt_u32_e32 vcc, s12, v10
	s_mov_b64 s[12:13], 0
                                        ; implicit-def: $vgpr10
	s_and_saveexec_b64 s[14:15], vcc
	s_xor_b64 s[14:15], exec, s[14:15]
	s_cbranch_execz .LBB63_2105
; %bb.1662:
	v_bfe_u32 v10, v6, 21, 1
	s_mov_b32 s16, 0x88fffff
	v_add3_u32 v10, v6, v10, s16
	s_mov_b64 s[12:13], exec
	v_lshrrev_b32_e32 v10, 21, v10
	s_andn2_saveexec_b64 s[14:15], s[14:15]
	s_cbranch_execnz .LBB63_2106
.LBB63_1663:
	s_or_b64 exec, exec, s[14:15]
	v_mov_b32_e32 v11, 0
	s_and_saveexec_b64 s[14:15], s[12:13]
.LBB63_1664:
	v_lshrrev_b32_e32 v6, 24, v6
	s_movk_i32 s12, 0x80
	v_and_or_b32 v11, v6, s12, v10
.LBB63_1665:
	s_or_b64 exec, exec, s[14:15]
.LBB63_1666:
	s_or_b64 exec, exec, s[10:11]
	s_mov_b64 s[10:11], 0
	global_store_byte v[7:8], v11, off
.LBB63_1667:
	s_and_b64 vcc, exec, s[10:11]
	s_cbranch_vccz .LBB63_1677
; %bb.1668:
	v_cvt_f32_i32_e32 v6, v5
	s_mov_b32 s10, 0x43f00000
                                        ; implicit-def: $vgpr10
	v_and_b32_e32 v11, 0x7fffffff, v6
	v_cmp_gt_u32_e32 vcc, s10, v11
	s_and_saveexec_b64 s[10:11], vcc
	s_xor_b64 s[10:11], exec, s[10:11]
	s_cbranch_execz .LBB63_1674
; %bb.1669:
	s_mov_b32 s12, 0x3c7fffff
	v_cmp_lt_u32_e32 vcc, s12, v11
                                        ; implicit-def: $vgpr10
	s_and_saveexec_b64 s[12:13], vcc
	s_xor_b64 s[12:13], exec, s[12:13]
; %bb.1670:
	v_bfe_u32 v10, v6, 20, 1
	s_mov_b32 s14, 0x407ffff
	v_add3_u32 v10, v6, v10, s14
	v_lshrrev_b32_e32 v11, 20, v10
	v_and_b32_e32 v10, 0xff00000, v10
	s_mov_b32 s14, 0x7f00000
	v_mov_b32_e32 v12, 0x7e
	v_cmp_ne_u32_e32 vcc, s14, v10
	v_cndmask_b32_e32 v10, v12, v11, vcc
; %bb.1671:
	s_andn2_saveexec_b64 s[12:13], s[12:13]
; %bb.1672:
	s_mov_b32 s14, 0x46800000
	v_add_f32_e64 v10, |v6|, s14
; %bb.1673:
	s_or_b64 exec, exec, s[12:13]
                                        ; implicit-def: $vgpr11
.LBB63_1674:
	s_andn2_saveexec_b64 s[10:11], s[10:11]
; %bb.1675:
	s_mov_b32 s12, 0x7f800000
	v_mov_b32_e32 v10, 0x7e
	v_mov_b32_e32 v12, 0x7f
	v_cmp_lt_u32_e32 vcc, s12, v11
	v_cndmask_b32_e32 v10, v10, v12, vcc
; %bb.1676:
	s_or_b64 exec, exec, s[10:11]
	v_lshrrev_b32_e32 v6, 24, v6
	s_movk_i32 s10, 0x80
	v_and_or_b32 v6, v6, s10, v10
	global_store_byte v[7:8], v6, off
.LBB63_1677:
	s_mov_b64 s[10:11], 0
.LBB63_1678:
	s_andn2_b64 vcc, exec, s[10:11]
	s_cbranch_vccnz .LBB63_1688
; %bb.1679:
	v_cvt_f32_i32_e32 v6, v5
	s_mov_b32 s10, 0x47800000
                                        ; implicit-def: $vgpr10
	v_and_b32_e32 v11, 0x7fffffff, v6
	v_cmp_gt_u32_e32 vcc, s10, v11
	s_and_saveexec_b64 s[10:11], vcc
	s_xor_b64 s[10:11], exec, s[10:11]
	s_cbranch_execz .LBB63_1685
; %bb.1680:
	s_mov_b32 s12, 0x387fffff
	v_cmp_lt_u32_e32 vcc, s12, v11
                                        ; implicit-def: $vgpr10
	s_and_saveexec_b64 s[12:13], vcc
	s_xor_b64 s[12:13], exec, s[12:13]
; %bb.1681:
	v_bfe_u32 v10, v6, 21, 1
	s_mov_b32 s14, 0x80fffff
	v_add3_u32 v10, v6, v10, s14
	v_lshrrev_b32_e32 v10, 21, v10
; %bb.1682:
	s_andn2_saveexec_b64 s[12:13], s[12:13]
; %bb.1683:
	s_mov_b32 s14, 0x43000000
	v_add_f32_e64 v10, |v6|, s14
; %bb.1684:
	s_or_b64 exec, exec, s[12:13]
                                        ; implicit-def: $vgpr11
.LBB63_1685:
	s_andn2_saveexec_b64 s[10:11], s[10:11]
; %bb.1686:
	s_mov_b32 s12, 0x7f800000
	v_mov_b32_e32 v10, 0x7c
	v_mov_b32_e32 v12, 0x7f
	v_cmp_lt_u32_e32 vcc, s12, v11
	v_cndmask_b32_e32 v10, v10, v12, vcc
; %bb.1687:
	s_or_b64 exec, exec, s[10:11]
	v_lshrrev_b32_e32 v6, 24, v6
	s_movk_i32 s10, 0x80
	v_and_or_b32 v6, v6, s10, v10
	global_store_byte v[7:8], v6, off
.LBB63_1688:
	s_mov_b64 s[10:11], 0
	s_mov_b64 s[12:13], -1
.LBB63_1689:
	s_andn2_b64 vcc, exec, s[10:11]
	s_mov_b64 s[10:11], 0
	s_cbranch_vccnz .LBB63_1696
; %bb.1690:
	s_cmp_gt_i32 s5, 14
	s_mov_b64 s[14:15], -1
	s_cbranch_scc0 .LBB63_1694
; %bb.1691:
	s_cmp_eq_u32 s5, 15
	s_mov_b64 s[0:1], -1
	s_cbranch_scc0 .LBB63_1693
; %bb.1692:
	v_cvt_f32_i32_e32 v6, v5
	s_movk_i32 s10, 0x7fff
	s_mov_b64 s[0:1], 0
	s_mov_b64 s[12:13], -1
	v_bfe_u32 v10, v6, 16, 1
	v_add3_u32 v6, v6, v10, s10
	global_store_short_d16_hi v[7:8], v6, off
.LBB63_1693:
	s_mov_b64 s[14:15], 0
.LBB63_1694:
	s_mov_b64 s[10:11], 0
	s_and_b64 vcc, exec, s[14:15]
	s_cbranch_vccz .LBB63_1696
; %bb.1695:
	s_cmp_lg_u32 s5, 11
	s_mov_b64 s[10:11], -1
	s_cselect_b64 s[0:1], -1, 0
.LBB63_1696:
	s_and_b64 vcc, exec, s[0:1]
	s_cbranch_vccnz .LBB63_2104
; %bb.1697:
	s_andn2_b64 vcc, exec, s[10:11]
	s_cbranch_vccnz .LBB63_1699
.LBB63_1698:
	v_cmp_ne_u32_e32 vcc, 0, v5
	v_cndmask_b32_e64 v6, 0, 1, vcc
	s_mov_b64 s[12:13], -1
	global_store_byte v[7:8], v6, off
.LBB63_1699:
	s_mov_b64 s[0:1], 0
	s_branch .LBB63_1701
.LBB63_1700:
	s_mov_b64 s[0:1], -1
	s_mov_b64 s[12:13], 0
.LBB63_1701:
	s_and_b64 vcc, exec, s[0:1]
	s_cbranch_vccz .LBB63_1740
; %bb.1702:
	s_and_b32 s5, 0xffff, s18
	s_cmp_lt_i32 s5, 5
	s_mov_b64 s[0:1], -1
	s_cbranch_scc1 .LBB63_1723
; %bb.1703:
	s_cmp_lt_i32 s5, 8
	s_cbranch_scc1 .LBB63_1713
; %bb.1704:
	s_cmp_lt_i32 s5, 9
	s_cbranch_scc1 .LBB63_1710
; %bb.1705:
	s_cmp_gt_i32 s5, 9
	s_cbranch_scc0 .LBB63_1707
; %bb.1706:
	v_cvt_f64_i32_e32 v[10:11], v5
	v_mov_b32_e32 v12, 0
	v_mov_b32_e32 v13, v12
	s_mov_b64 s[0:1], 0
	global_store_dwordx4 v[7:8], v[10:13], off
.LBB63_1707:
	s_andn2_b64 vcc, exec, s[0:1]
	s_cbranch_vccnz .LBB63_1709
; %bb.1708:
	v_cvt_f32_i32_e32 v10, v5
	v_mov_b32_e32 v11, 0
	global_store_dwordx2 v[7:8], v[10:11], off
.LBB63_1709:
	s_mov_b64 s[0:1], 0
.LBB63_1710:
	s_andn2_b64 vcc, exec, s[0:1]
	s_cbranch_vccnz .LBB63_1712
; %bb.1711:
	v_cvt_f32_i32_e32 v6, v5
	v_cvt_f16_f32_e32 v6, v6
	global_store_dword v[7:8], v6, off
.LBB63_1712:
	s_mov_b64 s[0:1], 0
.LBB63_1713:
	s_andn2_b64 vcc, exec, s[0:1]
	s_cbranch_vccnz .LBB63_1722
; %bb.1714:
	s_cmp_lt_i32 s5, 6
	s_mov_b64 s[0:1], -1
	s_cbranch_scc1 .LBB63_1720
; %bb.1715:
	s_cmp_gt_i32 s5, 6
	s_cbranch_scc0 .LBB63_1717
; %bb.1716:
	v_cvt_f64_i32_e32 v[10:11], v5
	s_mov_b64 s[0:1], 0
	global_store_dwordx2 v[7:8], v[10:11], off
.LBB63_1717:
	s_andn2_b64 vcc, exec, s[0:1]
	s_cbranch_vccnz .LBB63_1719
; %bb.1718:
	v_cvt_f32_i32_e32 v6, v5
	global_store_dword v[7:8], v6, off
.LBB63_1719:
	s_mov_b64 s[0:1], 0
.LBB63_1720:
	s_andn2_b64 vcc, exec, s[0:1]
	s_cbranch_vccnz .LBB63_1722
; %bb.1721:
	v_cvt_f32_i32_e32 v6, v5
	v_cvt_f16_f32_e32 v6, v6
	global_store_short v[7:8], v6, off
.LBB63_1722:
	s_mov_b64 s[0:1], 0
.LBB63_1723:
	s_andn2_b64 vcc, exec, s[0:1]
	s_cbranch_vccnz .LBB63_1739
; %bb.1724:
	s_cmp_lt_i32 s5, 2
	s_mov_b64 s[0:1], -1
	s_cbranch_scc1 .LBB63_1734
; %bb.1725:
	s_cmp_lt_i32 s5, 3
	s_cbranch_scc1 .LBB63_1731
; %bb.1726:
	s_cmp_gt_i32 s5, 3
	s_cbranch_scc0 .LBB63_1728
; %bb.1727:
	v_ashrrev_i32_e32 v6, 31, v5
	global_store_dwordx2 v[7:8], v[5:6], off
	s_mov_b64 s[0:1], 0
.LBB63_1728:
	s_andn2_b64 vcc, exec, s[0:1]
	s_cbranch_vccnz .LBB63_1730
; %bb.1729:
	global_store_dword v[7:8], v5, off
.LBB63_1730:
	s_mov_b64 s[0:1], 0
.LBB63_1731:
	s_andn2_b64 vcc, exec, s[0:1]
	s_cbranch_vccnz .LBB63_1733
; %bb.1732:
	global_store_short v[7:8], v5, off
.LBB63_1733:
	s_mov_b64 s[0:1], 0
.LBB63_1734:
	s_andn2_b64 vcc, exec, s[0:1]
	s_cbranch_vccnz .LBB63_1739
; %bb.1735:
	s_cmp_gt_i32 s5, 0
	s_mov_b64 s[0:1], -1
	s_cbranch_scc0 .LBB63_1737
; %bb.1736:
	global_store_byte v[7:8], v5, off
	s_mov_b64 s[0:1], 0
.LBB63_1737:
	s_andn2_b64 vcc, exec, s[0:1]
	s_cbranch_vccnz .LBB63_1739
; %bb.1738:
	global_store_byte v[7:8], v5, off
.LBB63_1739:
	s_mov_b64 s[12:13], -1
.LBB63_1740:
	s_andn2_b64 vcc, exec, s[12:13]
	s_cbranch_vccnz .LBB63_2055
; %bb.1741:
	v_lshlrev_b32_e32 v3, s4, v3
	v_mov_b32_e32 v6, s9
	s_and_b32 s19, 0xffff, s18
	v_add_co_u32_e32 v5, vcc, s8, v4
	v_cndmask_b32_e64 v3, v3, 0, s[6:7]
	s_cmp_lt_i32 s19, 11
	v_addc_co_u32_e32 v6, vcc, 0, v6, vcc
	s_cbranch_scc1 .LBB63_1819
; %bb.1742:
	s_mov_b64 s[14:15], -1
	s_mov_b64 s[10:11], 0
	s_cmp_gt_i32 s19, 25
	s_mov_b64 s[12:13], 0
	s_mov_b64 s[0:1], 0
	s_cbranch_scc0 .LBB63_1775
; %bb.1743:
	s_cmp_gt_i32 s19, 28
	s_cbranch_scc0 .LBB63_1758
; %bb.1744:
	s_cmp_gt_i32 s19, 43
	;; [unrolled: 3-line block ×3, first 2 shown]
	s_cbranch_scc0 .LBB63_1748
; %bb.1746:
	s_mov_b64 s[0:1], -1
	s_mov_b64 s[14:15], 0
	s_cmp_eq_u32 s19, 46
	s_cbranch_scc0 .LBB63_1748
; %bb.1747:
	v_cvt_f32_i32_e32 v4, v3
	s_movk_i32 s5, 0x7fff
	s_mov_b64 s[0:1], 0
	s_mov_b64 s[12:13], -1
	v_bfe_u32 v7, v4, 16, 1
	v_add3_u32 v4, v4, v7, s5
	v_lshrrev_b32_e32 v4, 16, v4
	global_store_dword v[5:6], v4, off
.LBB63_1748:
	s_and_b64 vcc, exec, s[14:15]
	s_cbranch_vccz .LBB63_1753
; %bb.1749:
	s_cmp_eq_u32 s19, 44
	s_mov_b64 s[0:1], -1
	s_cbranch_scc0 .LBB63_1753
; %bb.1750:
	v_cvt_f32_i32_e32 v4, v3
	s_movk_i32 s0, 0xff
	v_mov_b32_e32 v8, 0xff
	v_bfe_u32 v7, v4, 23, 8
	v_cmp_ne_u32_e32 vcc, s0, v7
	s_and_saveexec_b64 s[12:13], vcc
; %bb.1751:
	s_mov_b32 s0, 0x3fffff
	v_lshrrev_b32_e32 v8, 23, v4
	v_and_b32_e32 v10, 0x400000, v4
	v_and_or_b32 v4, v4, s0, v7
	v_cmp_ne_u32_e32 vcc, 0, v10
	v_cmp_ne_u32_e64 s[0:1], 0, v4
	s_and_b64 s[0:1], vcc, s[0:1]
	v_cndmask_b32_e64 v4, 0, 1, s[0:1]
	v_add_u32_e32 v8, v8, v4
; %bb.1752:
	s_or_b64 exec, exec, s[12:13]
	s_mov_b64 s[0:1], 0
	s_mov_b64 s[12:13], -1
	global_store_byte v[5:6], v8, off
.LBB63_1753:
	s_mov_b64 s[14:15], 0
.LBB63_1754:
	s_and_b64 vcc, exec, s[14:15]
	s_cbranch_vccz .LBB63_1757
; %bb.1755:
	s_cmp_eq_u32 s19, 29
	s_mov_b64 s[0:1], -1
	s_cbranch_scc0 .LBB63_1757
; %bb.1756:
	v_ashrrev_i32_e32 v4, 31, v3
	global_store_dwordx2 v[5:6], v[3:4], off
	s_mov_b64 s[0:1], 0
	s_mov_b64 s[12:13], -1
.LBB63_1757:
	s_mov_b64 s[14:15], 0
.LBB63_1758:
	s_and_b64 vcc, exec, s[14:15]
	s_cbranch_vccz .LBB63_1774
; %bb.1759:
	s_cmp_lt_i32 s19, 27
	s_mov_b64 s[12:13], -1
	s_cbranch_scc1 .LBB63_1765
; %bb.1760:
	s_cmp_gt_i32 s19, 27
	s_cbranch_scc0 .LBB63_1762
; %bb.1761:
	s_mov_b64 s[12:13], 0
	global_store_dword v[5:6], v3, off
.LBB63_1762:
	s_andn2_b64 vcc, exec, s[12:13]
	s_cbranch_vccnz .LBB63_1764
; %bb.1763:
	global_store_short v[5:6], v3, off
.LBB63_1764:
	s_mov_b64 s[12:13], 0
.LBB63_1765:
	s_andn2_b64 vcc, exec, s[12:13]
	s_cbranch_vccnz .LBB63_1773
; %bb.1766:
	v_cvt_f32_i32_e32 v4, v3
	s_mov_b32 s5, 0x43800000
	v_mov_b32_e32 v8, 0x80
	v_and_b32_e32 v7, 0x7fffffff, v4
	v_cmp_gt_u32_e32 vcc, s5, v7
	s_and_saveexec_b64 s[12:13], vcc
	s_cbranch_execz .LBB63_1772
; %bb.1767:
	s_mov_b32 s5, 0x3bffffff
	v_cmp_lt_u32_e32 vcc, s5, v7
	s_mov_b64 s[14:15], 0
                                        ; implicit-def: $vgpr7
	s_and_saveexec_b64 s[16:17], vcc
	s_xor_b64 s[16:17], exec, s[16:17]
	s_cbranch_execz .LBB63_2107
; %bb.1768:
	v_bfe_u32 v7, v4, 20, 1
	s_mov_b32 s5, 0x487ffff
	v_add3_u32 v7, v4, v7, s5
	s_mov_b64 s[14:15], exec
	v_lshrrev_b32_e32 v7, 20, v7
	s_andn2_saveexec_b64 s[16:17], s[16:17]
	s_cbranch_execnz .LBB63_2108
.LBB63_1769:
	s_or_b64 exec, exec, s[16:17]
	v_mov_b32_e32 v8, 0
	s_and_saveexec_b64 s[16:17], s[14:15]
.LBB63_1770:
	v_lshrrev_b32_e32 v4, 24, v4
	s_movk_i32 s5, 0x80
	v_and_or_b32 v8, v4, s5, v7
.LBB63_1771:
	s_or_b64 exec, exec, s[16:17]
.LBB63_1772:
	s_or_b64 exec, exec, s[12:13]
	global_store_byte v[5:6], v8, off
.LBB63_1773:
	s_mov_b64 s[12:13], -1
.LBB63_1774:
	s_mov_b64 s[14:15], 0
.LBB63_1775:
	s_and_b64 vcc, exec, s[14:15]
	s_cbranch_vccz .LBB63_1815
; %bb.1776:
	s_cmp_gt_i32 s19, 22
	s_mov_b64 s[10:11], -1
	s_cbranch_scc0 .LBB63_1808
; %bb.1777:
	s_cmp_lt_i32 s19, 24
	s_cbranch_scc1 .LBB63_1797
; %bb.1778:
	s_cmp_gt_i32 s19, 24
	s_cbranch_scc0 .LBB63_1786
; %bb.1779:
	v_cvt_f32_i32_e32 v4, v3
	s_mov_b32 s5, 0x47800000
	v_mov_b32_e32 v8, 0x80
	v_and_b32_e32 v7, 0x7fffffff, v4
	v_cmp_gt_u32_e32 vcc, s5, v7
	s_and_saveexec_b64 s[10:11], vcc
	s_cbranch_execz .LBB63_1785
; %bb.1780:
	s_mov_b32 s5, 0x37ffffff
	v_cmp_lt_u32_e32 vcc, s5, v7
	s_mov_b64 s[12:13], 0
                                        ; implicit-def: $vgpr7
	s_and_saveexec_b64 s[14:15], vcc
	s_xor_b64 s[14:15], exec, s[14:15]
	s_cbranch_execz .LBB63_2110
; %bb.1781:
	v_bfe_u32 v7, v4, 21, 1
	s_mov_b32 s5, 0x88fffff
	v_add3_u32 v7, v4, v7, s5
	s_mov_b64 s[12:13], exec
	v_lshrrev_b32_e32 v7, 21, v7
	s_andn2_saveexec_b64 s[14:15], s[14:15]
	s_cbranch_execnz .LBB63_2111
.LBB63_1782:
	s_or_b64 exec, exec, s[14:15]
	v_mov_b32_e32 v8, 0
	s_and_saveexec_b64 s[14:15], s[12:13]
.LBB63_1783:
	v_lshrrev_b32_e32 v4, 24, v4
	s_movk_i32 s5, 0x80
	v_and_or_b32 v8, v4, s5, v7
.LBB63_1784:
	s_or_b64 exec, exec, s[14:15]
.LBB63_1785:
	s_or_b64 exec, exec, s[10:11]
	s_mov_b64 s[10:11], 0
	global_store_byte v[5:6], v8, off
.LBB63_1786:
	s_and_b64 vcc, exec, s[10:11]
	s_cbranch_vccz .LBB63_1796
; %bb.1787:
	v_cvt_f32_i32_e32 v4, v3
	s_mov_b32 s5, 0x43f00000
                                        ; implicit-def: $vgpr7
	v_and_b32_e32 v8, 0x7fffffff, v4
	v_cmp_gt_u32_e32 vcc, s5, v8
	s_and_saveexec_b64 s[10:11], vcc
	s_xor_b64 s[10:11], exec, s[10:11]
	s_cbranch_execz .LBB63_1793
; %bb.1788:
	s_mov_b32 s5, 0x3c7fffff
	v_cmp_lt_u32_e32 vcc, s5, v8
                                        ; implicit-def: $vgpr7
	s_and_saveexec_b64 s[12:13], vcc
	s_xor_b64 s[12:13], exec, s[12:13]
; %bb.1789:
	v_bfe_u32 v7, v4, 20, 1
	s_mov_b32 s5, 0x407ffff
	v_add3_u32 v7, v4, v7, s5
	v_lshrrev_b32_e32 v8, 20, v7
	v_and_b32_e32 v7, 0xff00000, v7
	s_mov_b32 s5, 0x7f00000
	v_mov_b32_e32 v10, 0x7e
	v_cmp_ne_u32_e32 vcc, s5, v7
	v_cndmask_b32_e32 v7, v10, v8, vcc
; %bb.1790:
	s_andn2_saveexec_b64 s[12:13], s[12:13]
; %bb.1791:
	s_mov_b32 s5, 0x46800000
	v_add_f32_e64 v7, |v4|, s5
; %bb.1792:
	s_or_b64 exec, exec, s[12:13]
                                        ; implicit-def: $vgpr8
.LBB63_1793:
	s_andn2_saveexec_b64 s[10:11], s[10:11]
; %bb.1794:
	s_mov_b32 s5, 0x7f800000
	v_mov_b32_e32 v7, 0x7e
	v_mov_b32_e32 v10, 0x7f
	v_cmp_lt_u32_e32 vcc, s5, v8
	v_cndmask_b32_e32 v7, v7, v10, vcc
; %bb.1795:
	s_or_b64 exec, exec, s[10:11]
	v_lshrrev_b32_e32 v4, 24, v4
	s_movk_i32 s5, 0x80
	v_and_or_b32 v4, v4, s5, v7
	global_store_byte v[5:6], v4, off
.LBB63_1796:
	s_mov_b64 s[10:11], 0
.LBB63_1797:
	s_andn2_b64 vcc, exec, s[10:11]
	s_cbranch_vccnz .LBB63_1807
; %bb.1798:
	v_cvt_f32_i32_e32 v4, v3
	s_mov_b32 s5, 0x47800000
                                        ; implicit-def: $vgpr7
	v_and_b32_e32 v8, 0x7fffffff, v4
	v_cmp_gt_u32_e32 vcc, s5, v8
	s_and_saveexec_b64 s[10:11], vcc
	s_xor_b64 s[10:11], exec, s[10:11]
	s_cbranch_execz .LBB63_1804
; %bb.1799:
	s_mov_b32 s5, 0x387fffff
	v_cmp_lt_u32_e32 vcc, s5, v8
                                        ; implicit-def: $vgpr7
	s_and_saveexec_b64 s[12:13], vcc
	s_xor_b64 s[12:13], exec, s[12:13]
; %bb.1800:
	v_bfe_u32 v7, v4, 21, 1
	s_mov_b32 s5, 0x80fffff
	v_add3_u32 v7, v4, v7, s5
	v_lshrrev_b32_e32 v7, 21, v7
; %bb.1801:
	s_andn2_saveexec_b64 s[12:13], s[12:13]
; %bb.1802:
	s_mov_b32 s5, 0x43000000
	v_add_f32_e64 v7, |v4|, s5
; %bb.1803:
	s_or_b64 exec, exec, s[12:13]
                                        ; implicit-def: $vgpr8
.LBB63_1804:
	s_andn2_saveexec_b64 s[10:11], s[10:11]
; %bb.1805:
	s_mov_b32 s5, 0x7f800000
	v_mov_b32_e32 v7, 0x7c
	v_mov_b32_e32 v10, 0x7f
	v_cmp_lt_u32_e32 vcc, s5, v8
	v_cndmask_b32_e32 v7, v7, v10, vcc
; %bb.1806:
	s_or_b64 exec, exec, s[10:11]
	v_lshrrev_b32_e32 v4, 24, v4
	s_movk_i32 s5, 0x80
	v_and_or_b32 v4, v4, s5, v7
	global_store_byte v[5:6], v4, off
.LBB63_1807:
	s_mov_b64 s[10:11], 0
	s_mov_b64 s[12:13], -1
.LBB63_1808:
	s_andn2_b64 vcc, exec, s[10:11]
	s_mov_b64 s[10:11], 0
	s_cbranch_vccnz .LBB63_1815
; %bb.1809:
	s_cmp_gt_i32 s19, 14
	s_mov_b64 s[14:15], -1
	s_cbranch_scc0 .LBB63_1813
; %bb.1810:
	s_cmp_eq_u32 s19, 15
	s_mov_b64 s[0:1], -1
	s_cbranch_scc0 .LBB63_1812
; %bb.1811:
	v_cvt_f32_i32_e32 v4, v3
	s_movk_i32 s5, 0x7fff
	s_mov_b64 s[0:1], 0
	s_mov_b64 s[12:13], -1
	v_bfe_u32 v7, v4, 16, 1
	v_add3_u32 v4, v4, v7, s5
	global_store_short_d16_hi v[5:6], v4, off
.LBB63_1812:
	s_mov_b64 s[14:15], 0
.LBB63_1813:
	s_and_b64 vcc, exec, s[14:15]
	s_cbranch_vccz .LBB63_1815
; %bb.1814:
	s_cmp_lg_u32 s19, 11
	s_mov_b64 s[10:11], -1
	s_cselect_b64 s[0:1], -1, 0
.LBB63_1815:
	s_and_b64 vcc, exec, s[0:1]
	s_cbranch_vccnz .LBB63_2109
; %bb.1816:
	s_andn2_b64 vcc, exec, s[10:11]
	s_cbranch_vccnz .LBB63_1818
.LBB63_1817:
	v_cmp_ne_u32_e32 vcc, 0, v3
	v_cndmask_b32_e64 v4, 0, 1, vcc
	s_mov_b64 s[12:13], -1
	global_store_byte v[5:6], v4, off
.LBB63_1818:
	s_mov_b64 s[0:1], 0
	s_branch .LBB63_1820
.LBB63_1819:
	s_mov_b64 s[0:1], -1
	s_mov_b64 s[12:13], 0
.LBB63_1820:
	s_and_b64 vcc, exec, s[0:1]
	s_cbranch_vccz .LBB63_1859
; %bb.1821:
	s_cmp_lt_i32 s19, 5
	s_mov_b64 s[0:1], -1
	s_cbranch_scc1 .LBB63_1842
; %bb.1822:
	s_cmp_lt_i32 s19, 8
	s_cbranch_scc1 .LBB63_1832
; %bb.1823:
	s_cmp_lt_i32 s19, 9
	s_cbranch_scc1 .LBB63_1829
; %bb.1824:
	s_cmp_gt_i32 s19, 9
	s_cbranch_scc0 .LBB63_1826
; %bb.1825:
	v_cvt_f64_i32_e32 v[10:11], v3
	v_mov_b32_e32 v12, 0
	v_mov_b32_e32 v13, v12
	s_mov_b64 s[0:1], 0
	global_store_dwordx4 v[5:6], v[10:13], off
.LBB63_1826:
	s_andn2_b64 vcc, exec, s[0:1]
	s_cbranch_vccnz .LBB63_1828
; %bb.1827:
	v_cvt_f32_i32_e32 v7, v3
	v_mov_b32_e32 v8, 0
	global_store_dwordx2 v[5:6], v[7:8], off
.LBB63_1828:
	s_mov_b64 s[0:1], 0
.LBB63_1829:
	s_andn2_b64 vcc, exec, s[0:1]
	s_cbranch_vccnz .LBB63_1831
; %bb.1830:
	v_cvt_f32_i32_e32 v4, v3
	v_cvt_f16_f32_e32 v4, v4
	global_store_dword v[5:6], v4, off
.LBB63_1831:
	s_mov_b64 s[0:1], 0
.LBB63_1832:
	s_andn2_b64 vcc, exec, s[0:1]
	s_cbranch_vccnz .LBB63_1841
; %bb.1833:
	s_cmp_lt_i32 s19, 6
	s_mov_b64 s[0:1], -1
	s_cbranch_scc1 .LBB63_1839
; %bb.1834:
	s_cmp_gt_i32 s19, 6
	s_cbranch_scc0 .LBB63_1836
; %bb.1835:
	v_cvt_f64_i32_e32 v[7:8], v3
	s_mov_b64 s[0:1], 0
	global_store_dwordx2 v[5:6], v[7:8], off
.LBB63_1836:
	s_andn2_b64 vcc, exec, s[0:1]
	s_cbranch_vccnz .LBB63_1838
; %bb.1837:
	v_cvt_f32_i32_e32 v4, v3
	global_store_dword v[5:6], v4, off
.LBB63_1838:
	s_mov_b64 s[0:1], 0
.LBB63_1839:
	s_andn2_b64 vcc, exec, s[0:1]
	s_cbranch_vccnz .LBB63_1841
; %bb.1840:
	v_cvt_f32_i32_e32 v4, v3
	v_cvt_f16_f32_e32 v4, v4
	global_store_short v[5:6], v4, off
.LBB63_1841:
	s_mov_b64 s[0:1], 0
.LBB63_1842:
	s_andn2_b64 vcc, exec, s[0:1]
	s_cbranch_vccnz .LBB63_1858
; %bb.1843:
	s_cmp_lt_i32 s19, 2
	s_mov_b64 s[0:1], -1
	s_cbranch_scc1 .LBB63_1853
; %bb.1844:
	s_cmp_lt_i32 s19, 3
	s_cbranch_scc1 .LBB63_1850
; %bb.1845:
	s_cmp_gt_i32 s19, 3
	s_cbranch_scc0 .LBB63_1847
; %bb.1846:
	v_ashrrev_i32_e32 v4, 31, v3
	global_store_dwordx2 v[5:6], v[3:4], off
	s_mov_b64 s[0:1], 0
.LBB63_1847:
	s_andn2_b64 vcc, exec, s[0:1]
	s_cbranch_vccnz .LBB63_1849
; %bb.1848:
	global_store_dword v[5:6], v3, off
.LBB63_1849:
	s_mov_b64 s[0:1], 0
.LBB63_1850:
	s_andn2_b64 vcc, exec, s[0:1]
	s_cbranch_vccnz .LBB63_1852
; %bb.1851:
	global_store_short v[5:6], v3, off
.LBB63_1852:
	s_mov_b64 s[0:1], 0
.LBB63_1853:
	s_andn2_b64 vcc, exec, s[0:1]
	s_cbranch_vccnz .LBB63_1858
; %bb.1854:
	s_cmp_gt_i32 s19, 0
	s_mov_b64 s[0:1], -1
	s_cbranch_scc0 .LBB63_1856
; %bb.1855:
	global_store_byte v[5:6], v3, off
	s_mov_b64 s[0:1], 0
.LBB63_1856:
	s_andn2_b64 vcc, exec, s[0:1]
	s_cbranch_vccnz .LBB63_1858
; %bb.1857:
	global_store_byte v[5:6], v3, off
.LBB63_1858:
	s_mov_b64 s[12:13], -1
.LBB63_1859:
	s_andn2_b64 vcc, exec, s[12:13]
	s_cbranch_vccnz .LBB63_2055
; %bb.1860:
	v_lshlrev_b32_e32 v1, s4, v1
	v_mov_b32_e32 v4, s9
	v_add_co_u32_e32 v3, vcc, s8, v2
	v_cndmask_b32_e64 v1, v1, 0, s[6:7]
	s_cmp_lt_i32 s19, 11
	v_addc_co_u32_e32 v4, vcc, 0, v4, vcc
	s_cbranch_scc1 .LBB63_1938
; %bb.1861:
	s_mov_b64 s[14:15], -1
	s_mov_b64 s[10:11], 0
	s_cmp_gt_i32 s19, 25
	s_mov_b64 s[12:13], 0
	s_mov_b64 s[0:1], 0
	s_cbranch_scc0 .LBB63_1894
; %bb.1862:
	s_cmp_gt_i32 s19, 28
	s_cbranch_scc0 .LBB63_1877
; %bb.1863:
	s_cmp_gt_i32 s19, 43
	;; [unrolled: 3-line block ×3, first 2 shown]
	s_cbranch_scc0 .LBB63_1867
; %bb.1865:
	s_mov_b64 s[0:1], -1
	s_mov_b64 s[14:15], 0
	s_cmp_eq_u32 s19, 46
	s_cbranch_scc0 .LBB63_1867
; %bb.1866:
	v_cvt_f32_i32_e32 v2, v1
	s_movk_i32 s5, 0x7fff
	s_mov_b64 s[0:1], 0
	s_mov_b64 s[12:13], -1
	v_bfe_u32 v5, v2, 16, 1
	v_add3_u32 v2, v2, v5, s5
	v_lshrrev_b32_e32 v2, 16, v2
	global_store_dword v[3:4], v2, off
.LBB63_1867:
	s_and_b64 vcc, exec, s[14:15]
	s_cbranch_vccz .LBB63_1872
; %bb.1868:
	s_cmp_eq_u32 s19, 44
	s_mov_b64 s[0:1], -1
	s_cbranch_scc0 .LBB63_1872
; %bb.1869:
	v_cvt_f32_i32_e32 v2, v1
	s_movk_i32 s0, 0xff
	v_mov_b32_e32 v6, 0xff
	v_bfe_u32 v5, v2, 23, 8
	v_cmp_ne_u32_e32 vcc, s0, v5
	s_and_saveexec_b64 s[12:13], vcc
; %bb.1870:
	s_mov_b32 s0, 0x3fffff
	v_lshrrev_b32_e32 v6, 23, v2
	v_and_b32_e32 v7, 0x400000, v2
	v_and_or_b32 v2, v2, s0, v5
	v_cmp_ne_u32_e32 vcc, 0, v7
	v_cmp_ne_u32_e64 s[0:1], 0, v2
	s_and_b64 s[0:1], vcc, s[0:1]
	v_cndmask_b32_e64 v2, 0, 1, s[0:1]
	v_add_u32_e32 v6, v6, v2
; %bb.1871:
	s_or_b64 exec, exec, s[12:13]
	s_mov_b64 s[0:1], 0
	s_mov_b64 s[12:13], -1
	global_store_byte v[3:4], v6, off
.LBB63_1872:
	s_mov_b64 s[14:15], 0
.LBB63_1873:
	s_and_b64 vcc, exec, s[14:15]
	s_cbranch_vccz .LBB63_1876
; %bb.1874:
	s_cmp_eq_u32 s19, 29
	s_mov_b64 s[0:1], -1
	s_cbranch_scc0 .LBB63_1876
; %bb.1875:
	v_ashrrev_i32_e32 v2, 31, v1
	global_store_dwordx2 v[3:4], v[1:2], off
	s_mov_b64 s[0:1], 0
	s_mov_b64 s[12:13], -1
.LBB63_1876:
	s_mov_b64 s[14:15], 0
.LBB63_1877:
	s_and_b64 vcc, exec, s[14:15]
	s_cbranch_vccz .LBB63_1893
; %bb.1878:
	s_cmp_lt_i32 s19, 27
	s_mov_b64 s[12:13], -1
	s_cbranch_scc1 .LBB63_1884
; %bb.1879:
	s_cmp_gt_i32 s19, 27
	s_cbranch_scc0 .LBB63_1881
; %bb.1880:
	s_mov_b64 s[12:13], 0
	global_store_dword v[3:4], v1, off
.LBB63_1881:
	s_andn2_b64 vcc, exec, s[12:13]
	s_cbranch_vccnz .LBB63_1883
; %bb.1882:
	global_store_short v[3:4], v1, off
.LBB63_1883:
	s_mov_b64 s[12:13], 0
.LBB63_1884:
	s_andn2_b64 vcc, exec, s[12:13]
	s_cbranch_vccnz .LBB63_1892
; %bb.1885:
	v_cvt_f32_i32_e32 v2, v1
	s_mov_b32 s5, 0x43800000
	v_mov_b32_e32 v6, 0x80
	v_and_b32_e32 v5, 0x7fffffff, v2
	v_cmp_gt_u32_e32 vcc, s5, v5
	s_and_saveexec_b64 s[12:13], vcc
	s_cbranch_execz .LBB63_1891
; %bb.1886:
	s_mov_b32 s5, 0x3bffffff
	v_cmp_lt_u32_e32 vcc, s5, v5
	s_mov_b64 s[14:15], 0
                                        ; implicit-def: $vgpr5
	s_and_saveexec_b64 s[16:17], vcc
	s_xor_b64 s[16:17], exec, s[16:17]
	s_cbranch_execz .LBB63_2112
; %bb.1887:
	v_bfe_u32 v5, v2, 20, 1
	s_mov_b32 s5, 0x487ffff
	v_add3_u32 v5, v2, v5, s5
	s_mov_b64 s[14:15], exec
	v_lshrrev_b32_e32 v5, 20, v5
	s_andn2_saveexec_b64 s[16:17], s[16:17]
	s_cbranch_execnz .LBB63_2113
.LBB63_1888:
	s_or_b64 exec, exec, s[16:17]
	v_mov_b32_e32 v6, 0
	s_and_saveexec_b64 s[16:17], s[14:15]
.LBB63_1889:
	v_lshrrev_b32_e32 v2, 24, v2
	s_movk_i32 s5, 0x80
	v_and_or_b32 v6, v2, s5, v5
.LBB63_1890:
	s_or_b64 exec, exec, s[16:17]
.LBB63_1891:
	s_or_b64 exec, exec, s[12:13]
	global_store_byte v[3:4], v6, off
.LBB63_1892:
	s_mov_b64 s[12:13], -1
.LBB63_1893:
	s_mov_b64 s[14:15], 0
.LBB63_1894:
	s_and_b64 vcc, exec, s[14:15]
	s_cbranch_vccz .LBB63_1934
; %bb.1895:
	s_cmp_gt_i32 s19, 22
	s_mov_b64 s[10:11], -1
	s_cbranch_scc0 .LBB63_1927
; %bb.1896:
	s_cmp_lt_i32 s19, 24
	s_cbranch_scc1 .LBB63_1916
; %bb.1897:
	s_cmp_gt_i32 s19, 24
	s_cbranch_scc0 .LBB63_1905
; %bb.1898:
	v_cvt_f32_i32_e32 v2, v1
	s_mov_b32 s5, 0x47800000
	v_mov_b32_e32 v6, 0x80
	v_and_b32_e32 v5, 0x7fffffff, v2
	v_cmp_gt_u32_e32 vcc, s5, v5
	s_and_saveexec_b64 s[10:11], vcc
	s_cbranch_execz .LBB63_1904
; %bb.1899:
	s_mov_b32 s5, 0x37ffffff
	v_cmp_lt_u32_e32 vcc, s5, v5
	s_mov_b64 s[12:13], 0
                                        ; implicit-def: $vgpr5
	s_and_saveexec_b64 s[14:15], vcc
	s_xor_b64 s[14:15], exec, s[14:15]
	s_cbranch_execz .LBB63_2115
; %bb.1900:
	v_bfe_u32 v5, v2, 21, 1
	s_mov_b32 s5, 0x88fffff
	v_add3_u32 v5, v2, v5, s5
	s_mov_b64 s[12:13], exec
	v_lshrrev_b32_e32 v5, 21, v5
	s_andn2_saveexec_b64 s[14:15], s[14:15]
	s_cbranch_execnz .LBB63_2116
.LBB63_1901:
	s_or_b64 exec, exec, s[14:15]
	v_mov_b32_e32 v6, 0
	s_and_saveexec_b64 s[14:15], s[12:13]
.LBB63_1902:
	v_lshrrev_b32_e32 v2, 24, v2
	s_movk_i32 s5, 0x80
	v_and_or_b32 v6, v2, s5, v5
.LBB63_1903:
	s_or_b64 exec, exec, s[14:15]
.LBB63_1904:
	s_or_b64 exec, exec, s[10:11]
	s_mov_b64 s[10:11], 0
	global_store_byte v[3:4], v6, off
.LBB63_1905:
	s_and_b64 vcc, exec, s[10:11]
	s_cbranch_vccz .LBB63_1915
; %bb.1906:
	v_cvt_f32_i32_e32 v2, v1
	s_mov_b32 s5, 0x43f00000
                                        ; implicit-def: $vgpr5
	v_and_b32_e32 v6, 0x7fffffff, v2
	v_cmp_gt_u32_e32 vcc, s5, v6
	s_and_saveexec_b64 s[10:11], vcc
	s_xor_b64 s[10:11], exec, s[10:11]
	s_cbranch_execz .LBB63_1912
; %bb.1907:
	s_mov_b32 s5, 0x3c7fffff
	v_cmp_lt_u32_e32 vcc, s5, v6
                                        ; implicit-def: $vgpr5
	s_and_saveexec_b64 s[12:13], vcc
	s_xor_b64 s[12:13], exec, s[12:13]
; %bb.1908:
	v_bfe_u32 v5, v2, 20, 1
	s_mov_b32 s5, 0x407ffff
	v_add3_u32 v5, v2, v5, s5
	v_lshrrev_b32_e32 v6, 20, v5
	v_and_b32_e32 v5, 0xff00000, v5
	s_mov_b32 s5, 0x7f00000
	v_mov_b32_e32 v7, 0x7e
	v_cmp_ne_u32_e32 vcc, s5, v5
	v_cndmask_b32_e32 v5, v7, v6, vcc
; %bb.1909:
	s_andn2_saveexec_b64 s[12:13], s[12:13]
; %bb.1910:
	s_mov_b32 s5, 0x46800000
	v_add_f32_e64 v5, |v2|, s5
; %bb.1911:
	s_or_b64 exec, exec, s[12:13]
                                        ; implicit-def: $vgpr6
.LBB63_1912:
	s_andn2_saveexec_b64 s[10:11], s[10:11]
; %bb.1913:
	s_mov_b32 s5, 0x7f800000
	v_mov_b32_e32 v5, 0x7e
	v_mov_b32_e32 v7, 0x7f
	v_cmp_lt_u32_e32 vcc, s5, v6
	v_cndmask_b32_e32 v5, v5, v7, vcc
; %bb.1914:
	s_or_b64 exec, exec, s[10:11]
	v_lshrrev_b32_e32 v2, 24, v2
	s_movk_i32 s5, 0x80
	v_and_or_b32 v2, v2, s5, v5
	global_store_byte v[3:4], v2, off
.LBB63_1915:
	s_mov_b64 s[10:11], 0
.LBB63_1916:
	s_andn2_b64 vcc, exec, s[10:11]
	s_cbranch_vccnz .LBB63_1926
; %bb.1917:
	v_cvt_f32_i32_e32 v2, v1
	s_mov_b32 s5, 0x47800000
                                        ; implicit-def: $vgpr5
	v_and_b32_e32 v6, 0x7fffffff, v2
	v_cmp_gt_u32_e32 vcc, s5, v6
	s_and_saveexec_b64 s[10:11], vcc
	s_xor_b64 s[10:11], exec, s[10:11]
	s_cbranch_execz .LBB63_1923
; %bb.1918:
	s_mov_b32 s5, 0x387fffff
	v_cmp_lt_u32_e32 vcc, s5, v6
                                        ; implicit-def: $vgpr5
	s_and_saveexec_b64 s[12:13], vcc
	s_xor_b64 s[12:13], exec, s[12:13]
; %bb.1919:
	v_bfe_u32 v5, v2, 21, 1
	s_mov_b32 s5, 0x80fffff
	v_add3_u32 v5, v2, v5, s5
	v_lshrrev_b32_e32 v5, 21, v5
; %bb.1920:
	s_andn2_saveexec_b64 s[12:13], s[12:13]
; %bb.1921:
	s_mov_b32 s5, 0x43000000
	v_add_f32_e64 v5, |v2|, s5
; %bb.1922:
	s_or_b64 exec, exec, s[12:13]
                                        ; implicit-def: $vgpr6
.LBB63_1923:
	s_andn2_saveexec_b64 s[10:11], s[10:11]
; %bb.1924:
	s_mov_b32 s5, 0x7f800000
	v_mov_b32_e32 v5, 0x7c
	v_mov_b32_e32 v7, 0x7f
	v_cmp_lt_u32_e32 vcc, s5, v6
	v_cndmask_b32_e32 v5, v5, v7, vcc
; %bb.1925:
	s_or_b64 exec, exec, s[10:11]
	v_lshrrev_b32_e32 v2, 24, v2
	s_movk_i32 s5, 0x80
	v_and_or_b32 v2, v2, s5, v5
	global_store_byte v[3:4], v2, off
.LBB63_1926:
	s_mov_b64 s[10:11], 0
	s_mov_b64 s[12:13], -1
.LBB63_1927:
	s_andn2_b64 vcc, exec, s[10:11]
	s_mov_b64 s[10:11], 0
	s_cbranch_vccnz .LBB63_1934
; %bb.1928:
	s_cmp_gt_i32 s19, 14
	s_mov_b64 s[14:15], -1
	s_cbranch_scc0 .LBB63_1932
; %bb.1929:
	s_cmp_eq_u32 s19, 15
	s_mov_b64 s[0:1], -1
	s_cbranch_scc0 .LBB63_1931
; %bb.1930:
	v_cvt_f32_i32_e32 v2, v1
	s_movk_i32 s5, 0x7fff
	s_mov_b64 s[0:1], 0
	s_mov_b64 s[12:13], -1
	v_bfe_u32 v5, v2, 16, 1
	v_add3_u32 v2, v2, v5, s5
	global_store_short_d16_hi v[3:4], v2, off
.LBB63_1931:
	s_mov_b64 s[14:15], 0
.LBB63_1932:
	s_and_b64 vcc, exec, s[14:15]
	s_cbranch_vccz .LBB63_1934
; %bb.1933:
	s_cmp_lg_u32 s19, 11
	s_mov_b64 s[10:11], -1
	s_cselect_b64 s[0:1], -1, 0
.LBB63_1934:
	s_and_b64 vcc, exec, s[0:1]
	s_cbranch_vccnz .LBB63_2114
; %bb.1935:
	s_andn2_b64 vcc, exec, s[10:11]
	s_cbranch_vccnz .LBB63_1937
.LBB63_1936:
	v_cmp_ne_u32_e32 vcc, 0, v1
	v_cndmask_b32_e64 v2, 0, 1, vcc
	s_mov_b64 s[12:13], -1
	global_store_byte v[3:4], v2, off
.LBB63_1937:
	s_mov_b64 s[0:1], 0
	s_branch .LBB63_1939
.LBB63_1938:
	s_mov_b64 s[0:1], -1
	s_mov_b64 s[12:13], 0
.LBB63_1939:
	s_and_b64 vcc, exec, s[0:1]
	s_cbranch_vccz .LBB63_1978
; %bb.1940:
	s_cmp_lt_i32 s19, 5
	s_mov_b64 s[0:1], -1
	s_cbranch_scc1 .LBB63_1961
; %bb.1941:
	s_cmp_lt_i32 s19, 8
	s_cbranch_scc1 .LBB63_1951
; %bb.1942:
	s_cmp_lt_i32 s19, 9
	s_cbranch_scc1 .LBB63_1948
; %bb.1943:
	s_cmp_gt_i32 s19, 9
	s_cbranch_scc0 .LBB63_1945
; %bb.1944:
	v_cvt_f64_i32_e32 v[5:6], v1
	v_mov_b32_e32 v7, 0
	v_mov_b32_e32 v8, v7
	s_mov_b64 s[0:1], 0
	global_store_dwordx4 v[3:4], v[5:8], off
.LBB63_1945:
	s_andn2_b64 vcc, exec, s[0:1]
	s_cbranch_vccnz .LBB63_1947
; %bb.1946:
	v_cvt_f32_i32_e32 v5, v1
	v_mov_b32_e32 v6, 0
	global_store_dwordx2 v[3:4], v[5:6], off
.LBB63_1947:
	s_mov_b64 s[0:1], 0
.LBB63_1948:
	s_andn2_b64 vcc, exec, s[0:1]
	s_cbranch_vccnz .LBB63_1950
; %bb.1949:
	v_cvt_f32_i32_e32 v2, v1
	v_cvt_f16_f32_e32 v2, v2
	global_store_dword v[3:4], v2, off
.LBB63_1950:
	s_mov_b64 s[0:1], 0
.LBB63_1951:
	s_andn2_b64 vcc, exec, s[0:1]
	s_cbranch_vccnz .LBB63_1960
; %bb.1952:
	s_cmp_lt_i32 s19, 6
	s_mov_b64 s[0:1], -1
	s_cbranch_scc1 .LBB63_1958
; %bb.1953:
	s_cmp_gt_i32 s19, 6
	s_cbranch_scc0 .LBB63_1955
; %bb.1954:
	v_cvt_f64_i32_e32 v[5:6], v1
	s_mov_b64 s[0:1], 0
	global_store_dwordx2 v[3:4], v[5:6], off
.LBB63_1955:
	s_andn2_b64 vcc, exec, s[0:1]
	s_cbranch_vccnz .LBB63_1957
; %bb.1956:
	v_cvt_f32_i32_e32 v2, v1
	global_store_dword v[3:4], v2, off
.LBB63_1957:
	s_mov_b64 s[0:1], 0
.LBB63_1958:
	s_andn2_b64 vcc, exec, s[0:1]
	s_cbranch_vccnz .LBB63_1960
; %bb.1959:
	v_cvt_f32_i32_e32 v2, v1
	v_cvt_f16_f32_e32 v2, v2
	global_store_short v[3:4], v2, off
.LBB63_1960:
	s_mov_b64 s[0:1], 0
.LBB63_1961:
	s_andn2_b64 vcc, exec, s[0:1]
	s_cbranch_vccnz .LBB63_1977
; %bb.1962:
	s_cmp_lt_i32 s19, 2
	s_mov_b64 s[0:1], -1
	s_cbranch_scc1 .LBB63_1972
; %bb.1963:
	s_cmp_lt_i32 s19, 3
	s_cbranch_scc1 .LBB63_1969
; %bb.1964:
	s_cmp_gt_i32 s19, 3
	s_cbranch_scc0 .LBB63_1966
; %bb.1965:
	v_ashrrev_i32_e32 v2, 31, v1
	global_store_dwordx2 v[3:4], v[1:2], off
	s_mov_b64 s[0:1], 0
.LBB63_1966:
	s_andn2_b64 vcc, exec, s[0:1]
	s_cbranch_vccnz .LBB63_1968
; %bb.1967:
	global_store_dword v[3:4], v1, off
.LBB63_1968:
	s_mov_b64 s[0:1], 0
.LBB63_1969:
	s_andn2_b64 vcc, exec, s[0:1]
	s_cbranch_vccnz .LBB63_1971
; %bb.1970:
	global_store_short v[3:4], v1, off
.LBB63_1971:
	s_mov_b64 s[0:1], 0
.LBB63_1972:
	s_andn2_b64 vcc, exec, s[0:1]
	s_cbranch_vccnz .LBB63_1977
; %bb.1973:
	s_cmp_gt_i32 s19, 0
	s_mov_b64 s[0:1], -1
	s_cbranch_scc0 .LBB63_1975
; %bb.1974:
	global_store_byte v[3:4], v1, off
	s_mov_b64 s[0:1], 0
.LBB63_1975:
	s_andn2_b64 vcc, exec, s[0:1]
	s_cbranch_vccnz .LBB63_1977
; %bb.1976:
	global_store_byte v[3:4], v1, off
.LBB63_1977:
	s_mov_b64 s[12:13], -1
.LBB63_1978:
	s_andn2_b64 vcc, exec, s[12:13]
	s_cbranch_vccnz .LBB63_2055
; %bb.1979:
	v_lshlrev_b32_e32 v1, s4, v9
	v_cndmask_b32_e64 v2, v1, 0, s[6:7]
	v_mov_b32_e32 v1, s9
	v_add_co_u32_e32 v0, vcc, s8, v0
	s_cmp_lt_i32 s19, 11
	v_addc_co_u32_e32 v1, vcc, 0, v1, vcc
	s_cbranch_scc1 .LBB63_2100
; %bb.1980:
	s_mov_b64 s[6:7], -1
	s_mov_b64 s[4:5], 0
	s_cmp_gt_i32 s19, 25
	s_mov_b64 s[0:1], 0
	s_cbranch_scc0 .LBB63_2013
; %bb.1981:
	s_cmp_gt_i32 s19, 28
	s_cbranch_scc0 .LBB63_1997
; %bb.1982:
	s_cmp_gt_i32 s19, 43
	;; [unrolled: 3-line block ×3, first 2 shown]
	s_cbranch_scc0 .LBB63_1987
; %bb.1984:
	s_cmp_eq_u32 s19, 46
	s_mov_b64 s[0:1], -1
	s_cbranch_scc0 .LBB63_1986
; %bb.1985:
	v_cvt_f32_i32_e32 v3, v2
	s_movk_i32 s0, 0x7fff
	v_bfe_u32 v4, v3, 16, 1
	v_add3_u32 v3, v3, v4, s0
	v_lshrrev_b32_e32 v3, 16, v3
	global_store_dword v[0:1], v3, off
	s_mov_b64 s[0:1], 0
.LBB63_1986:
	s_mov_b64 s[6:7], 0
.LBB63_1987:
	s_and_b64 vcc, exec, s[6:7]
	s_cbranch_vccz .LBB63_1992
; %bb.1988:
	s_cmp_eq_u32 s19, 44
	s_mov_b64 s[0:1], -1
	s_cbranch_scc0 .LBB63_1992
; %bb.1989:
	v_cvt_f32_i32_e32 v3, v2
	s_movk_i32 s0, 0xff
	v_mov_b32_e32 v5, 0xff
	v_bfe_u32 v4, v3, 23, 8
	v_cmp_ne_u32_e32 vcc, s0, v4
	s_and_saveexec_b64 s[6:7], vcc
; %bb.1990:
	s_mov_b32 s0, 0x3fffff
	v_lshrrev_b32_e32 v5, 23, v3
	v_and_b32_e32 v6, 0x400000, v3
	v_and_or_b32 v3, v3, s0, v4
	v_cmp_ne_u32_e32 vcc, 0, v6
	v_cmp_ne_u32_e64 s[0:1], 0, v3
	s_and_b64 s[0:1], vcc, s[0:1]
	v_cndmask_b32_e64 v3, 0, 1, s[0:1]
	v_add_u32_e32 v5, v5, v3
; %bb.1991:
	s_or_b64 exec, exec, s[6:7]
	s_mov_b64 s[0:1], 0
	global_store_byte v[0:1], v5, off
.LBB63_1992:
	s_mov_b64 s[6:7], 0
.LBB63_1993:
	s_and_b64 vcc, exec, s[6:7]
	s_cbranch_vccz .LBB63_1996
; %bb.1994:
	s_cmp_eq_u32 s19, 29
	s_mov_b64 s[0:1], -1
	s_cbranch_scc0 .LBB63_1996
; %bb.1995:
	v_ashrrev_i32_e32 v3, 31, v2
	global_store_dwordx2 v[0:1], v[2:3], off
	s_mov_b64 s[0:1], 0
.LBB63_1996:
	s_mov_b64 s[6:7], 0
.LBB63_1997:
	s_and_b64 vcc, exec, s[6:7]
	s_cbranch_vccz .LBB63_2012
; %bb.1998:
	s_cmp_lt_i32 s19, 27
	s_mov_b64 s[6:7], -1
	s_cbranch_scc1 .LBB63_2004
; %bb.1999:
	s_cmp_gt_i32 s19, 27
	s_cbranch_scc0 .LBB63_2001
; %bb.2000:
	global_store_dword v[0:1], v2, off
	s_mov_b64 s[6:7], 0
.LBB63_2001:
	s_andn2_b64 vcc, exec, s[6:7]
	s_cbranch_vccnz .LBB63_2003
; %bb.2002:
	global_store_short v[0:1], v2, off
.LBB63_2003:
	s_mov_b64 s[6:7], 0
.LBB63_2004:
	s_andn2_b64 vcc, exec, s[6:7]
	s_cbranch_vccnz .LBB63_2012
; %bb.2005:
	v_cvt_f32_i32_e32 v3, v2
	s_mov_b32 s6, 0x43800000
	v_mov_b32_e32 v5, 0x80
	v_and_b32_e32 v4, 0x7fffffff, v3
	v_cmp_gt_u32_e32 vcc, s6, v4
	s_and_saveexec_b64 s[6:7], vcc
	s_cbranch_execz .LBB63_2011
; %bb.2006:
	s_mov_b32 s8, 0x3bffffff
	v_cmp_lt_u32_e32 vcc, s8, v4
	s_mov_b64 s[8:9], 0
                                        ; implicit-def: $vgpr4
	s_and_saveexec_b64 s[10:11], vcc
	s_xor_b64 s[10:11], exec, s[10:11]
	s_cbranch_execz .LBB63_2117
; %bb.2007:
	v_bfe_u32 v4, v3, 20, 1
	s_mov_b32 s12, 0x487ffff
	v_add3_u32 v4, v3, v4, s12
	s_mov_b64 s[8:9], exec
	v_lshrrev_b32_e32 v4, 20, v4
	s_andn2_saveexec_b64 s[10:11], s[10:11]
	s_cbranch_execnz .LBB63_2118
.LBB63_2008:
	s_or_b64 exec, exec, s[10:11]
	v_mov_b32_e32 v5, 0
	s_and_saveexec_b64 s[10:11], s[8:9]
.LBB63_2009:
	v_lshrrev_b32_e32 v3, 24, v3
	s_movk_i32 s8, 0x80
	v_and_or_b32 v5, v3, s8, v4
.LBB63_2010:
	s_or_b64 exec, exec, s[10:11]
.LBB63_2011:
	s_or_b64 exec, exec, s[6:7]
	global_store_byte v[0:1], v5, off
.LBB63_2012:
	s_mov_b64 s[6:7], 0
.LBB63_2013:
	s_and_b64 vcc, exec, s[6:7]
	s_cbranch_vccz .LBB63_2053
; %bb.2014:
	s_cmp_gt_i32 s19, 22
	s_mov_b64 s[4:5], -1
	s_cbranch_scc0 .LBB63_2046
; %bb.2015:
	s_cmp_lt_i32 s19, 24
	s_cbranch_scc1 .LBB63_2035
; %bb.2016:
	s_cmp_gt_i32 s19, 24
	s_cbranch_scc0 .LBB63_2024
; %bb.2017:
	v_cvt_f32_i32_e32 v3, v2
	s_mov_b32 s4, 0x47800000
	v_mov_b32_e32 v5, 0x80
	v_and_b32_e32 v4, 0x7fffffff, v3
	v_cmp_gt_u32_e32 vcc, s4, v4
	s_and_saveexec_b64 s[4:5], vcc
	s_cbranch_execz .LBB63_2023
; %bb.2018:
	s_mov_b32 s6, 0x37ffffff
	v_cmp_lt_u32_e32 vcc, s6, v4
	s_mov_b64 s[6:7], 0
                                        ; implicit-def: $vgpr4
	s_and_saveexec_b64 s[8:9], vcc
	s_xor_b64 s[8:9], exec, s[8:9]
	s_cbranch_execz .LBB63_2120
; %bb.2019:
	v_bfe_u32 v4, v3, 21, 1
	s_mov_b32 s10, 0x88fffff
	v_add3_u32 v4, v3, v4, s10
	s_mov_b64 s[6:7], exec
	v_lshrrev_b32_e32 v4, 21, v4
	s_andn2_saveexec_b64 s[8:9], s[8:9]
	s_cbranch_execnz .LBB63_2121
.LBB63_2020:
	s_or_b64 exec, exec, s[8:9]
	v_mov_b32_e32 v5, 0
	s_and_saveexec_b64 s[8:9], s[6:7]
.LBB63_2021:
	v_lshrrev_b32_e32 v3, 24, v3
	s_movk_i32 s6, 0x80
	v_and_or_b32 v5, v3, s6, v4
.LBB63_2022:
	s_or_b64 exec, exec, s[8:9]
.LBB63_2023:
	s_or_b64 exec, exec, s[4:5]
	s_mov_b64 s[4:5], 0
	global_store_byte v[0:1], v5, off
.LBB63_2024:
	s_and_b64 vcc, exec, s[4:5]
	s_cbranch_vccz .LBB63_2034
; %bb.2025:
	v_cvt_f32_i32_e32 v3, v2
	s_mov_b32 s4, 0x43f00000
                                        ; implicit-def: $vgpr4
	v_and_b32_e32 v5, 0x7fffffff, v3
	v_cmp_gt_u32_e32 vcc, s4, v5
	s_and_saveexec_b64 s[4:5], vcc
	s_xor_b64 s[4:5], exec, s[4:5]
	s_cbranch_execz .LBB63_2031
; %bb.2026:
	s_mov_b32 s6, 0x3c7fffff
	v_cmp_lt_u32_e32 vcc, s6, v5
                                        ; implicit-def: $vgpr4
	s_and_saveexec_b64 s[6:7], vcc
	s_xor_b64 s[6:7], exec, s[6:7]
; %bb.2027:
	v_bfe_u32 v4, v3, 20, 1
	s_mov_b32 s8, 0x407ffff
	v_add3_u32 v4, v3, v4, s8
	v_lshrrev_b32_e32 v5, 20, v4
	v_and_b32_e32 v4, 0xff00000, v4
	s_mov_b32 s8, 0x7f00000
	v_mov_b32_e32 v6, 0x7e
	v_cmp_ne_u32_e32 vcc, s8, v4
	v_cndmask_b32_e32 v4, v6, v5, vcc
; %bb.2028:
	s_andn2_saveexec_b64 s[6:7], s[6:7]
; %bb.2029:
	s_mov_b32 s8, 0x46800000
	v_add_f32_e64 v4, |v3|, s8
; %bb.2030:
	s_or_b64 exec, exec, s[6:7]
                                        ; implicit-def: $vgpr5
.LBB63_2031:
	s_andn2_saveexec_b64 s[4:5], s[4:5]
; %bb.2032:
	s_mov_b32 s6, 0x7f800000
	v_mov_b32_e32 v4, 0x7e
	v_mov_b32_e32 v6, 0x7f
	v_cmp_lt_u32_e32 vcc, s6, v5
	v_cndmask_b32_e32 v4, v4, v6, vcc
; %bb.2033:
	s_or_b64 exec, exec, s[4:5]
	v_lshrrev_b32_e32 v3, 24, v3
	s_movk_i32 s4, 0x80
	v_and_or_b32 v3, v3, s4, v4
	global_store_byte v[0:1], v3, off
.LBB63_2034:
	s_mov_b64 s[4:5], 0
.LBB63_2035:
	s_andn2_b64 vcc, exec, s[4:5]
	s_cbranch_vccnz .LBB63_2045
; %bb.2036:
	v_cvt_f32_i32_e32 v3, v2
	s_mov_b32 s4, 0x47800000
                                        ; implicit-def: $vgpr4
	v_and_b32_e32 v5, 0x7fffffff, v3
	v_cmp_gt_u32_e32 vcc, s4, v5
	s_and_saveexec_b64 s[4:5], vcc
	s_xor_b64 s[4:5], exec, s[4:5]
	s_cbranch_execz .LBB63_2042
; %bb.2037:
	s_mov_b32 s6, 0x387fffff
	v_cmp_lt_u32_e32 vcc, s6, v5
                                        ; implicit-def: $vgpr4
	s_and_saveexec_b64 s[6:7], vcc
	s_xor_b64 s[6:7], exec, s[6:7]
; %bb.2038:
	v_bfe_u32 v4, v3, 21, 1
	s_mov_b32 s8, 0x80fffff
	v_add3_u32 v4, v3, v4, s8
	v_lshrrev_b32_e32 v4, 21, v4
; %bb.2039:
	s_andn2_saveexec_b64 s[6:7], s[6:7]
; %bb.2040:
	s_mov_b32 s8, 0x43000000
	v_add_f32_e64 v4, |v3|, s8
; %bb.2041:
	s_or_b64 exec, exec, s[6:7]
                                        ; implicit-def: $vgpr5
.LBB63_2042:
	s_andn2_saveexec_b64 s[4:5], s[4:5]
; %bb.2043:
	s_mov_b32 s6, 0x7f800000
	v_mov_b32_e32 v4, 0x7c
	v_mov_b32_e32 v6, 0x7f
	v_cmp_lt_u32_e32 vcc, s6, v5
	v_cndmask_b32_e32 v4, v4, v6, vcc
; %bb.2044:
	s_or_b64 exec, exec, s[4:5]
	v_lshrrev_b32_e32 v3, 24, v3
	s_movk_i32 s4, 0x80
	v_and_or_b32 v3, v3, s4, v4
	global_store_byte v[0:1], v3, off
.LBB63_2045:
	s_mov_b64 s[4:5], 0
.LBB63_2046:
	s_andn2_b64 vcc, exec, s[4:5]
	s_mov_b64 s[4:5], 0
	s_cbranch_vccnz .LBB63_2053
; %bb.2047:
	s_cmp_gt_i32 s19, 14
	s_mov_b64 s[6:7], -1
	s_cbranch_scc0 .LBB63_2051
; %bb.2048:
	s_cmp_eq_u32 s19, 15
	s_mov_b64 s[0:1], -1
	s_cbranch_scc0 .LBB63_2050
; %bb.2049:
	v_cvt_f32_i32_e32 v3, v2
	s_movk_i32 s0, 0x7fff
	v_bfe_u32 v4, v3, 16, 1
	v_add3_u32 v3, v3, v4, s0
	global_store_short_d16_hi v[0:1], v3, off
	s_mov_b64 s[0:1], 0
.LBB63_2050:
	s_mov_b64 s[6:7], 0
.LBB63_2051:
	s_and_b64 vcc, exec, s[6:7]
	s_cbranch_vccz .LBB63_2053
; %bb.2052:
	s_cmp_lg_u32 s19, 11
	s_mov_b64 s[4:5], -1
	s_cselect_b64 s[0:1], -1, 0
.LBB63_2053:
	s_and_b64 vcc, exec, s[0:1]
	s_cbranch_vccnz .LBB63_2119
.LBB63_2054:
	s_mov_b64 s[0:1], 0
	s_branch .LBB63_2056
.LBB63_2055:
	s_mov_b64 s[0:1], 0
	s_mov_b64 s[4:5], 0
                                        ; implicit-def: $vgpr0_vgpr1
                                        ; implicit-def: $sgpr18
                                        ; implicit-def: $vgpr2
.LBB63_2056:
	s_and_b64 s[6:7], s[4:5], exec
	s_andn2_b64 s[4:5], s[28:29], exec
	s_and_b64 s[2:3], s[2:3], exec
	s_and_b64 s[0:1], s[0:1], exec
	s_or_b64 s[28:29], s[4:5], s[2:3]
.LBB63_2057:
	s_or_b64 exec, exec, s[30:31]
	s_and_saveexec_b64 s[2:3], s[28:29]
	s_cbranch_execz .LBB63_2060
; %bb.2058:
	; divergent unreachable
	s_or_b64 exec, exec, s[2:3]
	s_and_saveexec_b64 s[2:3], s[6:7]
	s_xor_b64 s[2:3], exec, s[2:3]
	s_cbranch_execnz .LBB63_2061
.LBB63_2059:
	s_or_b64 exec, exec, s[2:3]
	s_and_saveexec_b64 s[2:3], s[0:1]
	s_cbranch_execnz .LBB63_2062
	s_branch .LBB63_2099
.LBB63_2060:
	s_or_b64 exec, exec, s[2:3]
	s_and_saveexec_b64 s[2:3], s[6:7]
	s_xor_b64 s[2:3], exec, s[2:3]
	s_cbranch_execz .LBB63_2059
.LBB63_2061:
	v_cmp_ne_u32_e32 vcc, 0, v2
	s_waitcnt vmcnt(0)
	v_cndmask_b32_e64 v3, 0, 1, vcc
	global_store_byte v[0:1], v3, off
	s_or_b64 exec, exec, s[2:3]
	s_and_saveexec_b64 s[2:3], s[0:1]
	s_cbranch_execz .LBB63_2099
.LBB63_2062:
	s_sext_i32_i16 s2, s18
	s_cmp_lt_i32 s2, 5
	s_mov_b64 s[0:1], -1
	s_cbranch_scc1 .LBB63_2083
; %bb.2063:
	s_cmp_lt_i32 s2, 8
	s_cbranch_scc1 .LBB63_2073
; %bb.2064:
	s_cmp_lt_i32 s2, 9
	s_cbranch_scc1 .LBB63_2070
; %bb.2065:
	s_cmp_gt_i32 s2, 9
	s_cbranch_scc0 .LBB63_2067
; %bb.2066:
	s_waitcnt vmcnt(0)
	v_cvt_f64_i32_e32 v[3:4], v2
	v_mov_b32_e32 v5, 0
	v_mov_b32_e32 v6, v5
	s_mov_b64 s[0:1], 0
	global_store_dwordx4 v[0:1], v[3:6], off
.LBB63_2067:
	s_andn2_b64 vcc, exec, s[0:1]
	s_cbranch_vccnz .LBB63_2069
; %bb.2068:
	s_waitcnt vmcnt(0)
	v_cvt_f32_i32_e32 v3, v2
	v_mov_b32_e32 v4, 0
	global_store_dwordx2 v[0:1], v[3:4], off
.LBB63_2069:
	s_mov_b64 s[0:1], 0
.LBB63_2070:
	s_andn2_b64 vcc, exec, s[0:1]
	s_cbranch_vccnz .LBB63_2072
; %bb.2071:
	s_waitcnt vmcnt(0)
	v_cvt_f32_i32_e32 v3, v2
	v_cvt_f16_f32_e32 v3, v3
	global_store_dword v[0:1], v3, off
.LBB63_2072:
	s_mov_b64 s[0:1], 0
.LBB63_2073:
	s_andn2_b64 vcc, exec, s[0:1]
	s_cbranch_vccnz .LBB63_2082
; %bb.2074:
	s_sext_i32_i16 s2, s18
	s_cmp_lt_i32 s2, 6
	s_mov_b64 s[0:1], -1
	s_cbranch_scc1 .LBB63_2080
; %bb.2075:
	s_cmp_gt_i32 s2, 6
	s_cbranch_scc0 .LBB63_2077
; %bb.2076:
	s_waitcnt vmcnt(0)
	v_cvt_f64_i32_e32 v[3:4], v2
	s_mov_b64 s[0:1], 0
	global_store_dwordx2 v[0:1], v[3:4], off
.LBB63_2077:
	s_andn2_b64 vcc, exec, s[0:1]
	s_cbranch_vccnz .LBB63_2079
; %bb.2078:
	s_waitcnt vmcnt(0)
	v_cvt_f32_i32_e32 v3, v2
	global_store_dword v[0:1], v3, off
.LBB63_2079:
	s_mov_b64 s[0:1], 0
.LBB63_2080:
	s_andn2_b64 vcc, exec, s[0:1]
	s_cbranch_vccnz .LBB63_2082
; %bb.2081:
	s_waitcnt vmcnt(0)
	v_cvt_f32_i32_e32 v3, v2
	v_cvt_f16_f32_e32 v3, v3
	global_store_short v[0:1], v3, off
.LBB63_2082:
	s_mov_b64 s[0:1], 0
.LBB63_2083:
	s_andn2_b64 vcc, exec, s[0:1]
	s_cbranch_vccnz .LBB63_2099
; %bb.2084:
	s_sext_i32_i16 s2, s18
	s_cmp_lt_i32 s2, 2
	s_mov_b64 s[0:1], -1
	s_cbranch_scc1 .LBB63_2094
; %bb.2085:
	s_cmp_lt_i32 s2, 3
	s_cbranch_scc1 .LBB63_2091
; %bb.2086:
	s_cmp_gt_i32 s2, 3
	s_cbranch_scc0 .LBB63_2088
; %bb.2087:
	s_waitcnt vmcnt(0)
	v_ashrrev_i32_e32 v3, 31, v2
	global_store_dwordx2 v[0:1], v[2:3], off
	s_mov_b64 s[0:1], 0
.LBB63_2088:
	s_andn2_b64 vcc, exec, s[0:1]
	s_cbranch_vccnz .LBB63_2090
; %bb.2089:
	s_waitcnt vmcnt(0)
	global_store_dword v[0:1], v2, off
.LBB63_2090:
	s_mov_b64 s[0:1], 0
.LBB63_2091:
	s_andn2_b64 vcc, exec, s[0:1]
	s_cbranch_vccnz .LBB63_2093
; %bb.2092:
	s_waitcnt vmcnt(0)
	global_store_short v[0:1], v2, off
.LBB63_2093:
	s_mov_b64 s[0:1], 0
.LBB63_2094:
	s_andn2_b64 vcc, exec, s[0:1]
	s_cbranch_vccnz .LBB63_2099
; %bb.2095:
	s_sext_i32_i16 s0, s18
	s_cmp_gt_i32 s0, 0
	s_mov_b64 s[0:1], -1
	s_cbranch_scc0 .LBB63_2097
; %bb.2096:
	s_waitcnt vmcnt(0)
	global_store_byte v[0:1], v2, off
	s_mov_b64 s[0:1], 0
.LBB63_2097:
	s_andn2_b64 vcc, exec, s[0:1]
	s_cbranch_vccnz .LBB63_2099
; %bb.2098:
	s_waitcnt vmcnt(0)
	global_store_byte v[0:1], v2, off
	s_endpgm
.LBB63_2099:
	s_endpgm
.LBB63_2100:
	s_mov_b64 s[4:5], 0
	s_mov_b64 s[0:1], -1
	s_branch .LBB63_2056
.LBB63_2101:
	s_trap 2
	s_or_b64 s[2:3], s[2:3], exec
	s_cbranch_execz .LBB63_1570
	s_branch .LBB63_1571
.LBB63_2102:
	s_andn2_saveexec_b64 s[16:17], s[16:17]
	s_cbranch_execz .LBB63_1650
.LBB63_2103:
	s_mov_b32 s19, 0x46000000
	v_add_f32_e64 v10, |v6|, s19
	v_and_b32_e32 v10, 0xff, v10
	v_cmp_ne_u32_e32 vcc, 0, v10
	s_andn2_b64 s[14:15], s[14:15], exec
	s_and_b64 s[20:21], vcc, exec
	s_or_b64 s[14:15], s[14:15], s[20:21]
	s_or_b64 exec, exec, s[16:17]
	v_mov_b32_e32 v11, 0
	s_and_saveexec_b64 s[16:17], s[14:15]
	s_cbranch_execnz .LBB63_1651
	s_branch .LBB63_1652
.LBB63_2104:
	s_trap 2
	s_or_b64 s[2:3], s[2:3], exec
	s_cbranch_execz .LBB63_1698
	s_branch .LBB63_1699
.LBB63_2105:
	s_andn2_saveexec_b64 s[14:15], s[14:15]
	s_cbranch_execz .LBB63_1663
.LBB63_2106:
	s_mov_b32 s16, 0x42800000
	v_add_f32_e64 v10, |v6|, s16
	v_and_b32_e32 v10, 0xff, v10
	v_cmp_ne_u32_e32 vcc, 0, v10
	s_andn2_b64 s[12:13], s[12:13], exec
	s_and_b64 s[16:17], vcc, exec
	s_or_b64 s[12:13], s[12:13], s[16:17]
	s_or_b64 exec, exec, s[14:15]
	v_mov_b32_e32 v11, 0
	s_and_saveexec_b64 s[14:15], s[12:13]
	s_cbranch_execnz .LBB63_1664
	s_branch .LBB63_1665
.LBB63_2107:
	s_andn2_saveexec_b64 s[16:17], s[16:17]
	s_cbranch_execz .LBB63_1769
.LBB63_2108:
	s_mov_b32 s5, 0x46000000
	v_add_f32_e64 v7, |v4|, s5
	v_and_b32_e32 v7, 0xff, v7
	v_cmp_ne_u32_e32 vcc, 0, v7
	s_andn2_b64 s[14:15], s[14:15], exec
	s_and_b64 s[20:21], vcc, exec
	s_or_b64 s[14:15], s[14:15], s[20:21]
	s_or_b64 exec, exec, s[16:17]
	v_mov_b32_e32 v8, 0
	s_and_saveexec_b64 s[16:17], s[14:15]
	s_cbranch_execnz .LBB63_1770
	s_branch .LBB63_1771
.LBB63_2109:
	s_trap 2
	s_or_b64 s[2:3], s[2:3], exec
	s_cbranch_execz .LBB63_1817
	s_branch .LBB63_1818
.LBB63_2110:
	s_andn2_saveexec_b64 s[14:15], s[14:15]
	s_cbranch_execz .LBB63_1782
.LBB63_2111:
	s_mov_b32 s5, 0x42800000
	v_add_f32_e64 v7, |v4|, s5
	v_and_b32_e32 v7, 0xff, v7
	v_cmp_ne_u32_e32 vcc, 0, v7
	s_andn2_b64 s[12:13], s[12:13], exec
	s_and_b64 s[16:17], vcc, exec
	s_or_b64 s[12:13], s[12:13], s[16:17]
	s_or_b64 exec, exec, s[14:15]
	v_mov_b32_e32 v8, 0
	s_and_saveexec_b64 s[14:15], s[12:13]
	s_cbranch_execnz .LBB63_1783
	s_branch .LBB63_1784
.LBB63_2112:
	s_andn2_saveexec_b64 s[16:17], s[16:17]
	s_cbranch_execz .LBB63_1888
.LBB63_2113:
	s_mov_b32 s5, 0x46000000
	v_add_f32_e64 v5, |v2|, s5
	v_and_b32_e32 v5, 0xff, v5
	v_cmp_ne_u32_e32 vcc, 0, v5
	s_andn2_b64 s[14:15], s[14:15], exec
	s_and_b64 s[20:21], vcc, exec
	s_or_b64 s[14:15], s[14:15], s[20:21]
	s_or_b64 exec, exec, s[16:17]
	v_mov_b32_e32 v6, 0
	s_and_saveexec_b64 s[16:17], s[14:15]
	s_cbranch_execnz .LBB63_1889
	s_branch .LBB63_1890
.LBB63_2114:
	s_trap 2
	s_or_b64 s[2:3], s[2:3], exec
	s_cbranch_execz .LBB63_1936
	s_branch .LBB63_1937
.LBB63_2115:
	s_andn2_saveexec_b64 s[14:15], s[14:15]
	s_cbranch_execz .LBB63_1901
.LBB63_2116:
	s_mov_b32 s5, 0x42800000
	v_add_f32_e64 v5, |v2|, s5
	v_and_b32_e32 v5, 0xff, v5
	v_cmp_ne_u32_e32 vcc, 0, v5
	s_andn2_b64 s[12:13], s[12:13], exec
	s_and_b64 s[16:17], vcc, exec
	s_or_b64 s[12:13], s[12:13], s[16:17]
	s_or_b64 exec, exec, s[14:15]
	v_mov_b32_e32 v6, 0
	s_and_saveexec_b64 s[14:15], s[12:13]
	s_cbranch_execnz .LBB63_1902
	s_branch .LBB63_1903
.LBB63_2117:
	s_andn2_saveexec_b64 s[10:11], s[10:11]
	s_cbranch_execz .LBB63_2008
.LBB63_2118:
	s_mov_b32 s12, 0x46000000
	v_add_f32_e64 v4, |v3|, s12
	v_and_b32_e32 v4, 0xff, v4
	v_cmp_ne_u32_e32 vcc, 0, v4
	s_andn2_b64 s[8:9], s[8:9], exec
	s_and_b64 s[12:13], vcc, exec
	s_or_b64 s[8:9], s[8:9], s[12:13]
	s_or_b64 exec, exec, s[10:11]
	v_mov_b32_e32 v5, 0
	s_and_saveexec_b64 s[10:11], s[8:9]
	s_cbranch_execnz .LBB63_2009
	s_branch .LBB63_2010
.LBB63_2119:
	s_mov_b64 s[4:5], 0
	s_or_b64 s[2:3], s[2:3], exec
	s_trap 2
	s_branch .LBB63_2054
.LBB63_2120:
	s_andn2_saveexec_b64 s[8:9], s[8:9]
	s_cbranch_execz .LBB63_2020
.LBB63_2121:
	s_mov_b32 s10, 0x42800000
	v_add_f32_e64 v4, |v3|, s10
	v_and_b32_e32 v4, 0xff, v4
	v_cmp_ne_u32_e32 vcc, 0, v4
	s_andn2_b64 s[6:7], s[6:7], exec
	s_and_b64 s[10:11], vcc, exec
	s_or_b64 s[6:7], s[6:7], s[10:11]
	s_or_b64 exec, exec, s[8:9]
	v_mov_b32_e32 v5, 0
	s_and_saveexec_b64 s[8:9], s[6:7]
	s_cbranch_execnz .LBB63_2021
	s_branch .LBB63_2022
	.section	.rodata,"a",@progbits
	.p2align	6, 0x0
	.amdhsa_kernel _ZN2at6native32elementwise_kernel_manual_unrollILi128ELi4EZNS0_15gpu_kernel_implINS0_13BUnaryFunctorIiiiZZZNS0_18lshift_kernel_cudaERNS_18TensorIteratorBaseEENKUlvE_clEvENKUlvE1_clEvEUliiE_EEEEvS5_RKT_EUlibE0_EEviT1_
		.amdhsa_group_segment_fixed_size 0
		.amdhsa_private_segment_fixed_size 0
		.amdhsa_kernarg_size 368
		.amdhsa_user_sgpr_count 6
		.amdhsa_user_sgpr_private_segment_buffer 1
		.amdhsa_user_sgpr_dispatch_ptr 0
		.amdhsa_user_sgpr_queue_ptr 0
		.amdhsa_user_sgpr_kernarg_segment_ptr 1
		.amdhsa_user_sgpr_dispatch_id 0
		.amdhsa_user_sgpr_flat_scratch_init 0
		.amdhsa_user_sgpr_private_segment_size 0
		.amdhsa_uses_dynamic_stack 0
		.amdhsa_system_sgpr_private_segment_wavefront_offset 0
		.amdhsa_system_sgpr_workgroup_id_x 1
		.amdhsa_system_sgpr_workgroup_id_y 0
		.amdhsa_system_sgpr_workgroup_id_z 0
		.amdhsa_system_sgpr_workgroup_info 0
		.amdhsa_system_vgpr_workitem_id 0
		.amdhsa_next_free_vgpr 18
		.amdhsa_next_free_sgpr 81
		.amdhsa_reserve_vcc 1
		.amdhsa_reserve_flat_scratch 0
		.amdhsa_float_round_mode_32 0
		.amdhsa_float_round_mode_16_64 0
		.amdhsa_float_denorm_mode_32 3
		.amdhsa_float_denorm_mode_16_64 3
		.amdhsa_dx10_clamp 1
		.amdhsa_ieee_mode 1
		.amdhsa_fp16_overflow 0
		.amdhsa_exception_fp_ieee_invalid_op 0
		.amdhsa_exception_fp_denorm_src 0
		.amdhsa_exception_fp_ieee_div_zero 0
		.amdhsa_exception_fp_ieee_overflow 0
		.amdhsa_exception_fp_ieee_underflow 0
		.amdhsa_exception_fp_ieee_inexact 0
		.amdhsa_exception_int_div_zero 0
	.end_amdhsa_kernel
	.section	.text._ZN2at6native32elementwise_kernel_manual_unrollILi128ELi4EZNS0_15gpu_kernel_implINS0_13BUnaryFunctorIiiiZZZNS0_18lshift_kernel_cudaERNS_18TensorIteratorBaseEENKUlvE_clEvENKUlvE1_clEvEUliiE_EEEEvS5_RKT_EUlibE0_EEviT1_,"axG",@progbits,_ZN2at6native32elementwise_kernel_manual_unrollILi128ELi4EZNS0_15gpu_kernel_implINS0_13BUnaryFunctorIiiiZZZNS0_18lshift_kernel_cudaERNS_18TensorIteratorBaseEENKUlvE_clEvENKUlvE1_clEvEUliiE_EEEEvS5_RKT_EUlibE0_EEviT1_,comdat
.Lfunc_end63:
	.size	_ZN2at6native32elementwise_kernel_manual_unrollILi128ELi4EZNS0_15gpu_kernel_implINS0_13BUnaryFunctorIiiiZZZNS0_18lshift_kernel_cudaERNS_18TensorIteratorBaseEENKUlvE_clEvENKUlvE1_clEvEUliiE_EEEEvS5_RKT_EUlibE0_EEviT1_, .Lfunc_end63-_ZN2at6native32elementwise_kernel_manual_unrollILi128ELi4EZNS0_15gpu_kernel_implINS0_13BUnaryFunctorIiiiZZZNS0_18lshift_kernel_cudaERNS_18TensorIteratorBaseEENKUlvE_clEvENKUlvE1_clEvEUliiE_EEEEvS5_RKT_EUlibE0_EEviT1_
                                        ; -- End function
	.set _ZN2at6native32elementwise_kernel_manual_unrollILi128ELi4EZNS0_15gpu_kernel_implINS0_13BUnaryFunctorIiiiZZZNS0_18lshift_kernel_cudaERNS_18TensorIteratorBaseEENKUlvE_clEvENKUlvE1_clEvEUliiE_EEEEvS5_RKT_EUlibE0_EEviT1_.num_vgpr, 18
	.set _ZN2at6native32elementwise_kernel_manual_unrollILi128ELi4EZNS0_15gpu_kernel_implINS0_13BUnaryFunctorIiiiZZZNS0_18lshift_kernel_cudaERNS_18TensorIteratorBaseEENKUlvE_clEvENKUlvE1_clEvEUliiE_EEEEvS5_RKT_EUlibE0_EEviT1_.num_agpr, 0
	.set _ZN2at6native32elementwise_kernel_manual_unrollILi128ELi4EZNS0_15gpu_kernel_implINS0_13BUnaryFunctorIiiiZZZNS0_18lshift_kernel_cudaERNS_18TensorIteratorBaseEENKUlvE_clEvENKUlvE1_clEvEUliiE_EEEEvS5_RKT_EUlibE0_EEviT1_.numbered_sgpr, 81
	.set _ZN2at6native32elementwise_kernel_manual_unrollILi128ELi4EZNS0_15gpu_kernel_implINS0_13BUnaryFunctorIiiiZZZNS0_18lshift_kernel_cudaERNS_18TensorIteratorBaseEENKUlvE_clEvENKUlvE1_clEvEUliiE_EEEEvS5_RKT_EUlibE0_EEviT1_.num_named_barrier, 0
	.set _ZN2at6native32elementwise_kernel_manual_unrollILi128ELi4EZNS0_15gpu_kernel_implINS0_13BUnaryFunctorIiiiZZZNS0_18lshift_kernel_cudaERNS_18TensorIteratorBaseEENKUlvE_clEvENKUlvE1_clEvEUliiE_EEEEvS5_RKT_EUlibE0_EEviT1_.private_seg_size, 0
	.set _ZN2at6native32elementwise_kernel_manual_unrollILi128ELi4EZNS0_15gpu_kernel_implINS0_13BUnaryFunctorIiiiZZZNS0_18lshift_kernel_cudaERNS_18TensorIteratorBaseEENKUlvE_clEvENKUlvE1_clEvEUliiE_EEEEvS5_RKT_EUlibE0_EEviT1_.uses_vcc, 1
	.set _ZN2at6native32elementwise_kernel_manual_unrollILi128ELi4EZNS0_15gpu_kernel_implINS0_13BUnaryFunctorIiiiZZZNS0_18lshift_kernel_cudaERNS_18TensorIteratorBaseEENKUlvE_clEvENKUlvE1_clEvEUliiE_EEEEvS5_RKT_EUlibE0_EEviT1_.uses_flat_scratch, 0
	.set _ZN2at6native32elementwise_kernel_manual_unrollILi128ELi4EZNS0_15gpu_kernel_implINS0_13BUnaryFunctorIiiiZZZNS0_18lshift_kernel_cudaERNS_18TensorIteratorBaseEENKUlvE_clEvENKUlvE1_clEvEUliiE_EEEEvS5_RKT_EUlibE0_EEviT1_.has_dyn_sized_stack, 0
	.set _ZN2at6native32elementwise_kernel_manual_unrollILi128ELi4EZNS0_15gpu_kernel_implINS0_13BUnaryFunctorIiiiZZZNS0_18lshift_kernel_cudaERNS_18TensorIteratorBaseEENKUlvE_clEvENKUlvE1_clEvEUliiE_EEEEvS5_RKT_EUlibE0_EEviT1_.has_recursion, 0
	.set _ZN2at6native32elementwise_kernel_manual_unrollILi128ELi4EZNS0_15gpu_kernel_implINS0_13BUnaryFunctorIiiiZZZNS0_18lshift_kernel_cudaERNS_18TensorIteratorBaseEENKUlvE_clEvENKUlvE1_clEvEUliiE_EEEEvS5_RKT_EUlibE0_EEviT1_.has_indirect_call, 0
	.section	.AMDGPU.csdata,"",@progbits
; Kernel info:
; codeLenInByte = 34652
; TotalNumSgprs: 85
; NumVgprs: 18
; ScratchSize: 0
; MemoryBound: 1
; FloatMode: 240
; IeeeMode: 1
; LDSByteSize: 0 bytes/workgroup (compile time only)
; SGPRBlocks: 10
; VGPRBlocks: 4
; NumSGPRsForWavesPerEU: 85
; NumVGPRsForWavesPerEU: 18
; Occupancy: 9
; WaveLimiterHint : 1
; COMPUTE_PGM_RSRC2:SCRATCH_EN: 0
; COMPUTE_PGM_RSRC2:USER_SGPR: 6
; COMPUTE_PGM_RSRC2:TRAP_HANDLER: 0
; COMPUTE_PGM_RSRC2:TGID_X_EN: 1
; COMPUTE_PGM_RSRC2:TGID_Y_EN: 0
; COMPUTE_PGM_RSRC2:TGID_Z_EN: 0
; COMPUTE_PGM_RSRC2:TIDIG_COMP_CNT: 0
	.section	.text._ZN2at6native29vectorized_elementwise_kernelILi16ENS0_13BinaryFunctorIiiiZZZNS0_18lshift_kernel_cudaERNS_18TensorIteratorBaseEENKUlvE_clEvENKUlvE1_clEvEUliiE_EESt5arrayIPcLm3EEEEviT0_T1_,"axG",@progbits,_ZN2at6native29vectorized_elementwise_kernelILi16ENS0_13BinaryFunctorIiiiZZZNS0_18lshift_kernel_cudaERNS_18TensorIteratorBaseEENKUlvE_clEvENKUlvE1_clEvEUliiE_EESt5arrayIPcLm3EEEEviT0_T1_,comdat
	.globl	_ZN2at6native29vectorized_elementwise_kernelILi16ENS0_13BinaryFunctorIiiiZZZNS0_18lshift_kernel_cudaERNS_18TensorIteratorBaseEENKUlvE_clEvENKUlvE1_clEvEUliiE_EESt5arrayIPcLm3EEEEviT0_T1_ ; -- Begin function _ZN2at6native29vectorized_elementwise_kernelILi16ENS0_13BinaryFunctorIiiiZZZNS0_18lshift_kernel_cudaERNS_18TensorIteratorBaseEENKUlvE_clEvENKUlvE1_clEvEUliiE_EESt5arrayIPcLm3EEEEviT0_T1_
	.p2align	8
	.type	_ZN2at6native29vectorized_elementwise_kernelILi16ENS0_13BinaryFunctorIiiiZZZNS0_18lshift_kernel_cudaERNS_18TensorIteratorBaseEENKUlvE_clEvENKUlvE1_clEvEUliiE_EESt5arrayIPcLm3EEEEviT0_T1_,@function
_ZN2at6native29vectorized_elementwise_kernelILi16ENS0_13BinaryFunctorIiiiZZZNS0_18lshift_kernel_cudaERNS_18TensorIteratorBaseEENKUlvE_clEvENKUlvE1_clEvEUliiE_EESt5arrayIPcLm3EEEEviT0_T1_: ; @_ZN2at6native29vectorized_elementwise_kernelILi16ENS0_13BinaryFunctorIiiiZZZNS0_18lshift_kernel_cudaERNS_18TensorIteratorBaseEENKUlvE_clEvENKUlvE1_clEvEUliiE_EESt5arrayIPcLm3EEEEviT0_T1_
; %bb.0:
	s_load_dword s0, s[4:5], 0x0
	s_load_dwordx4 s[8:11], s[4:5], 0x8
	s_load_dwordx2 s[2:3], s[4:5], 0x18
	s_lshl_b32 s4, s6, 10
	s_waitcnt lgkmcnt(0)
	s_sub_i32 s14, s0, s4
	s_cmpk_gt_i32 s14, 0x3ff
	s_mov_b64 s[0:1], -1
	s_cbranch_scc0 .LBB64_2
; %bb.1:
	s_ashr_i32 s5, s4, 31
	s_lshl_b64 s[0:1], s[4:5], 2
	s_add_u32 s6, s10, s0
	s_addc_u32 s7, s11, s1
	v_lshlrev_b32_e32 v9, 4, v0
	s_add_u32 s12, s2, s0
	s_addc_u32 s13, s3, s1
	global_load_dwordx4 v[1:4], v9, s[6:7]
	global_load_dwordx4 v[5:8], v9, s[12:13]
	s_add_u32 s0, s8, s0
	s_addc_u32 s1, s9, s1
	s_waitcnt vmcnt(0)
	v_lshlrev_b32_e32 v1, v5, v1
	v_cmp_gt_u32_e32 vcc, 32, v5
	v_lshlrev_b32_e32 v2, v6, v2
	v_cndmask_b32_e32 v1, 0, v1, vcc
	v_cmp_gt_u32_e32 vcc, 32, v6
	v_lshlrev_b32_e32 v3, v7, v3
	v_cndmask_b32_e32 v2, 0, v2, vcc
	;; [unrolled: 3-line block ×3, first 2 shown]
	v_cmp_gt_u32_e32 vcc, 32, v8
	v_cndmask_b32_e32 v4, 0, v4, vcc
	global_store_dwordx4 v9, v[1:4], s[0:1]
	s_mov_b64 s[0:1], 0
.LBB64_2:
	s_andn2_b64 vcc, exec, s[0:1]
	s_cbranch_vccnz .LBB64_18
; %bb.3:
	v_cmp_gt_i32_e32 vcc, s14, v0
	v_cmp_le_i32_e64 s[0:1], s14, v0
                                        ; implicit-def: $vgpr8
	s_and_saveexec_b64 s[6:7], s[0:1]
	s_xor_b64 s[0:1], exec, s[6:7]
; %bb.4:
	v_or_b32_e32 v8, 0x100, v0
; %bb.5:
	s_or_saveexec_b64 s[6:7], s[0:1]
	v_mov_b32_e32 v14, 0
	v_or_b32_e32 v1, s4, v0
	v_mov_b32_e32 v13, 0
	v_mov_b32_e32 v12, 0
	;; [unrolled: 1-line block ×7, first 2 shown]
	s_xor_b64 exec, exec, s[6:7]
	s_cbranch_execz .LBB64_13
; %bb.6:
	v_mov_b32_e32 v2, 0
	v_lshlrev_b64 v[3:4], 2, v[1:2]
	v_mov_b32_e32 v6, s11
	v_add_co_u32_e64 v5, s[0:1], s10, v3
	v_addc_co_u32_e64 v6, s[0:1], v6, v4, s[0:1]
	global_load_dword v9, v[5:6], off
	v_mov_b32_e32 v5, s3
	v_add_co_u32_e64 v3, s[0:1], s2, v3
	v_addc_co_u32_e64 v4, s[0:1], v5, v4, s[0:1]
	global_load_dword v10, v[3:4], off
	v_or_b32_e32 v8, 0x100, v0
	v_cmp_gt_u32_e64 s[0:1], s14, v8
	v_mov_b32_e32 v11, v2
	v_mov_b32_e32 v3, v2
	;; [unrolled: 1-line block ×5, first 2 shown]
	s_and_saveexec_b64 s[12:13], s[0:1]
	s_cbranch_execz .LBB64_12
; %bb.7:
	v_add_u32_e32 v2, s4, v0
	v_mov_b32_e32 v3, 0
	v_lshlrev_b64 v[6:7], 2, v[2:3]
	v_mov_b32_e32 v2, s11
	v_add_co_u32_e64 v4, s[0:1], s10, v6
	v_addc_co_u32_e64 v5, s[0:1], v2, v7, s[0:1]
	v_mov_b32_e32 v2, s3
	v_add_co_u32_e64 v6, s[0:1], s2, v6
	v_addc_co_u32_e64 v7, s[0:1], v2, v7, s[0:1]
	global_load_dword v11, v[4:5], off offset:1024
	global_load_dword v2, v[6:7], off offset:1024
	v_or_b32_e32 v12, 0x200, v0
	v_cmp_gt_u32_e64 s[0:1], s14, v12
	v_mov_b32_e32 v12, v3
	v_mov_b32_e32 v13, v3
	;; [unrolled: 1-line block ×3, first 2 shown]
	s_and_saveexec_b64 s[2:3], s[0:1]
	s_cbranch_execz .LBB64_11
; %bb.8:
	global_load_dword v12, v[4:5], off offset:2048
	global_load_dword v3, v[6:7], off offset:2048
	v_or_b32_e32 v13, 0x300, v0
	v_cmp_gt_u32_e64 s[0:1], s14, v13
	v_mov_b32_e32 v13, 0
	v_mov_b32_e32 v14, 0
	s_and_saveexec_b64 s[10:11], s[0:1]
	s_cbranch_execz .LBB64_10
; %bb.9:
	global_load_dword v14, v[4:5], off offset:3072
	global_load_dword v13, v[6:7], off offset:3072
.LBB64_10:
	s_or_b64 exec, exec, s[10:11]
.LBB64_11:
	s_or_b64 exec, exec, s[2:3]
.LBB64_12:
	s_or_b64 exec, exec, s[12:13]
.LBB64_13:
	s_or_b64 exec, exec, s[6:7]
	s_waitcnt vmcnt(0)
	v_cmp_gt_u32_e64 s[0:1], 32, v10
	v_lshlrev_b32_e32 v4, v10, v9
	s_and_b64 s[0:1], vcc, s[0:1]
	v_cndmask_b32_e64 v6, 0, v4, s[0:1]
	v_cmp_gt_i32_e64 s[0:1], s14, v8
	v_cmp_gt_u32_e64 s[2:3], 32, v2
	v_lshlrev_b32_e32 v4, v2, v11
	s_and_b64 s[0:1], s[0:1], s[2:3]
	v_or_b32_e32 v2, 0x200, v0
	v_cndmask_b32_e64 v5, 0, v4, s[0:1]
	v_cmp_gt_i32_e64 s[0:1], s14, v2
	v_cmp_gt_u32_e64 s[2:3], 32, v3
	v_lshlrev_b32_e32 v2, v3, v12
	s_and_b64 s[0:1], s[0:1], s[2:3]
	v_cndmask_b32_e64 v4, 0, v2, s[0:1]
	v_or_b32_e32 v2, 0x300, v0
	v_cmp_gt_i32_e64 s[0:1], s14, v2
	v_cmp_gt_u32_e64 s[2:3], 32, v13
	v_lshlrev_b32_e32 v2, v13, v14
	s_and_b64 s[0:1], s[0:1], s[2:3]
	v_cndmask_b32_e64 v3, 0, v2, s[0:1]
	s_and_saveexec_b64 s[0:1], vcc
	s_cbranch_execnz .LBB64_19
; %bb.14:
	s_or_b64 exec, exec, s[0:1]
	v_cmp_gt_i32_e32 vcc, s14, v0
	s_and_saveexec_b64 s[0:1], vcc
	s_cbranch_execnz .LBB64_20
.LBB64_15:
	s_or_b64 exec, exec, s[0:1]
	v_cmp_gt_i32_e32 vcc, s14, v0
	s_and_saveexec_b64 s[0:1], vcc
	s_cbranch_execnz .LBB64_21
.LBB64_16:
	s_or_b64 exec, exec, s[0:1]
	v_cmp_gt_i32_e32 vcc, s14, v0
	s_and_saveexec_b64 s[0:1], vcc
	s_cbranch_execz .LBB64_18
.LBB64_17:
	v_add_u32_e32 v0, s4, v0
	v_mov_b32_e32 v1, 0
	v_lshlrev_b64 v[0:1], 2, v[0:1]
	v_mov_b32_e32 v2, s9
	v_add_co_u32_e32 v0, vcc, s8, v0
	v_addc_co_u32_e32 v1, vcc, v2, v1, vcc
	global_store_dword v[0:1], v3, off
.LBB64_18:
	s_endpgm
.LBB64_19:
	v_mov_b32_e32 v2, 0
	v_lshlrev_b64 v[0:1], 2, v[1:2]
	v_mov_b32_e32 v2, s9
	v_add_co_u32_e32 v0, vcc, s8, v0
	v_addc_co_u32_e32 v1, vcc, v2, v1, vcc
	global_store_dword v[0:1], v6, off
	v_mov_b32_e32 v0, v8
	s_or_b64 exec, exec, s[0:1]
	v_cmp_gt_i32_e32 vcc, s14, v0
	s_and_saveexec_b64 s[0:1], vcc
	s_cbranch_execz .LBB64_15
.LBB64_20:
	v_add_u32_e32 v1, s4, v0
	v_mov_b32_e32 v2, 0
	v_lshlrev_b64 v[1:2], 2, v[1:2]
	v_mov_b32_e32 v6, s9
	v_add_co_u32_e32 v1, vcc, s8, v1
	v_addc_co_u32_e32 v2, vcc, v6, v2, vcc
	v_add_u32_e32 v0, 0x100, v0
	global_store_dword v[1:2], v5, off
	s_or_b64 exec, exec, s[0:1]
	v_cmp_gt_i32_e32 vcc, s14, v0
	s_and_saveexec_b64 s[0:1], vcc
	s_cbranch_execz .LBB64_16
.LBB64_21:
	v_add_u32_e32 v1, s4, v0
	v_mov_b32_e32 v2, 0
	v_lshlrev_b64 v[1:2], 2, v[1:2]
	v_mov_b32_e32 v5, s9
	v_add_co_u32_e32 v1, vcc, s8, v1
	v_addc_co_u32_e32 v2, vcc, v5, v2, vcc
	v_add_u32_e32 v0, 0x100, v0
	global_store_dword v[1:2], v4, off
	s_or_b64 exec, exec, s[0:1]
	v_cmp_gt_i32_e32 vcc, s14, v0
	s_and_saveexec_b64 s[0:1], vcc
	s_cbranch_execnz .LBB64_17
	s_branch .LBB64_18
	.section	.rodata,"a",@progbits
	.p2align	6, 0x0
	.amdhsa_kernel _ZN2at6native29vectorized_elementwise_kernelILi16ENS0_13BinaryFunctorIiiiZZZNS0_18lshift_kernel_cudaERNS_18TensorIteratorBaseEENKUlvE_clEvENKUlvE1_clEvEUliiE_EESt5arrayIPcLm3EEEEviT0_T1_
		.amdhsa_group_segment_fixed_size 0
		.amdhsa_private_segment_fixed_size 0
		.amdhsa_kernarg_size 32
		.amdhsa_user_sgpr_count 6
		.amdhsa_user_sgpr_private_segment_buffer 1
		.amdhsa_user_sgpr_dispatch_ptr 0
		.amdhsa_user_sgpr_queue_ptr 0
		.amdhsa_user_sgpr_kernarg_segment_ptr 1
		.amdhsa_user_sgpr_dispatch_id 0
		.amdhsa_user_sgpr_flat_scratch_init 0
		.amdhsa_user_sgpr_private_segment_size 0
		.amdhsa_uses_dynamic_stack 0
		.amdhsa_system_sgpr_private_segment_wavefront_offset 0
		.amdhsa_system_sgpr_workgroup_id_x 1
		.amdhsa_system_sgpr_workgroup_id_y 0
		.amdhsa_system_sgpr_workgroup_id_z 0
		.amdhsa_system_sgpr_workgroup_info 0
		.amdhsa_system_vgpr_workitem_id 0
		.amdhsa_next_free_vgpr 15
		.amdhsa_next_free_sgpr 15
		.amdhsa_reserve_vcc 1
		.amdhsa_reserve_flat_scratch 0
		.amdhsa_float_round_mode_32 0
		.amdhsa_float_round_mode_16_64 0
		.amdhsa_float_denorm_mode_32 3
		.amdhsa_float_denorm_mode_16_64 3
		.amdhsa_dx10_clamp 1
		.amdhsa_ieee_mode 1
		.amdhsa_fp16_overflow 0
		.amdhsa_exception_fp_ieee_invalid_op 0
		.amdhsa_exception_fp_denorm_src 0
		.amdhsa_exception_fp_ieee_div_zero 0
		.amdhsa_exception_fp_ieee_overflow 0
		.amdhsa_exception_fp_ieee_underflow 0
		.amdhsa_exception_fp_ieee_inexact 0
		.amdhsa_exception_int_div_zero 0
	.end_amdhsa_kernel
	.section	.text._ZN2at6native29vectorized_elementwise_kernelILi16ENS0_13BinaryFunctorIiiiZZZNS0_18lshift_kernel_cudaERNS_18TensorIteratorBaseEENKUlvE_clEvENKUlvE1_clEvEUliiE_EESt5arrayIPcLm3EEEEviT0_T1_,"axG",@progbits,_ZN2at6native29vectorized_elementwise_kernelILi16ENS0_13BinaryFunctorIiiiZZZNS0_18lshift_kernel_cudaERNS_18TensorIteratorBaseEENKUlvE_clEvENKUlvE1_clEvEUliiE_EESt5arrayIPcLm3EEEEviT0_T1_,comdat
.Lfunc_end64:
	.size	_ZN2at6native29vectorized_elementwise_kernelILi16ENS0_13BinaryFunctorIiiiZZZNS0_18lshift_kernel_cudaERNS_18TensorIteratorBaseEENKUlvE_clEvENKUlvE1_clEvEUliiE_EESt5arrayIPcLm3EEEEviT0_T1_, .Lfunc_end64-_ZN2at6native29vectorized_elementwise_kernelILi16ENS0_13BinaryFunctorIiiiZZZNS0_18lshift_kernel_cudaERNS_18TensorIteratorBaseEENKUlvE_clEvENKUlvE1_clEvEUliiE_EESt5arrayIPcLm3EEEEviT0_T1_
                                        ; -- End function
	.set _ZN2at6native29vectorized_elementwise_kernelILi16ENS0_13BinaryFunctorIiiiZZZNS0_18lshift_kernel_cudaERNS_18TensorIteratorBaseEENKUlvE_clEvENKUlvE1_clEvEUliiE_EESt5arrayIPcLm3EEEEviT0_T1_.num_vgpr, 15
	.set _ZN2at6native29vectorized_elementwise_kernelILi16ENS0_13BinaryFunctorIiiiZZZNS0_18lshift_kernel_cudaERNS_18TensorIteratorBaseEENKUlvE_clEvENKUlvE1_clEvEUliiE_EESt5arrayIPcLm3EEEEviT0_T1_.num_agpr, 0
	.set _ZN2at6native29vectorized_elementwise_kernelILi16ENS0_13BinaryFunctorIiiiZZZNS0_18lshift_kernel_cudaERNS_18TensorIteratorBaseEENKUlvE_clEvENKUlvE1_clEvEUliiE_EESt5arrayIPcLm3EEEEviT0_T1_.numbered_sgpr, 15
	.set _ZN2at6native29vectorized_elementwise_kernelILi16ENS0_13BinaryFunctorIiiiZZZNS0_18lshift_kernel_cudaERNS_18TensorIteratorBaseEENKUlvE_clEvENKUlvE1_clEvEUliiE_EESt5arrayIPcLm3EEEEviT0_T1_.num_named_barrier, 0
	.set _ZN2at6native29vectorized_elementwise_kernelILi16ENS0_13BinaryFunctorIiiiZZZNS0_18lshift_kernel_cudaERNS_18TensorIteratorBaseEENKUlvE_clEvENKUlvE1_clEvEUliiE_EESt5arrayIPcLm3EEEEviT0_T1_.private_seg_size, 0
	.set _ZN2at6native29vectorized_elementwise_kernelILi16ENS0_13BinaryFunctorIiiiZZZNS0_18lshift_kernel_cudaERNS_18TensorIteratorBaseEENKUlvE_clEvENKUlvE1_clEvEUliiE_EESt5arrayIPcLm3EEEEviT0_T1_.uses_vcc, 1
	.set _ZN2at6native29vectorized_elementwise_kernelILi16ENS0_13BinaryFunctorIiiiZZZNS0_18lshift_kernel_cudaERNS_18TensorIteratorBaseEENKUlvE_clEvENKUlvE1_clEvEUliiE_EESt5arrayIPcLm3EEEEviT0_T1_.uses_flat_scratch, 0
	.set _ZN2at6native29vectorized_elementwise_kernelILi16ENS0_13BinaryFunctorIiiiZZZNS0_18lshift_kernel_cudaERNS_18TensorIteratorBaseEENKUlvE_clEvENKUlvE1_clEvEUliiE_EESt5arrayIPcLm3EEEEviT0_T1_.has_dyn_sized_stack, 0
	.set _ZN2at6native29vectorized_elementwise_kernelILi16ENS0_13BinaryFunctorIiiiZZZNS0_18lshift_kernel_cudaERNS_18TensorIteratorBaseEENKUlvE_clEvENKUlvE1_clEvEUliiE_EESt5arrayIPcLm3EEEEviT0_T1_.has_recursion, 0
	.set _ZN2at6native29vectorized_elementwise_kernelILi16ENS0_13BinaryFunctorIiiiZZZNS0_18lshift_kernel_cudaERNS_18TensorIteratorBaseEENKUlvE_clEvENKUlvE1_clEvEUliiE_EESt5arrayIPcLm3EEEEviT0_T1_.has_indirect_call, 0
	.section	.AMDGPU.csdata,"",@progbits
; Kernel info:
; codeLenInByte = 960
; TotalNumSgprs: 19
; NumVgprs: 15
; ScratchSize: 0
; MemoryBound: 0
; FloatMode: 240
; IeeeMode: 1
; LDSByteSize: 0 bytes/workgroup (compile time only)
; SGPRBlocks: 2
; VGPRBlocks: 3
; NumSGPRsForWavesPerEU: 19
; NumVGPRsForWavesPerEU: 15
; Occupancy: 10
; WaveLimiterHint : 0
; COMPUTE_PGM_RSRC2:SCRATCH_EN: 0
; COMPUTE_PGM_RSRC2:USER_SGPR: 6
; COMPUTE_PGM_RSRC2:TRAP_HANDLER: 0
; COMPUTE_PGM_RSRC2:TGID_X_EN: 1
; COMPUTE_PGM_RSRC2:TGID_Y_EN: 0
; COMPUTE_PGM_RSRC2:TGID_Z_EN: 0
; COMPUTE_PGM_RSRC2:TIDIG_COMP_CNT: 0
	.section	.text._ZN2at6native29vectorized_elementwise_kernelILi8ENS0_13BinaryFunctorIiiiZZZNS0_18lshift_kernel_cudaERNS_18TensorIteratorBaseEENKUlvE_clEvENKUlvE1_clEvEUliiE_EESt5arrayIPcLm3EEEEviT0_T1_,"axG",@progbits,_ZN2at6native29vectorized_elementwise_kernelILi8ENS0_13BinaryFunctorIiiiZZZNS0_18lshift_kernel_cudaERNS_18TensorIteratorBaseEENKUlvE_clEvENKUlvE1_clEvEUliiE_EESt5arrayIPcLm3EEEEviT0_T1_,comdat
	.globl	_ZN2at6native29vectorized_elementwise_kernelILi8ENS0_13BinaryFunctorIiiiZZZNS0_18lshift_kernel_cudaERNS_18TensorIteratorBaseEENKUlvE_clEvENKUlvE1_clEvEUliiE_EESt5arrayIPcLm3EEEEviT0_T1_ ; -- Begin function _ZN2at6native29vectorized_elementwise_kernelILi8ENS0_13BinaryFunctorIiiiZZZNS0_18lshift_kernel_cudaERNS_18TensorIteratorBaseEENKUlvE_clEvENKUlvE1_clEvEUliiE_EESt5arrayIPcLm3EEEEviT0_T1_
	.p2align	8
	.type	_ZN2at6native29vectorized_elementwise_kernelILi8ENS0_13BinaryFunctorIiiiZZZNS0_18lshift_kernel_cudaERNS_18TensorIteratorBaseEENKUlvE_clEvENKUlvE1_clEvEUliiE_EESt5arrayIPcLm3EEEEviT0_T1_,@function
_ZN2at6native29vectorized_elementwise_kernelILi8ENS0_13BinaryFunctorIiiiZZZNS0_18lshift_kernel_cudaERNS_18TensorIteratorBaseEENKUlvE_clEvENKUlvE1_clEvEUliiE_EESt5arrayIPcLm3EEEEviT0_T1_: ; @_ZN2at6native29vectorized_elementwise_kernelILi8ENS0_13BinaryFunctorIiiiZZZNS0_18lshift_kernel_cudaERNS_18TensorIteratorBaseEENKUlvE_clEvENKUlvE1_clEvEUliiE_EESt5arrayIPcLm3EEEEviT0_T1_
; %bb.0:
	s_load_dword s0, s[4:5], 0x0
	s_load_dwordx4 s[8:11], s[4:5], 0x8
	s_load_dwordx2 s[2:3], s[4:5], 0x18
	s_lshl_b32 s4, s6, 10
	s_waitcnt lgkmcnt(0)
	s_sub_i32 s14, s0, s4
	s_cmpk_gt_i32 s14, 0x3ff
	s_mov_b64 s[0:1], -1
	s_cbranch_scc0 .LBB65_2
; %bb.1:
	s_ashr_i32 s5, s4, 31
	s_lshl_b64 s[0:1], s[4:5], 2
	s_add_u32 s6, s10, s0
	s_addc_u32 s7, s11, s1
	v_lshlrev_b32_e32 v9, 4, v0
	s_add_u32 s12, s2, s0
	s_addc_u32 s13, s3, s1
	global_load_dwordx4 v[1:4], v9, s[6:7]
	global_load_dwordx4 v[5:8], v9, s[12:13]
	s_add_u32 s0, s8, s0
	s_addc_u32 s1, s9, s1
	s_waitcnt vmcnt(0)
	v_lshlrev_b32_e32 v1, v5, v1
	v_cmp_gt_u32_e32 vcc, 32, v5
	v_lshlrev_b32_e32 v2, v6, v2
	v_cndmask_b32_e32 v1, 0, v1, vcc
	v_cmp_gt_u32_e32 vcc, 32, v6
	v_lshlrev_b32_e32 v3, v7, v3
	v_cndmask_b32_e32 v2, 0, v2, vcc
	;; [unrolled: 3-line block ×3, first 2 shown]
	v_cmp_gt_u32_e32 vcc, 32, v8
	v_cndmask_b32_e32 v4, 0, v4, vcc
	global_store_dwordx4 v9, v[1:4], s[0:1]
	s_mov_b64 s[0:1], 0
.LBB65_2:
	s_andn2_b64 vcc, exec, s[0:1]
	s_cbranch_vccnz .LBB65_18
; %bb.3:
	v_cmp_gt_i32_e32 vcc, s14, v0
	v_cmp_le_i32_e64 s[0:1], s14, v0
                                        ; implicit-def: $vgpr8
	s_and_saveexec_b64 s[6:7], s[0:1]
	s_xor_b64 s[0:1], exec, s[6:7]
; %bb.4:
	v_or_b32_e32 v8, 0x100, v0
; %bb.5:
	s_or_saveexec_b64 s[6:7], s[0:1]
	v_mov_b32_e32 v14, 0
	v_or_b32_e32 v1, s4, v0
	v_mov_b32_e32 v13, 0
	v_mov_b32_e32 v12, 0
	;; [unrolled: 1-line block ×7, first 2 shown]
	s_xor_b64 exec, exec, s[6:7]
	s_cbranch_execz .LBB65_13
; %bb.6:
	v_mov_b32_e32 v2, 0
	v_lshlrev_b64 v[3:4], 2, v[1:2]
	v_mov_b32_e32 v6, s11
	v_add_co_u32_e64 v5, s[0:1], s10, v3
	v_addc_co_u32_e64 v6, s[0:1], v6, v4, s[0:1]
	global_load_dword v9, v[5:6], off
	v_mov_b32_e32 v5, s3
	v_add_co_u32_e64 v3, s[0:1], s2, v3
	v_addc_co_u32_e64 v4, s[0:1], v5, v4, s[0:1]
	global_load_dword v10, v[3:4], off
	v_or_b32_e32 v8, 0x100, v0
	v_cmp_gt_u32_e64 s[0:1], s14, v8
	v_mov_b32_e32 v11, v2
	v_mov_b32_e32 v3, v2
	;; [unrolled: 1-line block ×5, first 2 shown]
	s_and_saveexec_b64 s[12:13], s[0:1]
	s_cbranch_execz .LBB65_12
; %bb.7:
	v_add_u32_e32 v2, s4, v0
	v_mov_b32_e32 v3, 0
	v_lshlrev_b64 v[6:7], 2, v[2:3]
	v_mov_b32_e32 v2, s11
	v_add_co_u32_e64 v4, s[0:1], s10, v6
	v_addc_co_u32_e64 v5, s[0:1], v2, v7, s[0:1]
	v_mov_b32_e32 v2, s3
	v_add_co_u32_e64 v6, s[0:1], s2, v6
	v_addc_co_u32_e64 v7, s[0:1], v2, v7, s[0:1]
	global_load_dword v11, v[4:5], off offset:1024
	global_load_dword v2, v[6:7], off offset:1024
	v_or_b32_e32 v12, 0x200, v0
	v_cmp_gt_u32_e64 s[0:1], s14, v12
	v_mov_b32_e32 v12, v3
	v_mov_b32_e32 v13, v3
	;; [unrolled: 1-line block ×3, first 2 shown]
	s_and_saveexec_b64 s[2:3], s[0:1]
	s_cbranch_execz .LBB65_11
; %bb.8:
	global_load_dword v12, v[4:5], off offset:2048
	global_load_dword v3, v[6:7], off offset:2048
	v_or_b32_e32 v13, 0x300, v0
	v_cmp_gt_u32_e64 s[0:1], s14, v13
	v_mov_b32_e32 v13, 0
	v_mov_b32_e32 v14, 0
	s_and_saveexec_b64 s[10:11], s[0:1]
	s_cbranch_execz .LBB65_10
; %bb.9:
	global_load_dword v14, v[4:5], off offset:3072
	global_load_dword v13, v[6:7], off offset:3072
.LBB65_10:
	s_or_b64 exec, exec, s[10:11]
.LBB65_11:
	s_or_b64 exec, exec, s[2:3]
.LBB65_12:
	s_or_b64 exec, exec, s[12:13]
.LBB65_13:
	s_or_b64 exec, exec, s[6:7]
	s_waitcnt vmcnt(0)
	v_cmp_gt_u32_e64 s[0:1], 32, v10
	v_lshlrev_b32_e32 v4, v10, v9
	s_and_b64 s[0:1], vcc, s[0:1]
	v_cndmask_b32_e64 v6, 0, v4, s[0:1]
	v_cmp_gt_i32_e64 s[0:1], s14, v8
	v_cmp_gt_u32_e64 s[2:3], 32, v2
	v_lshlrev_b32_e32 v4, v2, v11
	s_and_b64 s[0:1], s[0:1], s[2:3]
	v_or_b32_e32 v2, 0x200, v0
	v_cndmask_b32_e64 v5, 0, v4, s[0:1]
	v_cmp_gt_i32_e64 s[0:1], s14, v2
	v_cmp_gt_u32_e64 s[2:3], 32, v3
	v_lshlrev_b32_e32 v2, v3, v12
	s_and_b64 s[0:1], s[0:1], s[2:3]
	v_cndmask_b32_e64 v4, 0, v2, s[0:1]
	v_or_b32_e32 v2, 0x300, v0
	v_cmp_gt_i32_e64 s[0:1], s14, v2
	v_cmp_gt_u32_e64 s[2:3], 32, v13
	v_lshlrev_b32_e32 v2, v13, v14
	s_and_b64 s[0:1], s[0:1], s[2:3]
	v_cndmask_b32_e64 v3, 0, v2, s[0:1]
	s_and_saveexec_b64 s[0:1], vcc
	s_cbranch_execnz .LBB65_19
; %bb.14:
	s_or_b64 exec, exec, s[0:1]
	v_cmp_gt_i32_e32 vcc, s14, v0
	s_and_saveexec_b64 s[0:1], vcc
	s_cbranch_execnz .LBB65_20
.LBB65_15:
	s_or_b64 exec, exec, s[0:1]
	v_cmp_gt_i32_e32 vcc, s14, v0
	s_and_saveexec_b64 s[0:1], vcc
	s_cbranch_execnz .LBB65_21
.LBB65_16:
	s_or_b64 exec, exec, s[0:1]
	v_cmp_gt_i32_e32 vcc, s14, v0
	s_and_saveexec_b64 s[0:1], vcc
	s_cbranch_execz .LBB65_18
.LBB65_17:
	v_add_u32_e32 v0, s4, v0
	v_mov_b32_e32 v1, 0
	v_lshlrev_b64 v[0:1], 2, v[0:1]
	v_mov_b32_e32 v2, s9
	v_add_co_u32_e32 v0, vcc, s8, v0
	v_addc_co_u32_e32 v1, vcc, v2, v1, vcc
	global_store_dword v[0:1], v3, off
.LBB65_18:
	s_endpgm
.LBB65_19:
	v_mov_b32_e32 v2, 0
	v_lshlrev_b64 v[0:1], 2, v[1:2]
	v_mov_b32_e32 v2, s9
	v_add_co_u32_e32 v0, vcc, s8, v0
	v_addc_co_u32_e32 v1, vcc, v2, v1, vcc
	global_store_dword v[0:1], v6, off
	v_mov_b32_e32 v0, v8
	s_or_b64 exec, exec, s[0:1]
	v_cmp_gt_i32_e32 vcc, s14, v0
	s_and_saveexec_b64 s[0:1], vcc
	s_cbranch_execz .LBB65_15
.LBB65_20:
	v_add_u32_e32 v1, s4, v0
	v_mov_b32_e32 v2, 0
	v_lshlrev_b64 v[1:2], 2, v[1:2]
	v_mov_b32_e32 v6, s9
	v_add_co_u32_e32 v1, vcc, s8, v1
	v_addc_co_u32_e32 v2, vcc, v6, v2, vcc
	v_add_u32_e32 v0, 0x100, v0
	global_store_dword v[1:2], v5, off
	s_or_b64 exec, exec, s[0:1]
	v_cmp_gt_i32_e32 vcc, s14, v0
	s_and_saveexec_b64 s[0:1], vcc
	s_cbranch_execz .LBB65_16
.LBB65_21:
	v_add_u32_e32 v1, s4, v0
	v_mov_b32_e32 v2, 0
	v_lshlrev_b64 v[1:2], 2, v[1:2]
	v_mov_b32_e32 v5, s9
	v_add_co_u32_e32 v1, vcc, s8, v1
	v_addc_co_u32_e32 v2, vcc, v5, v2, vcc
	v_add_u32_e32 v0, 0x100, v0
	global_store_dword v[1:2], v4, off
	s_or_b64 exec, exec, s[0:1]
	v_cmp_gt_i32_e32 vcc, s14, v0
	s_and_saveexec_b64 s[0:1], vcc
	s_cbranch_execnz .LBB65_17
	s_branch .LBB65_18
	.section	.rodata,"a",@progbits
	.p2align	6, 0x0
	.amdhsa_kernel _ZN2at6native29vectorized_elementwise_kernelILi8ENS0_13BinaryFunctorIiiiZZZNS0_18lshift_kernel_cudaERNS_18TensorIteratorBaseEENKUlvE_clEvENKUlvE1_clEvEUliiE_EESt5arrayIPcLm3EEEEviT0_T1_
		.amdhsa_group_segment_fixed_size 0
		.amdhsa_private_segment_fixed_size 0
		.amdhsa_kernarg_size 32
		.amdhsa_user_sgpr_count 6
		.amdhsa_user_sgpr_private_segment_buffer 1
		.amdhsa_user_sgpr_dispatch_ptr 0
		.amdhsa_user_sgpr_queue_ptr 0
		.amdhsa_user_sgpr_kernarg_segment_ptr 1
		.amdhsa_user_sgpr_dispatch_id 0
		.amdhsa_user_sgpr_flat_scratch_init 0
		.amdhsa_user_sgpr_private_segment_size 0
		.amdhsa_uses_dynamic_stack 0
		.amdhsa_system_sgpr_private_segment_wavefront_offset 0
		.amdhsa_system_sgpr_workgroup_id_x 1
		.amdhsa_system_sgpr_workgroup_id_y 0
		.amdhsa_system_sgpr_workgroup_id_z 0
		.amdhsa_system_sgpr_workgroup_info 0
		.amdhsa_system_vgpr_workitem_id 0
		.amdhsa_next_free_vgpr 15
		.amdhsa_next_free_sgpr 15
		.amdhsa_reserve_vcc 1
		.amdhsa_reserve_flat_scratch 0
		.amdhsa_float_round_mode_32 0
		.amdhsa_float_round_mode_16_64 0
		.amdhsa_float_denorm_mode_32 3
		.amdhsa_float_denorm_mode_16_64 3
		.amdhsa_dx10_clamp 1
		.amdhsa_ieee_mode 1
		.amdhsa_fp16_overflow 0
		.amdhsa_exception_fp_ieee_invalid_op 0
		.amdhsa_exception_fp_denorm_src 0
		.amdhsa_exception_fp_ieee_div_zero 0
		.amdhsa_exception_fp_ieee_overflow 0
		.amdhsa_exception_fp_ieee_underflow 0
		.amdhsa_exception_fp_ieee_inexact 0
		.amdhsa_exception_int_div_zero 0
	.end_amdhsa_kernel
	.section	.text._ZN2at6native29vectorized_elementwise_kernelILi8ENS0_13BinaryFunctorIiiiZZZNS0_18lshift_kernel_cudaERNS_18TensorIteratorBaseEENKUlvE_clEvENKUlvE1_clEvEUliiE_EESt5arrayIPcLm3EEEEviT0_T1_,"axG",@progbits,_ZN2at6native29vectorized_elementwise_kernelILi8ENS0_13BinaryFunctorIiiiZZZNS0_18lshift_kernel_cudaERNS_18TensorIteratorBaseEENKUlvE_clEvENKUlvE1_clEvEUliiE_EESt5arrayIPcLm3EEEEviT0_T1_,comdat
.Lfunc_end65:
	.size	_ZN2at6native29vectorized_elementwise_kernelILi8ENS0_13BinaryFunctorIiiiZZZNS0_18lshift_kernel_cudaERNS_18TensorIteratorBaseEENKUlvE_clEvENKUlvE1_clEvEUliiE_EESt5arrayIPcLm3EEEEviT0_T1_, .Lfunc_end65-_ZN2at6native29vectorized_elementwise_kernelILi8ENS0_13BinaryFunctorIiiiZZZNS0_18lshift_kernel_cudaERNS_18TensorIteratorBaseEENKUlvE_clEvENKUlvE1_clEvEUliiE_EESt5arrayIPcLm3EEEEviT0_T1_
                                        ; -- End function
	.set _ZN2at6native29vectorized_elementwise_kernelILi8ENS0_13BinaryFunctorIiiiZZZNS0_18lshift_kernel_cudaERNS_18TensorIteratorBaseEENKUlvE_clEvENKUlvE1_clEvEUliiE_EESt5arrayIPcLm3EEEEviT0_T1_.num_vgpr, 15
	.set _ZN2at6native29vectorized_elementwise_kernelILi8ENS0_13BinaryFunctorIiiiZZZNS0_18lshift_kernel_cudaERNS_18TensorIteratorBaseEENKUlvE_clEvENKUlvE1_clEvEUliiE_EESt5arrayIPcLm3EEEEviT0_T1_.num_agpr, 0
	.set _ZN2at6native29vectorized_elementwise_kernelILi8ENS0_13BinaryFunctorIiiiZZZNS0_18lshift_kernel_cudaERNS_18TensorIteratorBaseEENKUlvE_clEvENKUlvE1_clEvEUliiE_EESt5arrayIPcLm3EEEEviT0_T1_.numbered_sgpr, 15
	.set _ZN2at6native29vectorized_elementwise_kernelILi8ENS0_13BinaryFunctorIiiiZZZNS0_18lshift_kernel_cudaERNS_18TensorIteratorBaseEENKUlvE_clEvENKUlvE1_clEvEUliiE_EESt5arrayIPcLm3EEEEviT0_T1_.num_named_barrier, 0
	.set _ZN2at6native29vectorized_elementwise_kernelILi8ENS0_13BinaryFunctorIiiiZZZNS0_18lshift_kernel_cudaERNS_18TensorIteratorBaseEENKUlvE_clEvENKUlvE1_clEvEUliiE_EESt5arrayIPcLm3EEEEviT0_T1_.private_seg_size, 0
	.set _ZN2at6native29vectorized_elementwise_kernelILi8ENS0_13BinaryFunctorIiiiZZZNS0_18lshift_kernel_cudaERNS_18TensorIteratorBaseEENKUlvE_clEvENKUlvE1_clEvEUliiE_EESt5arrayIPcLm3EEEEviT0_T1_.uses_vcc, 1
	.set _ZN2at6native29vectorized_elementwise_kernelILi8ENS0_13BinaryFunctorIiiiZZZNS0_18lshift_kernel_cudaERNS_18TensorIteratorBaseEENKUlvE_clEvENKUlvE1_clEvEUliiE_EESt5arrayIPcLm3EEEEviT0_T1_.uses_flat_scratch, 0
	.set _ZN2at6native29vectorized_elementwise_kernelILi8ENS0_13BinaryFunctorIiiiZZZNS0_18lshift_kernel_cudaERNS_18TensorIteratorBaseEENKUlvE_clEvENKUlvE1_clEvEUliiE_EESt5arrayIPcLm3EEEEviT0_T1_.has_dyn_sized_stack, 0
	.set _ZN2at6native29vectorized_elementwise_kernelILi8ENS0_13BinaryFunctorIiiiZZZNS0_18lshift_kernel_cudaERNS_18TensorIteratorBaseEENKUlvE_clEvENKUlvE1_clEvEUliiE_EESt5arrayIPcLm3EEEEviT0_T1_.has_recursion, 0
	.set _ZN2at6native29vectorized_elementwise_kernelILi8ENS0_13BinaryFunctorIiiiZZZNS0_18lshift_kernel_cudaERNS_18TensorIteratorBaseEENKUlvE_clEvENKUlvE1_clEvEUliiE_EESt5arrayIPcLm3EEEEviT0_T1_.has_indirect_call, 0
	.section	.AMDGPU.csdata,"",@progbits
; Kernel info:
; codeLenInByte = 960
; TotalNumSgprs: 19
; NumVgprs: 15
; ScratchSize: 0
; MemoryBound: 0
; FloatMode: 240
; IeeeMode: 1
; LDSByteSize: 0 bytes/workgroup (compile time only)
; SGPRBlocks: 2
; VGPRBlocks: 3
; NumSGPRsForWavesPerEU: 19
; NumVGPRsForWavesPerEU: 15
; Occupancy: 10
; WaveLimiterHint : 0
; COMPUTE_PGM_RSRC2:SCRATCH_EN: 0
; COMPUTE_PGM_RSRC2:USER_SGPR: 6
; COMPUTE_PGM_RSRC2:TRAP_HANDLER: 0
; COMPUTE_PGM_RSRC2:TGID_X_EN: 1
; COMPUTE_PGM_RSRC2:TGID_Y_EN: 0
; COMPUTE_PGM_RSRC2:TGID_Z_EN: 0
; COMPUTE_PGM_RSRC2:TIDIG_COMP_CNT: 0
	.section	.text._ZN2at6native29vectorized_elementwise_kernelILi4ENS0_13BinaryFunctorIiiiZZZNS0_18lshift_kernel_cudaERNS_18TensorIteratorBaseEENKUlvE_clEvENKUlvE1_clEvEUliiE_EESt5arrayIPcLm3EEEEviT0_T1_,"axG",@progbits,_ZN2at6native29vectorized_elementwise_kernelILi4ENS0_13BinaryFunctorIiiiZZZNS0_18lshift_kernel_cudaERNS_18TensorIteratorBaseEENKUlvE_clEvENKUlvE1_clEvEUliiE_EESt5arrayIPcLm3EEEEviT0_T1_,comdat
	.globl	_ZN2at6native29vectorized_elementwise_kernelILi4ENS0_13BinaryFunctorIiiiZZZNS0_18lshift_kernel_cudaERNS_18TensorIteratorBaseEENKUlvE_clEvENKUlvE1_clEvEUliiE_EESt5arrayIPcLm3EEEEviT0_T1_ ; -- Begin function _ZN2at6native29vectorized_elementwise_kernelILi4ENS0_13BinaryFunctorIiiiZZZNS0_18lshift_kernel_cudaERNS_18TensorIteratorBaseEENKUlvE_clEvENKUlvE1_clEvEUliiE_EESt5arrayIPcLm3EEEEviT0_T1_
	.p2align	8
	.type	_ZN2at6native29vectorized_elementwise_kernelILi4ENS0_13BinaryFunctorIiiiZZZNS0_18lshift_kernel_cudaERNS_18TensorIteratorBaseEENKUlvE_clEvENKUlvE1_clEvEUliiE_EESt5arrayIPcLm3EEEEviT0_T1_,@function
_ZN2at6native29vectorized_elementwise_kernelILi4ENS0_13BinaryFunctorIiiiZZZNS0_18lshift_kernel_cudaERNS_18TensorIteratorBaseEENKUlvE_clEvENKUlvE1_clEvEUliiE_EESt5arrayIPcLm3EEEEviT0_T1_: ; @_ZN2at6native29vectorized_elementwise_kernelILi4ENS0_13BinaryFunctorIiiiZZZNS0_18lshift_kernel_cudaERNS_18TensorIteratorBaseEENKUlvE_clEvENKUlvE1_clEvEUliiE_EESt5arrayIPcLm3EEEEviT0_T1_
; %bb.0:
	s_load_dword s0, s[4:5], 0x0
	s_load_dwordx4 s[8:11], s[4:5], 0x8
	s_load_dwordx2 s[2:3], s[4:5], 0x18
	s_lshl_b32 s4, s6, 10
	s_waitcnt lgkmcnt(0)
	s_sub_i32 s14, s0, s4
	s_cmpk_gt_i32 s14, 0x3ff
	s_mov_b64 s[0:1], -1
	s_cbranch_scc0 .LBB66_2
; %bb.1:
	s_ashr_i32 s5, s4, 31
	s_lshl_b64 s[0:1], s[4:5], 2
	s_add_u32 s6, s10, s0
	s_addc_u32 s7, s11, s1
	v_lshlrev_b32_e32 v9, 4, v0
	s_add_u32 s12, s2, s0
	s_addc_u32 s13, s3, s1
	global_load_dwordx4 v[1:4], v9, s[6:7]
	global_load_dwordx4 v[5:8], v9, s[12:13]
	s_add_u32 s0, s8, s0
	s_addc_u32 s1, s9, s1
	s_waitcnt vmcnt(0)
	v_lshlrev_b32_e32 v1, v5, v1
	v_cmp_gt_u32_e32 vcc, 32, v5
	v_lshlrev_b32_e32 v2, v6, v2
	v_cndmask_b32_e32 v1, 0, v1, vcc
	v_cmp_gt_u32_e32 vcc, 32, v6
	v_lshlrev_b32_e32 v3, v7, v3
	v_cndmask_b32_e32 v2, 0, v2, vcc
	;; [unrolled: 3-line block ×3, first 2 shown]
	v_cmp_gt_u32_e32 vcc, 32, v8
	v_cndmask_b32_e32 v4, 0, v4, vcc
	global_store_dwordx4 v9, v[1:4], s[0:1]
	s_mov_b64 s[0:1], 0
.LBB66_2:
	s_andn2_b64 vcc, exec, s[0:1]
	s_cbranch_vccnz .LBB66_18
; %bb.3:
	v_cmp_gt_i32_e32 vcc, s14, v0
	v_cmp_le_i32_e64 s[0:1], s14, v0
                                        ; implicit-def: $vgpr8
	s_and_saveexec_b64 s[6:7], s[0:1]
	s_xor_b64 s[0:1], exec, s[6:7]
; %bb.4:
	v_or_b32_e32 v8, 0x100, v0
; %bb.5:
	s_or_saveexec_b64 s[6:7], s[0:1]
	v_mov_b32_e32 v14, 0
	v_or_b32_e32 v1, s4, v0
	v_mov_b32_e32 v13, 0
	v_mov_b32_e32 v12, 0
	;; [unrolled: 1-line block ×7, first 2 shown]
	s_xor_b64 exec, exec, s[6:7]
	s_cbranch_execz .LBB66_13
; %bb.6:
	v_mov_b32_e32 v2, 0
	v_lshlrev_b64 v[3:4], 2, v[1:2]
	v_mov_b32_e32 v6, s11
	v_add_co_u32_e64 v5, s[0:1], s10, v3
	v_addc_co_u32_e64 v6, s[0:1], v6, v4, s[0:1]
	global_load_dword v9, v[5:6], off
	v_mov_b32_e32 v5, s3
	v_add_co_u32_e64 v3, s[0:1], s2, v3
	v_addc_co_u32_e64 v4, s[0:1], v5, v4, s[0:1]
	global_load_dword v10, v[3:4], off
	v_or_b32_e32 v8, 0x100, v0
	v_cmp_gt_u32_e64 s[0:1], s14, v8
	v_mov_b32_e32 v11, v2
	v_mov_b32_e32 v3, v2
	;; [unrolled: 1-line block ×5, first 2 shown]
	s_and_saveexec_b64 s[12:13], s[0:1]
	s_cbranch_execz .LBB66_12
; %bb.7:
	v_add_u32_e32 v2, s4, v0
	v_mov_b32_e32 v3, 0
	v_lshlrev_b64 v[6:7], 2, v[2:3]
	v_mov_b32_e32 v2, s11
	v_add_co_u32_e64 v4, s[0:1], s10, v6
	v_addc_co_u32_e64 v5, s[0:1], v2, v7, s[0:1]
	v_mov_b32_e32 v2, s3
	v_add_co_u32_e64 v6, s[0:1], s2, v6
	v_addc_co_u32_e64 v7, s[0:1], v2, v7, s[0:1]
	global_load_dword v11, v[4:5], off offset:1024
	global_load_dword v2, v[6:7], off offset:1024
	v_or_b32_e32 v12, 0x200, v0
	v_cmp_gt_u32_e64 s[0:1], s14, v12
	v_mov_b32_e32 v12, v3
	v_mov_b32_e32 v13, v3
	v_mov_b32_e32 v14, v3
	s_and_saveexec_b64 s[2:3], s[0:1]
	s_cbranch_execz .LBB66_11
; %bb.8:
	global_load_dword v12, v[4:5], off offset:2048
	global_load_dword v3, v[6:7], off offset:2048
	v_or_b32_e32 v13, 0x300, v0
	v_cmp_gt_u32_e64 s[0:1], s14, v13
	v_mov_b32_e32 v13, 0
	v_mov_b32_e32 v14, 0
	s_and_saveexec_b64 s[10:11], s[0:1]
	s_cbranch_execz .LBB66_10
; %bb.9:
	global_load_dword v14, v[4:5], off offset:3072
	global_load_dword v13, v[6:7], off offset:3072
.LBB66_10:
	s_or_b64 exec, exec, s[10:11]
.LBB66_11:
	s_or_b64 exec, exec, s[2:3]
.LBB66_12:
	s_or_b64 exec, exec, s[12:13]
.LBB66_13:
	s_or_b64 exec, exec, s[6:7]
	s_waitcnt vmcnt(0)
	v_cmp_gt_u32_e64 s[0:1], 32, v10
	v_lshlrev_b32_e32 v4, v10, v9
	s_and_b64 s[0:1], vcc, s[0:1]
	v_cndmask_b32_e64 v6, 0, v4, s[0:1]
	v_cmp_gt_i32_e64 s[0:1], s14, v8
	v_cmp_gt_u32_e64 s[2:3], 32, v2
	v_lshlrev_b32_e32 v4, v2, v11
	s_and_b64 s[0:1], s[0:1], s[2:3]
	v_or_b32_e32 v2, 0x200, v0
	v_cndmask_b32_e64 v5, 0, v4, s[0:1]
	v_cmp_gt_i32_e64 s[0:1], s14, v2
	v_cmp_gt_u32_e64 s[2:3], 32, v3
	v_lshlrev_b32_e32 v2, v3, v12
	s_and_b64 s[0:1], s[0:1], s[2:3]
	v_cndmask_b32_e64 v4, 0, v2, s[0:1]
	v_or_b32_e32 v2, 0x300, v0
	v_cmp_gt_i32_e64 s[0:1], s14, v2
	v_cmp_gt_u32_e64 s[2:3], 32, v13
	v_lshlrev_b32_e32 v2, v13, v14
	s_and_b64 s[0:1], s[0:1], s[2:3]
	v_cndmask_b32_e64 v3, 0, v2, s[0:1]
	s_and_saveexec_b64 s[0:1], vcc
	s_cbranch_execnz .LBB66_19
; %bb.14:
	s_or_b64 exec, exec, s[0:1]
	v_cmp_gt_i32_e32 vcc, s14, v0
	s_and_saveexec_b64 s[0:1], vcc
	s_cbranch_execnz .LBB66_20
.LBB66_15:
	s_or_b64 exec, exec, s[0:1]
	v_cmp_gt_i32_e32 vcc, s14, v0
	s_and_saveexec_b64 s[0:1], vcc
	s_cbranch_execnz .LBB66_21
.LBB66_16:
	s_or_b64 exec, exec, s[0:1]
	v_cmp_gt_i32_e32 vcc, s14, v0
	s_and_saveexec_b64 s[0:1], vcc
	s_cbranch_execz .LBB66_18
.LBB66_17:
	v_add_u32_e32 v0, s4, v0
	v_mov_b32_e32 v1, 0
	v_lshlrev_b64 v[0:1], 2, v[0:1]
	v_mov_b32_e32 v2, s9
	v_add_co_u32_e32 v0, vcc, s8, v0
	v_addc_co_u32_e32 v1, vcc, v2, v1, vcc
	global_store_dword v[0:1], v3, off
.LBB66_18:
	s_endpgm
.LBB66_19:
	v_mov_b32_e32 v2, 0
	v_lshlrev_b64 v[0:1], 2, v[1:2]
	v_mov_b32_e32 v2, s9
	v_add_co_u32_e32 v0, vcc, s8, v0
	v_addc_co_u32_e32 v1, vcc, v2, v1, vcc
	global_store_dword v[0:1], v6, off
	v_mov_b32_e32 v0, v8
	s_or_b64 exec, exec, s[0:1]
	v_cmp_gt_i32_e32 vcc, s14, v0
	s_and_saveexec_b64 s[0:1], vcc
	s_cbranch_execz .LBB66_15
.LBB66_20:
	v_add_u32_e32 v1, s4, v0
	v_mov_b32_e32 v2, 0
	v_lshlrev_b64 v[1:2], 2, v[1:2]
	v_mov_b32_e32 v6, s9
	v_add_co_u32_e32 v1, vcc, s8, v1
	v_addc_co_u32_e32 v2, vcc, v6, v2, vcc
	v_add_u32_e32 v0, 0x100, v0
	global_store_dword v[1:2], v5, off
	s_or_b64 exec, exec, s[0:1]
	v_cmp_gt_i32_e32 vcc, s14, v0
	s_and_saveexec_b64 s[0:1], vcc
	s_cbranch_execz .LBB66_16
.LBB66_21:
	v_add_u32_e32 v1, s4, v0
	v_mov_b32_e32 v2, 0
	v_lshlrev_b64 v[1:2], 2, v[1:2]
	v_mov_b32_e32 v5, s9
	v_add_co_u32_e32 v1, vcc, s8, v1
	v_addc_co_u32_e32 v2, vcc, v5, v2, vcc
	v_add_u32_e32 v0, 0x100, v0
	global_store_dword v[1:2], v4, off
	s_or_b64 exec, exec, s[0:1]
	v_cmp_gt_i32_e32 vcc, s14, v0
	s_and_saveexec_b64 s[0:1], vcc
	s_cbranch_execnz .LBB66_17
	s_branch .LBB66_18
	.section	.rodata,"a",@progbits
	.p2align	6, 0x0
	.amdhsa_kernel _ZN2at6native29vectorized_elementwise_kernelILi4ENS0_13BinaryFunctorIiiiZZZNS0_18lshift_kernel_cudaERNS_18TensorIteratorBaseEENKUlvE_clEvENKUlvE1_clEvEUliiE_EESt5arrayIPcLm3EEEEviT0_T1_
		.amdhsa_group_segment_fixed_size 0
		.amdhsa_private_segment_fixed_size 0
		.amdhsa_kernarg_size 32
		.amdhsa_user_sgpr_count 6
		.amdhsa_user_sgpr_private_segment_buffer 1
		.amdhsa_user_sgpr_dispatch_ptr 0
		.amdhsa_user_sgpr_queue_ptr 0
		.amdhsa_user_sgpr_kernarg_segment_ptr 1
		.amdhsa_user_sgpr_dispatch_id 0
		.amdhsa_user_sgpr_flat_scratch_init 0
		.amdhsa_user_sgpr_private_segment_size 0
		.amdhsa_uses_dynamic_stack 0
		.amdhsa_system_sgpr_private_segment_wavefront_offset 0
		.amdhsa_system_sgpr_workgroup_id_x 1
		.amdhsa_system_sgpr_workgroup_id_y 0
		.amdhsa_system_sgpr_workgroup_id_z 0
		.amdhsa_system_sgpr_workgroup_info 0
		.amdhsa_system_vgpr_workitem_id 0
		.amdhsa_next_free_vgpr 15
		.amdhsa_next_free_sgpr 15
		.amdhsa_reserve_vcc 1
		.amdhsa_reserve_flat_scratch 0
		.amdhsa_float_round_mode_32 0
		.amdhsa_float_round_mode_16_64 0
		.amdhsa_float_denorm_mode_32 3
		.amdhsa_float_denorm_mode_16_64 3
		.amdhsa_dx10_clamp 1
		.amdhsa_ieee_mode 1
		.amdhsa_fp16_overflow 0
		.amdhsa_exception_fp_ieee_invalid_op 0
		.amdhsa_exception_fp_denorm_src 0
		.amdhsa_exception_fp_ieee_div_zero 0
		.amdhsa_exception_fp_ieee_overflow 0
		.amdhsa_exception_fp_ieee_underflow 0
		.amdhsa_exception_fp_ieee_inexact 0
		.amdhsa_exception_int_div_zero 0
	.end_amdhsa_kernel
	.section	.text._ZN2at6native29vectorized_elementwise_kernelILi4ENS0_13BinaryFunctorIiiiZZZNS0_18lshift_kernel_cudaERNS_18TensorIteratorBaseEENKUlvE_clEvENKUlvE1_clEvEUliiE_EESt5arrayIPcLm3EEEEviT0_T1_,"axG",@progbits,_ZN2at6native29vectorized_elementwise_kernelILi4ENS0_13BinaryFunctorIiiiZZZNS0_18lshift_kernel_cudaERNS_18TensorIteratorBaseEENKUlvE_clEvENKUlvE1_clEvEUliiE_EESt5arrayIPcLm3EEEEviT0_T1_,comdat
.Lfunc_end66:
	.size	_ZN2at6native29vectorized_elementwise_kernelILi4ENS0_13BinaryFunctorIiiiZZZNS0_18lshift_kernel_cudaERNS_18TensorIteratorBaseEENKUlvE_clEvENKUlvE1_clEvEUliiE_EESt5arrayIPcLm3EEEEviT0_T1_, .Lfunc_end66-_ZN2at6native29vectorized_elementwise_kernelILi4ENS0_13BinaryFunctorIiiiZZZNS0_18lshift_kernel_cudaERNS_18TensorIteratorBaseEENKUlvE_clEvENKUlvE1_clEvEUliiE_EESt5arrayIPcLm3EEEEviT0_T1_
                                        ; -- End function
	.set _ZN2at6native29vectorized_elementwise_kernelILi4ENS0_13BinaryFunctorIiiiZZZNS0_18lshift_kernel_cudaERNS_18TensorIteratorBaseEENKUlvE_clEvENKUlvE1_clEvEUliiE_EESt5arrayIPcLm3EEEEviT0_T1_.num_vgpr, 15
	.set _ZN2at6native29vectorized_elementwise_kernelILi4ENS0_13BinaryFunctorIiiiZZZNS0_18lshift_kernel_cudaERNS_18TensorIteratorBaseEENKUlvE_clEvENKUlvE1_clEvEUliiE_EESt5arrayIPcLm3EEEEviT0_T1_.num_agpr, 0
	.set _ZN2at6native29vectorized_elementwise_kernelILi4ENS0_13BinaryFunctorIiiiZZZNS0_18lshift_kernel_cudaERNS_18TensorIteratorBaseEENKUlvE_clEvENKUlvE1_clEvEUliiE_EESt5arrayIPcLm3EEEEviT0_T1_.numbered_sgpr, 15
	.set _ZN2at6native29vectorized_elementwise_kernelILi4ENS0_13BinaryFunctorIiiiZZZNS0_18lshift_kernel_cudaERNS_18TensorIteratorBaseEENKUlvE_clEvENKUlvE1_clEvEUliiE_EESt5arrayIPcLm3EEEEviT0_T1_.num_named_barrier, 0
	.set _ZN2at6native29vectorized_elementwise_kernelILi4ENS0_13BinaryFunctorIiiiZZZNS0_18lshift_kernel_cudaERNS_18TensorIteratorBaseEENKUlvE_clEvENKUlvE1_clEvEUliiE_EESt5arrayIPcLm3EEEEviT0_T1_.private_seg_size, 0
	.set _ZN2at6native29vectorized_elementwise_kernelILi4ENS0_13BinaryFunctorIiiiZZZNS0_18lshift_kernel_cudaERNS_18TensorIteratorBaseEENKUlvE_clEvENKUlvE1_clEvEUliiE_EESt5arrayIPcLm3EEEEviT0_T1_.uses_vcc, 1
	.set _ZN2at6native29vectorized_elementwise_kernelILi4ENS0_13BinaryFunctorIiiiZZZNS0_18lshift_kernel_cudaERNS_18TensorIteratorBaseEENKUlvE_clEvENKUlvE1_clEvEUliiE_EESt5arrayIPcLm3EEEEviT0_T1_.uses_flat_scratch, 0
	.set _ZN2at6native29vectorized_elementwise_kernelILi4ENS0_13BinaryFunctorIiiiZZZNS0_18lshift_kernel_cudaERNS_18TensorIteratorBaseEENKUlvE_clEvENKUlvE1_clEvEUliiE_EESt5arrayIPcLm3EEEEviT0_T1_.has_dyn_sized_stack, 0
	.set _ZN2at6native29vectorized_elementwise_kernelILi4ENS0_13BinaryFunctorIiiiZZZNS0_18lshift_kernel_cudaERNS_18TensorIteratorBaseEENKUlvE_clEvENKUlvE1_clEvEUliiE_EESt5arrayIPcLm3EEEEviT0_T1_.has_recursion, 0
	.set _ZN2at6native29vectorized_elementwise_kernelILi4ENS0_13BinaryFunctorIiiiZZZNS0_18lshift_kernel_cudaERNS_18TensorIteratorBaseEENKUlvE_clEvENKUlvE1_clEvEUliiE_EESt5arrayIPcLm3EEEEviT0_T1_.has_indirect_call, 0
	.section	.AMDGPU.csdata,"",@progbits
; Kernel info:
; codeLenInByte = 960
; TotalNumSgprs: 19
; NumVgprs: 15
; ScratchSize: 0
; MemoryBound: 0
; FloatMode: 240
; IeeeMode: 1
; LDSByteSize: 0 bytes/workgroup (compile time only)
; SGPRBlocks: 2
; VGPRBlocks: 3
; NumSGPRsForWavesPerEU: 19
; NumVGPRsForWavesPerEU: 15
; Occupancy: 10
; WaveLimiterHint : 0
; COMPUTE_PGM_RSRC2:SCRATCH_EN: 0
; COMPUTE_PGM_RSRC2:USER_SGPR: 6
; COMPUTE_PGM_RSRC2:TRAP_HANDLER: 0
; COMPUTE_PGM_RSRC2:TGID_X_EN: 1
; COMPUTE_PGM_RSRC2:TGID_Y_EN: 0
; COMPUTE_PGM_RSRC2:TGID_Z_EN: 0
; COMPUTE_PGM_RSRC2:TIDIG_COMP_CNT: 0
	.section	.text._ZN2at6native29vectorized_elementwise_kernelILi2ENS0_13BinaryFunctorIiiiZZZNS0_18lshift_kernel_cudaERNS_18TensorIteratorBaseEENKUlvE_clEvENKUlvE1_clEvEUliiE_EESt5arrayIPcLm3EEEEviT0_T1_,"axG",@progbits,_ZN2at6native29vectorized_elementwise_kernelILi2ENS0_13BinaryFunctorIiiiZZZNS0_18lshift_kernel_cudaERNS_18TensorIteratorBaseEENKUlvE_clEvENKUlvE1_clEvEUliiE_EESt5arrayIPcLm3EEEEviT0_T1_,comdat
	.globl	_ZN2at6native29vectorized_elementwise_kernelILi2ENS0_13BinaryFunctorIiiiZZZNS0_18lshift_kernel_cudaERNS_18TensorIteratorBaseEENKUlvE_clEvENKUlvE1_clEvEUliiE_EESt5arrayIPcLm3EEEEviT0_T1_ ; -- Begin function _ZN2at6native29vectorized_elementwise_kernelILi2ENS0_13BinaryFunctorIiiiZZZNS0_18lshift_kernel_cudaERNS_18TensorIteratorBaseEENKUlvE_clEvENKUlvE1_clEvEUliiE_EESt5arrayIPcLm3EEEEviT0_T1_
	.p2align	8
	.type	_ZN2at6native29vectorized_elementwise_kernelILi2ENS0_13BinaryFunctorIiiiZZZNS0_18lshift_kernel_cudaERNS_18TensorIteratorBaseEENKUlvE_clEvENKUlvE1_clEvEUliiE_EESt5arrayIPcLm3EEEEviT0_T1_,@function
_ZN2at6native29vectorized_elementwise_kernelILi2ENS0_13BinaryFunctorIiiiZZZNS0_18lshift_kernel_cudaERNS_18TensorIteratorBaseEENKUlvE_clEvENKUlvE1_clEvEUliiE_EESt5arrayIPcLm3EEEEviT0_T1_: ; @_ZN2at6native29vectorized_elementwise_kernelILi2ENS0_13BinaryFunctorIiiiZZZNS0_18lshift_kernel_cudaERNS_18TensorIteratorBaseEENKUlvE_clEvENKUlvE1_clEvEUliiE_EESt5arrayIPcLm3EEEEviT0_T1_
; %bb.0:
	s_load_dword s0, s[4:5], 0x0
	s_load_dwordx4 s[8:11], s[4:5], 0x8
	s_load_dwordx2 s[2:3], s[4:5], 0x18
	s_lshl_b32 s4, s6, 10
	s_waitcnt lgkmcnt(0)
	s_sub_i32 s14, s0, s4
	s_cmpk_gt_i32 s14, 0x3ff
	s_mov_b64 s[0:1], -1
	s_cbranch_scc0 .LBB67_2
; %bb.1:
	s_ashr_i32 s5, s4, 31
	s_lshl_b64 s[0:1], s[4:5], 2
	s_add_u32 s6, s10, s0
	s_addc_u32 s7, s11, s1
	v_lshlrev_b32_e32 v9, 3, v0
	s_add_u32 s12, s2, s0
	s_addc_u32 s13, s3, s1
	global_load_dwordx2 v[1:2], v9, s[6:7]
	global_load_dwordx2 v[3:4], v9, s[12:13]
	global_load_dwordx2 v[5:6], v9, s[6:7] offset:2048
	global_load_dwordx2 v[7:8], v9, s[12:13] offset:2048
	s_add_u32 s0, s8, s0
	s_addc_u32 s1, s9, s1
	s_waitcnt vmcnt(2)
	v_lshlrev_b32_e32 v1, v3, v1
	v_cmp_gt_u32_e32 vcc, 32, v3
	v_lshlrev_b32_e32 v2, v4, v2
	v_cndmask_b32_e32 v1, 0, v1, vcc
	v_cmp_gt_u32_e32 vcc, 32, v4
	s_waitcnt vmcnt(0)
	v_lshlrev_b32_e32 v5, v7, v5
	v_cndmask_b32_e32 v2, 0, v2, vcc
	v_cmp_gt_u32_e32 vcc, 32, v7
	v_lshlrev_b32_e32 v6, v8, v6
	v_cndmask_b32_e32 v3, 0, v5, vcc
	v_cmp_gt_u32_e32 vcc, 32, v8
	v_cndmask_b32_e32 v4, 0, v6, vcc
	global_store_dwordx2 v9, v[1:2], s[0:1]
	global_store_dwordx2 v9, v[3:4], s[0:1] offset:2048
	s_mov_b64 s[0:1], 0
.LBB67_2:
	s_andn2_b64 vcc, exec, s[0:1]
	s_cbranch_vccnz .LBB67_18
; %bb.3:
	v_cmp_gt_i32_e32 vcc, s14, v0
	v_cmp_le_i32_e64 s[0:1], s14, v0
                                        ; implicit-def: $vgpr8
	s_and_saveexec_b64 s[6:7], s[0:1]
	s_xor_b64 s[0:1], exec, s[6:7]
; %bb.4:
	v_or_b32_e32 v8, 0x100, v0
; %bb.5:
	s_or_saveexec_b64 s[6:7], s[0:1]
	v_mov_b32_e32 v14, 0
	v_or_b32_e32 v1, s4, v0
	v_mov_b32_e32 v13, 0
	v_mov_b32_e32 v12, 0
	;; [unrolled: 1-line block ×7, first 2 shown]
	s_xor_b64 exec, exec, s[6:7]
	s_cbranch_execz .LBB67_13
; %bb.6:
	v_mov_b32_e32 v2, 0
	v_lshlrev_b64 v[3:4], 2, v[1:2]
	v_mov_b32_e32 v6, s11
	v_add_co_u32_e64 v5, s[0:1], s10, v3
	v_addc_co_u32_e64 v6, s[0:1], v6, v4, s[0:1]
	global_load_dword v9, v[5:6], off
	v_mov_b32_e32 v5, s3
	v_add_co_u32_e64 v3, s[0:1], s2, v3
	v_addc_co_u32_e64 v4, s[0:1], v5, v4, s[0:1]
	global_load_dword v10, v[3:4], off
	v_or_b32_e32 v8, 0x100, v0
	v_cmp_gt_u32_e64 s[0:1], s14, v8
	v_mov_b32_e32 v11, v2
	v_mov_b32_e32 v3, v2
	;; [unrolled: 1-line block ×5, first 2 shown]
	s_and_saveexec_b64 s[12:13], s[0:1]
	s_cbranch_execz .LBB67_12
; %bb.7:
	v_add_u32_e32 v2, s4, v0
	v_mov_b32_e32 v3, 0
	v_lshlrev_b64 v[6:7], 2, v[2:3]
	v_mov_b32_e32 v2, s11
	v_add_co_u32_e64 v4, s[0:1], s10, v6
	v_addc_co_u32_e64 v5, s[0:1], v2, v7, s[0:1]
	v_mov_b32_e32 v2, s3
	v_add_co_u32_e64 v6, s[0:1], s2, v6
	v_addc_co_u32_e64 v7, s[0:1], v2, v7, s[0:1]
	global_load_dword v11, v[4:5], off offset:1024
	global_load_dword v2, v[6:7], off offset:1024
	v_or_b32_e32 v12, 0x200, v0
	v_cmp_gt_u32_e64 s[0:1], s14, v12
	v_mov_b32_e32 v12, v3
	v_mov_b32_e32 v13, v3
	;; [unrolled: 1-line block ×3, first 2 shown]
	s_and_saveexec_b64 s[2:3], s[0:1]
	s_cbranch_execz .LBB67_11
; %bb.8:
	global_load_dword v12, v[4:5], off offset:2048
	global_load_dword v3, v[6:7], off offset:2048
	v_or_b32_e32 v13, 0x300, v0
	v_cmp_gt_u32_e64 s[0:1], s14, v13
	v_mov_b32_e32 v13, 0
	v_mov_b32_e32 v14, 0
	s_and_saveexec_b64 s[10:11], s[0:1]
	s_cbranch_execz .LBB67_10
; %bb.9:
	global_load_dword v14, v[4:5], off offset:3072
	global_load_dword v13, v[6:7], off offset:3072
.LBB67_10:
	s_or_b64 exec, exec, s[10:11]
.LBB67_11:
	s_or_b64 exec, exec, s[2:3]
.LBB67_12:
	s_or_b64 exec, exec, s[12:13]
.LBB67_13:
	s_or_b64 exec, exec, s[6:7]
	s_waitcnt vmcnt(0)
	v_cmp_gt_u32_e64 s[0:1], 32, v10
	v_lshlrev_b32_e32 v4, v10, v9
	s_and_b64 s[0:1], vcc, s[0:1]
	v_cndmask_b32_e64 v6, 0, v4, s[0:1]
	v_cmp_gt_i32_e64 s[0:1], s14, v8
	v_cmp_gt_u32_e64 s[2:3], 32, v2
	v_lshlrev_b32_e32 v4, v2, v11
	s_and_b64 s[0:1], s[0:1], s[2:3]
	v_or_b32_e32 v2, 0x200, v0
	v_cndmask_b32_e64 v5, 0, v4, s[0:1]
	v_cmp_gt_i32_e64 s[0:1], s14, v2
	v_cmp_gt_u32_e64 s[2:3], 32, v3
	v_lshlrev_b32_e32 v2, v3, v12
	s_and_b64 s[0:1], s[0:1], s[2:3]
	v_cndmask_b32_e64 v4, 0, v2, s[0:1]
	v_or_b32_e32 v2, 0x300, v0
	v_cmp_gt_i32_e64 s[0:1], s14, v2
	v_cmp_gt_u32_e64 s[2:3], 32, v13
	v_lshlrev_b32_e32 v2, v13, v14
	s_and_b64 s[0:1], s[0:1], s[2:3]
	v_cndmask_b32_e64 v3, 0, v2, s[0:1]
	s_and_saveexec_b64 s[0:1], vcc
	s_cbranch_execnz .LBB67_19
; %bb.14:
	s_or_b64 exec, exec, s[0:1]
	v_cmp_gt_i32_e32 vcc, s14, v0
	s_and_saveexec_b64 s[0:1], vcc
	s_cbranch_execnz .LBB67_20
.LBB67_15:
	s_or_b64 exec, exec, s[0:1]
	v_cmp_gt_i32_e32 vcc, s14, v0
	s_and_saveexec_b64 s[0:1], vcc
	s_cbranch_execnz .LBB67_21
.LBB67_16:
	s_or_b64 exec, exec, s[0:1]
	v_cmp_gt_i32_e32 vcc, s14, v0
	s_and_saveexec_b64 s[0:1], vcc
	s_cbranch_execz .LBB67_18
.LBB67_17:
	v_add_u32_e32 v0, s4, v0
	v_mov_b32_e32 v1, 0
	v_lshlrev_b64 v[0:1], 2, v[0:1]
	v_mov_b32_e32 v2, s9
	v_add_co_u32_e32 v0, vcc, s8, v0
	v_addc_co_u32_e32 v1, vcc, v2, v1, vcc
	global_store_dword v[0:1], v3, off
.LBB67_18:
	s_endpgm
.LBB67_19:
	v_mov_b32_e32 v2, 0
	v_lshlrev_b64 v[0:1], 2, v[1:2]
	v_mov_b32_e32 v2, s9
	v_add_co_u32_e32 v0, vcc, s8, v0
	v_addc_co_u32_e32 v1, vcc, v2, v1, vcc
	global_store_dword v[0:1], v6, off
	v_mov_b32_e32 v0, v8
	s_or_b64 exec, exec, s[0:1]
	v_cmp_gt_i32_e32 vcc, s14, v0
	s_and_saveexec_b64 s[0:1], vcc
	s_cbranch_execz .LBB67_15
.LBB67_20:
	v_add_u32_e32 v1, s4, v0
	v_mov_b32_e32 v2, 0
	v_lshlrev_b64 v[1:2], 2, v[1:2]
	v_mov_b32_e32 v6, s9
	v_add_co_u32_e32 v1, vcc, s8, v1
	v_addc_co_u32_e32 v2, vcc, v6, v2, vcc
	v_add_u32_e32 v0, 0x100, v0
	global_store_dword v[1:2], v5, off
	s_or_b64 exec, exec, s[0:1]
	v_cmp_gt_i32_e32 vcc, s14, v0
	s_and_saveexec_b64 s[0:1], vcc
	s_cbranch_execz .LBB67_16
.LBB67_21:
	v_add_u32_e32 v1, s4, v0
	v_mov_b32_e32 v2, 0
	v_lshlrev_b64 v[1:2], 2, v[1:2]
	v_mov_b32_e32 v5, s9
	v_add_co_u32_e32 v1, vcc, s8, v1
	v_addc_co_u32_e32 v2, vcc, v5, v2, vcc
	v_add_u32_e32 v0, 0x100, v0
	global_store_dword v[1:2], v4, off
	s_or_b64 exec, exec, s[0:1]
	v_cmp_gt_i32_e32 vcc, s14, v0
	s_and_saveexec_b64 s[0:1], vcc
	s_cbranch_execnz .LBB67_17
	s_branch .LBB67_18
	.section	.rodata,"a",@progbits
	.p2align	6, 0x0
	.amdhsa_kernel _ZN2at6native29vectorized_elementwise_kernelILi2ENS0_13BinaryFunctorIiiiZZZNS0_18lshift_kernel_cudaERNS_18TensorIteratorBaseEENKUlvE_clEvENKUlvE1_clEvEUliiE_EESt5arrayIPcLm3EEEEviT0_T1_
		.amdhsa_group_segment_fixed_size 0
		.amdhsa_private_segment_fixed_size 0
		.amdhsa_kernarg_size 32
		.amdhsa_user_sgpr_count 6
		.amdhsa_user_sgpr_private_segment_buffer 1
		.amdhsa_user_sgpr_dispatch_ptr 0
		.amdhsa_user_sgpr_queue_ptr 0
		.amdhsa_user_sgpr_kernarg_segment_ptr 1
		.amdhsa_user_sgpr_dispatch_id 0
		.amdhsa_user_sgpr_flat_scratch_init 0
		.amdhsa_user_sgpr_private_segment_size 0
		.amdhsa_uses_dynamic_stack 0
		.amdhsa_system_sgpr_private_segment_wavefront_offset 0
		.amdhsa_system_sgpr_workgroup_id_x 1
		.amdhsa_system_sgpr_workgroup_id_y 0
		.amdhsa_system_sgpr_workgroup_id_z 0
		.amdhsa_system_sgpr_workgroup_info 0
		.amdhsa_system_vgpr_workitem_id 0
		.amdhsa_next_free_vgpr 15
		.amdhsa_next_free_sgpr 15
		.amdhsa_reserve_vcc 1
		.amdhsa_reserve_flat_scratch 0
		.amdhsa_float_round_mode_32 0
		.amdhsa_float_round_mode_16_64 0
		.amdhsa_float_denorm_mode_32 3
		.amdhsa_float_denorm_mode_16_64 3
		.amdhsa_dx10_clamp 1
		.amdhsa_ieee_mode 1
		.amdhsa_fp16_overflow 0
		.amdhsa_exception_fp_ieee_invalid_op 0
		.amdhsa_exception_fp_denorm_src 0
		.amdhsa_exception_fp_ieee_div_zero 0
		.amdhsa_exception_fp_ieee_overflow 0
		.amdhsa_exception_fp_ieee_underflow 0
		.amdhsa_exception_fp_ieee_inexact 0
		.amdhsa_exception_int_div_zero 0
	.end_amdhsa_kernel
	.section	.text._ZN2at6native29vectorized_elementwise_kernelILi2ENS0_13BinaryFunctorIiiiZZZNS0_18lshift_kernel_cudaERNS_18TensorIteratorBaseEENKUlvE_clEvENKUlvE1_clEvEUliiE_EESt5arrayIPcLm3EEEEviT0_T1_,"axG",@progbits,_ZN2at6native29vectorized_elementwise_kernelILi2ENS0_13BinaryFunctorIiiiZZZNS0_18lshift_kernel_cudaERNS_18TensorIteratorBaseEENKUlvE_clEvENKUlvE1_clEvEUliiE_EESt5arrayIPcLm3EEEEviT0_T1_,comdat
.Lfunc_end67:
	.size	_ZN2at6native29vectorized_elementwise_kernelILi2ENS0_13BinaryFunctorIiiiZZZNS0_18lshift_kernel_cudaERNS_18TensorIteratorBaseEENKUlvE_clEvENKUlvE1_clEvEUliiE_EESt5arrayIPcLm3EEEEviT0_T1_, .Lfunc_end67-_ZN2at6native29vectorized_elementwise_kernelILi2ENS0_13BinaryFunctorIiiiZZZNS0_18lshift_kernel_cudaERNS_18TensorIteratorBaseEENKUlvE_clEvENKUlvE1_clEvEUliiE_EESt5arrayIPcLm3EEEEviT0_T1_
                                        ; -- End function
	.set _ZN2at6native29vectorized_elementwise_kernelILi2ENS0_13BinaryFunctorIiiiZZZNS0_18lshift_kernel_cudaERNS_18TensorIteratorBaseEENKUlvE_clEvENKUlvE1_clEvEUliiE_EESt5arrayIPcLm3EEEEviT0_T1_.num_vgpr, 15
	.set _ZN2at6native29vectorized_elementwise_kernelILi2ENS0_13BinaryFunctorIiiiZZZNS0_18lshift_kernel_cudaERNS_18TensorIteratorBaseEENKUlvE_clEvENKUlvE1_clEvEUliiE_EESt5arrayIPcLm3EEEEviT0_T1_.num_agpr, 0
	.set _ZN2at6native29vectorized_elementwise_kernelILi2ENS0_13BinaryFunctorIiiiZZZNS0_18lshift_kernel_cudaERNS_18TensorIteratorBaseEENKUlvE_clEvENKUlvE1_clEvEUliiE_EESt5arrayIPcLm3EEEEviT0_T1_.numbered_sgpr, 15
	.set _ZN2at6native29vectorized_elementwise_kernelILi2ENS0_13BinaryFunctorIiiiZZZNS0_18lshift_kernel_cudaERNS_18TensorIteratorBaseEENKUlvE_clEvENKUlvE1_clEvEUliiE_EESt5arrayIPcLm3EEEEviT0_T1_.num_named_barrier, 0
	.set _ZN2at6native29vectorized_elementwise_kernelILi2ENS0_13BinaryFunctorIiiiZZZNS0_18lshift_kernel_cudaERNS_18TensorIteratorBaseEENKUlvE_clEvENKUlvE1_clEvEUliiE_EESt5arrayIPcLm3EEEEviT0_T1_.private_seg_size, 0
	.set _ZN2at6native29vectorized_elementwise_kernelILi2ENS0_13BinaryFunctorIiiiZZZNS0_18lshift_kernel_cudaERNS_18TensorIteratorBaseEENKUlvE_clEvENKUlvE1_clEvEUliiE_EESt5arrayIPcLm3EEEEviT0_T1_.uses_vcc, 1
	.set _ZN2at6native29vectorized_elementwise_kernelILi2ENS0_13BinaryFunctorIiiiZZZNS0_18lshift_kernel_cudaERNS_18TensorIteratorBaseEENKUlvE_clEvENKUlvE1_clEvEUliiE_EESt5arrayIPcLm3EEEEviT0_T1_.uses_flat_scratch, 0
	.set _ZN2at6native29vectorized_elementwise_kernelILi2ENS0_13BinaryFunctorIiiiZZZNS0_18lshift_kernel_cudaERNS_18TensorIteratorBaseEENKUlvE_clEvENKUlvE1_clEvEUliiE_EESt5arrayIPcLm3EEEEviT0_T1_.has_dyn_sized_stack, 0
	.set _ZN2at6native29vectorized_elementwise_kernelILi2ENS0_13BinaryFunctorIiiiZZZNS0_18lshift_kernel_cudaERNS_18TensorIteratorBaseEENKUlvE_clEvENKUlvE1_clEvEUliiE_EESt5arrayIPcLm3EEEEviT0_T1_.has_recursion, 0
	.set _ZN2at6native29vectorized_elementwise_kernelILi2ENS0_13BinaryFunctorIiiiZZZNS0_18lshift_kernel_cudaERNS_18TensorIteratorBaseEENKUlvE_clEvENKUlvE1_clEvEUliiE_EESt5arrayIPcLm3EEEEviT0_T1_.has_indirect_call, 0
	.section	.AMDGPU.csdata,"",@progbits
; Kernel info:
; codeLenInByte = 988
; TotalNumSgprs: 19
; NumVgprs: 15
; ScratchSize: 0
; MemoryBound: 0
; FloatMode: 240
; IeeeMode: 1
; LDSByteSize: 0 bytes/workgroup (compile time only)
; SGPRBlocks: 2
; VGPRBlocks: 3
; NumSGPRsForWavesPerEU: 19
; NumVGPRsForWavesPerEU: 15
; Occupancy: 10
; WaveLimiterHint : 1
; COMPUTE_PGM_RSRC2:SCRATCH_EN: 0
; COMPUTE_PGM_RSRC2:USER_SGPR: 6
; COMPUTE_PGM_RSRC2:TRAP_HANDLER: 0
; COMPUTE_PGM_RSRC2:TGID_X_EN: 1
; COMPUTE_PGM_RSRC2:TGID_Y_EN: 0
; COMPUTE_PGM_RSRC2:TGID_Z_EN: 0
; COMPUTE_PGM_RSRC2:TIDIG_COMP_CNT: 0
	.section	.text._ZN2at6native27unrolled_elementwise_kernelINS0_13BinaryFunctorIiiiZZZNS0_18lshift_kernel_cudaERNS_18TensorIteratorBaseEENKUlvE_clEvENKUlvE1_clEvEUliiE_EESt5arrayIPcLm3EELi4E23TrivialOffsetCalculatorILi2EjESC_ILi1EjENS0_6memory15LoadWithoutCastENSF_16StoreWithoutCastEEEviT_T0_T2_T3_T4_T5_,"axG",@progbits,_ZN2at6native27unrolled_elementwise_kernelINS0_13BinaryFunctorIiiiZZZNS0_18lshift_kernel_cudaERNS_18TensorIteratorBaseEENKUlvE_clEvENKUlvE1_clEvEUliiE_EESt5arrayIPcLm3EELi4E23TrivialOffsetCalculatorILi2EjESC_ILi1EjENS0_6memory15LoadWithoutCastENSF_16StoreWithoutCastEEEviT_T0_T2_T3_T4_T5_,comdat
	.globl	_ZN2at6native27unrolled_elementwise_kernelINS0_13BinaryFunctorIiiiZZZNS0_18lshift_kernel_cudaERNS_18TensorIteratorBaseEENKUlvE_clEvENKUlvE1_clEvEUliiE_EESt5arrayIPcLm3EELi4E23TrivialOffsetCalculatorILi2EjESC_ILi1EjENS0_6memory15LoadWithoutCastENSF_16StoreWithoutCastEEEviT_T0_T2_T3_T4_T5_ ; -- Begin function _ZN2at6native27unrolled_elementwise_kernelINS0_13BinaryFunctorIiiiZZZNS0_18lshift_kernel_cudaERNS_18TensorIteratorBaseEENKUlvE_clEvENKUlvE1_clEvEUliiE_EESt5arrayIPcLm3EELi4E23TrivialOffsetCalculatorILi2EjESC_ILi1EjENS0_6memory15LoadWithoutCastENSF_16StoreWithoutCastEEEviT_T0_T2_T3_T4_T5_
	.p2align	8
	.type	_ZN2at6native27unrolled_elementwise_kernelINS0_13BinaryFunctorIiiiZZZNS0_18lshift_kernel_cudaERNS_18TensorIteratorBaseEENKUlvE_clEvENKUlvE1_clEvEUliiE_EESt5arrayIPcLm3EELi4E23TrivialOffsetCalculatorILi2EjESC_ILi1EjENS0_6memory15LoadWithoutCastENSF_16StoreWithoutCastEEEviT_T0_T2_T3_T4_T5_,@function
_ZN2at6native27unrolled_elementwise_kernelINS0_13BinaryFunctorIiiiZZZNS0_18lshift_kernel_cudaERNS_18TensorIteratorBaseEENKUlvE_clEvENKUlvE1_clEvEUliiE_EESt5arrayIPcLm3EELi4E23TrivialOffsetCalculatorILi2EjESC_ILi1EjENS0_6memory15LoadWithoutCastENSF_16StoreWithoutCastEEEviT_T0_T2_T3_T4_T5_: ; @_ZN2at6native27unrolled_elementwise_kernelINS0_13BinaryFunctorIiiiZZZNS0_18lshift_kernel_cudaERNS_18TensorIteratorBaseEENKUlvE_clEvENKUlvE1_clEvEUliiE_EESt5arrayIPcLm3EELi4E23TrivialOffsetCalculatorILi2EjESC_ILi1EjENS0_6memory15LoadWithoutCastENSF_16StoreWithoutCastEEEviT_T0_T2_T3_T4_T5_
; %bb.0:
	s_load_dword s0, s[4:5], 0x0
	s_load_dwordx4 s[8:11], s[4:5], 0x8
	s_load_dwordx2 s[12:13], s[4:5], 0x18
	s_lshl_b32 s16, s6, 10
                                        ; implicit-def: $vgpr5
	s_waitcnt lgkmcnt(0)
	s_sub_i32 s17, s0, s16
	v_cmp_gt_i32_e32 vcc, s17, v0
	v_cmp_le_i32_e64 s[0:1], s17, v0
	s_and_saveexec_b64 s[2:3], s[0:1]
	s_xor_b64 s[0:1], exec, s[2:3]
; %bb.1:
	v_or_b32_e32 v5, 0x100, v0
; %bb.2:
	s_or_saveexec_b64 s[2:3], s[0:1]
	v_mov_b32_e32 v10, 0
	v_or_b32_e32 v1, s16, v0
	v_mov_b32_e32 v4, 0
	v_mov_b32_e32 v9, 0
	;; [unrolled: 1-line block ×7, first 2 shown]
	s_xor_b64 exec, exec, s[2:3]
	s_cbranch_execz .LBB68_10
; %bb.3:
	v_mov_b32_e32 v2, 0
	v_lshlrev_b64 v[3:4], 2, v[1:2]
	v_mov_b32_e32 v6, s11
	v_add_co_u32_e64 v5, s[0:1], s10, v3
	v_addc_co_u32_e64 v6, s[0:1], v6, v4, s[0:1]
	global_load_dword v6, v[5:6], off
	v_mov_b32_e32 v5, s13
	v_add_co_u32_e64 v3, s[0:1], s12, v3
	v_addc_co_u32_e64 v4, s[0:1], v5, v4, s[0:1]
	global_load_dword v7, v[3:4], off
	v_or_b32_e32 v5, 0x100, v0
	v_cmp_gt_u32_e64 s[0:1], s17, v5
	v_mov_b32_e32 v8, v2
	v_mov_b32_e32 v3, v2
	;; [unrolled: 1-line block ×5, first 2 shown]
	s_and_saveexec_b64 s[4:5], s[0:1]
	s_cbranch_execz .LBB68_9
; %bb.4:
	v_add_u32_e32 v2, s16, v5
	v_mov_b32_e32 v3, 0
	v_lshlrev_b64 v[9:10], 2, v[2:3]
	v_mov_b32_e32 v2, s11
	v_add_co_u32_e64 v11, s[0:1], s10, v9
	v_addc_co_u32_e64 v12, s[0:1], v2, v10, s[0:1]
	v_mov_b32_e32 v2, s13
	v_add_co_u32_e64 v9, s[0:1], s12, v9
	v_addc_co_u32_e64 v10, s[0:1], v2, v10, s[0:1]
	global_load_dword v8, v[11:12], off
	global_load_dword v2, v[9:10], off
	v_or_b32_e32 v11, 0x200, v0
	v_cmp_gt_u32_e64 s[0:1], s17, v11
	v_mov_b32_e32 v9, v3
	v_mov_b32_e32 v4, v3
	;; [unrolled: 1-line block ×3, first 2 shown]
	s_and_saveexec_b64 s[6:7], s[0:1]
	s_cbranch_execz .LBB68_8
; %bb.5:
	v_add_u32_e32 v3, s16, v11
	v_mov_b32_e32 v4, 0
	v_lshlrev_b64 v[10:11], 2, v[3:4]
	v_mov_b32_e32 v3, s11
	v_add_co_u32_e64 v12, s[0:1], s10, v10
	v_addc_co_u32_e64 v13, s[0:1], v3, v11, s[0:1]
	v_mov_b32_e32 v3, s13
	v_add_co_u32_e64 v10, s[0:1], s12, v10
	v_addc_co_u32_e64 v11, s[0:1], v3, v11, s[0:1]
	global_load_dword v9, v[12:13], off
	global_load_dword v3, v[10:11], off
	v_or_b32_e32 v11, 0x300, v0
	v_cmp_gt_u32_e64 s[0:1], s17, v11
	v_mov_b32_e32 v10, v4
	s_and_saveexec_b64 s[14:15], s[0:1]
	s_cbranch_execz .LBB68_7
; %bb.6:
	v_add_u32_e32 v10, s16, v11
	v_mov_b32_e32 v11, 0
	v_lshlrev_b64 v[10:11], 2, v[10:11]
	v_mov_b32_e32 v4, s11
	v_add_co_u32_e64 v12, s[0:1], s10, v10
	v_addc_co_u32_e64 v13, s[0:1], v4, v11, s[0:1]
	v_mov_b32_e32 v4, s13
	v_add_co_u32_e64 v14, s[0:1], s12, v10
	v_addc_co_u32_e64 v15, s[0:1], v4, v11, s[0:1]
	global_load_dword v10, v[12:13], off
	global_load_dword v4, v[14:15], off
.LBB68_7:
	s_or_b64 exec, exec, s[14:15]
.LBB68_8:
	s_or_b64 exec, exec, s[6:7]
.LBB68_9:
	s_or_b64 exec, exec, s[4:5]
.LBB68_10:
	s_or_b64 exec, exec, s[2:3]
	s_waitcnt vmcnt(0)
	v_cmp_gt_u32_e64 s[0:1], 32, v7
	v_lshlrev_b32_e32 v6, v7, v6
	s_and_b64 s[0:1], vcc, s[0:1]
	v_cndmask_b32_e64 v11, 0, v6, s[0:1]
	v_cmp_gt_i32_e64 s[0:1], s17, v5
	v_cmp_gt_u32_e64 s[2:3], 32, v2
	v_lshlrev_b32_e32 v6, v2, v8
	s_and_b64 s[0:1], s[0:1], s[2:3]
	v_or_b32_e32 v2, 0x200, v0
	v_cndmask_b32_e64 v7, 0, v6, s[0:1]
	v_cmp_gt_i32_e64 s[0:1], s17, v2
	v_cmp_gt_u32_e64 s[2:3], 32, v3
	v_lshlrev_b32_e32 v2, v3, v9
	s_and_b64 s[0:1], s[0:1], s[2:3]
	v_cndmask_b32_e64 v6, 0, v2, s[0:1]
	v_or_b32_e32 v2, 0x300, v0
	v_cmp_gt_i32_e64 s[0:1], s17, v2
	v_cmp_gt_u32_e64 s[2:3], 32, v4
	v_lshlrev_b32_e32 v2, v4, v10
	s_and_b64 s[0:1], s[0:1], s[2:3]
	v_cndmask_b32_e64 v3, 0, v2, s[0:1]
	s_and_saveexec_b64 s[0:1], vcc
	s_cbranch_execnz .LBB68_15
; %bb.11:
	s_or_b64 exec, exec, s[0:1]
	v_cmp_gt_i32_e32 vcc, s17, v0
	s_and_saveexec_b64 s[0:1], vcc
	s_cbranch_execnz .LBB68_16
.LBB68_12:
	s_or_b64 exec, exec, s[0:1]
	v_cmp_gt_i32_e32 vcc, s17, v0
	s_and_saveexec_b64 s[0:1], vcc
	s_cbranch_execnz .LBB68_17
.LBB68_13:
	s_or_b64 exec, exec, s[0:1]
	v_cmp_gt_i32_e32 vcc, s17, v0
	s_and_saveexec_b64 s[0:1], vcc
	s_cbranch_execnz .LBB68_18
.LBB68_14:
	s_endpgm
.LBB68_15:
	v_mov_b32_e32 v2, 0
	v_lshlrev_b64 v[0:1], 2, v[1:2]
	v_mov_b32_e32 v2, s9
	v_add_co_u32_e32 v0, vcc, s8, v0
	v_addc_co_u32_e32 v1, vcc, v2, v1, vcc
	global_store_dword v[0:1], v11, off
	v_mov_b32_e32 v0, v5
	s_or_b64 exec, exec, s[0:1]
	v_cmp_gt_i32_e32 vcc, s17, v0
	s_and_saveexec_b64 s[0:1], vcc
	s_cbranch_execz .LBB68_12
.LBB68_16:
	v_add_u32_e32 v2, 0x100, v0
	v_add_u32_e32 v0, s16, v0
	v_mov_b32_e32 v1, 0
	v_lshlrev_b64 v[0:1], 2, v[0:1]
	v_mov_b32_e32 v4, s9
	v_add_co_u32_e32 v0, vcc, s8, v0
	v_addc_co_u32_e32 v1, vcc, v4, v1, vcc
	global_store_dword v[0:1], v7, off
	v_mov_b32_e32 v0, v2
	s_or_b64 exec, exec, s[0:1]
	v_cmp_gt_i32_e32 vcc, s17, v0
	s_and_saveexec_b64 s[0:1], vcc
	s_cbranch_execz .LBB68_13
.LBB68_17:
	v_add_u32_e32 v2, 0x100, v0
	v_add_u32_e32 v0, s16, v0
	v_mov_b32_e32 v1, 0
	v_lshlrev_b64 v[0:1], 2, v[0:1]
	v_mov_b32_e32 v4, s9
	v_add_co_u32_e32 v0, vcc, s8, v0
	v_addc_co_u32_e32 v1, vcc, v4, v1, vcc
	global_store_dword v[0:1], v6, off
	v_mov_b32_e32 v0, v2
	s_or_b64 exec, exec, s[0:1]
	v_cmp_gt_i32_e32 vcc, s17, v0
	s_and_saveexec_b64 s[0:1], vcc
	s_cbranch_execz .LBB68_14
.LBB68_18:
	v_add_u32_e32 v0, s16, v0
	v_mov_b32_e32 v1, 0
	v_lshlrev_b64 v[0:1], 2, v[0:1]
	v_mov_b32_e32 v2, s9
	v_add_co_u32_e32 v0, vcc, s8, v0
	v_addc_co_u32_e32 v1, vcc, v2, v1, vcc
	global_store_dword v[0:1], v3, off
	s_endpgm
	.section	.rodata,"a",@progbits
	.p2align	6, 0x0
	.amdhsa_kernel _ZN2at6native27unrolled_elementwise_kernelINS0_13BinaryFunctorIiiiZZZNS0_18lshift_kernel_cudaERNS_18TensorIteratorBaseEENKUlvE_clEvENKUlvE1_clEvEUliiE_EESt5arrayIPcLm3EELi4E23TrivialOffsetCalculatorILi2EjESC_ILi1EjENS0_6memory15LoadWithoutCastENSF_16StoreWithoutCastEEEviT_T0_T2_T3_T4_T5_
		.amdhsa_group_segment_fixed_size 0
		.amdhsa_private_segment_fixed_size 0
		.amdhsa_kernarg_size 36
		.amdhsa_user_sgpr_count 6
		.amdhsa_user_sgpr_private_segment_buffer 1
		.amdhsa_user_sgpr_dispatch_ptr 0
		.amdhsa_user_sgpr_queue_ptr 0
		.amdhsa_user_sgpr_kernarg_segment_ptr 1
		.amdhsa_user_sgpr_dispatch_id 0
		.amdhsa_user_sgpr_flat_scratch_init 0
		.amdhsa_user_sgpr_private_segment_size 0
		.amdhsa_uses_dynamic_stack 0
		.amdhsa_system_sgpr_private_segment_wavefront_offset 0
		.amdhsa_system_sgpr_workgroup_id_x 1
		.amdhsa_system_sgpr_workgroup_id_y 0
		.amdhsa_system_sgpr_workgroup_id_z 0
		.amdhsa_system_sgpr_workgroup_info 0
		.amdhsa_system_vgpr_workitem_id 0
		.amdhsa_next_free_vgpr 16
		.amdhsa_next_free_sgpr 18
		.amdhsa_reserve_vcc 1
		.amdhsa_reserve_flat_scratch 0
		.amdhsa_float_round_mode_32 0
		.amdhsa_float_round_mode_16_64 0
		.amdhsa_float_denorm_mode_32 3
		.amdhsa_float_denorm_mode_16_64 3
		.amdhsa_dx10_clamp 1
		.amdhsa_ieee_mode 1
		.amdhsa_fp16_overflow 0
		.amdhsa_exception_fp_ieee_invalid_op 0
		.amdhsa_exception_fp_denorm_src 0
		.amdhsa_exception_fp_ieee_div_zero 0
		.amdhsa_exception_fp_ieee_overflow 0
		.amdhsa_exception_fp_ieee_underflow 0
		.amdhsa_exception_fp_ieee_inexact 0
		.amdhsa_exception_int_div_zero 0
	.end_amdhsa_kernel
	.section	.text._ZN2at6native27unrolled_elementwise_kernelINS0_13BinaryFunctorIiiiZZZNS0_18lshift_kernel_cudaERNS_18TensorIteratorBaseEENKUlvE_clEvENKUlvE1_clEvEUliiE_EESt5arrayIPcLm3EELi4E23TrivialOffsetCalculatorILi2EjESC_ILi1EjENS0_6memory15LoadWithoutCastENSF_16StoreWithoutCastEEEviT_T0_T2_T3_T4_T5_,"axG",@progbits,_ZN2at6native27unrolled_elementwise_kernelINS0_13BinaryFunctorIiiiZZZNS0_18lshift_kernel_cudaERNS_18TensorIteratorBaseEENKUlvE_clEvENKUlvE1_clEvEUliiE_EESt5arrayIPcLm3EELi4E23TrivialOffsetCalculatorILi2EjESC_ILi1EjENS0_6memory15LoadWithoutCastENSF_16StoreWithoutCastEEEviT_T0_T2_T3_T4_T5_,comdat
.Lfunc_end68:
	.size	_ZN2at6native27unrolled_elementwise_kernelINS0_13BinaryFunctorIiiiZZZNS0_18lshift_kernel_cudaERNS_18TensorIteratorBaseEENKUlvE_clEvENKUlvE1_clEvEUliiE_EESt5arrayIPcLm3EELi4E23TrivialOffsetCalculatorILi2EjESC_ILi1EjENS0_6memory15LoadWithoutCastENSF_16StoreWithoutCastEEEviT_T0_T2_T3_T4_T5_, .Lfunc_end68-_ZN2at6native27unrolled_elementwise_kernelINS0_13BinaryFunctorIiiiZZZNS0_18lshift_kernel_cudaERNS_18TensorIteratorBaseEENKUlvE_clEvENKUlvE1_clEvEUliiE_EESt5arrayIPcLm3EELi4E23TrivialOffsetCalculatorILi2EjESC_ILi1EjENS0_6memory15LoadWithoutCastENSF_16StoreWithoutCastEEEviT_T0_T2_T3_T4_T5_
                                        ; -- End function
	.set _ZN2at6native27unrolled_elementwise_kernelINS0_13BinaryFunctorIiiiZZZNS0_18lshift_kernel_cudaERNS_18TensorIteratorBaseEENKUlvE_clEvENKUlvE1_clEvEUliiE_EESt5arrayIPcLm3EELi4E23TrivialOffsetCalculatorILi2EjESC_ILi1EjENS0_6memory15LoadWithoutCastENSF_16StoreWithoutCastEEEviT_T0_T2_T3_T4_T5_.num_vgpr, 16
	.set _ZN2at6native27unrolled_elementwise_kernelINS0_13BinaryFunctorIiiiZZZNS0_18lshift_kernel_cudaERNS_18TensorIteratorBaseEENKUlvE_clEvENKUlvE1_clEvEUliiE_EESt5arrayIPcLm3EELi4E23TrivialOffsetCalculatorILi2EjESC_ILi1EjENS0_6memory15LoadWithoutCastENSF_16StoreWithoutCastEEEviT_T0_T2_T3_T4_T5_.num_agpr, 0
	.set _ZN2at6native27unrolled_elementwise_kernelINS0_13BinaryFunctorIiiiZZZNS0_18lshift_kernel_cudaERNS_18TensorIteratorBaseEENKUlvE_clEvENKUlvE1_clEvEUliiE_EESt5arrayIPcLm3EELi4E23TrivialOffsetCalculatorILi2EjESC_ILi1EjENS0_6memory15LoadWithoutCastENSF_16StoreWithoutCastEEEviT_T0_T2_T3_T4_T5_.numbered_sgpr, 18
	.set _ZN2at6native27unrolled_elementwise_kernelINS0_13BinaryFunctorIiiiZZZNS0_18lshift_kernel_cudaERNS_18TensorIteratorBaseEENKUlvE_clEvENKUlvE1_clEvEUliiE_EESt5arrayIPcLm3EELi4E23TrivialOffsetCalculatorILi2EjESC_ILi1EjENS0_6memory15LoadWithoutCastENSF_16StoreWithoutCastEEEviT_T0_T2_T3_T4_T5_.num_named_barrier, 0
	.set _ZN2at6native27unrolled_elementwise_kernelINS0_13BinaryFunctorIiiiZZZNS0_18lshift_kernel_cudaERNS_18TensorIteratorBaseEENKUlvE_clEvENKUlvE1_clEvEUliiE_EESt5arrayIPcLm3EELi4E23TrivialOffsetCalculatorILi2EjESC_ILi1EjENS0_6memory15LoadWithoutCastENSF_16StoreWithoutCastEEEviT_T0_T2_T3_T4_T5_.private_seg_size, 0
	.set _ZN2at6native27unrolled_elementwise_kernelINS0_13BinaryFunctorIiiiZZZNS0_18lshift_kernel_cudaERNS_18TensorIteratorBaseEENKUlvE_clEvENKUlvE1_clEvEUliiE_EESt5arrayIPcLm3EELi4E23TrivialOffsetCalculatorILi2EjESC_ILi1EjENS0_6memory15LoadWithoutCastENSF_16StoreWithoutCastEEEviT_T0_T2_T3_T4_T5_.uses_vcc, 1
	.set _ZN2at6native27unrolled_elementwise_kernelINS0_13BinaryFunctorIiiiZZZNS0_18lshift_kernel_cudaERNS_18TensorIteratorBaseEENKUlvE_clEvENKUlvE1_clEvEUliiE_EESt5arrayIPcLm3EELi4E23TrivialOffsetCalculatorILi2EjESC_ILi1EjENS0_6memory15LoadWithoutCastENSF_16StoreWithoutCastEEEviT_T0_T2_T3_T4_T5_.uses_flat_scratch, 0
	.set _ZN2at6native27unrolled_elementwise_kernelINS0_13BinaryFunctorIiiiZZZNS0_18lshift_kernel_cudaERNS_18TensorIteratorBaseEENKUlvE_clEvENKUlvE1_clEvEUliiE_EESt5arrayIPcLm3EELi4E23TrivialOffsetCalculatorILi2EjESC_ILi1EjENS0_6memory15LoadWithoutCastENSF_16StoreWithoutCastEEEviT_T0_T2_T3_T4_T5_.has_dyn_sized_stack, 0
	.set _ZN2at6native27unrolled_elementwise_kernelINS0_13BinaryFunctorIiiiZZZNS0_18lshift_kernel_cudaERNS_18TensorIteratorBaseEENKUlvE_clEvENKUlvE1_clEvEUliiE_EESt5arrayIPcLm3EELi4E23TrivialOffsetCalculatorILi2EjESC_ILi1EjENS0_6memory15LoadWithoutCastENSF_16StoreWithoutCastEEEviT_T0_T2_T3_T4_T5_.has_recursion, 0
	.set _ZN2at6native27unrolled_elementwise_kernelINS0_13BinaryFunctorIiiiZZZNS0_18lshift_kernel_cudaERNS_18TensorIteratorBaseEENKUlvE_clEvENKUlvE1_clEvEUliiE_EESt5arrayIPcLm3EELi4E23TrivialOffsetCalculatorILi2EjESC_ILi1EjENS0_6memory15LoadWithoutCastENSF_16StoreWithoutCastEEEviT_T0_T2_T3_T4_T5_.has_indirect_call, 0
	.section	.AMDGPU.csdata,"",@progbits
; Kernel info:
; codeLenInByte = 940
; TotalNumSgprs: 22
; NumVgprs: 16
; ScratchSize: 0
; MemoryBound: 0
; FloatMode: 240
; IeeeMode: 1
; LDSByteSize: 0 bytes/workgroup (compile time only)
; SGPRBlocks: 2
; VGPRBlocks: 3
; NumSGPRsForWavesPerEU: 22
; NumVGPRsForWavesPerEU: 16
; Occupancy: 10
; WaveLimiterHint : 0
; COMPUTE_PGM_RSRC2:SCRATCH_EN: 0
; COMPUTE_PGM_RSRC2:USER_SGPR: 6
; COMPUTE_PGM_RSRC2:TRAP_HANDLER: 0
; COMPUTE_PGM_RSRC2:TGID_X_EN: 1
; COMPUTE_PGM_RSRC2:TGID_Y_EN: 0
; COMPUTE_PGM_RSRC2:TGID_Z_EN: 0
; COMPUTE_PGM_RSRC2:TIDIG_COMP_CNT: 0
	.section	.text._ZN2at6native32elementwise_kernel_manual_unrollILi128ELi4EZNS0_22gpu_kernel_impl_nocastINS0_13BinaryFunctorIiiiZZZNS0_18lshift_kernel_cudaERNS_18TensorIteratorBaseEENKUlvE_clEvENKUlvE1_clEvEUliiE_EEEEvS5_RKT_EUlibE_EEviT1_,"axG",@progbits,_ZN2at6native32elementwise_kernel_manual_unrollILi128ELi4EZNS0_22gpu_kernel_impl_nocastINS0_13BinaryFunctorIiiiZZZNS0_18lshift_kernel_cudaERNS_18TensorIteratorBaseEENKUlvE_clEvENKUlvE1_clEvEUliiE_EEEEvS5_RKT_EUlibE_EEviT1_,comdat
	.globl	_ZN2at6native32elementwise_kernel_manual_unrollILi128ELi4EZNS0_22gpu_kernel_impl_nocastINS0_13BinaryFunctorIiiiZZZNS0_18lshift_kernel_cudaERNS_18TensorIteratorBaseEENKUlvE_clEvENKUlvE1_clEvEUliiE_EEEEvS5_RKT_EUlibE_EEviT1_ ; -- Begin function _ZN2at6native32elementwise_kernel_manual_unrollILi128ELi4EZNS0_22gpu_kernel_impl_nocastINS0_13BinaryFunctorIiiiZZZNS0_18lshift_kernel_cudaERNS_18TensorIteratorBaseEENKUlvE_clEvENKUlvE1_clEvEUliiE_EEEEvS5_RKT_EUlibE_EEviT1_
	.p2align	8
	.type	_ZN2at6native32elementwise_kernel_manual_unrollILi128ELi4EZNS0_22gpu_kernel_impl_nocastINS0_13BinaryFunctorIiiiZZZNS0_18lshift_kernel_cudaERNS_18TensorIteratorBaseEENKUlvE_clEvENKUlvE1_clEvEUliiE_EEEEvS5_RKT_EUlibE_EEviT1_,@function
_ZN2at6native32elementwise_kernel_manual_unrollILi128ELi4EZNS0_22gpu_kernel_impl_nocastINS0_13BinaryFunctorIiiiZZZNS0_18lshift_kernel_cudaERNS_18TensorIteratorBaseEENKUlvE_clEvENKUlvE1_clEvEUliiE_EEEEvS5_RKT_EUlibE_EEviT1_: ; @_ZN2at6native32elementwise_kernel_manual_unrollILi128ELi4EZNS0_22gpu_kernel_impl_nocastINS0_13BinaryFunctorIiiiZZZNS0_18lshift_kernel_cudaERNS_18TensorIteratorBaseEENKUlvE_clEvENKUlvE1_clEvEUliiE_EEEEvS5_RKT_EUlibE_EEviT1_
; %bb.0:
	s_load_dword s36, s[4:5], 0x0
	s_load_dword s33, s[4:5], 0x8
	s_add_u32 s12, s4, 8
	s_addc_u32 s13, s5, 0
	v_lshl_or_b32 v11, s6, 9, v0
	v_or_b32_e32 v21, 0x180, v11
	s_waitcnt lgkmcnt(0)
	s_add_i32 s34, s33, -1
	s_cmp_gt_u32 s34, 1
	v_cmp_le_i32_e32 vcc, s36, v21
	s_cselect_b64 s[14:15], -1, 0
	s_and_saveexec_b64 s[0:1], vcc
	s_xor_b64 s[16:17], exec, s[0:1]
	s_cbranch_execz .LBB69_54
; %bb.1:
	s_load_dwordx4 s[8:11], s[12:13], 0x4
	s_load_dwordx2 s[22:23], s[12:13], 0x14
	s_load_dwordx4 s[4:7], s[12:13], 0xc4
	s_load_dwordx2 s[20:21], s[12:13], 0xd4
	s_load_dwordx2 s[18:19], s[12:13], 0x198
	s_load_dwordx4 s[0:3], s[12:13], 0x188
	s_cmp_lg_u32 s33, 0
	s_cselect_b64 s[26:27], -1, 0
	s_min_u32 s35, s34, 15
	s_cmp_gt_u32 s33, 1
	s_cselect_b64 s[24:25], -1, 0
	v_cmp_gt_i32_e32 vcc, s36, v11
	s_and_saveexec_b64 s[28:29], vcc
	s_cbranch_execnz .LBB69_5
; %bb.2:
	s_or_b64 exec, exec, s[28:29]
	v_cmp_gt_i32_e32 vcc, s36, v11
	s_and_saveexec_b64 s[28:29], vcc
	s_cbranch_execnz .LBB69_17
.LBB69_3:
	s_or_b64 exec, exec, s[28:29]
	v_cmp_gt_i32_e32 vcc, s36, v11
	s_and_saveexec_b64 s[28:29], vcc
	s_cbranch_execnz .LBB69_29
.LBB69_4:
	s_or_b64 exec, exec, s[28:29]
	v_cmp_gt_i32_e32 vcc, s36, v11
	s_and_saveexec_b64 s[28:29], vcc
	s_cbranch_execnz .LBB69_41
	s_branch .LBB69_53
.LBB69_5:
	s_andn2_b64 vcc, exec, s[14:15]
	s_cbranch_vccnz .LBB69_11
; %bb.6:
	s_andn2_b64 vcc, exec, s[26:27]
	s_cbranch_vccnz .LBB69_12
; %bb.7:
	s_add_i32 s30, s35, 1
	s_and_b32 s37, s30, 30
	s_add_u32 s30, s12, 0xffffffe8
	s_addc_u32 s31, s13, -1
	v_mov_b32_e32 v2, 0
	v_mov_b32_e32 v4, 0
	;; [unrolled: 1-line block ×4, first 2 shown]
.LBB69_8:                               ; =>This Inner Loop Header: Depth=1
	s_load_dwordx4 s[40:43], s[30:31], 0x1c
	s_load_dwordx2 s[38:39], s[30:31], 0x2c
	s_load_dwordx2 s[48:49], s[30:31], 0xec
	s_load_dwordx4 s[44:47], s[30:31], 0xdc
	s_add_u32 s30, s30, 24
	s_waitcnt lgkmcnt(0)
	v_mul_hi_u32 v3, s41, v1
	s_addc_u32 s31, s31, 0
	s_add_i32 s37, s37, -2
	s_cmp_lg_u32 s37, 0
	v_add_u32_e32 v3, v1, v3
	v_lshrrev_b32_e32 v3, s42, v3
	v_mul_lo_u32 v5, v3, s40
	v_mul_hi_u32 v6, s38, v3
	v_sub_u32_e32 v5, v1, v5
	v_add_u32_e32 v1, v3, v6
	v_lshrrev_b32_e32 v1, s39, v1
	v_mul_lo_u32 v8, v1, s43
	v_mul_lo_u32 v6, v5, s44
	;; [unrolled: 1-line block ×4, first 2 shown]
	v_sub_u32_e32 v3, v3, v8
	v_mul_lo_u32 v8, v3, s47
	v_mul_lo_u32 v9, v3, s48
	;; [unrolled: 1-line block ×3, first 2 shown]
	v_add3_u32 v0, v6, v0, v8
	v_add3_u32 v4, v7, v4, v9
	;; [unrolled: 1-line block ×3, first 2 shown]
	s_cbranch_scc1 .LBB69_8
; %bb.9:
	s_bitcmp1_b32 s35, 0
	s_cselect_b64 s[38:39], -1, 0
	s_and_b64 vcc, exec, s[38:39]
	s_cbranch_vccnz .LBB69_13
; %bb.10:
	s_load_dwordx2 s[38:39], s[30:31], 0x1c
	s_load_dword s37, s[30:31], 0x24
	s_load_dwordx2 s[40:41], s[30:31], 0xdc
	s_waitcnt lgkmcnt(0)
	v_mul_hi_u32 v3, s39, v1
	v_add_u32_e32 v3, v1, v3
	v_lshrrev_b32_e32 v3, s37, v3
	v_mul_lo_u32 v3, v3, s38
	s_load_dword s37, s[30:31], 0xe4
	v_sub_u32_e32 v3, v1, v3
	v_mad_u64_u32 v[0:1], s[30:31], v3, s40, v[0:1]
	v_mad_u64_u32 v[4:5], s[30:31], v3, s41, v[4:5]
	s_waitcnt lgkmcnt(0)
	v_mad_u64_u32 v[2:3], s[30:31], v3, s37, v[2:3]
	s_cbranch_execz .LBB69_14
	s_branch .LBB69_16
.LBB69_11:
                                        ; implicit-def: $vgpr0
                                        ; implicit-def: $vgpr4
                                        ; implicit-def: $vgpr2
	s_branch .LBB69_14
.LBB69_12:
	v_mov_b32_e32 v0, 0
	v_mov_b32_e32 v4, 0
	;; [unrolled: 1-line block ×3, first 2 shown]
.LBB69_13:
	s_cbranch_execnz .LBB69_16
.LBB69_14:
	s_waitcnt lgkmcnt(0)
	v_mul_hi_u32 v0, s9, v11
	s_andn2_b64 vcc, exec, s[24:25]
	v_add_u32_e32 v0, v11, v0
	v_lshrrev_b32_e32 v1, s10, v0
	v_mul_lo_u32 v0, v1, s8
	v_sub_u32_e32 v2, v11, v0
	v_mul_lo_u32 v0, v2, s4
	v_mul_lo_u32 v4, v2, s5
	;; [unrolled: 1-line block ×3, first 2 shown]
	s_cbranch_vccnz .LBB69_16
; %bb.15:
	v_mul_hi_u32 v3, s22, v1
	v_add_u32_e32 v3, v1, v3
	v_lshrrev_b32_e32 v3, s23, v3
	v_mul_lo_u32 v3, v3, s11
	v_sub_u32_e32 v3, v1, v3
	v_mad_u64_u32 v[0:1], s[30:31], v3, s7, v[0:1]
	v_mad_u64_u32 v[4:5], s[30:31], v3, s20, v[4:5]
	;; [unrolled: 1-line block ×3, first 2 shown]
.LBB69_16:
	s_waitcnt lgkmcnt(0)
	global_load_dword v1, v4, s[2:3]
	global_load_dword v3, v2, s[18:19]
	v_add_u32_e32 v11, 0x80, v11
	s_waitcnt vmcnt(0)
	v_lshlrev_b32_e32 v1, v3, v1
	v_cmp_gt_u32_e32 vcc, 32, v3
	v_cndmask_b32_e32 v1, 0, v1, vcc
	global_store_dword v0, v1, s[0:1]
	s_or_b64 exec, exec, s[28:29]
	v_cmp_gt_i32_e32 vcc, s36, v11
	s_and_saveexec_b64 s[28:29], vcc
	s_cbranch_execz .LBB69_3
.LBB69_17:
	s_andn2_b64 vcc, exec, s[14:15]
	s_cbranch_vccnz .LBB69_23
; %bb.18:
	s_andn2_b64 vcc, exec, s[26:27]
	s_cbranch_vccnz .LBB69_24
; %bb.19:
	s_add_i32 s30, s35, 1
	s_and_b32 s37, s30, 30
	s_add_u32 s30, s12, 0xffffffe8
	s_addc_u32 s31, s13, -1
	v_mov_b32_e32 v2, 0
	v_mov_b32_e32 v4, 0
	;; [unrolled: 1-line block ×4, first 2 shown]
.LBB69_20:                              ; =>This Inner Loop Header: Depth=1
	s_load_dwordx4 s[40:43], s[30:31], 0x1c
	s_load_dwordx2 s[38:39], s[30:31], 0x2c
	s_load_dwordx2 s[48:49], s[30:31], 0xec
	s_load_dwordx4 s[44:47], s[30:31], 0xdc
	s_add_u32 s30, s30, 24
	s_waitcnt lgkmcnt(0)
	v_mul_hi_u32 v3, s41, v1
	s_addc_u32 s31, s31, 0
	s_add_i32 s37, s37, -2
	s_cmp_eq_u32 s37, 0
	v_add_u32_e32 v3, v1, v3
	v_lshrrev_b32_e32 v3, s42, v3
	v_mul_lo_u32 v5, v3, s40
	v_mul_hi_u32 v6, s38, v3
	v_sub_u32_e32 v5, v1, v5
	v_add_u32_e32 v1, v3, v6
	v_lshrrev_b32_e32 v1, s39, v1
	v_mul_lo_u32 v8, v1, s43
	v_mul_lo_u32 v6, v5, s44
	;; [unrolled: 1-line block ×4, first 2 shown]
	v_sub_u32_e32 v3, v3, v8
	v_mul_lo_u32 v8, v3, s47
	v_mul_lo_u32 v9, v3, s48
	v_mul_lo_u32 v3, v3, s49
	v_add3_u32 v0, v6, v0, v8
	v_add3_u32 v4, v7, v4, v9
	;; [unrolled: 1-line block ×3, first 2 shown]
	s_cbranch_scc0 .LBB69_20
; %bb.21:
	s_bitcmp1_b32 s35, 0
	s_cselect_b64 s[38:39], -1, 0
	s_and_b64 vcc, exec, s[38:39]
	s_cbranch_vccnz .LBB69_25
; %bb.22:
	s_load_dwordx2 s[38:39], s[30:31], 0x1c
	s_load_dword s37, s[30:31], 0x24
	s_load_dwordx2 s[40:41], s[30:31], 0xdc
	s_waitcnt lgkmcnt(0)
	v_mul_hi_u32 v3, s39, v1
	v_add_u32_e32 v3, v1, v3
	v_lshrrev_b32_e32 v3, s37, v3
	v_mul_lo_u32 v3, v3, s38
	s_load_dword s37, s[30:31], 0xe4
	v_sub_u32_e32 v3, v1, v3
	v_mad_u64_u32 v[0:1], s[30:31], v3, s40, v[0:1]
	v_mad_u64_u32 v[4:5], s[30:31], v3, s41, v[4:5]
	s_waitcnt lgkmcnt(0)
	v_mad_u64_u32 v[2:3], s[30:31], v3, s37, v[2:3]
	s_branch .LBB69_25
.LBB69_23:
                                        ; implicit-def: $vgpr0
                                        ; implicit-def: $vgpr4
                                        ; implicit-def: $vgpr2
	s_branch .LBB69_26
.LBB69_24:
	v_mov_b32_e32 v0, 0
	v_mov_b32_e32 v4, 0
	;; [unrolled: 1-line block ×3, first 2 shown]
.LBB69_25:
	s_cbranch_execnz .LBB69_28
.LBB69_26:
	s_waitcnt lgkmcnt(0)
	v_mul_hi_u32 v0, s9, v11
	s_andn2_b64 vcc, exec, s[24:25]
	v_add_u32_e32 v0, v11, v0
	v_lshrrev_b32_e32 v1, s10, v0
	v_mul_lo_u32 v0, v1, s8
	v_sub_u32_e32 v2, v11, v0
	v_mul_lo_u32 v0, v2, s4
	v_mul_lo_u32 v4, v2, s5
	;; [unrolled: 1-line block ×3, first 2 shown]
	s_cbranch_vccnz .LBB69_28
; %bb.27:
	v_mul_hi_u32 v3, s22, v1
	v_add_u32_e32 v3, v1, v3
	v_lshrrev_b32_e32 v3, s23, v3
	v_mul_lo_u32 v3, v3, s11
	v_sub_u32_e32 v3, v1, v3
	v_mad_u64_u32 v[0:1], s[30:31], v3, s7, v[0:1]
	v_mad_u64_u32 v[4:5], s[30:31], v3, s20, v[4:5]
	;; [unrolled: 1-line block ×3, first 2 shown]
.LBB69_28:
	s_waitcnt lgkmcnt(0)
	global_load_dword v1, v4, s[2:3]
	global_load_dword v3, v2, s[18:19]
	v_add_u32_e32 v11, 0x80, v11
	s_waitcnt vmcnt(0)
	v_lshlrev_b32_e32 v1, v3, v1
	v_cmp_gt_u32_e32 vcc, 32, v3
	v_cndmask_b32_e32 v1, 0, v1, vcc
	global_store_dword v0, v1, s[0:1]
	s_or_b64 exec, exec, s[28:29]
	v_cmp_gt_i32_e32 vcc, s36, v11
	s_and_saveexec_b64 s[28:29], vcc
	s_cbranch_execz .LBB69_4
.LBB69_29:
	s_andn2_b64 vcc, exec, s[14:15]
	s_cbranch_vccnz .LBB69_35
; %bb.30:
	s_andn2_b64 vcc, exec, s[26:27]
	s_cbranch_vccnz .LBB69_36
; %bb.31:
	s_add_i32 s30, s35, 1
	s_and_b32 s37, s30, 30
	s_add_u32 s30, s12, 0xffffffe8
	s_addc_u32 s31, s13, -1
	v_mov_b32_e32 v2, 0
	v_mov_b32_e32 v4, 0
	;; [unrolled: 1-line block ×4, first 2 shown]
.LBB69_32:                              ; =>This Inner Loop Header: Depth=1
	s_load_dwordx4 s[40:43], s[30:31], 0x1c
	s_load_dwordx2 s[38:39], s[30:31], 0x2c
	s_load_dwordx2 s[48:49], s[30:31], 0xec
	s_load_dwordx4 s[44:47], s[30:31], 0xdc
	s_add_u32 s30, s30, 24
	s_waitcnt lgkmcnt(0)
	v_mul_hi_u32 v3, s41, v1
	s_addc_u32 s31, s31, 0
	s_add_i32 s37, s37, -2
	s_cmp_eq_u32 s37, 0
	v_add_u32_e32 v3, v1, v3
	v_lshrrev_b32_e32 v3, s42, v3
	v_mul_lo_u32 v5, v3, s40
	v_mul_hi_u32 v6, s38, v3
	v_sub_u32_e32 v5, v1, v5
	v_add_u32_e32 v1, v3, v6
	v_lshrrev_b32_e32 v1, s39, v1
	v_mul_lo_u32 v8, v1, s43
	v_mul_lo_u32 v6, v5, s44
	;; [unrolled: 1-line block ×4, first 2 shown]
	v_sub_u32_e32 v3, v3, v8
	v_mul_lo_u32 v8, v3, s47
	v_mul_lo_u32 v9, v3, s48
	;; [unrolled: 1-line block ×3, first 2 shown]
	v_add3_u32 v0, v6, v0, v8
	v_add3_u32 v4, v7, v4, v9
	;; [unrolled: 1-line block ×3, first 2 shown]
	s_cbranch_scc0 .LBB69_32
; %bb.33:
	s_bitcmp1_b32 s35, 0
	s_cselect_b64 s[38:39], -1, 0
	s_and_b64 vcc, exec, s[38:39]
	s_cbranch_vccnz .LBB69_37
; %bb.34:
	s_load_dwordx2 s[38:39], s[30:31], 0x1c
	s_load_dword s37, s[30:31], 0x24
	s_load_dwordx2 s[40:41], s[30:31], 0xdc
	s_waitcnt lgkmcnt(0)
	v_mul_hi_u32 v3, s39, v1
	v_add_u32_e32 v3, v1, v3
	v_lshrrev_b32_e32 v3, s37, v3
	v_mul_lo_u32 v3, v3, s38
	s_load_dword s37, s[30:31], 0xe4
	v_sub_u32_e32 v3, v1, v3
	v_mad_u64_u32 v[0:1], s[30:31], v3, s40, v[0:1]
	v_mad_u64_u32 v[4:5], s[30:31], v3, s41, v[4:5]
	s_waitcnt lgkmcnt(0)
	v_mad_u64_u32 v[2:3], s[30:31], v3, s37, v[2:3]
	s_branch .LBB69_37
.LBB69_35:
                                        ; implicit-def: $vgpr0
                                        ; implicit-def: $vgpr4
                                        ; implicit-def: $vgpr2
	s_branch .LBB69_38
.LBB69_36:
	v_mov_b32_e32 v0, 0
	v_mov_b32_e32 v4, 0
	;; [unrolled: 1-line block ×3, first 2 shown]
.LBB69_37:
	s_cbranch_execnz .LBB69_40
.LBB69_38:
	s_waitcnt lgkmcnt(0)
	v_mul_hi_u32 v0, s9, v11
	s_andn2_b64 vcc, exec, s[24:25]
	v_add_u32_e32 v0, v11, v0
	v_lshrrev_b32_e32 v1, s10, v0
	v_mul_lo_u32 v0, v1, s8
	v_sub_u32_e32 v2, v11, v0
	v_mul_lo_u32 v0, v2, s4
	v_mul_lo_u32 v4, v2, s5
	;; [unrolled: 1-line block ×3, first 2 shown]
	s_cbranch_vccnz .LBB69_40
; %bb.39:
	v_mul_hi_u32 v3, s22, v1
	v_add_u32_e32 v3, v1, v3
	v_lshrrev_b32_e32 v3, s23, v3
	v_mul_lo_u32 v3, v3, s11
	v_sub_u32_e32 v3, v1, v3
	v_mad_u64_u32 v[0:1], s[30:31], v3, s7, v[0:1]
	v_mad_u64_u32 v[4:5], s[30:31], v3, s20, v[4:5]
	;; [unrolled: 1-line block ×3, first 2 shown]
.LBB69_40:
	s_waitcnt lgkmcnt(0)
	global_load_dword v1, v4, s[2:3]
	global_load_dword v3, v2, s[18:19]
	v_add_u32_e32 v11, 0x80, v11
	s_waitcnt vmcnt(0)
	v_lshlrev_b32_e32 v1, v3, v1
	v_cmp_gt_u32_e32 vcc, 32, v3
	v_cndmask_b32_e32 v1, 0, v1, vcc
	global_store_dword v0, v1, s[0:1]
	s_or_b64 exec, exec, s[28:29]
	v_cmp_gt_i32_e32 vcc, s36, v11
	s_and_saveexec_b64 s[28:29], vcc
	s_cbranch_execz .LBB69_53
.LBB69_41:
	s_andn2_b64 vcc, exec, s[14:15]
	s_cbranch_vccnz .LBB69_47
; %bb.42:
	s_andn2_b64 vcc, exec, s[26:27]
	s_cbranch_vccnz .LBB69_48
; %bb.43:
	s_add_i32 s26, s35, 1
	s_and_b32 s30, s26, 30
	s_add_u32 s26, s12, 0xffffffe8
	s_addc_u32 s27, s13, -1
	v_mov_b32_e32 v2, 0
	v_mov_b32_e32 v4, 0
	;; [unrolled: 1-line block ×4, first 2 shown]
.LBB69_44:                              ; =>This Inner Loop Header: Depth=1
	s_load_dwordx4 s[36:39], s[26:27], 0x1c
	s_load_dwordx2 s[44:45], s[26:27], 0x2c
	s_load_dwordx2 s[46:47], s[26:27], 0xec
	s_load_dwordx4 s[40:43], s[26:27], 0xdc
	s_add_u32 s26, s26, 24
	s_waitcnt lgkmcnt(0)
	v_mul_hi_u32 v3, s37, v1
	s_addc_u32 s27, s27, 0
	s_add_i32 s30, s30, -2
	s_cmp_eq_u32 s30, 0
	v_add_u32_e32 v3, v1, v3
	v_lshrrev_b32_e32 v3, s38, v3
	v_mul_lo_u32 v5, v3, s36
	v_mul_hi_u32 v6, s44, v3
	v_sub_u32_e32 v5, v1, v5
	v_add_u32_e32 v1, v3, v6
	v_lshrrev_b32_e32 v1, s45, v1
	v_mul_lo_u32 v8, v1, s39
	v_mul_lo_u32 v6, v5, s40
	v_mul_lo_u32 v7, v5, s41
	v_mul_lo_u32 v5, v5, s42
	v_sub_u32_e32 v3, v3, v8
	v_mul_lo_u32 v8, v3, s43
	v_mul_lo_u32 v9, v3, s46
	;; [unrolled: 1-line block ×3, first 2 shown]
	v_add3_u32 v0, v6, v0, v8
	v_add3_u32 v4, v7, v4, v9
	;; [unrolled: 1-line block ×3, first 2 shown]
	s_cbranch_scc0 .LBB69_44
; %bb.45:
	s_bitcmp1_b32 s35, 0
	s_cselect_b64 s[30:31], -1, 0
	s_and_b64 vcc, exec, s[30:31]
	s_cbranch_vccnz .LBB69_49
; %bb.46:
	s_load_dwordx2 s[30:31], s[26:27], 0x1c
	s_load_dword s35, s[26:27], 0x24
	s_load_dwordx2 s[36:37], s[26:27], 0xdc
	s_waitcnt lgkmcnt(0)
	v_mul_hi_u32 v3, s31, v1
	v_add_u32_e32 v3, v1, v3
	v_lshrrev_b32_e32 v3, s35, v3
	v_mul_lo_u32 v3, v3, s30
	s_load_dword s30, s[26:27], 0xe4
	v_sub_u32_e32 v3, v1, v3
	v_mad_u64_u32 v[0:1], s[26:27], v3, s36, v[0:1]
	v_mad_u64_u32 v[4:5], s[26:27], v3, s37, v[4:5]
	s_waitcnt lgkmcnt(0)
	v_mad_u64_u32 v[2:3], s[26:27], v3, s30, v[2:3]
	s_branch .LBB69_49
.LBB69_47:
                                        ; implicit-def: $vgpr0
                                        ; implicit-def: $vgpr4
                                        ; implicit-def: $vgpr2
	s_branch .LBB69_50
.LBB69_48:
	v_mov_b32_e32 v0, 0
	v_mov_b32_e32 v4, 0
	;; [unrolled: 1-line block ×3, first 2 shown]
.LBB69_49:
	s_cbranch_execnz .LBB69_52
.LBB69_50:
	s_waitcnt lgkmcnt(0)
	v_mul_hi_u32 v0, s9, v11
	s_andn2_b64 vcc, exec, s[24:25]
	v_add_u32_e32 v0, v11, v0
	v_lshrrev_b32_e32 v1, s10, v0
	v_mul_lo_u32 v0, v1, s8
	v_sub_u32_e32 v2, v11, v0
	v_mul_lo_u32 v0, v2, s4
	v_mul_lo_u32 v4, v2, s5
	;; [unrolled: 1-line block ×3, first 2 shown]
	s_cbranch_vccnz .LBB69_52
; %bb.51:
	v_mul_hi_u32 v3, s22, v1
	v_add_u32_e32 v3, v1, v3
	v_lshrrev_b32_e32 v3, s23, v3
	v_mul_lo_u32 v3, v3, s11
	v_sub_u32_e32 v3, v1, v3
	v_mad_u64_u32 v[0:1], s[4:5], v3, s7, v[0:1]
	v_mad_u64_u32 v[4:5], s[4:5], v3, s20, v[4:5]
	;; [unrolled: 1-line block ×3, first 2 shown]
.LBB69_52:
	s_waitcnt lgkmcnt(0)
	global_load_dword v1, v4, s[2:3]
	global_load_dword v3, v2, s[18:19]
	s_waitcnt vmcnt(0)
	v_lshlrev_b32_e32 v1, v3, v1
	v_cmp_gt_u32_e32 vcc, 32, v3
	v_cndmask_b32_e32 v1, 0, v1, vcc
	global_store_dword v0, v1, s[0:1]
.LBB69_53:
	s_or_b64 exec, exec, s[28:29]
                                        ; implicit-def: $vgpr21
                                        ; implicit-def: $vgpr11
.LBB69_54:
	s_waitcnt lgkmcnt(0)
	s_andn2_saveexec_b64 s[0:1], s[16:17]
	s_cbranch_execz .LBB69_61
; %bb.55:
	v_cndmask_b32_e64 v0, 0, 1, s[14:15]
	v_cmp_ne_u32_e64 s[0:1], 1, v0
	s_andn2_b64 vcc, exec, s[14:15]
	s_cbranch_vccnz .LBB69_62
; %bb.56:
	s_cmp_lg_u32 s33, 0
	s_cbranch_scc0 .LBB69_63
; %bb.57:
	s_min_u32 s4, s34, 15
	s_add_i32 s2, s4, 1
	s_and_b32 s5, s2, 30
	s_add_u32 s2, s12, 0xffffffe8
	s_addc_u32 s3, s13, -1
	v_mov_b32_e32 v2, 0
	v_mov_b32_e32 v4, 0
	v_mov_b32_e32 v0, 0
	v_mov_b32_e32 v1, v11
.LBB69_58:                              ; =>This Inner Loop Header: Depth=1
	s_load_dwordx4 s[8:11], s[2:3], 0x1c
	s_load_dwordx2 s[6:7], s[2:3], 0x2c
	s_load_dwordx2 s[14:15], s[2:3], 0xec
	s_load_dwordx4 s[16:19], s[2:3], 0xdc
	s_add_u32 s2, s2, 24
	s_waitcnt lgkmcnt(0)
	v_mul_hi_u32 v3, s9, v1
	s_addc_u32 s3, s3, 0
	s_add_i32 s5, s5, -2
	s_cmp_lg_u32 s5, 0
	v_add_u32_e32 v3, v1, v3
	v_lshrrev_b32_e32 v3, s10, v3
	v_mul_lo_u32 v5, v3, s8
	v_mul_hi_u32 v6, s6, v3
	v_sub_u32_e32 v5, v1, v5
	v_add_u32_e32 v1, v3, v6
	v_lshrrev_b32_e32 v1, s7, v1
	v_mul_lo_u32 v8, v1, s11
	v_mul_lo_u32 v6, v5, s16
	;; [unrolled: 1-line block ×4, first 2 shown]
	v_sub_u32_e32 v3, v3, v8
	v_mul_lo_u32 v8, v3, s19
	v_mul_lo_u32 v9, v3, s14
	;; [unrolled: 1-line block ×3, first 2 shown]
	v_add3_u32 v0, v6, v0, v8
	v_add3_u32 v4, v7, v4, v9
	;; [unrolled: 1-line block ×3, first 2 shown]
	s_cbranch_scc1 .LBB69_58
; %bb.59:
	s_bitcmp1_b32 s4, 0
	s_cselect_b64 s[4:5], -1, 0
	s_and_b64 vcc, exec, s[4:5]
	s_cbranch_vccnz .LBB69_64
; %bb.60:
	s_load_dwordx2 s[4:5], s[2:3], 0x1c
	s_load_dword s8, s[2:3], 0x24
	s_load_dwordx2 s[6:7], s[2:3], 0xdc
	s_waitcnt lgkmcnt(0)
	v_mul_hi_u32 v3, s5, v1
	v_add_u32_e32 v3, v1, v3
	v_lshrrev_b32_e32 v3, s8, v3
	v_mul_lo_u32 v3, v3, s4
	s_load_dword s4, s[2:3], 0xe4
	v_sub_u32_e32 v3, v1, v3
	v_mad_u64_u32 v[0:1], s[2:3], v3, s6, v[0:1]
	v_mad_u64_u32 v[4:5], s[2:3], v3, s7, v[4:5]
	s_waitcnt lgkmcnt(0)
	v_mad_u64_u32 v[2:3], s[2:3], v3, s4, v[2:3]
	s_cbranch_execz .LBB69_65
	s_branch .LBB69_67
.LBB69_61:
	s_endpgm
.LBB69_62:
                                        ; implicit-def: $vgpr0
                                        ; implicit-def: $vgpr4
                                        ; implicit-def: $vgpr2
	s_branch .LBB69_65
.LBB69_63:
	v_mov_b32_e32 v0, 0
	v_mov_b32_e32 v4, 0
	;; [unrolled: 1-line block ×3, first 2 shown]
.LBB69_64:
	s_cbranch_execnz .LBB69_67
.LBB69_65:
	s_load_dwordx4 s[4:7], s[12:13], 0x4
	s_load_dwordx4 s[8:11], s[12:13], 0xc4
	s_cmp_lt_u32 s33, 2
	s_waitcnt lgkmcnt(0)
	v_mul_hi_u32 v0, s5, v11
	v_add_u32_e32 v0, v11, v0
	v_lshrrev_b32_e32 v1, s6, v0
	v_mul_lo_u32 v0, v1, s4
	v_sub_u32_e32 v2, v11, v0
	v_mul_lo_u32 v0, v2, s8
	v_mul_lo_u32 v4, v2, s9
	;; [unrolled: 1-line block ×3, first 2 shown]
	s_cbranch_scc1 .LBB69_67
; %bb.66:
	s_load_dwordx4 s[4:7], s[12:13], 0x10
	s_load_dwordx4 s[8:11], s[12:13], 0xd0
	s_waitcnt lgkmcnt(0)
	v_mul_hi_u32 v3, s5, v1
	v_add_u32_e32 v3, v1, v3
	v_lshrrev_b32_e32 v3, s6, v3
	v_mul_lo_u32 v3, v3, s4
	v_sub_u32_e32 v3, v1, v3
	v_mad_u64_u32 v[0:1], s[2:3], v3, s8, v[0:1]
	v_mad_u64_u32 v[4:5], s[2:3], v3, s9, v[4:5]
	;; [unrolled: 1-line block ×3, first 2 shown]
.LBB69_67:
	s_and_b64 vcc, exec, s[0:1]
	v_add_u32_e32 v1, 0x80, v11
	s_cbranch_vccnz .LBB69_73
; %bb.68:
	s_cmp_lg_u32 s33, 0
	s_cbranch_scc0 .LBB69_74
; %bb.69:
	s_min_u32 s4, s34, 15
	s_add_i32 s2, s4, 1
	s_and_b32 s5, s2, 30
	s_add_u32 s2, s12, 0xffffffe8
	s_addc_u32 s3, s13, -1
	v_mov_b32_e32 v7, 0
	v_mov_b32_e32 v9, 0
	;; [unrolled: 1-line block ×4, first 2 shown]
.LBB69_70:                              ; =>This Inner Loop Header: Depth=1
	s_load_dwordx4 s[8:11], s[2:3], 0x1c
	s_load_dwordx2 s[6:7], s[2:3], 0x2c
	s_load_dwordx2 s[14:15], s[2:3], 0xec
	s_load_dwordx4 s[16:19], s[2:3], 0xdc
	s_add_u32 s2, s2, 24
	s_waitcnt lgkmcnt(0)
	v_mul_hi_u32 v6, s9, v3
	s_addc_u32 s3, s3, 0
	s_add_i32 s5, s5, -2
	s_cmp_lg_u32 s5, 0
	v_add_u32_e32 v6, v3, v6
	v_lshrrev_b32_e32 v6, s10, v6
	v_mul_lo_u32 v8, v6, s8
	v_mul_hi_u32 v10, s6, v6
	v_sub_u32_e32 v8, v3, v8
	v_add_u32_e32 v3, v6, v10
	v_lshrrev_b32_e32 v3, s7, v3
	v_mul_lo_u32 v13, v3, s11
	v_mul_lo_u32 v10, v8, s16
	v_mul_lo_u32 v12, v8, s17
	v_mul_lo_u32 v8, v8, s18
	v_sub_u32_e32 v6, v6, v13
	v_mul_lo_u32 v13, v6, s19
	v_mul_lo_u32 v14, v6, s14
	;; [unrolled: 1-line block ×3, first 2 shown]
	v_add3_u32 v5, v10, v5, v13
	v_add3_u32 v9, v12, v9, v14
	;; [unrolled: 1-line block ×3, first 2 shown]
	s_cbranch_scc1 .LBB69_70
; %bb.71:
	s_bitcmp1_b32 s4, 0
	s_cselect_b64 s[4:5], -1, 0
	s_and_b64 vcc, exec, s[4:5]
	s_cbranch_vccnz .LBB69_75
; %bb.72:
	s_load_dwordx2 s[4:5], s[2:3], 0x1c
	s_load_dword s8, s[2:3], 0x24
	s_load_dwordx2 s[6:7], s[2:3], 0xdc
	s_waitcnt lgkmcnt(0)
	v_mul_hi_u32 v6, s5, v3
	v_add_u32_e32 v6, v3, v6
	v_lshrrev_b32_e32 v6, s8, v6
	v_mul_lo_u32 v6, v6, s4
	s_load_dword s4, s[2:3], 0xe4
	v_sub_u32_e32 v3, v3, v6
	v_mad_u64_u32 v[5:6], s[2:3], v3, s6, v[5:6]
	v_mad_u64_u32 v[9:10], s[2:3], v3, s7, v[9:10]
	s_waitcnt lgkmcnt(0)
	v_mad_u64_u32 v[7:8], s[2:3], v3, s4, v[7:8]
	s_cbranch_execz .LBB69_76
	s_branch .LBB69_78
.LBB69_73:
                                        ; implicit-def: $vgpr5
                                        ; implicit-def: $vgpr9
                                        ; implicit-def: $vgpr7
	s_branch .LBB69_76
.LBB69_74:
	v_mov_b32_e32 v5, 0
	v_mov_b32_e32 v9, 0
	;; [unrolled: 1-line block ×3, first 2 shown]
.LBB69_75:
	s_cbranch_execnz .LBB69_78
.LBB69_76:
	s_load_dwordx4 s[4:7], s[12:13], 0x4
	s_load_dwordx4 s[8:11], s[12:13], 0xc4
	s_cmp_lt_u32 s33, 2
	s_waitcnt lgkmcnt(0)
	v_mul_hi_u32 v3, s5, v1
	v_add_u32_e32 v3, v1, v3
	v_lshrrev_b32_e32 v3, s6, v3
	v_mul_lo_u32 v5, v3, s4
	v_sub_u32_e32 v1, v1, v5
	v_mul_lo_u32 v5, v1, s8
	v_mul_lo_u32 v9, v1, s9
	;; [unrolled: 1-line block ×3, first 2 shown]
	s_cbranch_scc1 .LBB69_78
; %bb.77:
	s_load_dwordx4 s[4:7], s[12:13], 0x10
	s_load_dwordx4 s[8:11], s[12:13], 0xd0
	s_waitcnt lgkmcnt(0)
	v_mul_hi_u32 v1, s5, v3
	v_add_u32_e32 v1, v3, v1
	v_lshrrev_b32_e32 v1, s6, v1
	v_mul_lo_u32 v1, v1, s4
	v_sub_u32_e32 v1, v3, v1
	v_mad_u64_u32 v[5:6], s[2:3], v1, s8, v[5:6]
	v_mad_u64_u32 v[9:10], s[2:3], v1, s9, v[9:10]
	;; [unrolled: 1-line block ×3, first 2 shown]
.LBB69_78:
	s_and_b64 vcc, exec, s[0:1]
	v_add_u32_e32 v1, 0x100, v11
	s_cbranch_vccnz .LBB69_84
; %bb.79:
	s_cmp_lg_u32 s33, 0
	s_cbranch_scc0 .LBB69_85
; %bb.80:
	s_min_u32 s4, s34, 15
	s_add_i32 s2, s4, 1
	s_and_b32 s5, s2, 30
	s_add_u32 s2, s12, 0xffffffe8
	s_addc_u32 s3, s13, -1
	v_mov_b32_e32 v12, 0
	v_mov_b32_e32 v14, 0
	;; [unrolled: 1-line block ×4, first 2 shown]
.LBB69_81:                              ; =>This Inner Loop Header: Depth=1
	s_load_dwordx4 s[8:11], s[2:3], 0x1c
	s_load_dwordx2 s[6:7], s[2:3], 0x2c
	s_load_dwordx2 s[14:15], s[2:3], 0xec
	s_load_dwordx4 s[16:19], s[2:3], 0xdc
	s_add_u32 s2, s2, 24
	s_waitcnt lgkmcnt(0)
	v_mul_hi_u32 v6, s9, v3
	s_addc_u32 s3, s3, 0
	s_add_i32 s5, s5, -2
	s_cmp_lg_u32 s5, 0
	v_add_u32_e32 v6, v3, v6
	v_lshrrev_b32_e32 v6, s10, v6
	v_mul_lo_u32 v8, v6, s8
	v_mul_hi_u32 v11, s6, v6
	v_sub_u32_e32 v8, v3, v8
	v_add_u32_e32 v3, v6, v11
	v_lshrrev_b32_e32 v3, s7, v3
	v_mul_lo_u32 v15, v3, s11
	v_mul_lo_u32 v11, v8, s16
	;; [unrolled: 1-line block ×4, first 2 shown]
	v_sub_u32_e32 v6, v6, v15
	v_mul_lo_u32 v15, v6, s19
	v_mul_lo_u32 v16, v6, s14
	;; [unrolled: 1-line block ×3, first 2 shown]
	v_add3_u32 v10, v11, v10, v15
	v_add3_u32 v14, v13, v14, v16
	;; [unrolled: 1-line block ×3, first 2 shown]
	s_cbranch_scc1 .LBB69_81
; %bb.82:
	s_bitcmp1_b32 s4, 0
	s_cselect_b64 s[4:5], -1, 0
	s_and_b64 vcc, exec, s[4:5]
	s_cbranch_vccnz .LBB69_86
; %bb.83:
	s_load_dwordx2 s[4:5], s[2:3], 0x1c
	s_load_dword s8, s[2:3], 0x24
	s_load_dwordx2 s[6:7], s[2:3], 0xdc
	s_waitcnt lgkmcnt(0)
	v_mul_hi_u32 v6, s5, v3
	v_add_u32_e32 v6, v3, v6
	v_lshrrev_b32_e32 v6, s8, v6
	v_mul_lo_u32 v6, v6, s4
	s_load_dword s4, s[2:3], 0xe4
	v_sub_u32_e32 v3, v3, v6
	v_mad_u64_u32 v[10:11], s[2:3], v3, s6, v[10:11]
	v_mad_u64_u32 v[14:15], s[2:3], v3, s7, v[14:15]
	s_waitcnt lgkmcnt(0)
	v_mad_u64_u32 v[12:13], s[2:3], v3, s4, v[12:13]
	s_cbranch_execz .LBB69_87
	s_branch .LBB69_89
.LBB69_84:
                                        ; implicit-def: $vgpr10
                                        ; implicit-def: $vgpr14
                                        ; implicit-def: $vgpr12
	s_branch .LBB69_87
.LBB69_85:
	v_mov_b32_e32 v10, 0
	v_mov_b32_e32 v14, 0
	v_mov_b32_e32 v12, 0
.LBB69_86:
	s_cbranch_execnz .LBB69_89
.LBB69_87:
	s_load_dwordx4 s[4:7], s[12:13], 0x4
	s_load_dwordx4 s[8:11], s[12:13], 0xc4
	s_cmp_lt_u32 s33, 2
	s_waitcnt lgkmcnt(0)
	v_mul_hi_u32 v3, s5, v1
	v_add_u32_e32 v3, v1, v3
	v_lshrrev_b32_e32 v3, s6, v3
	v_mul_lo_u32 v6, v3, s4
	v_sub_u32_e32 v1, v1, v6
	v_mul_lo_u32 v10, v1, s8
	v_mul_lo_u32 v14, v1, s9
	;; [unrolled: 1-line block ×3, first 2 shown]
	s_cbranch_scc1 .LBB69_89
; %bb.88:
	s_load_dwordx4 s[4:7], s[12:13], 0x10
	s_load_dwordx4 s[8:11], s[12:13], 0xd0
	s_waitcnt lgkmcnt(0)
	v_mul_hi_u32 v1, s5, v3
	v_add_u32_e32 v1, v3, v1
	v_lshrrev_b32_e32 v1, s6, v1
	v_mul_lo_u32 v1, v1, s4
	v_sub_u32_e32 v1, v3, v1
	v_mad_u64_u32 v[10:11], s[2:3], v1, s8, v[10:11]
	v_mad_u64_u32 v[14:15], s[2:3], v1, s9, v[14:15]
	;; [unrolled: 1-line block ×3, first 2 shown]
.LBB69_89:
	s_and_b64 vcc, exec, s[0:1]
	s_cbranch_vccnz .LBB69_95
; %bb.90:
	s_cmp_lg_u32 s33, 0
	s_cbranch_scc0 .LBB69_96
; %bb.91:
	s_min_u32 s2, s34, 15
	s_add_i32 s0, s2, 1
	s_and_b32 s3, s0, 30
	s_add_u32 s0, s12, 0xffffffe8
	s_addc_u32 s1, s13, -1
	v_mov_b32_e32 v17, 0
	v_mov_b32_e32 v19, 0
	;; [unrolled: 1-line block ×4, first 2 shown]
.LBB69_92:                              ; =>This Inner Loop Header: Depth=1
	s_load_dwordx4 s[4:7], s[0:1], 0x1c
	s_load_dwordx2 s[14:15], s[0:1], 0x2c
	s_load_dwordx2 s[16:17], s[0:1], 0xec
	s_load_dwordx4 s[8:11], s[0:1], 0xdc
	s_add_u32 s0, s0, 24
	s_waitcnt lgkmcnt(0)
	v_mul_hi_u32 v3, s5, v1
	s_addc_u32 s1, s1, 0
	s_add_i32 s3, s3, -2
	s_cmp_lg_u32 s3, 0
	v_add_u32_e32 v3, v1, v3
	v_lshrrev_b32_e32 v3, s6, v3
	v_mul_lo_u32 v6, v3, s4
	v_mul_hi_u32 v8, s14, v3
	v_sub_u32_e32 v6, v1, v6
	v_add_u32_e32 v1, v3, v8
	v_lshrrev_b32_e32 v1, s15, v1
	v_mul_lo_u32 v13, v1, s7
	v_mul_lo_u32 v8, v6, s8
	;; [unrolled: 1-line block ×4, first 2 shown]
	v_sub_u32_e32 v3, v3, v13
	v_mul_lo_u32 v13, v3, s11
	v_mul_lo_u32 v16, v3, s16
	;; [unrolled: 1-line block ×3, first 2 shown]
	v_add3_u32 v15, v8, v15, v13
	v_add3_u32 v19, v11, v19, v16
	;; [unrolled: 1-line block ×3, first 2 shown]
	s_cbranch_scc1 .LBB69_92
; %bb.93:
	s_bitcmp1_b32 s2, 0
	s_cselect_b64 s[2:3], -1, 0
	s_and_b64 vcc, exec, s[2:3]
	s_cbranch_vccnz .LBB69_97
; %bb.94:
	s_load_dwordx2 s[2:3], s[0:1], 0x1c
	s_load_dword s6, s[0:1], 0x24
	s_load_dwordx2 s[4:5], s[0:1], 0xdc
	s_waitcnt lgkmcnt(0)
	v_mul_hi_u32 v3, s3, v1
	v_add_u32_e32 v3, v1, v3
	v_lshrrev_b32_e32 v3, s6, v3
	v_mul_lo_u32 v3, v3, s2
	s_load_dword s2, s[0:1], 0xe4
	v_sub_u32_e32 v1, v1, v3
	v_mad_u64_u32 v[15:16], s[0:1], v1, s4, v[15:16]
	v_mad_u64_u32 v[19:20], s[0:1], v1, s5, v[19:20]
	s_waitcnt lgkmcnt(0)
	v_mad_u64_u32 v[17:18], s[0:1], v1, s2, v[17:18]
	s_cbranch_execz .LBB69_98
	s_branch .LBB69_100
.LBB69_95:
                                        ; implicit-def: $vgpr15
                                        ; implicit-def: $vgpr19
                                        ; implicit-def: $vgpr17
	s_branch .LBB69_98
.LBB69_96:
	v_mov_b32_e32 v15, 0
	v_mov_b32_e32 v19, 0
	;; [unrolled: 1-line block ×3, first 2 shown]
.LBB69_97:
	s_cbranch_execnz .LBB69_100
.LBB69_98:
	s_load_dwordx4 s[0:3], s[12:13], 0x4
	s_load_dwordx4 s[4:7], s[12:13], 0xc4
	s_cmp_lt_u32 s33, 2
	s_waitcnt lgkmcnt(0)
	v_mul_hi_u32 v1, s1, v21
	v_add_u32_e32 v1, v21, v1
	v_lshrrev_b32_e32 v1, s2, v1
	v_mul_lo_u32 v3, v1, s0
	v_sub_u32_e32 v3, v21, v3
	v_mul_lo_u32 v15, v3, s4
	v_mul_lo_u32 v19, v3, s5
	;; [unrolled: 1-line block ×3, first 2 shown]
	s_cbranch_scc1 .LBB69_100
; %bb.99:
	s_load_dwordx4 s[0:3], s[12:13], 0x10
	s_load_dwordx4 s[4:7], s[12:13], 0xd0
	s_waitcnt lgkmcnt(0)
	v_mul_hi_u32 v3, s1, v1
	v_add_u32_e32 v3, v1, v3
	v_lshrrev_b32_e32 v3, s2, v3
	v_mul_lo_u32 v3, v3, s0
	v_sub_u32_e32 v1, v1, v3
	v_mad_u64_u32 v[15:16], s[0:1], v1, s4, v[15:16]
	v_mad_u64_u32 v[19:20], s[0:1], v1, s5, v[19:20]
	;; [unrolled: 1-line block ×3, first 2 shown]
.LBB69_100:
	s_load_dwordx4 s[0:3], s[12:13], 0x188
	s_load_dwordx2 s[4:5], s[12:13], 0x198
	s_waitcnt lgkmcnt(0)
	global_load_dword v1, v4, s[2:3]
	global_load_dword v3, v2, s[4:5]
	;; [unrolled: 1-line block ×8, first 2 shown]
	s_waitcnt vmcnt(6)
	v_lshlrev_b32_e32 v1, v3, v1
	v_cmp_gt_u32_e32 vcc, 32, v3
	s_waitcnt vmcnt(4)
	v_lshlrev_b32_e32 v2, v8, v6
	v_cndmask_b32_e32 v1, 0, v1, vcc
	v_cmp_gt_u32_e32 vcc, 32, v8
	s_waitcnt vmcnt(2)
	v_lshlrev_b32_e32 v4, v13, v11
	v_cndmask_b32_e32 v2, 0, v2, vcc
	;; [unrolled: 4-line block ×3, first 2 shown]
	v_cmp_gt_u32_e32 vcc, 32, v18
	v_cndmask_b32_e32 v4, 0, v6, vcc
	global_store_dword v0, v1, s[0:1]
	global_store_dword v5, v2, s[0:1]
	;; [unrolled: 1-line block ×4, first 2 shown]
	s_endpgm
	.section	.rodata,"a",@progbits
	.p2align	6, 0x0
	.amdhsa_kernel _ZN2at6native32elementwise_kernel_manual_unrollILi128ELi4EZNS0_22gpu_kernel_impl_nocastINS0_13BinaryFunctorIiiiZZZNS0_18lshift_kernel_cudaERNS_18TensorIteratorBaseEENKUlvE_clEvENKUlvE1_clEvEUliiE_EEEEvS5_RKT_EUlibE_EEviT1_
		.amdhsa_group_segment_fixed_size 0
		.amdhsa_private_segment_fixed_size 0
		.amdhsa_kernarg_size 432
		.amdhsa_user_sgpr_count 6
		.amdhsa_user_sgpr_private_segment_buffer 1
		.amdhsa_user_sgpr_dispatch_ptr 0
		.amdhsa_user_sgpr_queue_ptr 0
		.amdhsa_user_sgpr_kernarg_segment_ptr 1
		.amdhsa_user_sgpr_dispatch_id 0
		.amdhsa_user_sgpr_flat_scratch_init 0
		.amdhsa_user_sgpr_private_segment_size 0
		.amdhsa_uses_dynamic_stack 0
		.amdhsa_system_sgpr_private_segment_wavefront_offset 0
		.amdhsa_system_sgpr_workgroup_id_x 1
		.amdhsa_system_sgpr_workgroup_id_y 0
		.amdhsa_system_sgpr_workgroup_id_z 0
		.amdhsa_system_sgpr_workgroup_info 0
		.amdhsa_system_vgpr_workitem_id 0
		.amdhsa_next_free_vgpr 22
		.amdhsa_next_free_sgpr 50
		.amdhsa_reserve_vcc 1
		.amdhsa_reserve_flat_scratch 0
		.amdhsa_float_round_mode_32 0
		.amdhsa_float_round_mode_16_64 0
		.amdhsa_float_denorm_mode_32 3
		.amdhsa_float_denorm_mode_16_64 3
		.amdhsa_dx10_clamp 1
		.amdhsa_ieee_mode 1
		.amdhsa_fp16_overflow 0
		.amdhsa_exception_fp_ieee_invalid_op 0
		.amdhsa_exception_fp_denorm_src 0
		.amdhsa_exception_fp_ieee_div_zero 0
		.amdhsa_exception_fp_ieee_overflow 0
		.amdhsa_exception_fp_ieee_underflow 0
		.amdhsa_exception_fp_ieee_inexact 0
		.amdhsa_exception_int_div_zero 0
	.end_amdhsa_kernel
	.section	.text._ZN2at6native32elementwise_kernel_manual_unrollILi128ELi4EZNS0_22gpu_kernel_impl_nocastINS0_13BinaryFunctorIiiiZZZNS0_18lshift_kernel_cudaERNS_18TensorIteratorBaseEENKUlvE_clEvENKUlvE1_clEvEUliiE_EEEEvS5_RKT_EUlibE_EEviT1_,"axG",@progbits,_ZN2at6native32elementwise_kernel_manual_unrollILi128ELi4EZNS0_22gpu_kernel_impl_nocastINS0_13BinaryFunctorIiiiZZZNS0_18lshift_kernel_cudaERNS_18TensorIteratorBaseEENKUlvE_clEvENKUlvE1_clEvEUliiE_EEEEvS5_RKT_EUlibE_EEviT1_,comdat
.Lfunc_end69:
	.size	_ZN2at6native32elementwise_kernel_manual_unrollILi128ELi4EZNS0_22gpu_kernel_impl_nocastINS0_13BinaryFunctorIiiiZZZNS0_18lshift_kernel_cudaERNS_18TensorIteratorBaseEENKUlvE_clEvENKUlvE1_clEvEUliiE_EEEEvS5_RKT_EUlibE_EEviT1_, .Lfunc_end69-_ZN2at6native32elementwise_kernel_manual_unrollILi128ELi4EZNS0_22gpu_kernel_impl_nocastINS0_13BinaryFunctorIiiiZZZNS0_18lshift_kernel_cudaERNS_18TensorIteratorBaseEENKUlvE_clEvENKUlvE1_clEvEUliiE_EEEEvS5_RKT_EUlibE_EEviT1_
                                        ; -- End function
	.set _ZN2at6native32elementwise_kernel_manual_unrollILi128ELi4EZNS0_22gpu_kernel_impl_nocastINS0_13BinaryFunctorIiiiZZZNS0_18lshift_kernel_cudaERNS_18TensorIteratorBaseEENKUlvE_clEvENKUlvE1_clEvEUliiE_EEEEvS5_RKT_EUlibE_EEviT1_.num_vgpr, 22
	.set _ZN2at6native32elementwise_kernel_manual_unrollILi128ELi4EZNS0_22gpu_kernel_impl_nocastINS0_13BinaryFunctorIiiiZZZNS0_18lshift_kernel_cudaERNS_18TensorIteratorBaseEENKUlvE_clEvENKUlvE1_clEvEUliiE_EEEEvS5_RKT_EUlibE_EEviT1_.num_agpr, 0
	.set _ZN2at6native32elementwise_kernel_manual_unrollILi128ELi4EZNS0_22gpu_kernel_impl_nocastINS0_13BinaryFunctorIiiiZZZNS0_18lshift_kernel_cudaERNS_18TensorIteratorBaseEENKUlvE_clEvENKUlvE1_clEvEUliiE_EEEEvS5_RKT_EUlibE_EEviT1_.numbered_sgpr, 50
	.set _ZN2at6native32elementwise_kernel_manual_unrollILi128ELi4EZNS0_22gpu_kernel_impl_nocastINS0_13BinaryFunctorIiiiZZZNS0_18lshift_kernel_cudaERNS_18TensorIteratorBaseEENKUlvE_clEvENKUlvE1_clEvEUliiE_EEEEvS5_RKT_EUlibE_EEviT1_.num_named_barrier, 0
	.set _ZN2at6native32elementwise_kernel_manual_unrollILi128ELi4EZNS0_22gpu_kernel_impl_nocastINS0_13BinaryFunctorIiiiZZZNS0_18lshift_kernel_cudaERNS_18TensorIteratorBaseEENKUlvE_clEvENKUlvE1_clEvEUliiE_EEEEvS5_RKT_EUlibE_EEviT1_.private_seg_size, 0
	.set _ZN2at6native32elementwise_kernel_manual_unrollILi128ELi4EZNS0_22gpu_kernel_impl_nocastINS0_13BinaryFunctorIiiiZZZNS0_18lshift_kernel_cudaERNS_18TensorIteratorBaseEENKUlvE_clEvENKUlvE1_clEvEUliiE_EEEEvS5_RKT_EUlibE_EEviT1_.uses_vcc, 1
	.set _ZN2at6native32elementwise_kernel_manual_unrollILi128ELi4EZNS0_22gpu_kernel_impl_nocastINS0_13BinaryFunctorIiiiZZZNS0_18lshift_kernel_cudaERNS_18TensorIteratorBaseEENKUlvE_clEvENKUlvE1_clEvEUliiE_EEEEvS5_RKT_EUlibE_EEviT1_.uses_flat_scratch, 0
	.set _ZN2at6native32elementwise_kernel_manual_unrollILi128ELi4EZNS0_22gpu_kernel_impl_nocastINS0_13BinaryFunctorIiiiZZZNS0_18lshift_kernel_cudaERNS_18TensorIteratorBaseEENKUlvE_clEvENKUlvE1_clEvEUliiE_EEEEvS5_RKT_EUlibE_EEviT1_.has_dyn_sized_stack, 0
	.set _ZN2at6native32elementwise_kernel_manual_unrollILi128ELi4EZNS0_22gpu_kernel_impl_nocastINS0_13BinaryFunctorIiiiZZZNS0_18lshift_kernel_cudaERNS_18TensorIteratorBaseEENKUlvE_clEvENKUlvE1_clEvEUliiE_EEEEvS5_RKT_EUlibE_EEviT1_.has_recursion, 0
	.set _ZN2at6native32elementwise_kernel_manual_unrollILi128ELi4EZNS0_22gpu_kernel_impl_nocastINS0_13BinaryFunctorIiiiZZZNS0_18lshift_kernel_cudaERNS_18TensorIteratorBaseEENKUlvE_clEvENKUlvE1_clEvEUliiE_EEEEvS5_RKT_EUlibE_EEviT1_.has_indirect_call, 0
	.section	.AMDGPU.csdata,"",@progbits
; Kernel info:
; codeLenInByte = 4740
; TotalNumSgprs: 54
; NumVgprs: 22
; ScratchSize: 0
; MemoryBound: 0
; FloatMode: 240
; IeeeMode: 1
; LDSByteSize: 0 bytes/workgroup (compile time only)
; SGPRBlocks: 6
; VGPRBlocks: 5
; NumSGPRsForWavesPerEU: 54
; NumVGPRsForWavesPerEU: 22
; Occupancy: 10
; WaveLimiterHint : 1
; COMPUTE_PGM_RSRC2:SCRATCH_EN: 0
; COMPUTE_PGM_RSRC2:USER_SGPR: 6
; COMPUTE_PGM_RSRC2:TRAP_HANDLER: 0
; COMPUTE_PGM_RSRC2:TGID_X_EN: 1
; COMPUTE_PGM_RSRC2:TGID_Y_EN: 0
; COMPUTE_PGM_RSRC2:TGID_Z_EN: 0
; COMPUTE_PGM_RSRC2:TIDIG_COMP_CNT: 0
	.section	.text._ZN2at6native32elementwise_kernel_manual_unrollILi128ELi4EZNS0_15gpu_kernel_implINS0_13BinaryFunctorIiiiZZZNS0_18lshift_kernel_cudaERNS_18TensorIteratorBaseEENKUlvE_clEvENKUlvE1_clEvEUliiE_EEEEvS5_RKT_EUlibE_EEviT1_,"axG",@progbits,_ZN2at6native32elementwise_kernel_manual_unrollILi128ELi4EZNS0_15gpu_kernel_implINS0_13BinaryFunctorIiiiZZZNS0_18lshift_kernel_cudaERNS_18TensorIteratorBaseEENKUlvE_clEvENKUlvE1_clEvEUliiE_EEEEvS5_RKT_EUlibE_EEviT1_,comdat
	.globl	_ZN2at6native32elementwise_kernel_manual_unrollILi128ELi4EZNS0_15gpu_kernel_implINS0_13BinaryFunctorIiiiZZZNS0_18lshift_kernel_cudaERNS_18TensorIteratorBaseEENKUlvE_clEvENKUlvE1_clEvEUliiE_EEEEvS5_RKT_EUlibE_EEviT1_ ; -- Begin function _ZN2at6native32elementwise_kernel_manual_unrollILi128ELi4EZNS0_15gpu_kernel_implINS0_13BinaryFunctorIiiiZZZNS0_18lshift_kernel_cudaERNS_18TensorIteratorBaseEENKUlvE_clEvENKUlvE1_clEvEUliiE_EEEEvS5_RKT_EUlibE_EEviT1_
	.p2align	8
	.type	_ZN2at6native32elementwise_kernel_manual_unrollILi128ELi4EZNS0_15gpu_kernel_implINS0_13BinaryFunctorIiiiZZZNS0_18lshift_kernel_cudaERNS_18TensorIteratorBaseEENKUlvE_clEvENKUlvE1_clEvEUliiE_EEEEvS5_RKT_EUlibE_EEviT1_,@function
_ZN2at6native32elementwise_kernel_manual_unrollILi128ELi4EZNS0_15gpu_kernel_implINS0_13BinaryFunctorIiiiZZZNS0_18lshift_kernel_cudaERNS_18TensorIteratorBaseEENKUlvE_clEvENKUlvE1_clEvEUliiE_EEEEvS5_RKT_EUlibE_EEviT1_: ; @_ZN2at6native32elementwise_kernel_manual_unrollILi128ELi4EZNS0_15gpu_kernel_implINS0_13BinaryFunctorIiiiZZZNS0_18lshift_kernel_cudaERNS_18TensorIteratorBaseEENKUlvE_clEvENKUlvE1_clEvEUliiE_EEEEvS5_RKT_EUlibE_EEviT1_
; %bb.0:
	v_mov_b32_e32 v1, 0
	global_load_ushort v2, v1, s[4:5] offset:45
	global_load_sbyte v3, v1, s[4:5] offset:47
	s_load_dword s48, s[4:5], 0x0
	s_load_dwordx4 s[8:11], s[4:5], 0x8
	s_load_dwordx2 s[2:3], s[4:5], 0x18
	s_load_dwordx4 s[12:15], s[4:5], 0x20
	v_lshl_or_b32 v4, s6, 9, v0
	v_or_b32_e32 v0, 0x180, v4
	s_mov_b64 s[16:17], 0
	s_waitcnt lgkmcnt(0)
	v_cmp_le_i32_e32 vcc, s48, v0
	s_mov_b64 s[6:7], 0
	s_waitcnt vmcnt(1)
	v_readfirstlane_b32 s33, v2
	s_waitcnt vmcnt(0)
	v_readfirstlane_b32 s15, v3
	s_lshr_b32 s54, s33, 8
	s_and_saveexec_b64 s[0:1], vcc
	s_xor_b64 s[4:5], exec, s[0:1]
	s_cbranch_execz .LBB70_1512
; %bb.1:
	v_cmp_gt_i32_e32 vcc, s48, v4
	s_mov_b64 s[0:1], -1
	s_mov_b64 s[26:27], 0
	s_mov_b64 s[20:21], 0
	;; [unrolled: 1-line block ×3, first 2 shown]
	s_and_saveexec_b64 s[22:23], vcc
	s_cbranch_execz .LBB70_375
; %bb.2:
	v_mul_lo_u32 v0, v4, s13
	v_mov_b32_e32 v1, s11
	s_and_b32 s18, s54, 0xff
	s_cmp_lt_i32 s18, 11
	v_ashrrev_i32_e32 v2, 31, v0
	v_add_co_u32_e32 v0, vcc, s10, v0
	v_addc_co_u32_e32 v1, vcc, v1, v2, vcc
	s_cbranch_scc1 .LBB70_9
; %bb.3:
	s_and_b32 s19, 0xffff, s18
	s_cmp_gt_i32 s19, 25
	s_cbranch_scc0 .LBB70_18
; %bb.4:
	s_cmp_gt_i32 s19, 28
	s_cbranch_scc0 .LBB70_28
; %bb.5:
	;; [unrolled: 3-line block ×4, first 2 shown]
	s_cmp_eq_u32 s19, 46
	s_cbranch_scc0 .LBB70_37
; %bb.8:
	global_load_dword v2, v[0:1], off
	s_waitcnt vmcnt(0)
	v_lshlrev_b32_e32 v2, 16, v2
	v_cvt_i32_f32_e32 v2, v2
	s_branch .LBB70_39
.LBB70_9:
                                        ; implicit-def: $vgpr2
	s_mov_b64 s[0:1], 0
	s_cbranch_execnz .LBB70_101
.LBB70_10:
	s_andn2_b64 vcc, exec, s[0:1]
	s_cbranch_vccnz .LBB70_148
.LBB70_11:
	v_mul_lo_u32 v0, v4, s14
	v_mov_b32_e32 v1, s3
	s_and_b32 s24, s15, 0xff
	s_cmp_lt_i32 s24, 11
	v_ashrrev_i32_e32 v3, 31, v0
	v_add_co_u32_e32 v0, vcc, s2, v0
	v_addc_co_u32_e32 v1, vcc, v1, v3, vcc
	s_cbranch_scc1 .LBB70_19
; %bb.12:
	s_and_b32 s25, 0xffff, s24
	s_cmp_gt_i32 s25, 25
	s_cbranch_scc0 .LBB70_29
; %bb.13:
	s_cmp_gt_i32 s25, 28
	s_cbranch_scc0 .LBB70_32
; %bb.14:
	;; [unrolled: 3-line block ×4, first 2 shown]
	s_cmp_eq_u32 s25, 46
	s_mov_b64 s[6:7], 0
	s_cbranch_scc0 .LBB70_149
; %bb.17:
	global_load_dword v3, v[0:1], off
	s_mov_b64 s[0:1], -1
	s_mov_b64 s[18:19], 0
	s_waitcnt vmcnt(0)
	v_lshlrev_b32_e32 v3, 16, v3
	v_cvt_i32_f32_e32 v3, v3
	s_branch .LBB70_151
.LBB70_18:
	s_mov_b64 s[0:1], 0
                                        ; implicit-def: $vgpr2
	s_cbranch_execnz .LBB70_68
	s_branch .LBB70_100
.LBB70_19:
	s_mov_b64 s[18:19], 0
                                        ; implicit-def: $vgpr3
	s_mov_b64 s[0:1], 0
	s_cbranch_execnz .LBB70_324
.LBB70_20:
	s_andn2_b64 vcc, exec, s[0:1]
	s_cbranch_vccnz .LBB70_372
.LBB70_21:
	v_mul_lo_u32 v1, v4, s12
	s_waitcnt vmcnt(0)
	v_lshlrev_b32_e32 v0, v3, v2
	v_cmp_gt_u32_e32 vcc, 32, v3
	v_cndmask_b32_e32 v0, 0, v0, vcc
	v_ashrrev_i32_e32 v3, 31, v1
	v_mov_b32_e32 v5, s9
	s_and_b32 s30, s33, 0xff
	v_add_co_u32_e32 v2, vcc, s8, v1
	s_cmp_lt_i32 s30, 11
	v_addc_co_u32_e32 v3, vcc, v5, v3, vcc
	s_cbranch_scc1 .LBB70_30
; %bb.22:
	s_and_b32 s31, 0xffff, s30
	s_cmp_gt_i32 s31, 25
	s_cbranch_scc0 .LBB70_33
; %bb.23:
	s_cmp_gt_i32 s31, 28
	s_cbranch_scc0 .LBB70_36
; %bb.24:
	;; [unrolled: 3-line block ×4, first 2 shown]
	s_mov_b64 s[24:25], 0
	s_mov_b64 s[0:1], -1
	s_cmp_eq_u32 s31, 46
	s_mov_b64 s[6:7], 0
	s_cbranch_scc0 .LBB70_155
; %bb.27:
	v_cvt_f32_i32_e32 v1, v0
	s_movk_i32 s0, 0x7fff
	s_mov_b64 s[6:7], -1
	v_bfe_u32 v5, v1, 16, 1
	v_add3_u32 v1, v1, v5, s0
	v_lshrrev_b32_e32 v1, 16, v1
	global_store_dword v[2:3], v1, off
	s_mov_b64 s[0:1], 0
	s_branch .LBB70_155
.LBB70_28:
	s_mov_b64 s[6:7], -1
	s_mov_b64 s[0:1], 0
                                        ; implicit-def: $vgpr2
	s_branch .LBB70_51
.LBB70_29:
	s_mov_b64 s[6:7], -1
	s_mov_b64 s[18:19], 0
	s_mov_b64 s[0:1], 0
                                        ; implicit-def: $vgpr3
	s_branch .LBB70_290
.LBB70_30:
	s_mov_b64 s[24:25], -1
	s_mov_b64 s[0:1], 0
	s_mov_b64 s[6:7], 0
	s_branch .LBB70_224
.LBB70_31:
	s_mov_b64 s[6:7], -1
	s_mov_b64 s[0:1], 0
                                        ; implicit-def: $vgpr2
	s_branch .LBB70_46
.LBB70_32:
	s_mov_b64 s[6:7], -1
	s_mov_b64 s[18:19], 0
	s_mov_b64 s[0:1], 0
                                        ; implicit-def: $vgpr3
	s_branch .LBB70_273
.LBB70_33:
	s_mov_b64 s[24:25], -1
	s_mov_b64 s[0:1], 0
	s_mov_b64 s[6:7], 0
	s_branch .LBB70_182
.LBB70_34:
	s_mov_b64 s[6:7], -1
	s_branch .LBB70_38
.LBB70_35:
	s_mov_b64 s[6:7], -1
	s_mov_b64 s[18:19], 0
	s_mov_b64 s[0:1], 0
                                        ; implicit-def: $vgpr3
	s_branch .LBB70_268
.LBB70_36:
	s_mov_b64 s[24:25], -1
	s_mov_b64 s[0:1], 0
	s_mov_b64 s[6:7], 0
	s_branch .LBB70_165
.LBB70_37:
	s_mov_b64 s[20:21], -1
.LBB70_38:
	s_mov_b64 s[0:1], 0
                                        ; implicit-def: $vgpr2
.LBB70_39:
	s_and_b64 vcc, exec, s[6:7]
	s_cbranch_vccz .LBB70_45
; %bb.40:
	s_cmp_eq_u32 s19, 44
	s_cbranch_scc0 .LBB70_44
; %bb.41:
	global_load_ubyte v2, v[0:1], off
	s_mov_b64 s[0:1], -1
	s_mov_b64 s[20:21], 0
	s_waitcnt vmcnt(0)
	v_lshlrev_b32_e32 v3, 23, v2
	v_cvt_i32_f32_e32 v3, v3
	v_cmp_ne_u32_e32 vcc, 0, v2
	v_cndmask_b32_e32 v2, 0, v3, vcc
	s_branch .LBB70_45
.LBB70_42:
	s_mov_b64 s[6:7], -1
	s_mov_b64 s[18:19], 0
	s_branch .LBB70_150
.LBB70_43:
	s_mov_b64 s[24:25], -1
	s_mov_b64 s[0:1], 0
	s_mov_b64 s[6:7], 0
	s_branch .LBB70_161
.LBB70_44:
	s_mov_b64 s[20:21], -1
                                        ; implicit-def: $vgpr2
.LBB70_45:
	s_mov_b64 s[6:7], 0
.LBB70_46:
	s_and_b64 vcc, exec, s[6:7]
	s_cbranch_vccz .LBB70_50
; %bb.47:
	s_cmp_eq_u32 s19, 29
	s_cbranch_scc0 .LBB70_49
; %bb.48:
	global_load_dword v2, v[0:1], off
	s_mov_b64 s[0:1], -1
	s_mov_b64 s[20:21], 0
	s_branch .LBB70_50
.LBB70_49:
	s_mov_b64 s[20:21], -1
                                        ; implicit-def: $vgpr2
.LBB70_50:
	s_mov_b64 s[6:7], 0
.LBB70_51:
	s_and_b64 vcc, exec, s[6:7]
	s_cbranch_vccz .LBB70_67
; %bb.52:
	s_cmp_lt_i32 s19, 27
	s_cbranch_scc1 .LBB70_55
; %bb.53:
	s_cmp_gt_i32 s19, 27
	s_cbranch_scc0 .LBB70_56
; %bb.54:
	global_load_dword v2, v[0:1], off
	s_mov_b64 s[0:1], 0
	s_branch .LBB70_57
.LBB70_55:
	s_mov_b64 s[0:1], -1
                                        ; implicit-def: $vgpr2
	s_branch .LBB70_60
.LBB70_56:
	s_mov_b64 s[0:1], -1
                                        ; implicit-def: $vgpr2
.LBB70_57:
	s_andn2_b64 vcc, exec, s[0:1]
	s_cbranch_vccnz .LBB70_59
; %bb.58:
	global_load_ushort v2, v[0:1], off
.LBB70_59:
	s_mov_b64 s[0:1], 0
.LBB70_60:
	s_andn2_b64 vcc, exec, s[0:1]
	s_cbranch_vccnz .LBB70_66
; %bb.61:
	global_load_ubyte v3, v[0:1], off
	s_movk_i32 s0, 0x7f
	s_mov_b64 s[6:7], 0
	s_waitcnt vmcnt(0)
	v_cmp_lt_i16_e32 vcc, s0, v3
	s_and_saveexec_b64 s[0:1], vcc
	s_xor_b64 s[0:1], exec, s[0:1]
	s_cbranch_execz .LBB70_77
; %bb.62:
	s_movk_i32 s6, 0x80
	v_cmp_ne_u16_e32 vcc, s6, v3
	s_and_b64 s[6:7], vcc, exec
	s_andn2_saveexec_b64 s[0:1], s[0:1]
	s_cbranch_execnz .LBB70_78
.LBB70_63:
	s_or_b64 exec, exec, s[0:1]
	v_mov_b32_e32 v2, 0
	s_and_saveexec_b64 s[0:1], s[6:7]
	s_cbranch_execz .LBB70_65
.LBB70_64:
	v_lshlrev_b32_e32 v2, 24, v3
	v_and_b32_e32 v3, 0xffff, v3
	v_and_b32_e32 v5, 7, v3
	v_ffbh_u32_e32 v7, v5
	v_min_u32_e32 v7, 32, v7
	v_subrev_u32_e32 v8, 28, v7
	v_bfe_u32 v6, v3, 3, 4
	v_lshlrev_b32_e32 v3, v8, v3
	v_sub_u32_e32 v7, 29, v7
	v_and_b32_e32 v3, 7, v3
	v_cmp_eq_u32_e32 vcc, 0, v6
	v_cndmask_b32_e32 v6, v6, v7, vcc
	v_cndmask_b32_e32 v3, v5, v3, vcc
	v_mov_b32_e32 v5, 0x3b800000
	v_lshlrev_b32_e32 v3, 20, v3
	v_and_b32_e32 v2, 0x80000000, v2
	v_lshl_add_u32 v5, v6, 23, v5
	v_or3_b32 v2, v2, v5, v3
	v_cvt_i32_f32_e32 v2, v2
.LBB70_65:
	s_or_b64 exec, exec, s[0:1]
.LBB70_66:
	s_mov_b64 s[0:1], -1
.LBB70_67:
	s_branch .LBB70_100
.LBB70_68:
	s_cmp_gt_i32 s19, 22
	s_cbranch_scc0 .LBB70_76
; %bb.69:
	s_cmp_lt_i32 s19, 24
	s_cbranch_scc1 .LBB70_79
; %bb.70:
	s_cmp_gt_i32 s19, 24
	s_cbranch_scc0 .LBB70_80
; %bb.71:
	global_load_ubyte v3, v[0:1], off
	s_movk_i32 s0, 0x7f
	s_mov_b64 s[6:7], 0
	s_waitcnt vmcnt(0)
	v_cmp_lt_i16_e32 vcc, s0, v3
	s_and_saveexec_b64 s[0:1], vcc
	s_xor_b64 s[0:1], exec, s[0:1]
	s_cbranch_execz .LBB70_92
; %bb.72:
	s_movk_i32 s6, 0x80
	v_cmp_ne_u16_e32 vcc, s6, v3
	s_and_b64 s[6:7], vcc, exec
	s_andn2_saveexec_b64 s[0:1], s[0:1]
	s_cbranch_execnz .LBB70_93
.LBB70_73:
	s_or_b64 exec, exec, s[0:1]
	v_mov_b32_e32 v2, 0
	s_and_saveexec_b64 s[0:1], s[6:7]
	s_cbranch_execz .LBB70_75
.LBB70_74:
	v_lshlrev_b32_e32 v2, 24, v3
	v_and_b32_e32 v3, 0xffff, v3
	v_and_b32_e32 v5, 3, v3
	v_ffbh_u32_e32 v7, v5
	v_min_u32_e32 v7, 32, v7
	v_subrev_u32_e32 v8, 29, v7
	v_bfe_u32 v6, v3, 2, 5
	v_lshlrev_b32_e32 v3, v8, v3
	v_sub_u32_e32 v7, 30, v7
	v_and_b32_e32 v3, 3, v3
	v_cmp_eq_u32_e32 vcc, 0, v6
	v_cndmask_b32_e32 v6, v6, v7, vcc
	v_cndmask_b32_e32 v3, v5, v3, vcc
	v_mov_b32_e32 v5, 0x37800000
	v_lshlrev_b32_e32 v3, 21, v3
	v_and_b32_e32 v2, 0x80000000, v2
	v_lshl_add_u32 v5, v6, 23, v5
	v_or3_b32 v2, v2, v5, v3
	v_cvt_i32_f32_e32 v2, v2
.LBB70_75:
	s_or_b64 exec, exec, s[0:1]
	s_mov_b64 s[0:1], 0
	s_branch .LBB70_81
.LBB70_76:
	s_mov_b64 s[6:7], -1
                                        ; implicit-def: $vgpr2
	s_branch .LBB70_87
.LBB70_77:
	s_andn2_saveexec_b64 s[0:1], s[0:1]
	s_cbranch_execz .LBB70_63
.LBB70_78:
	v_cmp_ne_u16_e32 vcc, 0, v3
	s_andn2_b64 s[6:7], s[6:7], exec
	s_and_b64 s[24:25], vcc, exec
	s_or_b64 s[6:7], s[6:7], s[24:25]
	s_or_b64 exec, exec, s[0:1]
	v_mov_b32_e32 v2, 0
	s_and_saveexec_b64 s[0:1], s[6:7]
	s_cbranch_execnz .LBB70_64
	s_branch .LBB70_65
.LBB70_79:
	s_mov_b64 s[0:1], -1
                                        ; implicit-def: $vgpr2
	s_branch .LBB70_84
.LBB70_80:
	s_mov_b64 s[0:1], -1
                                        ; implicit-def: $vgpr2
.LBB70_81:
	s_and_b64 vcc, exec, s[0:1]
	s_cbranch_vccz .LBB70_83
; %bb.82:
	global_load_ubyte v2, v[0:1], off
	s_mov_b32 s0, 0x7f800000
	s_waitcnt vmcnt(0)
	v_lshlrev_b32_e32 v2, 24, v2
	v_and_b32_e32 v3, 0x7f000000, v2
	v_ffbh_u32_e32 v5, v3
	v_min_u32_e32 v5, 32, v5
	v_sub_u32_e64 v5, v5, 4 clamp
	v_lshlrev_b32_e32 v7, v5, v3
	v_lshlrev_b32_e32 v5, 23, v5
	v_lshrrev_b32_e32 v7, 4, v7
	v_add_u32_e32 v6, 0x1000000, v3
	v_sub_u32_e32 v5, v7, v5
	v_ashrrev_i32_e32 v6, 8, v6
	v_add_u32_e32 v5, 0x3c000000, v5
	v_and_or_b32 v5, v6, s0, v5
	v_cmp_ne_u32_e32 vcc, 0, v3
	v_cndmask_b32_e32 v3, 0, v5, vcc
	s_brev_b32 s0, 1
	v_and_or_b32 v2, v2, s0, v3
	v_cvt_i32_f32_e32 v2, v2
.LBB70_83:
	s_mov_b64 s[0:1], 0
.LBB70_84:
	s_andn2_b64 vcc, exec, s[0:1]
	s_cbranch_vccnz .LBB70_86
; %bb.85:
	global_load_ubyte v2, v[0:1], off
	s_movk_i32 s0, 0x7f00
	s_brev_b32 s1, 16
	s_waitcnt vmcnt(0)
	v_lshlrev_b16_e32 v3, 8, v2
	v_lshlrev_b32_e32 v2, 25, v2
	v_lshrrev_b32_e32 v5, 4, v2
	v_and_or_b32 v6, v3, s0, 0.5
	v_or_b32_e32 v5, 0x70000000, v5
	v_add_f32_e32 v6, -0.5, v6
	v_mul_f32_e32 v5, 0x7800000, v5
	v_cmp_gt_u32_e32 vcc, s1, v2
	v_bfe_i32 v3, v3, 0, 16
	v_cndmask_b32_e32 v2, v5, v6, vcc
	s_brev_b32 s0, 1
	v_and_or_b32 v2, v3, s0, v2
	v_cvt_i32_f32_e32 v2, v2
.LBB70_86:
	s_mov_b64 s[6:7], 0
	s_mov_b64 s[0:1], -1
.LBB70_87:
	s_andn2_b64 vcc, exec, s[6:7]
	s_cbranch_vccnz .LBB70_100
; %bb.88:
	s_cmp_gt_i32 s19, 14
	s_cbranch_scc0 .LBB70_91
; %bb.89:
	s_cmp_eq_u32 s19, 15
	s_cbranch_scc0 .LBB70_94
; %bb.90:
	global_load_ushort v2, v[0:1], off
	s_mov_b64 s[0:1], -1
	s_mov_b64 s[20:21], 0
	s_waitcnt vmcnt(0)
	v_lshlrev_b32_e32 v2, 16, v2
	v_cvt_i32_f32_e32 v2, v2
	s_branch .LBB70_95
.LBB70_91:
	s_mov_b64 s[6:7], -1
                                        ; implicit-def: $vgpr2
	s_branch .LBB70_96
.LBB70_92:
	s_andn2_saveexec_b64 s[0:1], s[0:1]
	s_cbranch_execz .LBB70_73
.LBB70_93:
	v_cmp_ne_u16_e32 vcc, 0, v3
	s_andn2_b64 s[6:7], s[6:7], exec
	s_and_b64 s[24:25], vcc, exec
	s_or_b64 s[6:7], s[6:7], s[24:25]
	s_or_b64 exec, exec, s[0:1]
	v_mov_b32_e32 v2, 0
	s_and_saveexec_b64 s[0:1], s[6:7]
	s_cbranch_execnz .LBB70_74
	s_branch .LBB70_75
.LBB70_94:
	s_mov_b64 s[20:21], -1
                                        ; implicit-def: $vgpr2
.LBB70_95:
	s_mov_b64 s[6:7], 0
.LBB70_96:
	s_and_b64 vcc, exec, s[6:7]
	s_cbranch_vccz .LBB70_100
; %bb.97:
	s_cmp_eq_u32 s19, 11
	s_cbranch_scc0 .LBB70_99
; %bb.98:
	global_load_ubyte v2, v[0:1], off
	s_mov_b64 s[0:1], -1
	s_mov_b64 s[20:21], 0
	s_waitcnt vmcnt(0)
	v_cmp_ne_u16_e32 vcc, 0, v2
	v_cndmask_b32_e64 v2, 0, 1, vcc
	s_branch .LBB70_100
.LBB70_99:
	s_mov_b64 s[20:21], -1
                                        ; implicit-def: $vgpr2
.LBB70_100:
	s_branch .LBB70_10
.LBB70_101:
	s_and_b32 s6, 0xffff, s18
	s_cmp_lt_i32 s6, 5
	s_cbranch_scc1 .LBB70_106
; %bb.102:
	s_cmp_lt_i32 s6, 8
	s_cbranch_scc1 .LBB70_107
; %bb.103:
	;; [unrolled: 3-line block ×3, first 2 shown]
	s_cmp_gt_i32 s6, 9
	s_cbranch_scc0 .LBB70_109
; %bb.105:
	global_load_dwordx2 v[2:3], v[0:1], off
	s_mov_b64 s[0:1], 0
	s_waitcnt vmcnt(0)
	v_cvt_i32_f64_e32 v2, v[2:3]
	s_branch .LBB70_110
.LBB70_106:
                                        ; implicit-def: $vgpr2
	s_branch .LBB70_128
.LBB70_107:
	s_mov_b64 s[0:1], -1
                                        ; implicit-def: $vgpr2
	s_branch .LBB70_116
.LBB70_108:
	s_mov_b64 s[0:1], -1
                                        ; implicit-def: $vgpr2
	s_branch .LBB70_113
.LBB70_109:
	s_mov_b64 s[0:1], -1
                                        ; implicit-def: $vgpr2
.LBB70_110:
	s_andn2_b64 vcc, exec, s[0:1]
	s_cbranch_vccnz .LBB70_112
; %bb.111:
	global_load_dword v2, v[0:1], off
	s_waitcnt vmcnt(0)
	v_cvt_i32_f32_e32 v2, v2
.LBB70_112:
	s_mov_b64 s[0:1], 0
.LBB70_113:
	s_andn2_b64 vcc, exec, s[0:1]
	s_cbranch_vccnz .LBB70_115
; %bb.114:
	global_load_dword v2, v[0:1], off
	s_waitcnt vmcnt(0)
	v_cvt_f32_f16_e32 v2, v2
	v_cvt_i32_f32_e32 v2, v2
.LBB70_115:
	s_mov_b64 s[0:1], 0
.LBB70_116:
	s_andn2_b64 vcc, exec, s[0:1]
	s_cbranch_vccnz .LBB70_127
; %bb.117:
	s_cmp_lt_i32 s6, 6
	s_cbranch_scc1 .LBB70_120
; %bb.118:
	s_cmp_gt_i32 s6, 6
	s_cbranch_scc0 .LBB70_121
; %bb.119:
	global_load_dwordx2 v[2:3], v[0:1], off
	s_mov_b64 s[0:1], 0
	s_waitcnt vmcnt(0)
	v_cvt_i32_f64_e32 v2, v[2:3]
	s_branch .LBB70_122
.LBB70_120:
	s_mov_b64 s[0:1], -1
                                        ; implicit-def: $vgpr2
	s_branch .LBB70_125
.LBB70_121:
	s_mov_b64 s[0:1], -1
                                        ; implicit-def: $vgpr2
.LBB70_122:
	s_andn2_b64 vcc, exec, s[0:1]
	s_cbranch_vccnz .LBB70_124
; %bb.123:
	global_load_dword v2, v[0:1], off
	s_waitcnt vmcnt(0)
	v_cvt_i32_f32_e32 v2, v2
.LBB70_124:
	s_mov_b64 s[0:1], 0
.LBB70_125:
	s_andn2_b64 vcc, exec, s[0:1]
	s_cbranch_vccnz .LBB70_127
; %bb.126:
	global_load_ushort v2, v[0:1], off
	s_waitcnt vmcnt(0)
	v_cvt_f32_f16_e32 v2, v2
	v_cvt_i32_f32_e32 v2, v2
.LBB70_127:
	s_cbranch_execnz .LBB70_147
.LBB70_128:
	s_cmp_lt_i32 s6, 2
	s_cbranch_scc1 .LBB70_132
; %bb.129:
	s_cmp_lt_i32 s6, 3
	s_cbranch_scc1 .LBB70_133
; %bb.130:
	s_cmp_gt_i32 s6, 3
	s_cbranch_scc0 .LBB70_134
; %bb.131:
	global_load_dword v2, v[0:1], off
	s_mov_b64 s[0:1], 0
	s_branch .LBB70_135
.LBB70_132:
	s_mov_b64 s[0:1], -1
                                        ; implicit-def: $vgpr2
	s_branch .LBB70_141
.LBB70_133:
	s_mov_b64 s[0:1], -1
                                        ; implicit-def: $vgpr2
	s_branch .LBB70_138
.LBB70_134:
	s_mov_b64 s[0:1], -1
                                        ; implicit-def: $vgpr2
.LBB70_135:
	s_andn2_b64 vcc, exec, s[0:1]
	s_cbranch_vccnz .LBB70_137
; %bb.136:
	global_load_dword v2, v[0:1], off
.LBB70_137:
	s_mov_b64 s[0:1], 0
.LBB70_138:
	s_andn2_b64 vcc, exec, s[0:1]
	s_cbranch_vccnz .LBB70_140
; %bb.139:
	global_load_sshort v2, v[0:1], off
.LBB70_140:
	s_mov_b64 s[0:1], 0
.LBB70_141:
	s_andn2_b64 vcc, exec, s[0:1]
	s_cbranch_vccnz .LBB70_147
; %bb.142:
	s_cmp_gt_i32 s6, 0
	s_cbranch_scc0 .LBB70_144
; %bb.143:
	global_load_sbyte v2, v[0:1], off
	s_mov_b64 s[0:1], 0
	s_branch .LBB70_145
.LBB70_144:
	s_mov_b64 s[0:1], -1
                                        ; implicit-def: $vgpr2
.LBB70_145:
	s_andn2_b64 vcc, exec, s[0:1]
	s_cbranch_vccnz .LBB70_147
; %bb.146:
	global_load_ubyte v2, v[0:1], off
.LBB70_147:
	s_branch .LBB70_11
.LBB70_148:
	s_mov_b64 s[0:1], 0
	s_mov_b64 s[18:19], 0
	s_branch .LBB70_373
.LBB70_149:
	s_mov_b64 s[18:19], -1
.LBB70_150:
	s_mov_b64 s[0:1], 0
                                        ; implicit-def: $vgpr3
.LBB70_151:
	s_and_b64 vcc, exec, s[6:7]
	s_cbranch_vccz .LBB70_267
; %bb.152:
	s_cmp_eq_u32 s25, 44
	s_cbranch_scc0 .LBB70_266
; %bb.153:
	global_load_ubyte v3, v[0:1], off
	s_mov_b64 s[0:1], -1
	s_mov_b64 s[18:19], 0
	s_waitcnt vmcnt(0)
	v_lshlrev_b32_e32 v5, 23, v3
	v_cvt_i32_f32_e32 v5, v5
	v_cmp_ne_u32_e32 vcc, 0, v3
	v_cndmask_b32_e32 v3, 0, v5, vcc
	s_branch .LBB70_267
.LBB70_154:
	s_mov_b64 s[24:25], -1
	s_mov_b64 s[0:1], 0
	s_mov_b64 s[6:7], 0
.LBB70_155:
	s_and_b64 vcc, exec, s[24:25]
	s_cbranch_vccz .LBB70_160
; %bb.156:
	s_cmp_eq_u32 s31, 44
	s_mov_b64 s[0:1], -1
	s_cbranch_scc0 .LBB70_160
; %bb.157:
	v_cvt_f32_i32_e32 v1, v0
	s_movk_i32 s0, 0xff
	v_mov_b32_e32 v6, 0xff
	v_bfe_u32 v5, v1, 23, 8
	v_cmp_ne_u32_e32 vcc, s0, v5
	s_and_saveexec_b64 s[6:7], vcc
; %bb.158:
	s_mov_b32 s0, 0x3fffff
	v_lshrrev_b32_e32 v6, 23, v1
	v_and_b32_e32 v7, 0x400000, v1
	v_and_or_b32 v1, v1, s0, v5
	v_cmp_ne_u32_e32 vcc, 0, v7
	v_cmp_ne_u32_e64 s[0:1], 0, v1
	s_and_b64 s[0:1], vcc, s[0:1]
	v_cndmask_b32_e64 v1, 0, 1, s[0:1]
	v_add_u32_e32 v6, v6, v1
; %bb.159:
	s_or_b64 exec, exec, s[6:7]
	s_mov_b64 s[6:7], -1
	s_mov_b64 s[0:1], 0
	global_store_byte v[2:3], v6, off
.LBB70_160:
	s_mov_b64 s[24:25], 0
.LBB70_161:
	s_and_b64 vcc, exec, s[24:25]
	s_cbranch_vccz .LBB70_164
; %bb.162:
	s_cmp_eq_u32 s31, 29
	s_mov_b64 s[0:1], -1
	s_cbranch_scc0 .LBB70_164
; %bb.163:
	v_ashrrev_i32_e32 v1, 31, v0
	global_store_dwordx2 v[2:3], v[0:1], off
	s_mov_b64 s[6:7], -1
	s_mov_b64 s[0:1], 0
.LBB70_164:
	s_mov_b64 s[24:25], 0
.LBB70_165:
	s_and_b64 vcc, exec, s[24:25]
	s_cbranch_vccz .LBB70_181
; %bb.166:
	s_cmp_lt_i32 s31, 27
	s_mov_b64 s[6:7], -1
	s_cbranch_scc1 .LBB70_172
; %bb.167:
	s_cmp_gt_i32 s31, 27
	s_cbranch_scc0 .LBB70_169
; %bb.168:
	s_mov_b64 s[6:7], 0
	global_store_dword v[2:3], v0, off
.LBB70_169:
	s_andn2_b64 vcc, exec, s[6:7]
	s_cbranch_vccnz .LBB70_171
; %bb.170:
	global_store_short v[2:3], v0, off
.LBB70_171:
	s_mov_b64 s[6:7], 0
.LBB70_172:
	s_andn2_b64 vcc, exec, s[6:7]
	s_cbranch_vccnz .LBB70_180
; %bb.173:
	v_cvt_f32_i32_e32 v1, v0
	s_mov_b32 s6, 0x43800000
	v_mov_b32_e32 v6, 0x80
	v_and_b32_e32 v5, 0x7fffffff, v1
	v_cmp_gt_u32_e32 vcc, s6, v5
	s_and_saveexec_b64 s[6:7], vcc
	s_cbranch_execz .LBB70_179
; %bb.174:
	s_mov_b32 s24, 0x3bffffff
	v_cmp_lt_u32_e32 vcc, s24, v5
	s_mov_b64 s[24:25], 0
                                        ; implicit-def: $vgpr5
	s_and_saveexec_b64 s[28:29], vcc
	s_xor_b64 s[28:29], exec, s[28:29]
	s_cbranch_execz .LBB70_404
; %bb.175:
	v_bfe_u32 v5, v1, 20, 1
	s_mov_b32 s34, 0x487ffff
	v_add3_u32 v5, v1, v5, s34
	s_mov_b64 s[24:25], exec
	v_lshrrev_b32_e32 v5, 20, v5
	s_andn2_saveexec_b64 s[28:29], s[28:29]
	s_cbranch_execnz .LBB70_405
.LBB70_176:
	s_or_b64 exec, exec, s[28:29]
	v_mov_b32_e32 v6, 0
	s_and_saveexec_b64 s[28:29], s[24:25]
.LBB70_177:
	v_lshrrev_b32_e32 v1, 24, v1
	s_movk_i32 s24, 0x80
	v_and_or_b32 v6, v1, s24, v5
.LBB70_178:
	s_or_b64 exec, exec, s[28:29]
.LBB70_179:
	s_or_b64 exec, exec, s[6:7]
	global_store_byte v[2:3], v6, off
.LBB70_180:
	s_mov_b64 s[6:7], -1
.LBB70_181:
	s_mov_b64 s[24:25], 0
.LBB70_182:
	s_and_b64 vcc, exec, s[24:25]
	s_cbranch_vccz .LBB70_223
; %bb.183:
	s_cmp_gt_i32 s31, 22
	s_mov_b64 s[24:25], -1
	s_cbranch_scc0 .LBB70_215
; %bb.184:
	s_cmp_lt_i32 s31, 24
	s_mov_b64 s[6:7], -1
	s_cbranch_scc1 .LBB70_204
; %bb.185:
	s_cmp_gt_i32 s31, 24
	s_cbranch_scc0 .LBB70_193
; %bb.186:
	v_cvt_f32_i32_e32 v1, v0
	s_mov_b32 s6, 0x47800000
	v_mov_b32_e32 v6, 0x80
	v_and_b32_e32 v5, 0x7fffffff, v1
	v_cmp_gt_u32_e32 vcc, s6, v5
	s_and_saveexec_b64 s[6:7], vcc
	s_cbranch_execz .LBB70_192
; %bb.187:
	s_mov_b32 s24, 0x37ffffff
	v_cmp_lt_u32_e32 vcc, s24, v5
	s_mov_b64 s[24:25], 0
                                        ; implicit-def: $vgpr5
	s_and_saveexec_b64 s[28:29], vcc
	s_xor_b64 s[28:29], exec, s[28:29]
	s_cbranch_execz .LBB70_519
; %bb.188:
	v_bfe_u32 v5, v1, 21, 1
	s_mov_b32 s34, 0x88fffff
	v_add3_u32 v5, v1, v5, s34
	s_mov_b64 s[24:25], exec
	v_lshrrev_b32_e32 v5, 21, v5
	s_andn2_saveexec_b64 s[28:29], s[28:29]
	s_cbranch_execnz .LBB70_520
.LBB70_189:
	s_or_b64 exec, exec, s[28:29]
	v_mov_b32_e32 v6, 0
	s_and_saveexec_b64 s[28:29], s[24:25]
.LBB70_190:
	v_lshrrev_b32_e32 v1, 24, v1
	s_movk_i32 s24, 0x80
	v_and_or_b32 v6, v1, s24, v5
.LBB70_191:
	s_or_b64 exec, exec, s[28:29]
.LBB70_192:
	s_or_b64 exec, exec, s[6:7]
	s_mov_b64 s[6:7], 0
	global_store_byte v[2:3], v6, off
.LBB70_193:
	s_and_b64 vcc, exec, s[6:7]
	s_cbranch_vccz .LBB70_203
; %bb.194:
	v_cvt_f32_i32_e32 v1, v0
	s_mov_b32 s6, 0x43f00000
                                        ; implicit-def: $vgpr5
	v_and_b32_e32 v6, 0x7fffffff, v1
	v_cmp_gt_u32_e32 vcc, s6, v6
	s_and_saveexec_b64 s[6:7], vcc
	s_xor_b64 s[6:7], exec, s[6:7]
	s_cbranch_execz .LBB70_200
; %bb.195:
	s_mov_b32 s24, 0x3c7fffff
	v_cmp_lt_u32_e32 vcc, s24, v6
                                        ; implicit-def: $vgpr5
	s_and_saveexec_b64 s[24:25], vcc
	s_xor_b64 s[24:25], exec, s[24:25]
; %bb.196:
	v_bfe_u32 v5, v1, 20, 1
	s_mov_b32 s28, 0x407ffff
	v_add3_u32 v5, v1, v5, s28
	v_lshrrev_b32_e32 v6, 20, v5
	v_and_b32_e32 v5, 0xff00000, v5
	s_mov_b32 s28, 0x7f00000
	v_mov_b32_e32 v7, 0x7e
	v_cmp_ne_u32_e32 vcc, s28, v5
	v_cndmask_b32_e32 v5, v7, v6, vcc
; %bb.197:
	s_andn2_saveexec_b64 s[24:25], s[24:25]
; %bb.198:
	s_mov_b32 s28, 0x46800000
	v_add_f32_e64 v5, |v1|, s28
; %bb.199:
	s_or_b64 exec, exec, s[24:25]
                                        ; implicit-def: $vgpr6
.LBB70_200:
	s_andn2_saveexec_b64 s[6:7], s[6:7]
; %bb.201:
	s_mov_b32 s24, 0x7f800000
	v_mov_b32_e32 v5, 0x7e
	v_mov_b32_e32 v7, 0x7f
	v_cmp_lt_u32_e32 vcc, s24, v6
	v_cndmask_b32_e32 v5, v5, v7, vcc
; %bb.202:
	s_or_b64 exec, exec, s[6:7]
	v_lshrrev_b32_e32 v1, 24, v1
	s_movk_i32 s6, 0x80
	v_and_or_b32 v1, v1, s6, v5
	global_store_byte v[2:3], v1, off
.LBB70_203:
	s_mov_b64 s[6:7], 0
.LBB70_204:
	s_andn2_b64 vcc, exec, s[6:7]
	s_cbranch_vccnz .LBB70_214
; %bb.205:
	v_cvt_f32_i32_e32 v1, v0
	s_mov_b32 s6, 0x47800000
                                        ; implicit-def: $vgpr5
	v_and_b32_e32 v6, 0x7fffffff, v1
	v_cmp_gt_u32_e32 vcc, s6, v6
	s_and_saveexec_b64 s[6:7], vcc
	s_xor_b64 s[6:7], exec, s[6:7]
	s_cbranch_execz .LBB70_211
; %bb.206:
	s_mov_b32 s24, 0x387fffff
	v_cmp_lt_u32_e32 vcc, s24, v6
                                        ; implicit-def: $vgpr5
	s_and_saveexec_b64 s[24:25], vcc
	s_xor_b64 s[24:25], exec, s[24:25]
; %bb.207:
	v_bfe_u32 v5, v1, 21, 1
	s_mov_b32 s28, 0x80fffff
	v_add3_u32 v5, v1, v5, s28
	v_lshrrev_b32_e32 v5, 21, v5
; %bb.208:
	s_andn2_saveexec_b64 s[24:25], s[24:25]
; %bb.209:
	s_mov_b32 s28, 0x43000000
	v_add_f32_e64 v5, |v1|, s28
; %bb.210:
	s_or_b64 exec, exec, s[24:25]
                                        ; implicit-def: $vgpr6
.LBB70_211:
	s_andn2_saveexec_b64 s[6:7], s[6:7]
; %bb.212:
	s_mov_b32 s24, 0x7f800000
	v_mov_b32_e32 v5, 0x7c
	v_mov_b32_e32 v7, 0x7f
	v_cmp_lt_u32_e32 vcc, s24, v6
	v_cndmask_b32_e32 v5, v5, v7, vcc
; %bb.213:
	s_or_b64 exec, exec, s[6:7]
	v_lshrrev_b32_e32 v1, 24, v1
	s_movk_i32 s6, 0x80
	v_and_or_b32 v1, v1, s6, v5
	global_store_byte v[2:3], v1, off
.LBB70_214:
	s_mov_b64 s[24:25], 0
	s_mov_b64 s[6:7], -1
.LBB70_215:
	s_andn2_b64 vcc, exec, s[24:25]
	s_cbranch_vccnz .LBB70_223
; %bb.216:
	s_cmp_gt_i32 s31, 14
	s_mov_b64 s[24:25], -1
	s_cbranch_scc0 .LBB70_220
; %bb.217:
	s_cmp_eq_u32 s31, 15
	s_mov_b64 s[0:1], -1
	s_cbranch_scc0 .LBB70_219
; %bb.218:
	v_cvt_f32_i32_e32 v1, v0
	s_movk_i32 s0, 0x7fff
	s_mov_b64 s[6:7], -1
	v_bfe_u32 v5, v1, 16, 1
	v_add3_u32 v1, v1, v5, s0
	global_store_short_d16_hi v[2:3], v1, off
	s_mov_b64 s[0:1], 0
.LBB70_219:
	s_mov_b64 s[24:25], 0
.LBB70_220:
	s_and_b64 vcc, exec, s[24:25]
	s_cbranch_vccz .LBB70_223
; %bb.221:
	s_cmp_eq_u32 s31, 11
	s_mov_b64 s[0:1], -1
	s_cbranch_scc0 .LBB70_223
; %bb.222:
	v_cmp_ne_u32_e32 vcc, 0, v0
	v_cndmask_b32_e64 v1, 0, 1, vcc
	s_mov_b64 s[6:7], -1
	s_mov_b64 s[0:1], 0
	global_store_byte v[2:3], v1, off
.LBB70_223:
	s_mov_b64 s[24:25], 0
.LBB70_224:
	s_and_b64 vcc, exec, s[24:25]
	s_cbranch_vccz .LBB70_263
; %bb.225:
	s_and_b32 s24, 0xffff, s30
	s_cmp_lt_i32 s24, 5
	s_mov_b64 s[6:7], -1
	s_cbranch_scc1 .LBB70_246
; %bb.226:
	s_cmp_lt_i32 s24, 8
	s_cbranch_scc1 .LBB70_236
; %bb.227:
	s_cmp_lt_i32 s24, 9
	s_cbranch_scc1 .LBB70_233
; %bb.228:
	s_cmp_gt_i32 s24, 9
	s_cbranch_scc0 .LBB70_230
; %bb.229:
	v_cvt_f64_i32_e32 v[5:6], v0
	v_mov_b32_e32 v7, 0
	v_mov_b32_e32 v8, v7
	s_mov_b64 s[6:7], 0
	global_store_dwordx4 v[2:3], v[5:8], off
.LBB70_230:
	s_andn2_b64 vcc, exec, s[6:7]
	s_cbranch_vccnz .LBB70_232
; %bb.231:
	v_cvt_f32_i32_e32 v5, v0
	v_mov_b32_e32 v6, 0
	global_store_dwordx2 v[2:3], v[5:6], off
.LBB70_232:
	s_mov_b64 s[6:7], 0
.LBB70_233:
	s_andn2_b64 vcc, exec, s[6:7]
	s_cbranch_vccnz .LBB70_235
; %bb.234:
	v_cvt_f32_i32_e32 v1, v0
	v_cvt_f16_f32_e32 v1, v1
	global_store_dword v[2:3], v1, off
.LBB70_235:
	s_mov_b64 s[6:7], 0
.LBB70_236:
	s_andn2_b64 vcc, exec, s[6:7]
	s_cbranch_vccnz .LBB70_245
; %bb.237:
	s_cmp_lt_i32 s24, 6
	s_mov_b64 s[6:7], -1
	s_cbranch_scc1 .LBB70_243
; %bb.238:
	s_cmp_gt_i32 s24, 6
	s_cbranch_scc0 .LBB70_240
; %bb.239:
	v_cvt_f64_i32_e32 v[5:6], v0
	s_mov_b64 s[6:7], 0
	global_store_dwordx2 v[2:3], v[5:6], off
.LBB70_240:
	s_andn2_b64 vcc, exec, s[6:7]
	s_cbranch_vccnz .LBB70_242
; %bb.241:
	v_cvt_f32_i32_e32 v1, v0
	global_store_dword v[2:3], v1, off
.LBB70_242:
	s_mov_b64 s[6:7], 0
.LBB70_243:
	s_andn2_b64 vcc, exec, s[6:7]
	s_cbranch_vccnz .LBB70_245
; %bb.244:
	v_cvt_f32_i32_e32 v1, v0
	v_cvt_f16_f32_e32 v1, v1
	global_store_short v[2:3], v1, off
.LBB70_245:
	s_mov_b64 s[6:7], 0
.LBB70_246:
	s_andn2_b64 vcc, exec, s[6:7]
	s_cbranch_vccnz .LBB70_262
; %bb.247:
	s_cmp_lt_i32 s24, 2
	s_mov_b64 s[6:7], -1
	s_cbranch_scc1 .LBB70_257
; %bb.248:
	s_cmp_lt_i32 s24, 3
	s_cbranch_scc1 .LBB70_254
; %bb.249:
	s_cmp_gt_i32 s24, 3
	s_cbranch_scc0 .LBB70_251
; %bb.250:
	v_ashrrev_i32_e32 v1, 31, v0
	global_store_dwordx2 v[2:3], v[0:1], off
	s_mov_b64 s[6:7], 0
.LBB70_251:
	s_andn2_b64 vcc, exec, s[6:7]
	s_cbranch_vccnz .LBB70_253
; %bb.252:
	global_store_dword v[2:3], v0, off
.LBB70_253:
	s_mov_b64 s[6:7], 0
.LBB70_254:
	s_andn2_b64 vcc, exec, s[6:7]
	s_cbranch_vccnz .LBB70_256
; %bb.255:
	global_store_short v[2:3], v0, off
.LBB70_256:
	s_mov_b64 s[6:7], 0
.LBB70_257:
	s_andn2_b64 vcc, exec, s[6:7]
	s_cbranch_vccnz .LBB70_262
; %bb.258:
	s_cmp_gt_i32 s24, 0
	s_mov_b64 s[6:7], -1
	s_cbranch_scc0 .LBB70_260
; %bb.259:
	global_store_byte v[2:3], v0, off
	s_mov_b64 s[6:7], 0
.LBB70_260:
	s_andn2_b64 vcc, exec, s[6:7]
	s_cbranch_vccnz .LBB70_262
; %bb.261:
	global_store_byte v[2:3], v0, off
.LBB70_262:
	s_mov_b64 s[6:7], -1
.LBB70_263:
	s_andn2_b64 vcc, exec, s[6:7]
	s_cbranch_vccnz .LBB70_265
; %bb.264:
	v_add_u32_e32 v4, 0x80, v4
	s_mov_b64 s[24:25], -1
	s_branch .LBB70_374
.LBB70_265:
	s_mov_b64 s[24:25], 0
                                        ; implicit-def: $vgpr4
	s_branch .LBB70_374
.LBB70_266:
	s_mov_b64 s[18:19], -1
                                        ; implicit-def: $vgpr3
.LBB70_267:
	s_mov_b64 s[6:7], 0
.LBB70_268:
	s_and_b64 vcc, exec, s[6:7]
	s_cbranch_vccz .LBB70_272
; %bb.269:
	s_cmp_eq_u32 s25, 29
	s_cbranch_scc0 .LBB70_271
; %bb.270:
	global_load_dword v3, v[0:1], off
	s_mov_b64 s[0:1], -1
	s_mov_b64 s[18:19], 0
	s_branch .LBB70_272
.LBB70_271:
	s_mov_b64 s[18:19], -1
                                        ; implicit-def: $vgpr3
.LBB70_272:
	s_mov_b64 s[6:7], 0
.LBB70_273:
	s_and_b64 vcc, exec, s[6:7]
	s_cbranch_vccz .LBB70_289
; %bb.274:
	s_cmp_lt_i32 s25, 27
	s_cbranch_scc1 .LBB70_277
; %bb.275:
	s_cmp_gt_i32 s25, 27
	s_cbranch_scc0 .LBB70_278
; %bb.276:
	global_load_dword v3, v[0:1], off
	s_mov_b64 s[0:1], 0
	s_branch .LBB70_279
.LBB70_277:
	s_mov_b64 s[0:1], -1
                                        ; implicit-def: $vgpr3
	s_branch .LBB70_282
.LBB70_278:
	s_mov_b64 s[0:1], -1
                                        ; implicit-def: $vgpr3
.LBB70_279:
	s_andn2_b64 vcc, exec, s[0:1]
	s_cbranch_vccnz .LBB70_281
; %bb.280:
	global_load_ushort v3, v[0:1], off
.LBB70_281:
	s_mov_b64 s[0:1], 0
.LBB70_282:
	s_andn2_b64 vcc, exec, s[0:1]
	s_cbranch_vccnz .LBB70_288
; %bb.283:
	global_load_ubyte v5, v[0:1], off
	s_movk_i32 s0, 0x7f
	s_mov_b64 s[6:7], 0
	s_waitcnt vmcnt(0)
	v_cmp_lt_i16_e32 vcc, s0, v5
	s_and_saveexec_b64 s[0:1], vcc
	s_xor_b64 s[0:1], exec, s[0:1]
	s_cbranch_execz .LBB70_300
; %bb.284:
	s_movk_i32 s6, 0x80
	v_cmp_ne_u16_e32 vcc, s6, v5
	s_and_b64 s[6:7], vcc, exec
	s_andn2_saveexec_b64 s[0:1], s[0:1]
	s_cbranch_execnz .LBB70_301
.LBB70_285:
	s_or_b64 exec, exec, s[0:1]
	v_mov_b32_e32 v3, 0
	s_and_saveexec_b64 s[0:1], s[6:7]
	s_cbranch_execz .LBB70_287
.LBB70_286:
	v_lshlrev_b32_e32 v3, 24, v5
	v_and_b32_e32 v5, 0xffff, v5
	v_and_b32_e32 v6, 7, v5
	v_ffbh_u32_e32 v8, v6
	v_min_u32_e32 v8, 32, v8
	v_subrev_u32_e32 v9, 28, v8
	v_bfe_u32 v7, v5, 3, 4
	v_lshlrev_b32_e32 v5, v9, v5
	v_sub_u32_e32 v8, 29, v8
	v_and_b32_e32 v5, 7, v5
	v_cmp_eq_u32_e32 vcc, 0, v7
	v_cndmask_b32_e32 v7, v7, v8, vcc
	v_cndmask_b32_e32 v5, v6, v5, vcc
	v_mov_b32_e32 v6, 0x3b800000
	v_lshlrev_b32_e32 v5, 20, v5
	v_and_b32_e32 v3, 0x80000000, v3
	v_lshl_add_u32 v6, v7, 23, v6
	v_or3_b32 v3, v3, v6, v5
	v_cvt_i32_f32_e32 v3, v3
.LBB70_287:
	s_or_b64 exec, exec, s[0:1]
.LBB70_288:
	s_mov_b64 s[0:1], -1
.LBB70_289:
	s_mov_b64 s[6:7], 0
.LBB70_290:
	s_and_b64 vcc, exec, s[6:7]
	s_cbranch_vccz .LBB70_323
; %bb.291:
	s_cmp_gt_i32 s25, 22
	s_cbranch_scc0 .LBB70_299
; %bb.292:
	s_cmp_lt_i32 s25, 24
	s_cbranch_scc1 .LBB70_302
; %bb.293:
	s_cmp_gt_i32 s25, 24
	s_cbranch_scc0 .LBB70_303
; %bb.294:
	global_load_ubyte v5, v[0:1], off
	s_movk_i32 s0, 0x7f
	s_mov_b64 s[6:7], 0
	s_waitcnt vmcnt(0)
	v_cmp_lt_i16_e32 vcc, s0, v5
	s_and_saveexec_b64 s[0:1], vcc
	s_xor_b64 s[0:1], exec, s[0:1]
	s_cbranch_execz .LBB70_315
; %bb.295:
	s_movk_i32 s6, 0x80
	v_cmp_ne_u16_e32 vcc, s6, v5
	s_and_b64 s[6:7], vcc, exec
	s_andn2_saveexec_b64 s[0:1], s[0:1]
	s_cbranch_execnz .LBB70_316
.LBB70_296:
	s_or_b64 exec, exec, s[0:1]
	v_mov_b32_e32 v3, 0
	s_and_saveexec_b64 s[0:1], s[6:7]
	s_cbranch_execz .LBB70_298
.LBB70_297:
	v_lshlrev_b32_e32 v3, 24, v5
	v_and_b32_e32 v5, 0xffff, v5
	v_and_b32_e32 v6, 3, v5
	v_ffbh_u32_e32 v8, v6
	v_min_u32_e32 v8, 32, v8
	v_subrev_u32_e32 v9, 29, v8
	v_bfe_u32 v7, v5, 2, 5
	v_lshlrev_b32_e32 v5, v9, v5
	v_sub_u32_e32 v8, 30, v8
	v_and_b32_e32 v5, 3, v5
	v_cmp_eq_u32_e32 vcc, 0, v7
	v_cndmask_b32_e32 v7, v7, v8, vcc
	v_cndmask_b32_e32 v5, v6, v5, vcc
	v_mov_b32_e32 v6, 0x37800000
	v_lshlrev_b32_e32 v5, 21, v5
	v_and_b32_e32 v3, 0x80000000, v3
	v_lshl_add_u32 v6, v7, 23, v6
	v_or3_b32 v3, v3, v6, v5
	v_cvt_i32_f32_e32 v3, v3
.LBB70_298:
	s_or_b64 exec, exec, s[0:1]
	s_mov_b64 s[0:1], 0
	s_branch .LBB70_304
.LBB70_299:
	s_mov_b64 s[6:7], -1
                                        ; implicit-def: $vgpr3
	s_branch .LBB70_310
.LBB70_300:
	s_andn2_saveexec_b64 s[0:1], s[0:1]
	s_cbranch_execz .LBB70_285
.LBB70_301:
	v_cmp_ne_u16_e32 vcc, 0, v5
	s_andn2_b64 s[6:7], s[6:7], exec
	s_and_b64 s[28:29], vcc, exec
	s_or_b64 s[6:7], s[6:7], s[28:29]
	s_or_b64 exec, exec, s[0:1]
	v_mov_b32_e32 v3, 0
	s_and_saveexec_b64 s[0:1], s[6:7]
	s_cbranch_execnz .LBB70_286
	s_branch .LBB70_287
.LBB70_302:
	s_mov_b64 s[0:1], -1
                                        ; implicit-def: $vgpr3
	s_branch .LBB70_307
.LBB70_303:
	s_mov_b64 s[0:1], -1
                                        ; implicit-def: $vgpr3
.LBB70_304:
	s_and_b64 vcc, exec, s[0:1]
	s_cbranch_vccz .LBB70_306
; %bb.305:
	global_load_ubyte v3, v[0:1], off
	s_mov_b32 s0, 0x7f800000
	s_waitcnt vmcnt(0)
	v_lshlrev_b32_e32 v3, 24, v3
	v_and_b32_e32 v5, 0x7f000000, v3
	v_ffbh_u32_e32 v6, v5
	v_min_u32_e32 v6, 32, v6
	v_sub_u32_e64 v6, v6, 4 clamp
	v_lshlrev_b32_e32 v8, v6, v5
	v_lshlrev_b32_e32 v6, 23, v6
	v_lshrrev_b32_e32 v8, 4, v8
	v_add_u32_e32 v7, 0x1000000, v5
	v_sub_u32_e32 v6, v8, v6
	v_ashrrev_i32_e32 v7, 8, v7
	v_add_u32_e32 v6, 0x3c000000, v6
	v_and_or_b32 v6, v7, s0, v6
	v_cmp_ne_u32_e32 vcc, 0, v5
	v_cndmask_b32_e32 v5, 0, v6, vcc
	s_brev_b32 s0, 1
	v_and_or_b32 v3, v3, s0, v5
	v_cvt_i32_f32_e32 v3, v3
.LBB70_306:
	s_mov_b64 s[0:1], 0
.LBB70_307:
	s_andn2_b64 vcc, exec, s[0:1]
	s_cbranch_vccnz .LBB70_309
; %bb.308:
	global_load_ubyte v3, v[0:1], off
	s_movk_i32 s0, 0x7f00
	s_brev_b32 s1, 16
	s_waitcnt vmcnt(0)
	v_lshlrev_b16_e32 v5, 8, v3
	v_lshlrev_b32_e32 v3, 25, v3
	v_lshrrev_b32_e32 v6, 4, v3
	v_and_or_b32 v7, v5, s0, 0.5
	v_or_b32_e32 v6, 0x70000000, v6
	v_add_f32_e32 v7, -0.5, v7
	v_mul_f32_e32 v6, 0x7800000, v6
	v_cmp_gt_u32_e32 vcc, s1, v3
	v_bfe_i32 v5, v5, 0, 16
	v_cndmask_b32_e32 v3, v6, v7, vcc
	s_brev_b32 s0, 1
	v_and_or_b32 v3, v5, s0, v3
	v_cvt_i32_f32_e32 v3, v3
.LBB70_309:
	s_mov_b64 s[6:7], 0
	s_mov_b64 s[0:1], -1
.LBB70_310:
	s_andn2_b64 vcc, exec, s[6:7]
	s_cbranch_vccnz .LBB70_323
; %bb.311:
	s_cmp_gt_i32 s25, 14
	s_cbranch_scc0 .LBB70_314
; %bb.312:
	s_cmp_eq_u32 s25, 15
	s_cbranch_scc0 .LBB70_317
; %bb.313:
	global_load_ushort v3, v[0:1], off
	s_mov_b64 s[0:1], -1
	s_mov_b64 s[18:19], 0
	s_waitcnt vmcnt(0)
	v_lshlrev_b32_e32 v3, 16, v3
	v_cvt_i32_f32_e32 v3, v3
	s_branch .LBB70_318
.LBB70_314:
	s_mov_b64 s[6:7], -1
                                        ; implicit-def: $vgpr3
	s_branch .LBB70_319
.LBB70_315:
	s_andn2_saveexec_b64 s[0:1], s[0:1]
	s_cbranch_execz .LBB70_296
.LBB70_316:
	v_cmp_ne_u16_e32 vcc, 0, v5
	s_andn2_b64 s[6:7], s[6:7], exec
	s_and_b64 s[28:29], vcc, exec
	s_or_b64 s[6:7], s[6:7], s[28:29]
	s_or_b64 exec, exec, s[0:1]
	v_mov_b32_e32 v3, 0
	s_and_saveexec_b64 s[0:1], s[6:7]
	s_cbranch_execnz .LBB70_297
	s_branch .LBB70_298
.LBB70_317:
	s_mov_b64 s[18:19], -1
                                        ; implicit-def: $vgpr3
.LBB70_318:
	s_mov_b64 s[6:7], 0
.LBB70_319:
	s_and_b64 vcc, exec, s[6:7]
	s_cbranch_vccz .LBB70_323
; %bb.320:
	s_cmp_eq_u32 s25, 11
	s_cbranch_scc0 .LBB70_322
; %bb.321:
	global_load_ubyte v3, v[0:1], off
	s_mov_b64 s[0:1], -1
	s_mov_b64 s[18:19], 0
	s_waitcnt vmcnt(0)
	v_cmp_ne_u16_e32 vcc, 0, v3
	v_cndmask_b32_e64 v3, 0, 1, vcc
	s_branch .LBB70_323
.LBB70_322:
	s_mov_b64 s[18:19], -1
                                        ; implicit-def: $vgpr3
.LBB70_323:
	s_branch .LBB70_20
.LBB70_324:
	s_and_b32 s6, 0xffff, s24
	s_cmp_lt_i32 s6, 5
	s_cbranch_scc1 .LBB70_329
; %bb.325:
	s_cmp_lt_i32 s6, 8
	s_cbranch_scc1 .LBB70_330
; %bb.326:
	;; [unrolled: 3-line block ×3, first 2 shown]
	s_cmp_gt_i32 s6, 9
	s_cbranch_scc0 .LBB70_332
; %bb.328:
	global_load_dwordx2 v[5:6], v[0:1], off
	s_mov_b64 s[0:1], 0
	s_waitcnt vmcnt(0)
	v_cvt_i32_f64_e32 v3, v[5:6]
	s_branch .LBB70_333
.LBB70_329:
	s_mov_b64 s[0:1], -1
                                        ; implicit-def: $vgpr3
	s_branch .LBB70_351
.LBB70_330:
	s_mov_b64 s[0:1], -1
                                        ; implicit-def: $vgpr3
	s_branch .LBB70_339
.LBB70_331:
	s_mov_b64 s[0:1], -1
                                        ; implicit-def: $vgpr3
	s_branch .LBB70_336
.LBB70_332:
	s_mov_b64 s[0:1], -1
                                        ; implicit-def: $vgpr3
.LBB70_333:
	s_andn2_b64 vcc, exec, s[0:1]
	s_cbranch_vccnz .LBB70_335
; %bb.334:
	global_load_dword v3, v[0:1], off
	s_waitcnt vmcnt(0)
	v_cvt_i32_f32_e32 v3, v3
.LBB70_335:
	s_mov_b64 s[0:1], 0
.LBB70_336:
	s_andn2_b64 vcc, exec, s[0:1]
	s_cbranch_vccnz .LBB70_338
; %bb.337:
	global_load_dword v3, v[0:1], off
	s_waitcnt vmcnt(0)
	v_cvt_f32_f16_e32 v3, v3
	v_cvt_i32_f32_e32 v3, v3
.LBB70_338:
	s_mov_b64 s[0:1], 0
.LBB70_339:
	s_andn2_b64 vcc, exec, s[0:1]
	s_cbranch_vccnz .LBB70_350
; %bb.340:
	s_cmp_lt_i32 s6, 6
	s_cbranch_scc1 .LBB70_343
; %bb.341:
	s_cmp_gt_i32 s6, 6
	s_cbranch_scc0 .LBB70_344
; %bb.342:
	global_load_dwordx2 v[5:6], v[0:1], off
	s_mov_b64 s[0:1], 0
	s_waitcnt vmcnt(0)
	v_cvt_i32_f64_e32 v3, v[5:6]
	s_branch .LBB70_345
.LBB70_343:
	s_mov_b64 s[0:1], -1
                                        ; implicit-def: $vgpr3
	s_branch .LBB70_348
.LBB70_344:
	s_mov_b64 s[0:1], -1
                                        ; implicit-def: $vgpr3
.LBB70_345:
	s_andn2_b64 vcc, exec, s[0:1]
	s_cbranch_vccnz .LBB70_347
; %bb.346:
	global_load_dword v3, v[0:1], off
	s_waitcnt vmcnt(0)
	v_cvt_i32_f32_e32 v3, v3
.LBB70_347:
	s_mov_b64 s[0:1], 0
.LBB70_348:
	s_andn2_b64 vcc, exec, s[0:1]
	s_cbranch_vccnz .LBB70_350
; %bb.349:
	global_load_ushort v3, v[0:1], off
	s_waitcnt vmcnt(0)
	v_cvt_f32_f16_e32 v3, v3
	v_cvt_i32_f32_e32 v3, v3
.LBB70_350:
	s_mov_b64 s[0:1], 0
.LBB70_351:
	s_andn2_b64 vcc, exec, s[0:1]
	s_cbranch_vccnz .LBB70_371
; %bb.352:
	s_cmp_lt_i32 s6, 2
	s_cbranch_scc1 .LBB70_356
; %bb.353:
	s_cmp_lt_i32 s6, 3
	s_cbranch_scc1 .LBB70_357
; %bb.354:
	s_cmp_gt_i32 s6, 3
	s_cbranch_scc0 .LBB70_358
; %bb.355:
	global_load_dword v3, v[0:1], off
	s_mov_b64 s[0:1], 0
	s_branch .LBB70_359
.LBB70_356:
	s_mov_b64 s[0:1], -1
                                        ; implicit-def: $vgpr3
	s_branch .LBB70_365
.LBB70_357:
	s_mov_b64 s[0:1], -1
                                        ; implicit-def: $vgpr3
	s_branch .LBB70_362
.LBB70_358:
	s_mov_b64 s[0:1], -1
                                        ; implicit-def: $vgpr3
.LBB70_359:
	s_andn2_b64 vcc, exec, s[0:1]
	s_cbranch_vccnz .LBB70_361
; %bb.360:
	global_load_dword v3, v[0:1], off
.LBB70_361:
	s_mov_b64 s[0:1], 0
.LBB70_362:
	s_andn2_b64 vcc, exec, s[0:1]
	s_cbranch_vccnz .LBB70_364
; %bb.363:
	global_load_sshort v3, v[0:1], off
.LBB70_364:
	s_mov_b64 s[0:1], 0
.LBB70_365:
	s_andn2_b64 vcc, exec, s[0:1]
	s_cbranch_vccnz .LBB70_371
; %bb.366:
	s_cmp_gt_i32 s6, 0
	s_cbranch_scc0 .LBB70_368
; %bb.367:
	global_load_sbyte v3, v[0:1], off
	s_mov_b64 s[0:1], 0
	s_branch .LBB70_369
.LBB70_368:
	s_mov_b64 s[0:1], -1
                                        ; implicit-def: $vgpr3
.LBB70_369:
	s_andn2_b64 vcc, exec, s[0:1]
	s_cbranch_vccnz .LBB70_371
; %bb.370:
	global_load_ubyte v3, v[0:1], off
.LBB70_371:
	s_branch .LBB70_21
.LBB70_372:
	s_mov_b64 s[0:1], 0
.LBB70_373:
                                        ; implicit-def: $vgpr4
	s_mov_b64 s[24:25], 0
.LBB70_374:
	s_and_b64 s[6:7], s[0:1], exec
	s_and_b64 s[18:19], s[18:19], exec
	;; [unrolled: 1-line block ×3, first 2 shown]
	s_orn2_b64 s[0:1], s[24:25], exec
.LBB70_375:
	s_or_b64 exec, exec, s[22:23]
	s_mov_b64 s[30:31], 0
	s_mov_b64 s[28:29], 0
                                        ; implicit-def: $sgpr55
                                        ; implicit-def: $vgpr0_vgpr1
                                        ; implicit-def: $vgpr5
	s_and_saveexec_b64 s[22:23], s[0:1]
	s_cbranch_execz .LBB70_384
; %bb.376:
	v_cmp_gt_i32_e32 vcc, s48, v4
	s_mov_b64 s[0:1], -1
	s_mov_b64 s[24:25], s[20:21]
	s_mov_b64 s[26:27], s[18:19]
	;; [unrolled: 1-line block ×3, first 2 shown]
	s_and_saveexec_b64 s[30:31], vcc
	s_cbranch_execz .LBB70_757
; %bb.377:
	v_mul_lo_u32 v0, v4, s13
	v_mov_b32_e32 v1, s11
	s_and_b32 s28, s54, 0xff
	s_cmp_lt_i32 s28, 11
	s_waitcnt vmcnt(0)
	v_ashrrev_i32_e32 v2, 31, v0
	v_add_co_u32_e32 v0, vcc, s10, v0
	v_addc_co_u32_e32 v1, vcc, v1, v2, vcc
	s_cbranch_scc1 .LBB70_387
; %bb.378:
	s_and_b32 s29, 0xffff, s28
	s_cmp_gt_i32 s29, 25
	s_cbranch_scc0 .LBB70_396
; %bb.379:
	s_cmp_gt_i32 s29, 28
	s_cbranch_scc0 .LBB70_398
; %bb.380:
	;; [unrolled: 3-line block ×4, first 2 shown]
	s_cmp_eq_u32 s29, 46
	s_mov_b64 s[26:27], 0
	s_cbranch_scc0 .LBB70_406
; %bb.383:
	global_load_dword v2, v[0:1], off
	s_mov_b64 s[24:25], 0
	s_waitcnt vmcnt(0)
	v_lshlrev_b32_e32 v2, 16, v2
	v_cvt_i32_f32_e32 v2, v2
	s_branch .LBB70_407
.LBB70_384:
	s_or_b64 exec, exec, s[22:23]
	s_mov_b64 s[22:23], 0
	s_and_saveexec_b64 s[0:1], s[20:21]
	s_cbranch_execnz .LBB70_1220
.LBB70_385:
	s_or_b64 exec, exec, s[0:1]
	s_and_saveexec_b64 s[0:1], s[26:27]
	s_xor_b64 s[0:1], exec, s[0:1]
	s_cbranch_execz .LBB70_1221
.LBB70_386:
	global_load_ubyte v2, v[0:1], off
	s_or_b64 s[28:29], s[28:29], exec
	s_waitcnt vmcnt(0)
	v_cmp_ne_u16_e32 vcc, 0, v2
	v_cndmask_b32_e64 v5, 0, 1, vcc
	s_or_b64 exec, exec, s[0:1]
	s_and_saveexec_b64 s[0:1], s[30:31]
	s_cbranch_execz .LBB70_1267
	s_branch .LBB70_1222
.LBB70_387:
	s_mov_b64 s[0:1], 0
                                        ; implicit-def: $vgpr2
	s_mov_b64 s[24:25], s[20:21]
	s_cbranch_execnz .LBB70_469
.LBB70_388:
	s_andn2_b64 vcc, exec, s[0:1]
	s_cbranch_vccnz .LBB70_517
.LBB70_389:
	v_mul_lo_u32 v0, v4, s14
	v_mov_b32_e32 v1, s3
	s_and_b32 s34, s15, 0xff
	s_cmp_lt_i32 s34, 11
	v_ashrrev_i32_e32 v3, 31, v0
	v_add_co_u32_e32 v0, vcc, s2, v0
	v_addc_co_u32_e32 v1, vcc, v1, v3, vcc
	s_cbranch_scc1 .LBB70_397
; %bb.390:
	s_and_b32 s35, 0xffff, s34
	s_cmp_gt_i32 s35, 25
	s_cbranch_scc0 .LBB70_399
; %bb.391:
	s_cmp_gt_i32 s35, 28
	s_cbranch_scc0 .LBB70_401
; %bb.392:
	;; [unrolled: 3-line block ×4, first 2 shown]
	s_cmp_eq_u32 s35, 46
	s_mov_b64 s[28:29], 0
	s_cbranch_scc0 .LBB70_521
; %bb.395:
	global_load_dword v3, v[0:1], off
	s_mov_b64 s[0:1], -1
	s_mov_b64 s[26:27], 0
	s_waitcnt vmcnt(0)
	v_lshlrev_b32_e32 v3, 16, v3
	v_cvt_i32_f32_e32 v3, v3
	s_branch .LBB70_522
.LBB70_396:
	s_mov_b64 s[26:27], -1
	s_mov_b64 s[0:1], 0
	s_mov_b64 s[24:25], s[20:21]
                                        ; implicit-def: $vgpr2
	s_branch .LBB70_435
.LBB70_397:
	s_mov_b64 s[28:29], -1
	s_mov_b64 s[0:1], 0
                                        ; implicit-def: $vgpr3
	s_mov_b64 s[26:27], s[18:19]
	s_branch .LBB70_583
.LBB70_398:
	s_mov_b64 s[26:27], -1
	s_mov_b64 s[0:1], 0
	s_mov_b64 s[24:25], s[20:21]
                                        ; implicit-def: $vgpr2
	s_branch .LBB70_418
.LBB70_399:
	s_mov_b64 s[28:29], -1
	s_mov_b64 s[0:1], 0
	s_mov_b64 s[26:27], s[18:19]
                                        ; implicit-def: $vgpr3
	s_branch .LBB70_549
.LBB70_400:
	s_mov_b64 s[26:27], -1
	s_mov_b64 s[0:1], 0
	s_mov_b64 s[24:25], s[20:21]
                                        ; implicit-def: $vgpr2
	s_branch .LBB70_413
.LBB70_401:
	s_mov_b64 s[28:29], -1
	s_mov_b64 s[0:1], 0
	s_mov_b64 s[26:27], s[18:19]
                                        ; implicit-def: $vgpr3
	s_branch .LBB70_532
.LBB70_402:
	s_mov_b64 s[26:27], -1
	s_mov_b64 s[0:1], 0
	s_mov_b64 s[24:25], s[20:21]
                                        ; implicit-def: $vgpr2
	s_branch .LBB70_407
.LBB70_403:
	s_mov_b64 s[28:29], -1
	s_mov_b64 s[0:1], 0
	s_mov_b64 s[26:27], s[18:19]
                                        ; implicit-def: $vgpr3
	s_branch .LBB70_527
.LBB70_404:
	s_andn2_saveexec_b64 s[28:29], s[28:29]
	s_cbranch_execz .LBB70_176
.LBB70_405:
	s_mov_b32 s34, 0x46000000
	v_add_f32_e64 v5, |v1|, s34
	v_and_b32_e32 v5, 0xff, v5
	v_cmp_ne_u32_e32 vcc, 0, v5
	s_andn2_b64 s[24:25], s[24:25], exec
	s_and_b64 s[34:35], vcc, exec
	s_or_b64 s[24:25], s[24:25], s[34:35]
	s_or_b64 exec, exec, s[28:29]
	v_mov_b32_e32 v6, 0
	s_and_saveexec_b64 s[28:29], s[24:25]
	s_cbranch_execnz .LBB70_177
	s_branch .LBB70_178
.LBB70_406:
	s_mov_b64 s[24:25], -1
                                        ; implicit-def: $vgpr2
	s_mov_b64 s[0:1], 0
.LBB70_407:
	s_and_b64 vcc, exec, s[26:27]
	s_cbranch_vccz .LBB70_412
; %bb.408:
	s_cmp_eq_u32 s29, 44
	s_cbranch_scc0 .LBB70_411
; %bb.409:
	global_load_ubyte v2, v[0:1], off
	s_mov_b64 s[0:1], -1
	s_mov_b64 s[24:25], 0
	s_waitcnt vmcnt(0)
	v_lshlrev_b32_e32 v3, 23, v2
	v_cvt_i32_f32_e32 v3, v3
	v_cmp_ne_u32_e32 vcc, 0, v2
	v_cndmask_b32_e32 v2, 0, v3, vcc
	s_branch .LBB70_412
.LBB70_410:
	s_mov_b64 s[28:29], -1
	s_mov_b64 s[0:1], 0
	s_mov_b64 s[26:27], s[18:19]
                                        ; implicit-def: $vgpr3
	s_branch .LBB70_522
.LBB70_411:
	s_mov_b64 s[24:25], -1
                                        ; implicit-def: $vgpr2
.LBB70_412:
	s_mov_b64 s[26:27], 0
.LBB70_413:
	s_and_b64 vcc, exec, s[26:27]
	s_cbranch_vccz .LBB70_417
; %bb.414:
	s_cmp_eq_u32 s29, 29
	s_cbranch_scc0 .LBB70_416
; %bb.415:
	global_load_dword v2, v[0:1], off
	s_mov_b64 s[0:1], -1
	s_mov_b64 s[24:25], 0
	s_branch .LBB70_417
.LBB70_416:
	s_mov_b64 s[24:25], -1
                                        ; implicit-def: $vgpr2
.LBB70_417:
	s_mov_b64 s[26:27], 0
.LBB70_418:
	s_and_b64 vcc, exec, s[26:27]
	s_cbranch_vccz .LBB70_434
; %bb.419:
	s_cmp_lt_i32 s29, 27
	s_cbranch_scc1 .LBB70_422
; %bb.420:
	s_cmp_gt_i32 s29, 27
	s_cbranch_scc0 .LBB70_423
; %bb.421:
	global_load_dword v2, v[0:1], off
	s_mov_b64 s[0:1], 0
	s_branch .LBB70_424
.LBB70_422:
	s_mov_b64 s[0:1], -1
                                        ; implicit-def: $vgpr2
	s_branch .LBB70_427
.LBB70_423:
	s_mov_b64 s[0:1], -1
                                        ; implicit-def: $vgpr2
.LBB70_424:
	s_andn2_b64 vcc, exec, s[0:1]
	s_cbranch_vccnz .LBB70_426
; %bb.425:
	global_load_ushort v2, v[0:1], off
.LBB70_426:
	s_mov_b64 s[0:1], 0
.LBB70_427:
	s_andn2_b64 vcc, exec, s[0:1]
	s_cbranch_vccnz .LBB70_433
; %bb.428:
	global_load_ubyte v3, v[0:1], off
	s_movk_i32 s0, 0x7f
	s_mov_b64 s[26:27], 0
	s_waitcnt vmcnt(0)
	v_cmp_lt_i16_e32 vcc, s0, v3
	s_and_saveexec_b64 s[0:1], vcc
	s_xor_b64 s[0:1], exec, s[0:1]
	s_cbranch_execz .LBB70_445
; %bb.429:
	s_movk_i32 s26, 0x80
	v_cmp_ne_u16_e32 vcc, s26, v3
	s_and_b64 s[26:27], vcc, exec
	s_andn2_saveexec_b64 s[0:1], s[0:1]
	s_cbranch_execnz .LBB70_446
.LBB70_430:
	s_or_b64 exec, exec, s[0:1]
	v_mov_b32_e32 v2, 0
	s_and_saveexec_b64 s[0:1], s[26:27]
	s_cbranch_execz .LBB70_432
.LBB70_431:
	v_lshlrev_b32_e32 v2, 24, v3
	v_and_b32_e32 v3, 0xffff, v3
	v_and_b32_e32 v5, 7, v3
	v_ffbh_u32_e32 v7, v5
	v_min_u32_e32 v7, 32, v7
	v_subrev_u32_e32 v8, 28, v7
	v_bfe_u32 v6, v3, 3, 4
	v_lshlrev_b32_e32 v3, v8, v3
	v_sub_u32_e32 v7, 29, v7
	v_and_b32_e32 v3, 7, v3
	v_cmp_eq_u32_e32 vcc, 0, v6
	v_cndmask_b32_e32 v6, v6, v7, vcc
	v_cndmask_b32_e32 v3, v5, v3, vcc
	v_mov_b32_e32 v5, 0x3b800000
	v_lshlrev_b32_e32 v3, 20, v3
	v_and_b32_e32 v2, 0x80000000, v2
	v_lshl_add_u32 v5, v6, 23, v5
	v_or3_b32 v2, v2, v5, v3
	v_cvt_i32_f32_e32 v2, v2
.LBB70_432:
	s_or_b64 exec, exec, s[0:1]
.LBB70_433:
	s_mov_b64 s[0:1], -1
.LBB70_434:
	s_mov_b64 s[26:27], 0
.LBB70_435:
	s_and_b64 vcc, exec, s[26:27]
	s_cbranch_vccz .LBB70_468
; %bb.436:
	s_cmp_gt_i32 s29, 22
	s_cbranch_scc0 .LBB70_444
; %bb.437:
	s_cmp_lt_i32 s29, 24
	s_cbranch_scc1 .LBB70_447
; %bb.438:
	s_cmp_gt_i32 s29, 24
	s_cbranch_scc0 .LBB70_448
; %bb.439:
	global_load_ubyte v3, v[0:1], off
	s_movk_i32 s0, 0x7f
	s_mov_b64 s[26:27], 0
	s_waitcnt vmcnt(0)
	v_cmp_lt_i16_e32 vcc, s0, v3
	s_and_saveexec_b64 s[0:1], vcc
	s_xor_b64 s[0:1], exec, s[0:1]
	s_cbranch_execz .LBB70_460
; %bb.440:
	s_movk_i32 s26, 0x80
	v_cmp_ne_u16_e32 vcc, s26, v3
	s_and_b64 s[26:27], vcc, exec
	s_andn2_saveexec_b64 s[0:1], s[0:1]
	s_cbranch_execnz .LBB70_461
.LBB70_441:
	s_or_b64 exec, exec, s[0:1]
	v_mov_b32_e32 v2, 0
	s_and_saveexec_b64 s[0:1], s[26:27]
	s_cbranch_execz .LBB70_443
.LBB70_442:
	v_lshlrev_b32_e32 v2, 24, v3
	v_and_b32_e32 v3, 0xffff, v3
	v_and_b32_e32 v5, 3, v3
	v_ffbh_u32_e32 v7, v5
	v_min_u32_e32 v7, 32, v7
	v_subrev_u32_e32 v8, 29, v7
	v_bfe_u32 v6, v3, 2, 5
	v_lshlrev_b32_e32 v3, v8, v3
	v_sub_u32_e32 v7, 30, v7
	v_and_b32_e32 v3, 3, v3
	v_cmp_eq_u32_e32 vcc, 0, v6
	v_cndmask_b32_e32 v6, v6, v7, vcc
	v_cndmask_b32_e32 v3, v5, v3, vcc
	v_mov_b32_e32 v5, 0x37800000
	v_lshlrev_b32_e32 v3, 21, v3
	v_and_b32_e32 v2, 0x80000000, v2
	v_lshl_add_u32 v5, v6, 23, v5
	v_or3_b32 v2, v2, v5, v3
	v_cvt_i32_f32_e32 v2, v2
.LBB70_443:
	s_or_b64 exec, exec, s[0:1]
	s_mov_b64 s[0:1], 0
	s_branch .LBB70_449
.LBB70_444:
	s_mov_b64 s[26:27], -1
                                        ; implicit-def: $vgpr2
	s_branch .LBB70_455
.LBB70_445:
	s_andn2_saveexec_b64 s[0:1], s[0:1]
	s_cbranch_execz .LBB70_430
.LBB70_446:
	v_cmp_ne_u16_e32 vcc, 0, v3
	s_andn2_b64 s[26:27], s[26:27], exec
	s_and_b64 s[34:35], vcc, exec
	s_or_b64 s[26:27], s[26:27], s[34:35]
	s_or_b64 exec, exec, s[0:1]
	v_mov_b32_e32 v2, 0
	s_and_saveexec_b64 s[0:1], s[26:27]
	s_cbranch_execnz .LBB70_431
	s_branch .LBB70_432
.LBB70_447:
	s_mov_b64 s[0:1], -1
                                        ; implicit-def: $vgpr2
	s_branch .LBB70_452
.LBB70_448:
	s_mov_b64 s[0:1], -1
                                        ; implicit-def: $vgpr2
.LBB70_449:
	s_and_b64 vcc, exec, s[0:1]
	s_cbranch_vccz .LBB70_451
; %bb.450:
	global_load_ubyte v2, v[0:1], off
	s_mov_b32 s0, 0x7f800000
	s_waitcnt vmcnt(0)
	v_lshlrev_b32_e32 v2, 24, v2
	v_and_b32_e32 v3, 0x7f000000, v2
	v_ffbh_u32_e32 v5, v3
	v_min_u32_e32 v5, 32, v5
	v_sub_u32_e64 v5, v5, 4 clamp
	v_lshlrev_b32_e32 v7, v5, v3
	v_lshlrev_b32_e32 v5, 23, v5
	v_lshrrev_b32_e32 v7, 4, v7
	v_add_u32_e32 v6, 0x1000000, v3
	v_sub_u32_e32 v5, v7, v5
	v_ashrrev_i32_e32 v6, 8, v6
	v_add_u32_e32 v5, 0x3c000000, v5
	v_and_or_b32 v5, v6, s0, v5
	v_cmp_ne_u32_e32 vcc, 0, v3
	v_cndmask_b32_e32 v3, 0, v5, vcc
	s_brev_b32 s0, 1
	v_and_or_b32 v2, v2, s0, v3
	v_cvt_i32_f32_e32 v2, v2
.LBB70_451:
	s_mov_b64 s[0:1], 0
.LBB70_452:
	s_andn2_b64 vcc, exec, s[0:1]
	s_cbranch_vccnz .LBB70_454
; %bb.453:
	global_load_ubyte v2, v[0:1], off
	s_movk_i32 s0, 0x7f00
	s_brev_b32 s1, 16
	s_waitcnt vmcnt(0)
	v_lshlrev_b16_e32 v3, 8, v2
	v_lshlrev_b32_e32 v2, 25, v2
	v_lshrrev_b32_e32 v5, 4, v2
	v_and_or_b32 v6, v3, s0, 0.5
	v_or_b32_e32 v5, 0x70000000, v5
	v_add_f32_e32 v6, -0.5, v6
	v_mul_f32_e32 v5, 0x7800000, v5
	v_cmp_gt_u32_e32 vcc, s1, v2
	v_bfe_i32 v3, v3, 0, 16
	v_cndmask_b32_e32 v2, v5, v6, vcc
	s_brev_b32 s0, 1
	v_and_or_b32 v2, v3, s0, v2
	v_cvt_i32_f32_e32 v2, v2
.LBB70_454:
	s_mov_b64 s[26:27], 0
	s_mov_b64 s[0:1], -1
.LBB70_455:
	s_andn2_b64 vcc, exec, s[26:27]
	s_cbranch_vccnz .LBB70_468
; %bb.456:
	s_cmp_gt_i32 s29, 14
	s_cbranch_scc0 .LBB70_459
; %bb.457:
	s_cmp_eq_u32 s29, 15
	s_cbranch_scc0 .LBB70_462
; %bb.458:
	global_load_ushort v2, v[0:1], off
	s_mov_b64 s[0:1], -1
	s_mov_b64 s[24:25], 0
	s_waitcnt vmcnt(0)
	v_lshlrev_b32_e32 v2, 16, v2
	v_cvt_i32_f32_e32 v2, v2
	s_branch .LBB70_463
.LBB70_459:
	s_mov_b64 s[26:27], -1
                                        ; implicit-def: $vgpr2
	s_branch .LBB70_464
.LBB70_460:
	s_andn2_saveexec_b64 s[0:1], s[0:1]
	s_cbranch_execz .LBB70_441
.LBB70_461:
	v_cmp_ne_u16_e32 vcc, 0, v3
	s_andn2_b64 s[26:27], s[26:27], exec
	s_and_b64 s[34:35], vcc, exec
	s_or_b64 s[26:27], s[26:27], s[34:35]
	s_or_b64 exec, exec, s[0:1]
	v_mov_b32_e32 v2, 0
	s_and_saveexec_b64 s[0:1], s[26:27]
	s_cbranch_execnz .LBB70_442
	s_branch .LBB70_443
.LBB70_462:
	s_mov_b64 s[24:25], -1
                                        ; implicit-def: $vgpr2
.LBB70_463:
	s_mov_b64 s[26:27], 0
.LBB70_464:
	s_and_b64 vcc, exec, s[26:27]
	s_cbranch_vccz .LBB70_468
; %bb.465:
	s_cmp_eq_u32 s29, 11
	s_cbranch_scc0 .LBB70_467
; %bb.466:
	global_load_ubyte v2, v[0:1], off
	s_mov_b64 s[0:1], -1
	s_mov_b64 s[24:25], 0
	s_waitcnt vmcnt(0)
	v_cmp_ne_u16_e32 vcc, 0, v2
	v_cndmask_b32_e64 v2, 0, 1, vcc
	s_branch .LBB70_468
.LBB70_467:
	s_mov_b64 s[24:25], -1
                                        ; implicit-def: $vgpr2
.LBB70_468:
	s_branch .LBB70_388
.LBB70_469:
	s_and_b32 s26, 0xffff, s28
	s_cmp_lt_i32 s26, 5
	s_cbranch_scc1 .LBB70_474
; %bb.470:
	s_cmp_lt_i32 s26, 8
	s_cbranch_scc1 .LBB70_475
; %bb.471:
	;; [unrolled: 3-line block ×3, first 2 shown]
	s_cmp_gt_i32 s26, 9
	s_cbranch_scc0 .LBB70_477
; %bb.473:
	global_load_dwordx2 v[2:3], v[0:1], off
	s_mov_b64 s[0:1], 0
	s_waitcnt vmcnt(0)
	v_cvt_i32_f64_e32 v2, v[2:3]
	s_branch .LBB70_478
.LBB70_474:
	s_mov_b64 s[0:1], -1
                                        ; implicit-def: $vgpr2
	s_branch .LBB70_496
.LBB70_475:
	s_mov_b64 s[0:1], -1
                                        ; implicit-def: $vgpr2
	s_branch .LBB70_484
.LBB70_476:
	s_mov_b64 s[0:1], -1
                                        ; implicit-def: $vgpr2
	s_branch .LBB70_481
.LBB70_477:
	s_mov_b64 s[0:1], -1
                                        ; implicit-def: $vgpr2
.LBB70_478:
	s_andn2_b64 vcc, exec, s[0:1]
	s_cbranch_vccnz .LBB70_480
; %bb.479:
	global_load_dword v2, v[0:1], off
	s_waitcnt vmcnt(0)
	v_cvt_i32_f32_e32 v2, v2
.LBB70_480:
	s_mov_b64 s[0:1], 0
.LBB70_481:
	s_andn2_b64 vcc, exec, s[0:1]
	s_cbranch_vccnz .LBB70_483
; %bb.482:
	global_load_dword v2, v[0:1], off
	s_waitcnt vmcnt(0)
	v_cvt_f32_f16_e32 v2, v2
	v_cvt_i32_f32_e32 v2, v2
.LBB70_483:
	s_mov_b64 s[0:1], 0
.LBB70_484:
	s_andn2_b64 vcc, exec, s[0:1]
	s_cbranch_vccnz .LBB70_495
; %bb.485:
	s_cmp_lt_i32 s26, 6
	s_cbranch_scc1 .LBB70_488
; %bb.486:
	s_cmp_gt_i32 s26, 6
	s_cbranch_scc0 .LBB70_489
; %bb.487:
	global_load_dwordx2 v[2:3], v[0:1], off
	s_mov_b64 s[0:1], 0
	s_waitcnt vmcnt(0)
	v_cvt_i32_f64_e32 v2, v[2:3]
	s_branch .LBB70_490
.LBB70_488:
	s_mov_b64 s[0:1], -1
                                        ; implicit-def: $vgpr2
	s_branch .LBB70_493
.LBB70_489:
	s_mov_b64 s[0:1], -1
                                        ; implicit-def: $vgpr2
.LBB70_490:
	s_andn2_b64 vcc, exec, s[0:1]
	s_cbranch_vccnz .LBB70_492
; %bb.491:
	global_load_dword v2, v[0:1], off
	s_waitcnt vmcnt(0)
	v_cvt_i32_f32_e32 v2, v2
.LBB70_492:
	s_mov_b64 s[0:1], 0
.LBB70_493:
	s_andn2_b64 vcc, exec, s[0:1]
	s_cbranch_vccnz .LBB70_495
; %bb.494:
	global_load_ushort v2, v[0:1], off
	s_waitcnt vmcnt(0)
	v_cvt_f32_f16_e32 v2, v2
	v_cvt_i32_f32_e32 v2, v2
.LBB70_495:
	s_mov_b64 s[0:1], 0
.LBB70_496:
	s_andn2_b64 vcc, exec, s[0:1]
	s_cbranch_vccnz .LBB70_516
; %bb.497:
	s_cmp_lt_i32 s26, 2
	s_cbranch_scc1 .LBB70_501
; %bb.498:
	s_cmp_lt_i32 s26, 3
	s_cbranch_scc1 .LBB70_502
; %bb.499:
	s_cmp_gt_i32 s26, 3
	s_cbranch_scc0 .LBB70_503
; %bb.500:
	global_load_dword v2, v[0:1], off
	s_mov_b64 s[0:1], 0
	s_branch .LBB70_504
.LBB70_501:
	s_mov_b64 s[0:1], -1
                                        ; implicit-def: $vgpr2
	s_branch .LBB70_510
.LBB70_502:
	s_mov_b64 s[0:1], -1
                                        ; implicit-def: $vgpr2
	s_branch .LBB70_507
.LBB70_503:
	s_mov_b64 s[0:1], -1
                                        ; implicit-def: $vgpr2
.LBB70_504:
	s_andn2_b64 vcc, exec, s[0:1]
	s_cbranch_vccnz .LBB70_506
; %bb.505:
	global_load_dword v2, v[0:1], off
.LBB70_506:
	s_mov_b64 s[0:1], 0
.LBB70_507:
	s_andn2_b64 vcc, exec, s[0:1]
	s_cbranch_vccnz .LBB70_509
; %bb.508:
	global_load_sshort v2, v[0:1], off
.LBB70_509:
	s_mov_b64 s[0:1], 0
.LBB70_510:
	s_andn2_b64 vcc, exec, s[0:1]
	s_cbranch_vccnz .LBB70_516
; %bb.511:
	s_cmp_gt_i32 s26, 0
	s_cbranch_scc0 .LBB70_513
; %bb.512:
	global_load_sbyte v2, v[0:1], off
	s_mov_b64 s[0:1], 0
	s_branch .LBB70_514
.LBB70_513:
	s_mov_b64 s[0:1], -1
                                        ; implicit-def: $vgpr2
.LBB70_514:
	s_andn2_b64 vcc, exec, s[0:1]
	s_cbranch_vccnz .LBB70_516
; %bb.515:
	global_load_ubyte v2, v[0:1], off
.LBB70_516:
	s_branch .LBB70_389
.LBB70_517:
	s_mov_b64 s[34:35], 0
	s_mov_b64 s[0:1], s[6:7]
	;; [unrolled: 1-line block ×3, first 2 shown]
.LBB70_518:
                                        ; implicit-def: $vgpr4
	s_branch .LBB70_756
.LBB70_519:
	s_andn2_saveexec_b64 s[28:29], s[28:29]
	s_cbranch_execz .LBB70_189
.LBB70_520:
	s_mov_b32 s34, 0x42800000
	v_add_f32_e64 v5, |v1|, s34
	v_and_b32_e32 v5, 0xff, v5
	v_cmp_ne_u32_e32 vcc, 0, v5
	s_andn2_b64 s[24:25], s[24:25], exec
	s_and_b64 s[34:35], vcc, exec
	s_or_b64 s[24:25], s[24:25], s[34:35]
	s_or_b64 exec, exec, s[28:29]
	v_mov_b32_e32 v6, 0
	s_and_saveexec_b64 s[28:29], s[24:25]
	s_cbranch_execnz .LBB70_190
	s_branch .LBB70_191
.LBB70_521:
	s_mov_b64 s[26:27], -1
                                        ; implicit-def: $vgpr3
	s_mov_b64 s[0:1], 0
.LBB70_522:
	s_and_b64 vcc, exec, s[28:29]
	s_cbranch_vccz .LBB70_526
; %bb.523:
	s_cmp_eq_u32 s35, 44
	s_cbranch_scc0 .LBB70_525
; %bb.524:
	global_load_ubyte v3, v[0:1], off
	s_mov_b64 s[0:1], -1
	s_mov_b64 s[26:27], 0
	s_waitcnt vmcnt(0)
	v_lshlrev_b32_e32 v5, 23, v3
	v_cvt_i32_f32_e32 v5, v5
	v_cmp_ne_u32_e32 vcc, 0, v3
	v_cndmask_b32_e32 v3, 0, v5, vcc
	s_branch .LBB70_526
.LBB70_525:
	s_mov_b64 s[26:27], -1
                                        ; implicit-def: $vgpr3
.LBB70_526:
	s_mov_b64 s[28:29], 0
.LBB70_527:
	s_and_b64 vcc, exec, s[28:29]
	s_cbranch_vccz .LBB70_531
; %bb.528:
	s_cmp_eq_u32 s35, 29
	s_cbranch_scc0 .LBB70_530
; %bb.529:
	global_load_dword v3, v[0:1], off
	s_mov_b64 s[0:1], -1
	s_mov_b64 s[26:27], 0
	s_branch .LBB70_531
.LBB70_530:
	s_mov_b64 s[26:27], -1
                                        ; implicit-def: $vgpr3
.LBB70_531:
	s_mov_b64 s[28:29], 0
.LBB70_532:
	s_and_b64 vcc, exec, s[28:29]
	s_cbranch_vccz .LBB70_548
; %bb.533:
	s_cmp_lt_i32 s35, 27
	s_cbranch_scc1 .LBB70_536
; %bb.534:
	s_cmp_gt_i32 s35, 27
	s_cbranch_scc0 .LBB70_537
; %bb.535:
	global_load_dword v3, v[0:1], off
	s_mov_b64 s[0:1], 0
	s_branch .LBB70_538
.LBB70_536:
	s_mov_b64 s[0:1], -1
                                        ; implicit-def: $vgpr3
	s_branch .LBB70_541
.LBB70_537:
	s_mov_b64 s[0:1], -1
                                        ; implicit-def: $vgpr3
.LBB70_538:
	s_andn2_b64 vcc, exec, s[0:1]
	s_cbranch_vccnz .LBB70_540
; %bb.539:
	global_load_ushort v3, v[0:1], off
.LBB70_540:
	s_mov_b64 s[0:1], 0
.LBB70_541:
	s_andn2_b64 vcc, exec, s[0:1]
	s_cbranch_vccnz .LBB70_547
; %bb.542:
	global_load_ubyte v5, v[0:1], off
	s_movk_i32 s0, 0x7f
	s_mov_b64 s[28:29], 0
	s_waitcnt vmcnt(0)
	v_cmp_lt_i16_e32 vcc, s0, v5
	s_and_saveexec_b64 s[0:1], vcc
	s_xor_b64 s[0:1], exec, s[0:1]
	s_cbranch_execz .LBB70_559
; %bb.543:
	s_movk_i32 s28, 0x80
	v_cmp_ne_u16_e32 vcc, s28, v5
	s_and_b64 s[28:29], vcc, exec
	s_andn2_saveexec_b64 s[0:1], s[0:1]
	s_cbranch_execnz .LBB70_560
.LBB70_544:
	s_or_b64 exec, exec, s[0:1]
	v_mov_b32_e32 v3, 0
	s_and_saveexec_b64 s[0:1], s[28:29]
	s_cbranch_execz .LBB70_546
.LBB70_545:
	v_lshlrev_b32_e32 v3, 24, v5
	v_and_b32_e32 v5, 0xffff, v5
	v_and_b32_e32 v6, 7, v5
	v_ffbh_u32_e32 v8, v6
	v_min_u32_e32 v8, 32, v8
	v_subrev_u32_e32 v9, 28, v8
	v_bfe_u32 v7, v5, 3, 4
	v_lshlrev_b32_e32 v5, v9, v5
	v_sub_u32_e32 v8, 29, v8
	v_and_b32_e32 v5, 7, v5
	v_cmp_eq_u32_e32 vcc, 0, v7
	v_cndmask_b32_e32 v7, v7, v8, vcc
	v_cndmask_b32_e32 v5, v6, v5, vcc
	v_mov_b32_e32 v6, 0x3b800000
	v_lshlrev_b32_e32 v5, 20, v5
	v_and_b32_e32 v3, 0x80000000, v3
	v_lshl_add_u32 v6, v7, 23, v6
	v_or3_b32 v3, v3, v6, v5
	v_cvt_i32_f32_e32 v3, v3
.LBB70_546:
	s_or_b64 exec, exec, s[0:1]
.LBB70_547:
	s_mov_b64 s[0:1], -1
.LBB70_548:
	s_mov_b64 s[28:29], 0
.LBB70_549:
	s_and_b64 vcc, exec, s[28:29]
	s_cbranch_vccz .LBB70_582
; %bb.550:
	s_cmp_gt_i32 s35, 22
	s_cbranch_scc0 .LBB70_558
; %bb.551:
	s_cmp_lt_i32 s35, 24
	s_cbranch_scc1 .LBB70_561
; %bb.552:
	s_cmp_gt_i32 s35, 24
	s_cbranch_scc0 .LBB70_562
; %bb.553:
	global_load_ubyte v5, v[0:1], off
	s_movk_i32 s0, 0x7f
	s_mov_b64 s[28:29], 0
	s_waitcnt vmcnt(0)
	v_cmp_lt_i16_e32 vcc, s0, v5
	s_and_saveexec_b64 s[0:1], vcc
	s_xor_b64 s[0:1], exec, s[0:1]
	s_cbranch_execz .LBB70_574
; %bb.554:
	s_movk_i32 s28, 0x80
	v_cmp_ne_u16_e32 vcc, s28, v5
	s_and_b64 s[28:29], vcc, exec
	s_andn2_saveexec_b64 s[0:1], s[0:1]
	s_cbranch_execnz .LBB70_575
.LBB70_555:
	s_or_b64 exec, exec, s[0:1]
	v_mov_b32_e32 v3, 0
	s_and_saveexec_b64 s[0:1], s[28:29]
	s_cbranch_execz .LBB70_557
.LBB70_556:
	v_lshlrev_b32_e32 v3, 24, v5
	v_and_b32_e32 v5, 0xffff, v5
	v_and_b32_e32 v6, 3, v5
	v_ffbh_u32_e32 v8, v6
	v_min_u32_e32 v8, 32, v8
	v_subrev_u32_e32 v9, 29, v8
	v_bfe_u32 v7, v5, 2, 5
	v_lshlrev_b32_e32 v5, v9, v5
	v_sub_u32_e32 v8, 30, v8
	v_and_b32_e32 v5, 3, v5
	v_cmp_eq_u32_e32 vcc, 0, v7
	v_cndmask_b32_e32 v7, v7, v8, vcc
	v_cndmask_b32_e32 v5, v6, v5, vcc
	v_mov_b32_e32 v6, 0x37800000
	v_lshlrev_b32_e32 v5, 21, v5
	v_and_b32_e32 v3, 0x80000000, v3
	v_lshl_add_u32 v6, v7, 23, v6
	v_or3_b32 v3, v3, v6, v5
	v_cvt_i32_f32_e32 v3, v3
.LBB70_557:
	s_or_b64 exec, exec, s[0:1]
	s_mov_b64 s[0:1], 0
	s_branch .LBB70_563
.LBB70_558:
	s_mov_b64 s[28:29], -1
                                        ; implicit-def: $vgpr3
	s_branch .LBB70_569
.LBB70_559:
	s_andn2_saveexec_b64 s[0:1], s[0:1]
	s_cbranch_execz .LBB70_544
.LBB70_560:
	v_cmp_ne_u16_e32 vcc, 0, v5
	s_andn2_b64 s[28:29], s[28:29], exec
	s_and_b64 s[36:37], vcc, exec
	s_or_b64 s[28:29], s[28:29], s[36:37]
	s_or_b64 exec, exec, s[0:1]
	v_mov_b32_e32 v3, 0
	s_and_saveexec_b64 s[0:1], s[28:29]
	s_cbranch_execnz .LBB70_545
	s_branch .LBB70_546
.LBB70_561:
	s_mov_b64 s[0:1], -1
                                        ; implicit-def: $vgpr3
	s_branch .LBB70_566
.LBB70_562:
	s_mov_b64 s[0:1], -1
                                        ; implicit-def: $vgpr3
.LBB70_563:
	s_and_b64 vcc, exec, s[0:1]
	s_cbranch_vccz .LBB70_565
; %bb.564:
	global_load_ubyte v3, v[0:1], off
	s_mov_b32 s0, 0x7f800000
	s_waitcnt vmcnt(0)
	v_lshlrev_b32_e32 v3, 24, v3
	v_and_b32_e32 v5, 0x7f000000, v3
	v_ffbh_u32_e32 v6, v5
	v_min_u32_e32 v6, 32, v6
	v_sub_u32_e64 v6, v6, 4 clamp
	v_lshlrev_b32_e32 v8, v6, v5
	v_lshlrev_b32_e32 v6, 23, v6
	v_lshrrev_b32_e32 v8, 4, v8
	v_add_u32_e32 v7, 0x1000000, v5
	v_sub_u32_e32 v6, v8, v6
	v_ashrrev_i32_e32 v7, 8, v7
	v_add_u32_e32 v6, 0x3c000000, v6
	v_and_or_b32 v6, v7, s0, v6
	v_cmp_ne_u32_e32 vcc, 0, v5
	v_cndmask_b32_e32 v5, 0, v6, vcc
	s_brev_b32 s0, 1
	v_and_or_b32 v3, v3, s0, v5
	v_cvt_i32_f32_e32 v3, v3
.LBB70_565:
	s_mov_b64 s[0:1], 0
.LBB70_566:
	s_andn2_b64 vcc, exec, s[0:1]
	s_cbranch_vccnz .LBB70_568
; %bb.567:
	global_load_ubyte v3, v[0:1], off
	s_movk_i32 s0, 0x7f00
	s_brev_b32 s1, 16
	s_waitcnt vmcnt(0)
	v_lshlrev_b16_e32 v5, 8, v3
	v_lshlrev_b32_e32 v3, 25, v3
	v_lshrrev_b32_e32 v6, 4, v3
	v_and_or_b32 v7, v5, s0, 0.5
	v_or_b32_e32 v6, 0x70000000, v6
	v_add_f32_e32 v7, -0.5, v7
	v_mul_f32_e32 v6, 0x7800000, v6
	v_cmp_gt_u32_e32 vcc, s1, v3
	v_bfe_i32 v5, v5, 0, 16
	v_cndmask_b32_e32 v3, v6, v7, vcc
	s_brev_b32 s0, 1
	v_and_or_b32 v3, v5, s0, v3
	v_cvt_i32_f32_e32 v3, v3
.LBB70_568:
	s_mov_b64 s[28:29], 0
	s_mov_b64 s[0:1], -1
.LBB70_569:
	s_andn2_b64 vcc, exec, s[28:29]
	s_cbranch_vccnz .LBB70_582
; %bb.570:
	s_cmp_gt_i32 s35, 14
	s_cbranch_scc0 .LBB70_573
; %bb.571:
	s_cmp_eq_u32 s35, 15
	s_cbranch_scc0 .LBB70_576
; %bb.572:
	global_load_ushort v3, v[0:1], off
	s_mov_b64 s[0:1], -1
	s_mov_b64 s[26:27], 0
	s_waitcnt vmcnt(0)
	v_lshlrev_b32_e32 v3, 16, v3
	v_cvt_i32_f32_e32 v3, v3
	s_branch .LBB70_577
.LBB70_573:
	s_mov_b64 s[28:29], -1
                                        ; implicit-def: $vgpr3
	s_branch .LBB70_578
.LBB70_574:
	s_andn2_saveexec_b64 s[0:1], s[0:1]
	s_cbranch_execz .LBB70_555
.LBB70_575:
	v_cmp_ne_u16_e32 vcc, 0, v5
	s_andn2_b64 s[28:29], s[28:29], exec
	s_and_b64 s[36:37], vcc, exec
	s_or_b64 s[28:29], s[28:29], s[36:37]
	s_or_b64 exec, exec, s[0:1]
	v_mov_b32_e32 v3, 0
	s_and_saveexec_b64 s[0:1], s[28:29]
	s_cbranch_execnz .LBB70_556
	s_branch .LBB70_557
.LBB70_576:
	s_mov_b64 s[26:27], -1
                                        ; implicit-def: $vgpr3
.LBB70_577:
	s_mov_b64 s[28:29], 0
.LBB70_578:
	s_and_b64 vcc, exec, s[28:29]
	s_cbranch_vccz .LBB70_582
; %bb.579:
	s_cmp_eq_u32 s35, 11
	s_cbranch_scc0 .LBB70_581
; %bb.580:
	global_load_ubyte v3, v[0:1], off
	s_mov_b64 s[0:1], -1
	s_mov_b64 s[26:27], 0
	s_waitcnt vmcnt(0)
	v_cmp_ne_u16_e32 vcc, 0, v3
	v_cndmask_b32_e64 v3, 0, 1, vcc
	s_branch .LBB70_582
.LBB70_581:
	s_mov_b64 s[26:27], -1
                                        ; implicit-def: $vgpr3
.LBB70_582:
	s_mov_b64 s[28:29], 0
.LBB70_583:
	s_and_b64 vcc, exec, s[28:29]
	s_cbranch_vccz .LBB70_632
; %bb.584:
	s_and_b32 s28, 0xffff, s34
	s_cmp_lt_i32 s28, 5
	s_cbranch_scc1 .LBB70_589
; %bb.585:
	s_cmp_lt_i32 s28, 8
	s_cbranch_scc1 .LBB70_590
; %bb.586:
	;; [unrolled: 3-line block ×3, first 2 shown]
	s_cmp_gt_i32 s28, 9
	s_cbranch_scc0 .LBB70_592
; %bb.588:
	global_load_dwordx2 v[5:6], v[0:1], off
	s_mov_b64 s[0:1], 0
	s_waitcnt vmcnt(0)
	v_cvt_i32_f64_e32 v3, v[5:6]
	s_branch .LBB70_593
.LBB70_589:
	s_mov_b64 s[0:1], -1
                                        ; implicit-def: $vgpr3
	s_branch .LBB70_611
.LBB70_590:
	s_mov_b64 s[0:1], -1
                                        ; implicit-def: $vgpr3
	s_branch .LBB70_599
.LBB70_591:
	s_mov_b64 s[0:1], -1
                                        ; implicit-def: $vgpr3
	s_branch .LBB70_596
.LBB70_592:
	s_mov_b64 s[0:1], -1
                                        ; implicit-def: $vgpr3
.LBB70_593:
	s_andn2_b64 vcc, exec, s[0:1]
	s_cbranch_vccnz .LBB70_595
; %bb.594:
	global_load_dword v3, v[0:1], off
	s_waitcnt vmcnt(0)
	v_cvt_i32_f32_e32 v3, v3
.LBB70_595:
	s_mov_b64 s[0:1], 0
.LBB70_596:
	s_andn2_b64 vcc, exec, s[0:1]
	s_cbranch_vccnz .LBB70_598
; %bb.597:
	global_load_dword v3, v[0:1], off
	s_waitcnt vmcnt(0)
	v_cvt_f32_f16_e32 v3, v3
	v_cvt_i32_f32_e32 v3, v3
.LBB70_598:
	s_mov_b64 s[0:1], 0
.LBB70_599:
	s_andn2_b64 vcc, exec, s[0:1]
	s_cbranch_vccnz .LBB70_610
; %bb.600:
	s_cmp_lt_i32 s28, 6
	s_cbranch_scc1 .LBB70_603
; %bb.601:
	s_cmp_gt_i32 s28, 6
	s_cbranch_scc0 .LBB70_604
; %bb.602:
	global_load_dwordx2 v[5:6], v[0:1], off
	s_mov_b64 s[0:1], 0
	s_waitcnt vmcnt(0)
	v_cvt_i32_f64_e32 v3, v[5:6]
	s_branch .LBB70_605
.LBB70_603:
	s_mov_b64 s[0:1], -1
                                        ; implicit-def: $vgpr3
	s_branch .LBB70_608
.LBB70_604:
	s_mov_b64 s[0:1], -1
                                        ; implicit-def: $vgpr3
.LBB70_605:
	s_andn2_b64 vcc, exec, s[0:1]
	s_cbranch_vccnz .LBB70_607
; %bb.606:
	global_load_dword v3, v[0:1], off
	s_waitcnt vmcnt(0)
	v_cvt_i32_f32_e32 v3, v3
.LBB70_607:
	s_mov_b64 s[0:1], 0
.LBB70_608:
	s_andn2_b64 vcc, exec, s[0:1]
	s_cbranch_vccnz .LBB70_610
; %bb.609:
	global_load_ushort v3, v[0:1], off
	s_waitcnt vmcnt(0)
	v_cvt_f32_f16_e32 v3, v3
	v_cvt_i32_f32_e32 v3, v3
.LBB70_610:
	s_mov_b64 s[0:1], 0
.LBB70_611:
	s_andn2_b64 vcc, exec, s[0:1]
	s_cbranch_vccnz .LBB70_631
; %bb.612:
	s_cmp_lt_i32 s28, 2
	s_cbranch_scc1 .LBB70_616
; %bb.613:
	s_cmp_lt_i32 s28, 3
	s_cbranch_scc1 .LBB70_617
; %bb.614:
	s_cmp_gt_i32 s28, 3
	s_cbranch_scc0 .LBB70_618
; %bb.615:
	global_load_dword v3, v[0:1], off
	s_mov_b64 s[0:1], 0
	s_branch .LBB70_619
.LBB70_616:
	s_mov_b64 s[0:1], -1
                                        ; implicit-def: $vgpr3
	s_branch .LBB70_625
.LBB70_617:
	s_mov_b64 s[0:1], -1
                                        ; implicit-def: $vgpr3
	s_branch .LBB70_622
.LBB70_618:
	s_mov_b64 s[0:1], -1
                                        ; implicit-def: $vgpr3
.LBB70_619:
	s_andn2_b64 vcc, exec, s[0:1]
	s_cbranch_vccnz .LBB70_621
; %bb.620:
	global_load_dword v3, v[0:1], off
.LBB70_621:
	s_mov_b64 s[0:1], 0
.LBB70_622:
	s_andn2_b64 vcc, exec, s[0:1]
	s_cbranch_vccnz .LBB70_624
; %bb.623:
	global_load_sshort v3, v[0:1], off
.LBB70_624:
	s_mov_b64 s[0:1], 0
.LBB70_625:
	s_andn2_b64 vcc, exec, s[0:1]
	s_cbranch_vccnz .LBB70_631
; %bb.626:
	s_cmp_gt_i32 s28, 0
	s_cbranch_scc0 .LBB70_628
; %bb.627:
	global_load_sbyte v3, v[0:1], off
	s_mov_b64 s[0:1], 0
	s_branch .LBB70_629
.LBB70_628:
	s_mov_b64 s[0:1], -1
                                        ; implicit-def: $vgpr3
.LBB70_629:
	s_andn2_b64 vcc, exec, s[0:1]
	s_cbranch_vccnz .LBB70_631
; %bb.630:
	global_load_ubyte v3, v[0:1], off
.LBB70_631:
	s_mov_b64 s[0:1], -1
.LBB70_632:
	s_andn2_b64 vcc, exec, s[0:1]
	s_cbranch_vccnz .LBB70_640
; %bb.633:
	v_mul_lo_u32 v1, v4, s12
	s_waitcnt vmcnt(0)
	v_lshlrev_b32_e32 v0, v3, v2
	v_cmp_gt_u32_e32 vcc, 32, v3
	v_cndmask_b32_e32 v0, 0, v0, vcc
	v_ashrrev_i32_e32 v3, 31, v1
	v_mov_b32_e32 v5, s9
	s_and_b32 s38, s33, 0xff
	v_add_co_u32_e32 v2, vcc, s8, v1
	s_cmp_lt_i32 s38, 11
	v_addc_co_u32_e32 v3, vcc, v5, v3, vcc
	s_cbranch_scc1 .LBB70_641
; %bb.634:
	s_and_b32 s39, 0xffff, s38
	s_cmp_gt_i32 s39, 25
	s_cbranch_scc0 .LBB70_642
; %bb.635:
	s_cmp_gt_i32 s39, 28
	s_cbranch_scc0 .LBB70_643
; %bb.636:
	;; [unrolled: 3-line block ×4, first 2 shown]
	s_mov_b64 s[34:35], 0
	s_mov_b64 s[0:1], -1
	s_cmp_eq_u32 s39, 46
	s_mov_b64 s[28:29], 0
	s_cbranch_scc0 .LBB70_646
; %bb.639:
	v_cvt_f32_i32_e32 v1, v0
	s_movk_i32 s0, 0x7fff
	s_mov_b64 s[28:29], -1
	v_bfe_u32 v5, v1, 16, 1
	v_add3_u32 v1, v1, v5, s0
	v_lshrrev_b32_e32 v1, 16, v1
	global_store_dword v[2:3], v1, off
	s_mov_b64 s[0:1], 0
	s_branch .LBB70_646
.LBB70_640:
	s_mov_b64 s[34:35], 0
                                        ; implicit-def: $vgpr4
	s_mov_b64 s[0:1], s[6:7]
	s_branch .LBB70_756
.LBB70_641:
	s_mov_b64 s[34:35], -1
	s_mov_b64 s[28:29], 0
	s_mov_b64 s[0:1], s[6:7]
	s_branch .LBB70_715
.LBB70_642:
	s_mov_b64 s[34:35], -1
	s_mov_b64 s[28:29], 0
	s_mov_b64 s[0:1], s[6:7]
	s_branch .LBB70_673
.LBB70_643:
	s_mov_b64 s[34:35], -1
	s_mov_b64 s[28:29], 0
	s_mov_b64 s[0:1], s[6:7]
	s_branch .LBB70_656
.LBB70_644:
	s_mov_b64 s[34:35], -1
	s_mov_b64 s[28:29], 0
	s_mov_b64 s[0:1], s[6:7]
	s_branch .LBB70_652
.LBB70_645:
	s_mov_b64 s[34:35], -1
	s_mov_b64 s[28:29], 0
	s_mov_b64 s[0:1], s[6:7]
.LBB70_646:
	s_and_b64 vcc, exec, s[34:35]
	s_cbranch_vccz .LBB70_651
; %bb.647:
	s_cmp_eq_u32 s39, 44
	s_mov_b64 s[0:1], -1
	s_cbranch_scc0 .LBB70_651
; %bb.648:
	v_cvt_f32_i32_e32 v1, v0
	s_movk_i32 s0, 0xff
	v_mov_b32_e32 v6, 0xff
	v_bfe_u32 v5, v1, 23, 8
	v_cmp_ne_u32_e32 vcc, s0, v5
	s_and_saveexec_b64 s[28:29], vcc
; %bb.649:
	s_mov_b32 s0, 0x3fffff
	v_lshrrev_b32_e32 v6, 23, v1
	v_and_b32_e32 v7, 0x400000, v1
	v_and_or_b32 v1, v1, s0, v5
	v_cmp_ne_u32_e32 vcc, 0, v7
	v_cmp_ne_u32_e64 s[0:1], 0, v1
	s_and_b64 s[0:1], vcc, s[0:1]
	v_cndmask_b32_e64 v1, 0, 1, s[0:1]
	v_add_u32_e32 v6, v6, v1
; %bb.650:
	s_or_b64 exec, exec, s[28:29]
	s_mov_b64 s[28:29], -1
	s_mov_b64 s[0:1], 0
	global_store_byte v[2:3], v6, off
.LBB70_651:
	s_mov_b64 s[34:35], 0
.LBB70_652:
	s_and_b64 vcc, exec, s[34:35]
	s_cbranch_vccz .LBB70_655
; %bb.653:
	s_cmp_eq_u32 s39, 29
	s_mov_b64 s[0:1], -1
	s_cbranch_scc0 .LBB70_655
; %bb.654:
	v_ashrrev_i32_e32 v1, 31, v0
	global_store_dwordx2 v[2:3], v[0:1], off
	s_mov_b64 s[28:29], -1
	s_mov_b64 s[0:1], 0
.LBB70_655:
	s_mov_b64 s[34:35], 0
.LBB70_656:
	s_and_b64 vcc, exec, s[34:35]
	s_cbranch_vccz .LBB70_672
; %bb.657:
	s_cmp_lt_i32 s39, 27
	s_mov_b64 s[28:29], -1
	s_cbranch_scc1 .LBB70_663
; %bb.658:
	s_cmp_gt_i32 s39, 27
	s_cbranch_scc0 .LBB70_660
; %bb.659:
	s_mov_b64 s[28:29], 0
	global_store_dword v[2:3], v0, off
.LBB70_660:
	s_andn2_b64 vcc, exec, s[28:29]
	s_cbranch_vccnz .LBB70_662
; %bb.661:
	global_store_short v[2:3], v0, off
.LBB70_662:
	s_mov_b64 s[28:29], 0
.LBB70_663:
	s_andn2_b64 vcc, exec, s[28:29]
	s_cbranch_vccnz .LBB70_671
; %bb.664:
	v_cvt_f32_i32_e32 v1, v0
	s_mov_b32 s28, 0x43800000
	v_mov_b32_e32 v6, 0x80
	v_and_b32_e32 v5, 0x7fffffff, v1
	v_cmp_gt_u32_e32 vcc, s28, v5
	s_and_saveexec_b64 s[28:29], vcc
	s_cbranch_execz .LBB70_670
; %bb.665:
	s_mov_b32 s34, 0x3bffffff
	v_cmp_lt_u32_e32 vcc, s34, v5
	s_mov_b64 s[34:35], 0
                                        ; implicit-def: $vgpr5
	s_and_saveexec_b64 s[36:37], vcc
	s_xor_b64 s[36:37], exec, s[36:37]
	s_cbranch_execz .LBB70_772
; %bb.666:
	v_bfe_u32 v5, v1, 20, 1
	s_mov_b32 s40, 0x487ffff
	v_add3_u32 v5, v1, v5, s40
	s_mov_b64 s[34:35], exec
	v_lshrrev_b32_e32 v5, 20, v5
	s_andn2_saveexec_b64 s[36:37], s[36:37]
	s_cbranch_execnz .LBB70_773
.LBB70_667:
	s_or_b64 exec, exec, s[36:37]
	v_mov_b32_e32 v6, 0
	s_and_saveexec_b64 s[36:37], s[34:35]
.LBB70_668:
	v_lshrrev_b32_e32 v1, 24, v1
	s_movk_i32 s34, 0x80
	v_and_or_b32 v6, v1, s34, v5
.LBB70_669:
	s_or_b64 exec, exec, s[36:37]
.LBB70_670:
	s_or_b64 exec, exec, s[28:29]
	global_store_byte v[2:3], v6, off
.LBB70_671:
	s_mov_b64 s[28:29], -1
.LBB70_672:
	s_mov_b64 s[34:35], 0
.LBB70_673:
	s_and_b64 vcc, exec, s[34:35]
	s_cbranch_vccz .LBB70_714
; %bb.674:
	s_cmp_gt_i32 s39, 22
	s_mov_b64 s[34:35], -1
	s_cbranch_scc0 .LBB70_706
; %bb.675:
	s_cmp_lt_i32 s39, 24
	s_mov_b64 s[28:29], -1
	s_cbranch_scc1 .LBB70_695
; %bb.676:
	s_cmp_gt_i32 s39, 24
	s_cbranch_scc0 .LBB70_684
; %bb.677:
	v_cvt_f32_i32_e32 v1, v0
	s_mov_b32 s28, 0x47800000
	v_mov_b32_e32 v6, 0x80
	v_and_b32_e32 v5, 0x7fffffff, v1
	v_cmp_gt_u32_e32 vcc, s28, v5
	s_and_saveexec_b64 s[28:29], vcc
	s_cbranch_execz .LBB70_683
; %bb.678:
	s_mov_b32 s34, 0x37ffffff
	v_cmp_lt_u32_e32 vcc, s34, v5
	s_mov_b64 s[34:35], 0
                                        ; implicit-def: $vgpr5
	s_and_saveexec_b64 s[36:37], vcc
	s_xor_b64 s[36:37], exec, s[36:37]
	s_cbranch_execz .LBB70_900
; %bb.679:
	v_bfe_u32 v5, v1, 21, 1
	s_mov_b32 s40, 0x88fffff
	v_add3_u32 v5, v1, v5, s40
	s_mov_b64 s[34:35], exec
	v_lshrrev_b32_e32 v5, 21, v5
	s_andn2_saveexec_b64 s[36:37], s[36:37]
	s_cbranch_execnz .LBB70_901
.LBB70_680:
	s_or_b64 exec, exec, s[36:37]
	v_mov_b32_e32 v6, 0
	s_and_saveexec_b64 s[36:37], s[34:35]
.LBB70_681:
	v_lshrrev_b32_e32 v1, 24, v1
	s_movk_i32 s34, 0x80
	v_and_or_b32 v6, v1, s34, v5
.LBB70_682:
	s_or_b64 exec, exec, s[36:37]
.LBB70_683:
	s_or_b64 exec, exec, s[28:29]
	s_mov_b64 s[28:29], 0
	global_store_byte v[2:3], v6, off
.LBB70_684:
	s_and_b64 vcc, exec, s[28:29]
	s_cbranch_vccz .LBB70_694
; %bb.685:
	v_cvt_f32_i32_e32 v1, v0
	s_mov_b32 s28, 0x43f00000
                                        ; implicit-def: $vgpr5
	v_and_b32_e32 v6, 0x7fffffff, v1
	v_cmp_gt_u32_e32 vcc, s28, v6
	s_and_saveexec_b64 s[28:29], vcc
	s_xor_b64 s[28:29], exec, s[28:29]
	s_cbranch_execz .LBB70_691
; %bb.686:
	s_mov_b32 s34, 0x3c7fffff
	v_cmp_lt_u32_e32 vcc, s34, v6
                                        ; implicit-def: $vgpr5
	s_and_saveexec_b64 s[34:35], vcc
	s_xor_b64 s[34:35], exec, s[34:35]
; %bb.687:
	v_bfe_u32 v5, v1, 20, 1
	s_mov_b32 s36, 0x407ffff
	v_add3_u32 v5, v1, v5, s36
	v_lshrrev_b32_e32 v6, 20, v5
	v_and_b32_e32 v5, 0xff00000, v5
	s_mov_b32 s36, 0x7f00000
	v_mov_b32_e32 v7, 0x7e
	v_cmp_ne_u32_e32 vcc, s36, v5
	v_cndmask_b32_e32 v5, v7, v6, vcc
; %bb.688:
	s_andn2_saveexec_b64 s[34:35], s[34:35]
; %bb.689:
	s_mov_b32 s36, 0x46800000
	v_add_f32_e64 v5, |v1|, s36
; %bb.690:
	s_or_b64 exec, exec, s[34:35]
                                        ; implicit-def: $vgpr6
.LBB70_691:
	s_andn2_saveexec_b64 s[28:29], s[28:29]
; %bb.692:
	s_mov_b32 s34, 0x7f800000
	v_mov_b32_e32 v5, 0x7e
	v_mov_b32_e32 v7, 0x7f
	v_cmp_lt_u32_e32 vcc, s34, v6
	v_cndmask_b32_e32 v5, v5, v7, vcc
; %bb.693:
	s_or_b64 exec, exec, s[28:29]
	v_lshrrev_b32_e32 v1, 24, v1
	s_movk_i32 s28, 0x80
	v_and_or_b32 v1, v1, s28, v5
	global_store_byte v[2:3], v1, off
.LBB70_694:
	s_mov_b64 s[28:29], 0
.LBB70_695:
	s_andn2_b64 vcc, exec, s[28:29]
	s_cbranch_vccnz .LBB70_705
; %bb.696:
	v_cvt_f32_i32_e32 v1, v0
	s_mov_b32 s28, 0x47800000
                                        ; implicit-def: $vgpr5
	v_and_b32_e32 v6, 0x7fffffff, v1
	v_cmp_gt_u32_e32 vcc, s28, v6
	s_and_saveexec_b64 s[28:29], vcc
	s_xor_b64 s[28:29], exec, s[28:29]
	s_cbranch_execz .LBB70_702
; %bb.697:
	s_mov_b32 s34, 0x387fffff
	v_cmp_lt_u32_e32 vcc, s34, v6
                                        ; implicit-def: $vgpr5
	s_and_saveexec_b64 s[34:35], vcc
	s_xor_b64 s[34:35], exec, s[34:35]
; %bb.698:
	v_bfe_u32 v5, v1, 21, 1
	s_mov_b32 s36, 0x80fffff
	v_add3_u32 v5, v1, v5, s36
	v_lshrrev_b32_e32 v5, 21, v5
; %bb.699:
	s_andn2_saveexec_b64 s[34:35], s[34:35]
; %bb.700:
	s_mov_b32 s36, 0x43000000
	v_add_f32_e64 v5, |v1|, s36
; %bb.701:
	s_or_b64 exec, exec, s[34:35]
                                        ; implicit-def: $vgpr6
.LBB70_702:
	s_andn2_saveexec_b64 s[28:29], s[28:29]
; %bb.703:
	s_mov_b32 s34, 0x7f800000
	v_mov_b32_e32 v5, 0x7c
	v_mov_b32_e32 v7, 0x7f
	v_cmp_lt_u32_e32 vcc, s34, v6
	v_cndmask_b32_e32 v5, v5, v7, vcc
; %bb.704:
	s_or_b64 exec, exec, s[28:29]
	v_lshrrev_b32_e32 v1, 24, v1
	s_movk_i32 s28, 0x80
	v_and_or_b32 v1, v1, s28, v5
	global_store_byte v[2:3], v1, off
.LBB70_705:
	s_mov_b64 s[34:35], 0
	s_mov_b64 s[28:29], -1
.LBB70_706:
	s_andn2_b64 vcc, exec, s[34:35]
	s_cbranch_vccnz .LBB70_714
; %bb.707:
	s_cmp_gt_i32 s39, 14
	s_mov_b64 s[34:35], -1
	s_cbranch_scc0 .LBB70_711
; %bb.708:
	s_cmp_eq_u32 s39, 15
	s_mov_b64 s[0:1], -1
	s_cbranch_scc0 .LBB70_710
; %bb.709:
	v_cvt_f32_i32_e32 v1, v0
	s_movk_i32 s0, 0x7fff
	s_mov_b64 s[28:29], -1
	v_bfe_u32 v5, v1, 16, 1
	v_add3_u32 v1, v1, v5, s0
	global_store_short_d16_hi v[2:3], v1, off
	s_mov_b64 s[0:1], 0
.LBB70_710:
	s_mov_b64 s[34:35], 0
.LBB70_711:
	s_and_b64 vcc, exec, s[34:35]
	s_cbranch_vccz .LBB70_714
; %bb.712:
	s_cmp_eq_u32 s39, 11
	s_mov_b64 s[0:1], -1
	s_cbranch_scc0 .LBB70_714
; %bb.713:
	v_cmp_ne_u32_e32 vcc, 0, v0
	v_cndmask_b32_e64 v1, 0, 1, vcc
	s_mov_b64 s[28:29], -1
	s_mov_b64 s[0:1], 0
	global_store_byte v[2:3], v1, off
.LBB70_714:
	s_mov_b64 s[34:35], 0
.LBB70_715:
	s_and_b64 vcc, exec, s[34:35]
	s_cbranch_vccz .LBB70_754
; %bb.716:
	s_and_b32 s34, 0xffff, s38
	s_cmp_lt_i32 s34, 5
	s_mov_b64 s[28:29], -1
	s_cbranch_scc1 .LBB70_737
; %bb.717:
	s_cmp_lt_i32 s34, 8
	s_cbranch_scc1 .LBB70_727
; %bb.718:
	s_cmp_lt_i32 s34, 9
	s_cbranch_scc1 .LBB70_724
; %bb.719:
	s_cmp_gt_i32 s34, 9
	s_cbranch_scc0 .LBB70_721
; %bb.720:
	v_cvt_f64_i32_e32 v[5:6], v0
	v_mov_b32_e32 v7, 0
	v_mov_b32_e32 v8, v7
	s_mov_b64 s[28:29], 0
	global_store_dwordx4 v[2:3], v[5:8], off
.LBB70_721:
	s_andn2_b64 vcc, exec, s[28:29]
	s_cbranch_vccnz .LBB70_723
; %bb.722:
	v_cvt_f32_i32_e32 v5, v0
	v_mov_b32_e32 v6, 0
	global_store_dwordx2 v[2:3], v[5:6], off
.LBB70_723:
	s_mov_b64 s[28:29], 0
.LBB70_724:
	s_andn2_b64 vcc, exec, s[28:29]
	s_cbranch_vccnz .LBB70_726
; %bb.725:
	v_cvt_f32_i32_e32 v1, v0
	v_cvt_f16_f32_e32 v1, v1
	global_store_dword v[2:3], v1, off
.LBB70_726:
	s_mov_b64 s[28:29], 0
.LBB70_727:
	s_andn2_b64 vcc, exec, s[28:29]
	s_cbranch_vccnz .LBB70_736
; %bb.728:
	s_cmp_lt_i32 s34, 6
	s_mov_b64 s[28:29], -1
	s_cbranch_scc1 .LBB70_734
; %bb.729:
	s_cmp_gt_i32 s34, 6
	s_cbranch_scc0 .LBB70_731
; %bb.730:
	v_cvt_f64_i32_e32 v[5:6], v0
	s_mov_b64 s[28:29], 0
	global_store_dwordx2 v[2:3], v[5:6], off
.LBB70_731:
	s_andn2_b64 vcc, exec, s[28:29]
	s_cbranch_vccnz .LBB70_733
; %bb.732:
	v_cvt_f32_i32_e32 v1, v0
	global_store_dword v[2:3], v1, off
.LBB70_733:
	s_mov_b64 s[28:29], 0
.LBB70_734:
	s_andn2_b64 vcc, exec, s[28:29]
	s_cbranch_vccnz .LBB70_736
; %bb.735:
	v_cvt_f32_i32_e32 v1, v0
	v_cvt_f16_f32_e32 v1, v1
	global_store_short v[2:3], v1, off
.LBB70_736:
	s_mov_b64 s[28:29], 0
.LBB70_737:
	s_andn2_b64 vcc, exec, s[28:29]
	s_cbranch_vccnz .LBB70_753
; %bb.738:
	s_cmp_lt_i32 s34, 2
	s_mov_b64 s[28:29], -1
	s_cbranch_scc1 .LBB70_748
; %bb.739:
	s_cmp_lt_i32 s34, 3
	s_cbranch_scc1 .LBB70_745
; %bb.740:
	s_cmp_gt_i32 s34, 3
	s_cbranch_scc0 .LBB70_742
; %bb.741:
	v_ashrrev_i32_e32 v1, 31, v0
	s_mov_b64 s[28:29], 0
	global_store_dwordx2 v[2:3], v[0:1], off
.LBB70_742:
	s_andn2_b64 vcc, exec, s[28:29]
	s_cbranch_vccnz .LBB70_744
; %bb.743:
	global_store_dword v[2:3], v0, off
.LBB70_744:
	s_mov_b64 s[28:29], 0
.LBB70_745:
	s_andn2_b64 vcc, exec, s[28:29]
	s_cbranch_vccnz .LBB70_747
; %bb.746:
	global_store_short v[2:3], v0, off
.LBB70_747:
	s_mov_b64 s[28:29], 0
.LBB70_748:
	s_andn2_b64 vcc, exec, s[28:29]
	s_cbranch_vccnz .LBB70_753
; %bb.749:
	s_cmp_gt_i32 s34, 0
	s_mov_b64 s[28:29], -1
	s_cbranch_scc0 .LBB70_751
; %bb.750:
	s_mov_b64 s[28:29], 0
	global_store_byte v[2:3], v0, off
.LBB70_751:
	s_andn2_b64 vcc, exec, s[28:29]
	s_cbranch_vccnz .LBB70_753
; %bb.752:
	global_store_byte v[2:3], v0, off
.LBB70_753:
	s_mov_b64 s[28:29], -1
.LBB70_754:
	s_andn2_b64 vcc, exec, s[28:29]
	s_cbranch_vccnz .LBB70_767
; %bb.755:
	v_add_u32_e32 v4, 0x80, v4
	s_mov_b64 s[34:35], -1
.LBB70_756:
	s_andn2_b64 s[28:29], s[6:7], exec
	s_and_b64 s[0:1], s[0:1], exec
	s_or_b64 s[28:29], s[28:29], s[0:1]
	s_andn2_b64 s[0:1], s[18:19], exec
	s_and_b64 s[26:27], s[26:27], exec
	s_or_b64 s[26:27], s[0:1], s[26:27]
	s_andn2_b64 s[0:1], s[20:21], exec
	s_and_b64 s[24:25], s[24:25], exec
	s_or_b64 s[24:25], s[0:1], s[24:25]
	s_orn2_b64 s[0:1], s[34:35], exec
.LBB70_757:
	s_or_b64 exec, exec, s[30:31]
	s_mov_b64 s[34:35], 0
	s_mov_b64 s[36:37], 0
	;; [unrolled: 1-line block ×3, first 2 shown]
                                        ; implicit-def: $sgpr55
                                        ; implicit-def: $vgpr0_vgpr1
                                        ; implicit-def: $vgpr5
	s_and_saveexec_b64 s[30:31], s[0:1]
	s_cbranch_execz .LBB70_1219
; %bb.758:
	v_cmp_gt_i32_e32 vcc, s48, v4
	s_mov_b64 s[46:47], -1
	s_mov_b64 s[0:1], s[24:25]
	s_mov_b64 s[38:39], s[26:27]
	;; [unrolled: 1-line block ×3, first 2 shown]
	s_and_saveexec_b64 s[34:35], vcc
	s_cbranch_execz .LBB70_1138
; %bb.759:
	v_mul_lo_u32 v0, v4, s13
	v_mov_b32_e32 v1, s11
	s_and_b32 s40, s54, 0xff
	s_cmp_lt_i32 s40, 11
	s_waitcnt vmcnt(0)
	v_ashrrev_i32_e32 v2, 31, v0
	v_add_co_u32_e32 v0, vcc, s10, v0
	v_addc_co_u32_e32 v1, vcc, v1, v2, vcc
	s_cbranch_scc1 .LBB70_766
; %bb.760:
	s_and_b32 s41, 0xffff, s40
	s_cmp_gt_i32 s41, 25
	s_cbranch_scc0 .LBB70_768
; %bb.761:
	s_cmp_gt_i32 s41, 28
	s_cbranch_scc0 .LBB70_769
; %bb.762:
	;; [unrolled: 3-line block ×4, first 2 shown]
	s_cmp_eq_u32 s41, 46
	s_mov_b64 s[38:39], 0
	s_cbranch_scc0 .LBB70_774
; %bb.765:
	global_load_dword v2, v[0:1], off
	s_mov_b64 s[0:1], -1
	s_waitcnt vmcnt(0)
	v_lshlrev_b32_e32 v2, 16, v2
	v_cvt_i32_f32_e32 v2, v2
	s_branch .LBB70_775
.LBB70_766:
	s_mov_b64 s[38:39], -1
	s_mov_b64 s[0:1], 0
                                        ; implicit-def: $vgpr2
	s_mov_b64 s[36:37], s[24:25]
	s_branch .LBB70_836
.LBB70_767:
	s_mov_b64 s[34:35], 0
	s_branch .LBB70_518
.LBB70_768:
	s_mov_b64 s[38:39], -1
	s_mov_b64 s[0:1], 0
	s_mov_b64 s[36:37], s[24:25]
                                        ; implicit-def: $vgpr2
	s_branch .LBB70_802
.LBB70_769:
	s_mov_b64 s[38:39], -1
	s_mov_b64 s[0:1], 0
	s_mov_b64 s[36:37], s[24:25]
                                        ; implicit-def: $vgpr2
	s_branch .LBB70_785
.LBB70_770:
	s_mov_b64 s[38:39], -1
	s_mov_b64 s[0:1], 0
	s_mov_b64 s[36:37], s[24:25]
                                        ; implicit-def: $vgpr2
	s_branch .LBB70_780
.LBB70_771:
	s_mov_b64 s[38:39], -1
	s_mov_b64 s[0:1], 0
	s_mov_b64 s[36:37], s[24:25]
                                        ; implicit-def: $vgpr2
	s_branch .LBB70_775
.LBB70_772:
	s_andn2_saveexec_b64 s[36:37], s[36:37]
	s_cbranch_execz .LBB70_667
.LBB70_773:
	s_mov_b32 s40, 0x46000000
	v_add_f32_e64 v5, |v1|, s40
	v_and_b32_e32 v5, 0xff, v5
	v_cmp_ne_u32_e32 vcc, 0, v5
	s_andn2_b64 s[34:35], s[34:35], exec
	s_and_b64 s[40:41], vcc, exec
	s_or_b64 s[34:35], s[34:35], s[40:41]
	s_or_b64 exec, exec, s[36:37]
	v_mov_b32_e32 v6, 0
	s_and_saveexec_b64 s[36:37], s[34:35]
	s_cbranch_execnz .LBB70_668
	s_branch .LBB70_669
.LBB70_774:
	s_mov_b64 s[36:37], -1
                                        ; implicit-def: $vgpr2
	s_mov_b64 s[0:1], 0
.LBB70_775:
	s_and_b64 vcc, exec, s[38:39]
	s_cbranch_vccz .LBB70_779
; %bb.776:
	s_cmp_eq_u32 s41, 44
	s_cbranch_scc0 .LBB70_778
; %bb.777:
	global_load_ubyte v2, v[0:1], off
	s_mov_b64 s[0:1], -1
	s_mov_b64 s[36:37], 0
	s_waitcnt vmcnt(0)
	v_lshlrev_b32_e32 v3, 23, v2
	v_cvt_i32_f32_e32 v3, v3
	v_cmp_ne_u32_e32 vcc, 0, v2
	v_cndmask_b32_e32 v2, 0, v3, vcc
	s_branch .LBB70_779
.LBB70_778:
	s_mov_b64 s[36:37], -1
                                        ; implicit-def: $vgpr2
.LBB70_779:
	s_mov_b64 s[38:39], 0
.LBB70_780:
	s_and_b64 vcc, exec, s[38:39]
	s_cbranch_vccz .LBB70_784
; %bb.781:
	s_cmp_eq_u32 s41, 29
	s_cbranch_scc0 .LBB70_783
; %bb.782:
	global_load_dword v2, v[0:1], off
	s_mov_b64 s[0:1], -1
	s_mov_b64 s[36:37], 0
	s_branch .LBB70_784
.LBB70_783:
	s_mov_b64 s[36:37], -1
                                        ; implicit-def: $vgpr2
.LBB70_784:
	s_mov_b64 s[38:39], 0
.LBB70_785:
	s_and_b64 vcc, exec, s[38:39]
	s_cbranch_vccz .LBB70_801
; %bb.786:
	s_cmp_lt_i32 s41, 27
	s_cbranch_scc1 .LBB70_789
; %bb.787:
	s_cmp_gt_i32 s41, 27
	s_cbranch_scc0 .LBB70_790
; %bb.788:
	global_load_dword v2, v[0:1], off
	s_mov_b64 s[0:1], 0
	s_branch .LBB70_791
.LBB70_789:
	s_mov_b64 s[0:1], -1
                                        ; implicit-def: $vgpr2
	s_branch .LBB70_794
.LBB70_790:
	s_mov_b64 s[0:1], -1
                                        ; implicit-def: $vgpr2
.LBB70_791:
	s_andn2_b64 vcc, exec, s[0:1]
	s_cbranch_vccnz .LBB70_793
; %bb.792:
	global_load_ushort v2, v[0:1], off
.LBB70_793:
	s_mov_b64 s[0:1], 0
.LBB70_794:
	s_andn2_b64 vcc, exec, s[0:1]
	s_cbranch_vccnz .LBB70_800
; %bb.795:
	global_load_ubyte v3, v[0:1], off
	s_movk_i32 s0, 0x7f
	s_mov_b64 s[38:39], 0
	s_waitcnt vmcnt(0)
	v_cmp_lt_i16_e32 vcc, s0, v3
	s_and_saveexec_b64 s[0:1], vcc
	s_xor_b64 s[0:1], exec, s[0:1]
	s_cbranch_execz .LBB70_812
; %bb.796:
	s_movk_i32 s38, 0x80
	v_cmp_ne_u16_e32 vcc, s38, v3
	s_and_b64 s[38:39], vcc, exec
	s_andn2_saveexec_b64 s[0:1], s[0:1]
	s_cbranch_execnz .LBB70_813
.LBB70_797:
	s_or_b64 exec, exec, s[0:1]
	v_mov_b32_e32 v2, 0
	s_and_saveexec_b64 s[0:1], s[38:39]
	s_cbranch_execz .LBB70_799
.LBB70_798:
	v_lshlrev_b32_e32 v2, 24, v3
	v_and_b32_e32 v3, 0xffff, v3
	v_and_b32_e32 v5, 7, v3
	v_ffbh_u32_e32 v7, v5
	v_min_u32_e32 v7, 32, v7
	v_subrev_u32_e32 v8, 28, v7
	v_bfe_u32 v6, v3, 3, 4
	v_lshlrev_b32_e32 v3, v8, v3
	v_sub_u32_e32 v7, 29, v7
	v_and_b32_e32 v3, 7, v3
	v_cmp_eq_u32_e32 vcc, 0, v6
	v_cndmask_b32_e32 v6, v6, v7, vcc
	v_cndmask_b32_e32 v3, v5, v3, vcc
	v_mov_b32_e32 v5, 0x3b800000
	v_lshlrev_b32_e32 v3, 20, v3
	v_and_b32_e32 v2, 0x80000000, v2
	v_lshl_add_u32 v5, v6, 23, v5
	v_or3_b32 v2, v2, v5, v3
	v_cvt_i32_f32_e32 v2, v2
.LBB70_799:
	s_or_b64 exec, exec, s[0:1]
.LBB70_800:
	s_mov_b64 s[0:1], -1
.LBB70_801:
	s_mov_b64 s[38:39], 0
.LBB70_802:
	s_and_b64 vcc, exec, s[38:39]
	s_cbranch_vccz .LBB70_835
; %bb.803:
	s_cmp_gt_i32 s41, 22
	s_cbranch_scc0 .LBB70_811
; %bb.804:
	s_cmp_lt_i32 s41, 24
	s_cbranch_scc1 .LBB70_814
; %bb.805:
	s_cmp_gt_i32 s41, 24
	s_cbranch_scc0 .LBB70_815
; %bb.806:
	global_load_ubyte v3, v[0:1], off
	s_movk_i32 s0, 0x7f
	s_mov_b64 s[38:39], 0
	s_waitcnt vmcnt(0)
	v_cmp_lt_i16_e32 vcc, s0, v3
	s_and_saveexec_b64 s[0:1], vcc
	s_xor_b64 s[0:1], exec, s[0:1]
	s_cbranch_execz .LBB70_827
; %bb.807:
	s_movk_i32 s38, 0x80
	v_cmp_ne_u16_e32 vcc, s38, v3
	s_and_b64 s[38:39], vcc, exec
	s_andn2_saveexec_b64 s[0:1], s[0:1]
	s_cbranch_execnz .LBB70_828
.LBB70_808:
	s_or_b64 exec, exec, s[0:1]
	v_mov_b32_e32 v2, 0
	s_and_saveexec_b64 s[0:1], s[38:39]
	s_cbranch_execz .LBB70_810
.LBB70_809:
	v_lshlrev_b32_e32 v2, 24, v3
	v_and_b32_e32 v3, 0xffff, v3
	v_and_b32_e32 v5, 3, v3
	v_ffbh_u32_e32 v7, v5
	v_min_u32_e32 v7, 32, v7
	v_subrev_u32_e32 v8, 29, v7
	v_bfe_u32 v6, v3, 2, 5
	v_lshlrev_b32_e32 v3, v8, v3
	v_sub_u32_e32 v7, 30, v7
	v_and_b32_e32 v3, 3, v3
	v_cmp_eq_u32_e32 vcc, 0, v6
	v_cndmask_b32_e32 v6, v6, v7, vcc
	v_cndmask_b32_e32 v3, v5, v3, vcc
	v_mov_b32_e32 v5, 0x37800000
	v_lshlrev_b32_e32 v3, 21, v3
	v_and_b32_e32 v2, 0x80000000, v2
	v_lshl_add_u32 v5, v6, 23, v5
	v_or3_b32 v2, v2, v5, v3
	v_cvt_i32_f32_e32 v2, v2
.LBB70_810:
	s_or_b64 exec, exec, s[0:1]
	s_mov_b64 s[0:1], 0
	s_branch .LBB70_816
.LBB70_811:
	s_mov_b64 s[38:39], -1
                                        ; implicit-def: $vgpr2
	s_branch .LBB70_822
.LBB70_812:
	s_andn2_saveexec_b64 s[0:1], s[0:1]
	s_cbranch_execz .LBB70_797
.LBB70_813:
	v_cmp_ne_u16_e32 vcc, 0, v3
	s_andn2_b64 s[38:39], s[38:39], exec
	s_and_b64 s[42:43], vcc, exec
	s_or_b64 s[38:39], s[38:39], s[42:43]
	s_or_b64 exec, exec, s[0:1]
	v_mov_b32_e32 v2, 0
	s_and_saveexec_b64 s[0:1], s[38:39]
	s_cbranch_execnz .LBB70_798
	s_branch .LBB70_799
.LBB70_814:
	s_mov_b64 s[0:1], -1
                                        ; implicit-def: $vgpr2
	s_branch .LBB70_819
.LBB70_815:
	s_mov_b64 s[0:1], -1
                                        ; implicit-def: $vgpr2
.LBB70_816:
	s_and_b64 vcc, exec, s[0:1]
	s_cbranch_vccz .LBB70_818
; %bb.817:
	global_load_ubyte v2, v[0:1], off
	s_mov_b32 s0, 0x7f800000
	s_waitcnt vmcnt(0)
	v_lshlrev_b32_e32 v2, 24, v2
	v_and_b32_e32 v3, 0x7f000000, v2
	v_ffbh_u32_e32 v5, v3
	v_min_u32_e32 v5, 32, v5
	v_sub_u32_e64 v5, v5, 4 clamp
	v_lshlrev_b32_e32 v7, v5, v3
	v_lshlrev_b32_e32 v5, 23, v5
	v_lshrrev_b32_e32 v7, 4, v7
	v_add_u32_e32 v6, 0x1000000, v3
	v_sub_u32_e32 v5, v7, v5
	v_ashrrev_i32_e32 v6, 8, v6
	v_add_u32_e32 v5, 0x3c000000, v5
	v_and_or_b32 v5, v6, s0, v5
	v_cmp_ne_u32_e32 vcc, 0, v3
	v_cndmask_b32_e32 v3, 0, v5, vcc
	s_brev_b32 s0, 1
	v_and_or_b32 v2, v2, s0, v3
	v_cvt_i32_f32_e32 v2, v2
.LBB70_818:
	s_mov_b64 s[0:1], 0
.LBB70_819:
	s_andn2_b64 vcc, exec, s[0:1]
	s_cbranch_vccnz .LBB70_821
; %bb.820:
	global_load_ubyte v2, v[0:1], off
	s_movk_i32 s0, 0x7f00
	s_brev_b32 s1, 16
	s_waitcnt vmcnt(0)
	v_lshlrev_b16_e32 v3, 8, v2
	v_lshlrev_b32_e32 v2, 25, v2
	v_lshrrev_b32_e32 v5, 4, v2
	v_and_or_b32 v6, v3, s0, 0.5
	v_or_b32_e32 v5, 0x70000000, v5
	v_add_f32_e32 v6, -0.5, v6
	v_mul_f32_e32 v5, 0x7800000, v5
	v_cmp_gt_u32_e32 vcc, s1, v2
	v_bfe_i32 v3, v3, 0, 16
	v_cndmask_b32_e32 v2, v5, v6, vcc
	s_brev_b32 s0, 1
	v_and_or_b32 v2, v3, s0, v2
	v_cvt_i32_f32_e32 v2, v2
.LBB70_821:
	s_mov_b64 s[38:39], 0
	s_mov_b64 s[0:1], -1
.LBB70_822:
	s_andn2_b64 vcc, exec, s[38:39]
	s_cbranch_vccnz .LBB70_835
; %bb.823:
	s_cmp_gt_i32 s41, 14
	s_cbranch_scc0 .LBB70_826
; %bb.824:
	s_cmp_eq_u32 s41, 15
	s_cbranch_scc0 .LBB70_829
; %bb.825:
	global_load_ushort v2, v[0:1], off
	s_mov_b64 s[0:1], -1
	s_mov_b64 s[36:37], 0
	s_waitcnt vmcnt(0)
	v_lshlrev_b32_e32 v2, 16, v2
	v_cvt_i32_f32_e32 v2, v2
	s_branch .LBB70_830
.LBB70_826:
	s_mov_b64 s[38:39], -1
                                        ; implicit-def: $vgpr2
	s_branch .LBB70_831
.LBB70_827:
	s_andn2_saveexec_b64 s[0:1], s[0:1]
	s_cbranch_execz .LBB70_808
.LBB70_828:
	v_cmp_ne_u16_e32 vcc, 0, v3
	s_andn2_b64 s[38:39], s[38:39], exec
	s_and_b64 s[42:43], vcc, exec
	s_or_b64 s[38:39], s[38:39], s[42:43]
	s_or_b64 exec, exec, s[0:1]
	v_mov_b32_e32 v2, 0
	s_and_saveexec_b64 s[0:1], s[38:39]
	s_cbranch_execnz .LBB70_809
	s_branch .LBB70_810
.LBB70_829:
	s_mov_b64 s[36:37], -1
                                        ; implicit-def: $vgpr2
.LBB70_830:
	s_mov_b64 s[38:39], 0
.LBB70_831:
	s_and_b64 vcc, exec, s[38:39]
	s_cbranch_vccz .LBB70_835
; %bb.832:
	s_cmp_eq_u32 s41, 11
	s_cbranch_scc0 .LBB70_834
; %bb.833:
	global_load_ubyte v2, v[0:1], off
	s_mov_b64 s[0:1], -1
	s_mov_b64 s[36:37], 0
	s_waitcnt vmcnt(0)
	v_cmp_ne_u16_e32 vcc, 0, v2
	v_cndmask_b32_e64 v2, 0, 1, vcc
	s_branch .LBB70_835
.LBB70_834:
	s_mov_b64 s[36:37], -1
                                        ; implicit-def: $vgpr2
.LBB70_835:
	s_mov_b64 s[38:39], 0
.LBB70_836:
	s_and_b64 vcc, exec, s[38:39]
	s_cbranch_vccz .LBB70_885
; %bb.837:
	s_and_b32 s38, 0xffff, s40
	s_cmp_lt_i32 s38, 5
	s_cbranch_scc1 .LBB70_842
; %bb.838:
	s_cmp_lt_i32 s38, 8
	s_cbranch_scc1 .LBB70_843
; %bb.839:
	;; [unrolled: 3-line block ×3, first 2 shown]
	s_cmp_gt_i32 s38, 9
	s_cbranch_scc0 .LBB70_845
; %bb.841:
	global_load_dwordx2 v[2:3], v[0:1], off
	s_mov_b64 s[0:1], 0
	s_waitcnt vmcnt(0)
	v_cvt_i32_f64_e32 v2, v[2:3]
	s_branch .LBB70_846
.LBB70_842:
	s_mov_b64 s[0:1], -1
                                        ; implicit-def: $vgpr2
	s_branch .LBB70_864
.LBB70_843:
	s_mov_b64 s[0:1], -1
                                        ; implicit-def: $vgpr2
	s_branch .LBB70_852
.LBB70_844:
	s_mov_b64 s[0:1], -1
                                        ; implicit-def: $vgpr2
	s_branch .LBB70_849
.LBB70_845:
	s_mov_b64 s[0:1], -1
                                        ; implicit-def: $vgpr2
.LBB70_846:
	s_andn2_b64 vcc, exec, s[0:1]
	s_cbranch_vccnz .LBB70_848
; %bb.847:
	global_load_dword v2, v[0:1], off
	s_waitcnt vmcnt(0)
	v_cvt_i32_f32_e32 v2, v2
.LBB70_848:
	s_mov_b64 s[0:1], 0
.LBB70_849:
	s_andn2_b64 vcc, exec, s[0:1]
	s_cbranch_vccnz .LBB70_851
; %bb.850:
	global_load_dword v2, v[0:1], off
	s_waitcnt vmcnt(0)
	v_cvt_f32_f16_e32 v2, v2
	v_cvt_i32_f32_e32 v2, v2
.LBB70_851:
	s_mov_b64 s[0:1], 0
.LBB70_852:
	s_andn2_b64 vcc, exec, s[0:1]
	s_cbranch_vccnz .LBB70_863
; %bb.853:
	s_cmp_lt_i32 s38, 6
	s_cbranch_scc1 .LBB70_856
; %bb.854:
	s_cmp_gt_i32 s38, 6
	s_cbranch_scc0 .LBB70_857
; %bb.855:
	global_load_dwordx2 v[2:3], v[0:1], off
	s_mov_b64 s[0:1], 0
	s_waitcnt vmcnt(0)
	v_cvt_i32_f64_e32 v2, v[2:3]
	s_branch .LBB70_858
.LBB70_856:
	s_mov_b64 s[0:1], -1
                                        ; implicit-def: $vgpr2
	s_branch .LBB70_861
.LBB70_857:
	s_mov_b64 s[0:1], -1
                                        ; implicit-def: $vgpr2
.LBB70_858:
	s_andn2_b64 vcc, exec, s[0:1]
	s_cbranch_vccnz .LBB70_860
; %bb.859:
	global_load_dword v2, v[0:1], off
	s_waitcnt vmcnt(0)
	v_cvt_i32_f32_e32 v2, v2
.LBB70_860:
	s_mov_b64 s[0:1], 0
.LBB70_861:
	s_andn2_b64 vcc, exec, s[0:1]
	s_cbranch_vccnz .LBB70_863
; %bb.862:
	global_load_ushort v2, v[0:1], off
	s_waitcnt vmcnt(0)
	v_cvt_f32_f16_e32 v2, v2
	v_cvt_i32_f32_e32 v2, v2
.LBB70_863:
	s_mov_b64 s[0:1], 0
.LBB70_864:
	s_andn2_b64 vcc, exec, s[0:1]
	s_cbranch_vccnz .LBB70_884
; %bb.865:
	s_cmp_lt_i32 s38, 2
	s_cbranch_scc1 .LBB70_869
; %bb.866:
	s_cmp_lt_i32 s38, 3
	s_cbranch_scc1 .LBB70_870
; %bb.867:
	s_cmp_gt_i32 s38, 3
	s_cbranch_scc0 .LBB70_871
; %bb.868:
	global_load_dword v2, v[0:1], off
	s_mov_b64 s[0:1], 0
	s_branch .LBB70_872
.LBB70_869:
	s_mov_b64 s[0:1], -1
                                        ; implicit-def: $vgpr2
	s_branch .LBB70_878
.LBB70_870:
	s_mov_b64 s[0:1], -1
                                        ; implicit-def: $vgpr2
	s_branch .LBB70_875
.LBB70_871:
	s_mov_b64 s[0:1], -1
                                        ; implicit-def: $vgpr2
.LBB70_872:
	s_andn2_b64 vcc, exec, s[0:1]
	s_cbranch_vccnz .LBB70_874
; %bb.873:
	global_load_dword v2, v[0:1], off
.LBB70_874:
	s_mov_b64 s[0:1], 0
.LBB70_875:
	s_andn2_b64 vcc, exec, s[0:1]
	s_cbranch_vccnz .LBB70_877
; %bb.876:
	global_load_sshort v2, v[0:1], off
.LBB70_877:
	s_mov_b64 s[0:1], 0
.LBB70_878:
	s_andn2_b64 vcc, exec, s[0:1]
	s_cbranch_vccnz .LBB70_884
; %bb.879:
	s_cmp_gt_i32 s38, 0
	s_cbranch_scc0 .LBB70_881
; %bb.880:
	global_load_sbyte v2, v[0:1], off
	s_mov_b64 s[0:1], 0
	s_branch .LBB70_882
.LBB70_881:
	s_mov_b64 s[0:1], -1
                                        ; implicit-def: $vgpr2
.LBB70_882:
	s_andn2_b64 vcc, exec, s[0:1]
	s_cbranch_vccnz .LBB70_884
; %bb.883:
	global_load_ubyte v2, v[0:1], off
.LBB70_884:
	s_mov_b64 s[0:1], -1
.LBB70_885:
	s_andn2_b64 vcc, exec, s[0:1]
	s_cbranch_vccnz .LBB70_893
; %bb.886:
	v_mul_lo_u32 v0, v4, s14
	v_mov_b32_e32 v1, s3
	s_and_b32 s42, s15, 0xff
	s_cmp_lt_i32 s42, 11
	v_ashrrev_i32_e32 v3, 31, v0
	v_add_co_u32_e32 v0, vcc, s2, v0
	v_addc_co_u32_e32 v1, vcc, v1, v3, vcc
	s_cbranch_scc1 .LBB70_895
; %bb.887:
	s_and_b32 s43, 0xffff, s42
	s_cmp_gt_i32 s43, 25
	s_cbranch_scc0 .LBB70_896
; %bb.888:
	s_cmp_gt_i32 s43, 28
	s_cbranch_scc0 .LBB70_897
; %bb.889:
	;; [unrolled: 3-line block ×4, first 2 shown]
	s_cmp_eq_u32 s43, 46
	s_mov_b64 s[40:41], 0
	s_cbranch_scc0 .LBB70_902
; %bb.892:
	global_load_dword v3, v[0:1], off
	s_mov_b64 s[0:1], -1
	s_mov_b64 s[38:39], 0
	s_waitcnt vmcnt(0)
	v_lshlrev_b32_e32 v3, 16, v3
	v_cvt_i32_f32_e32 v3, v3
	s_branch .LBB70_903
.LBB70_893:
	s_mov_b64 s[42:43], 0
	s_mov_b64 s[0:1], s[28:29]
	;; [unrolled: 1-line block ×3, first 2 shown]
.LBB70_894:
                                        ; implicit-def: $vgpr4
	s_branch .LBB70_1137
.LBB70_895:
	s_mov_b64 s[40:41], -1
	s_mov_b64 s[0:1], 0
                                        ; implicit-def: $vgpr3
	s_mov_b64 s[38:39], s[26:27]
	s_branch .LBB70_964
.LBB70_896:
	s_mov_b64 s[40:41], -1
	s_mov_b64 s[0:1], 0
	s_mov_b64 s[38:39], s[26:27]
                                        ; implicit-def: $vgpr3
	s_branch .LBB70_930
.LBB70_897:
	s_mov_b64 s[40:41], -1
	s_mov_b64 s[0:1], 0
	s_mov_b64 s[38:39], s[26:27]
                                        ; implicit-def: $vgpr3
	s_branch .LBB70_913
.LBB70_898:
	s_mov_b64 s[40:41], -1
	s_mov_b64 s[0:1], 0
	s_mov_b64 s[38:39], s[26:27]
                                        ; implicit-def: $vgpr3
	s_branch .LBB70_908
.LBB70_899:
	s_mov_b64 s[40:41], -1
	s_mov_b64 s[0:1], 0
	s_mov_b64 s[38:39], s[26:27]
                                        ; implicit-def: $vgpr3
	s_branch .LBB70_903
.LBB70_900:
	s_andn2_saveexec_b64 s[36:37], s[36:37]
	s_cbranch_execz .LBB70_680
.LBB70_901:
	s_mov_b32 s40, 0x42800000
	v_add_f32_e64 v5, |v1|, s40
	v_and_b32_e32 v5, 0xff, v5
	v_cmp_ne_u32_e32 vcc, 0, v5
	s_andn2_b64 s[34:35], s[34:35], exec
	s_and_b64 s[40:41], vcc, exec
	s_or_b64 s[34:35], s[34:35], s[40:41]
	s_or_b64 exec, exec, s[36:37]
	v_mov_b32_e32 v6, 0
	s_and_saveexec_b64 s[36:37], s[34:35]
	s_cbranch_execnz .LBB70_681
	s_branch .LBB70_682
.LBB70_902:
	s_mov_b64 s[38:39], -1
                                        ; implicit-def: $vgpr3
	s_mov_b64 s[0:1], 0
.LBB70_903:
	s_and_b64 vcc, exec, s[40:41]
	s_cbranch_vccz .LBB70_907
; %bb.904:
	s_cmp_eq_u32 s43, 44
	s_cbranch_scc0 .LBB70_906
; %bb.905:
	global_load_ubyte v3, v[0:1], off
	s_mov_b64 s[0:1], -1
	s_mov_b64 s[38:39], 0
	s_waitcnt vmcnt(0)
	v_lshlrev_b32_e32 v5, 23, v3
	v_cvt_i32_f32_e32 v5, v5
	v_cmp_ne_u32_e32 vcc, 0, v3
	v_cndmask_b32_e32 v3, 0, v5, vcc
	s_branch .LBB70_907
.LBB70_906:
	s_mov_b64 s[38:39], -1
                                        ; implicit-def: $vgpr3
.LBB70_907:
	s_mov_b64 s[40:41], 0
.LBB70_908:
	s_and_b64 vcc, exec, s[40:41]
	s_cbranch_vccz .LBB70_912
; %bb.909:
	s_cmp_eq_u32 s43, 29
	s_cbranch_scc0 .LBB70_911
; %bb.910:
	global_load_dword v3, v[0:1], off
	s_mov_b64 s[0:1], -1
	s_mov_b64 s[38:39], 0
	s_branch .LBB70_912
.LBB70_911:
	s_mov_b64 s[38:39], -1
                                        ; implicit-def: $vgpr3
.LBB70_912:
	s_mov_b64 s[40:41], 0
.LBB70_913:
	s_and_b64 vcc, exec, s[40:41]
	s_cbranch_vccz .LBB70_929
; %bb.914:
	s_cmp_lt_i32 s43, 27
	s_cbranch_scc1 .LBB70_917
; %bb.915:
	s_cmp_gt_i32 s43, 27
	s_cbranch_scc0 .LBB70_918
; %bb.916:
	global_load_dword v3, v[0:1], off
	s_mov_b64 s[0:1], 0
	s_branch .LBB70_919
.LBB70_917:
	s_mov_b64 s[0:1], -1
                                        ; implicit-def: $vgpr3
	s_branch .LBB70_922
.LBB70_918:
	s_mov_b64 s[0:1], -1
                                        ; implicit-def: $vgpr3
.LBB70_919:
	s_andn2_b64 vcc, exec, s[0:1]
	s_cbranch_vccnz .LBB70_921
; %bb.920:
	global_load_ushort v3, v[0:1], off
.LBB70_921:
	s_mov_b64 s[0:1], 0
.LBB70_922:
	s_andn2_b64 vcc, exec, s[0:1]
	s_cbranch_vccnz .LBB70_928
; %bb.923:
	global_load_ubyte v5, v[0:1], off
	s_movk_i32 s0, 0x7f
	s_mov_b64 s[40:41], 0
	s_waitcnt vmcnt(0)
	v_cmp_lt_i16_e32 vcc, s0, v5
	s_and_saveexec_b64 s[0:1], vcc
	s_xor_b64 s[0:1], exec, s[0:1]
	s_cbranch_execz .LBB70_940
; %bb.924:
	s_movk_i32 s40, 0x80
	v_cmp_ne_u16_e32 vcc, s40, v5
	s_and_b64 s[40:41], vcc, exec
	s_andn2_saveexec_b64 s[0:1], s[0:1]
	s_cbranch_execnz .LBB70_941
.LBB70_925:
	s_or_b64 exec, exec, s[0:1]
	v_mov_b32_e32 v3, 0
	s_and_saveexec_b64 s[0:1], s[40:41]
	s_cbranch_execz .LBB70_927
.LBB70_926:
	v_lshlrev_b32_e32 v3, 24, v5
	v_and_b32_e32 v5, 0xffff, v5
	v_and_b32_e32 v6, 7, v5
	v_ffbh_u32_e32 v8, v6
	v_min_u32_e32 v8, 32, v8
	v_subrev_u32_e32 v9, 28, v8
	v_bfe_u32 v7, v5, 3, 4
	v_lshlrev_b32_e32 v5, v9, v5
	v_sub_u32_e32 v8, 29, v8
	v_and_b32_e32 v5, 7, v5
	v_cmp_eq_u32_e32 vcc, 0, v7
	v_cndmask_b32_e32 v7, v7, v8, vcc
	v_cndmask_b32_e32 v5, v6, v5, vcc
	v_mov_b32_e32 v6, 0x3b800000
	v_lshlrev_b32_e32 v5, 20, v5
	v_and_b32_e32 v3, 0x80000000, v3
	v_lshl_add_u32 v6, v7, 23, v6
	v_or3_b32 v3, v3, v6, v5
	v_cvt_i32_f32_e32 v3, v3
.LBB70_927:
	s_or_b64 exec, exec, s[0:1]
.LBB70_928:
	s_mov_b64 s[0:1], -1
.LBB70_929:
	s_mov_b64 s[40:41], 0
.LBB70_930:
	s_and_b64 vcc, exec, s[40:41]
	s_cbranch_vccz .LBB70_963
; %bb.931:
	s_cmp_gt_i32 s43, 22
	s_cbranch_scc0 .LBB70_939
; %bb.932:
	s_cmp_lt_i32 s43, 24
	s_cbranch_scc1 .LBB70_942
; %bb.933:
	s_cmp_gt_i32 s43, 24
	s_cbranch_scc0 .LBB70_943
; %bb.934:
	global_load_ubyte v5, v[0:1], off
	s_movk_i32 s0, 0x7f
	s_mov_b64 s[40:41], 0
	s_waitcnt vmcnt(0)
	v_cmp_lt_i16_e32 vcc, s0, v5
	s_and_saveexec_b64 s[0:1], vcc
	s_xor_b64 s[0:1], exec, s[0:1]
	s_cbranch_execz .LBB70_955
; %bb.935:
	s_movk_i32 s40, 0x80
	v_cmp_ne_u16_e32 vcc, s40, v5
	s_and_b64 s[40:41], vcc, exec
	s_andn2_saveexec_b64 s[0:1], s[0:1]
	s_cbranch_execnz .LBB70_956
.LBB70_936:
	s_or_b64 exec, exec, s[0:1]
	v_mov_b32_e32 v3, 0
	s_and_saveexec_b64 s[0:1], s[40:41]
	s_cbranch_execz .LBB70_938
.LBB70_937:
	v_lshlrev_b32_e32 v3, 24, v5
	v_and_b32_e32 v5, 0xffff, v5
	v_and_b32_e32 v6, 3, v5
	v_ffbh_u32_e32 v8, v6
	v_min_u32_e32 v8, 32, v8
	v_subrev_u32_e32 v9, 29, v8
	v_bfe_u32 v7, v5, 2, 5
	v_lshlrev_b32_e32 v5, v9, v5
	v_sub_u32_e32 v8, 30, v8
	v_and_b32_e32 v5, 3, v5
	v_cmp_eq_u32_e32 vcc, 0, v7
	v_cndmask_b32_e32 v7, v7, v8, vcc
	v_cndmask_b32_e32 v5, v6, v5, vcc
	v_mov_b32_e32 v6, 0x37800000
	v_lshlrev_b32_e32 v5, 21, v5
	v_and_b32_e32 v3, 0x80000000, v3
	v_lshl_add_u32 v6, v7, 23, v6
	v_or3_b32 v3, v3, v6, v5
	v_cvt_i32_f32_e32 v3, v3
.LBB70_938:
	s_or_b64 exec, exec, s[0:1]
	s_mov_b64 s[0:1], 0
	s_branch .LBB70_944
.LBB70_939:
	s_mov_b64 s[40:41], -1
                                        ; implicit-def: $vgpr3
	s_branch .LBB70_950
.LBB70_940:
	s_andn2_saveexec_b64 s[0:1], s[0:1]
	s_cbranch_execz .LBB70_925
.LBB70_941:
	v_cmp_ne_u16_e32 vcc, 0, v5
	s_andn2_b64 s[40:41], s[40:41], exec
	s_and_b64 s[44:45], vcc, exec
	s_or_b64 s[40:41], s[40:41], s[44:45]
	s_or_b64 exec, exec, s[0:1]
	v_mov_b32_e32 v3, 0
	s_and_saveexec_b64 s[0:1], s[40:41]
	s_cbranch_execnz .LBB70_926
	s_branch .LBB70_927
.LBB70_942:
	s_mov_b64 s[0:1], -1
                                        ; implicit-def: $vgpr3
	s_branch .LBB70_947
.LBB70_943:
	s_mov_b64 s[0:1], -1
                                        ; implicit-def: $vgpr3
.LBB70_944:
	s_and_b64 vcc, exec, s[0:1]
	s_cbranch_vccz .LBB70_946
; %bb.945:
	global_load_ubyte v3, v[0:1], off
	s_mov_b32 s0, 0x7f800000
	s_waitcnt vmcnt(0)
	v_lshlrev_b32_e32 v3, 24, v3
	v_and_b32_e32 v5, 0x7f000000, v3
	v_ffbh_u32_e32 v6, v5
	v_min_u32_e32 v6, 32, v6
	v_sub_u32_e64 v6, v6, 4 clamp
	v_lshlrev_b32_e32 v8, v6, v5
	v_lshlrev_b32_e32 v6, 23, v6
	v_lshrrev_b32_e32 v8, 4, v8
	v_add_u32_e32 v7, 0x1000000, v5
	v_sub_u32_e32 v6, v8, v6
	v_ashrrev_i32_e32 v7, 8, v7
	v_add_u32_e32 v6, 0x3c000000, v6
	v_and_or_b32 v6, v7, s0, v6
	v_cmp_ne_u32_e32 vcc, 0, v5
	v_cndmask_b32_e32 v5, 0, v6, vcc
	s_brev_b32 s0, 1
	v_and_or_b32 v3, v3, s0, v5
	v_cvt_i32_f32_e32 v3, v3
.LBB70_946:
	s_mov_b64 s[0:1], 0
.LBB70_947:
	s_andn2_b64 vcc, exec, s[0:1]
	s_cbranch_vccnz .LBB70_949
; %bb.948:
	global_load_ubyte v3, v[0:1], off
	s_movk_i32 s0, 0x7f00
	s_brev_b32 s1, 16
	s_waitcnt vmcnt(0)
	v_lshlrev_b16_e32 v5, 8, v3
	v_lshlrev_b32_e32 v3, 25, v3
	v_lshrrev_b32_e32 v6, 4, v3
	v_and_or_b32 v7, v5, s0, 0.5
	v_or_b32_e32 v6, 0x70000000, v6
	v_add_f32_e32 v7, -0.5, v7
	v_mul_f32_e32 v6, 0x7800000, v6
	v_cmp_gt_u32_e32 vcc, s1, v3
	v_bfe_i32 v5, v5, 0, 16
	v_cndmask_b32_e32 v3, v6, v7, vcc
	s_brev_b32 s0, 1
	v_and_or_b32 v3, v5, s0, v3
	v_cvt_i32_f32_e32 v3, v3
.LBB70_949:
	s_mov_b64 s[40:41], 0
	s_mov_b64 s[0:1], -1
.LBB70_950:
	s_andn2_b64 vcc, exec, s[40:41]
	s_cbranch_vccnz .LBB70_963
; %bb.951:
	s_cmp_gt_i32 s43, 14
	s_cbranch_scc0 .LBB70_954
; %bb.952:
	s_cmp_eq_u32 s43, 15
	s_cbranch_scc0 .LBB70_957
; %bb.953:
	global_load_ushort v3, v[0:1], off
	s_mov_b64 s[0:1], -1
	s_mov_b64 s[38:39], 0
	s_waitcnt vmcnt(0)
	v_lshlrev_b32_e32 v3, 16, v3
	v_cvt_i32_f32_e32 v3, v3
	s_branch .LBB70_958
.LBB70_954:
	s_mov_b64 s[40:41], -1
                                        ; implicit-def: $vgpr3
	s_branch .LBB70_959
.LBB70_955:
	s_andn2_saveexec_b64 s[0:1], s[0:1]
	s_cbranch_execz .LBB70_936
.LBB70_956:
	v_cmp_ne_u16_e32 vcc, 0, v5
	s_andn2_b64 s[40:41], s[40:41], exec
	s_and_b64 s[44:45], vcc, exec
	s_or_b64 s[40:41], s[40:41], s[44:45]
	s_or_b64 exec, exec, s[0:1]
	v_mov_b32_e32 v3, 0
	s_and_saveexec_b64 s[0:1], s[40:41]
	s_cbranch_execnz .LBB70_937
	s_branch .LBB70_938
.LBB70_957:
	s_mov_b64 s[38:39], -1
                                        ; implicit-def: $vgpr3
.LBB70_958:
	s_mov_b64 s[40:41], 0
.LBB70_959:
	s_and_b64 vcc, exec, s[40:41]
	s_cbranch_vccz .LBB70_963
; %bb.960:
	s_cmp_eq_u32 s43, 11
	s_cbranch_scc0 .LBB70_962
; %bb.961:
	global_load_ubyte v3, v[0:1], off
	s_mov_b64 s[0:1], -1
	s_mov_b64 s[38:39], 0
	s_waitcnt vmcnt(0)
	v_cmp_ne_u16_e32 vcc, 0, v3
	v_cndmask_b32_e64 v3, 0, 1, vcc
	s_branch .LBB70_963
.LBB70_962:
	s_mov_b64 s[38:39], -1
                                        ; implicit-def: $vgpr3
.LBB70_963:
	s_mov_b64 s[40:41], 0
.LBB70_964:
	s_and_b64 vcc, exec, s[40:41]
	s_cbranch_vccz .LBB70_1013
; %bb.965:
	s_and_b32 s40, 0xffff, s42
	s_cmp_lt_i32 s40, 5
	s_cbranch_scc1 .LBB70_970
; %bb.966:
	s_cmp_lt_i32 s40, 8
	s_cbranch_scc1 .LBB70_971
; %bb.967:
	;; [unrolled: 3-line block ×3, first 2 shown]
	s_cmp_gt_i32 s40, 9
	s_cbranch_scc0 .LBB70_973
; %bb.969:
	global_load_dwordx2 v[5:6], v[0:1], off
	s_mov_b64 s[0:1], 0
	s_waitcnt vmcnt(0)
	v_cvt_i32_f64_e32 v3, v[5:6]
	s_branch .LBB70_974
.LBB70_970:
	s_mov_b64 s[0:1], -1
                                        ; implicit-def: $vgpr3
	s_branch .LBB70_992
.LBB70_971:
	s_mov_b64 s[0:1], -1
                                        ; implicit-def: $vgpr3
	s_branch .LBB70_980
.LBB70_972:
	s_mov_b64 s[0:1], -1
                                        ; implicit-def: $vgpr3
	s_branch .LBB70_977
.LBB70_973:
	s_mov_b64 s[0:1], -1
                                        ; implicit-def: $vgpr3
.LBB70_974:
	s_andn2_b64 vcc, exec, s[0:1]
	s_cbranch_vccnz .LBB70_976
; %bb.975:
	global_load_dword v3, v[0:1], off
	s_waitcnt vmcnt(0)
	v_cvt_i32_f32_e32 v3, v3
.LBB70_976:
	s_mov_b64 s[0:1], 0
.LBB70_977:
	s_andn2_b64 vcc, exec, s[0:1]
	s_cbranch_vccnz .LBB70_979
; %bb.978:
	global_load_dword v3, v[0:1], off
	s_waitcnt vmcnt(0)
	v_cvt_f32_f16_e32 v3, v3
	v_cvt_i32_f32_e32 v3, v3
.LBB70_979:
	s_mov_b64 s[0:1], 0
.LBB70_980:
	s_andn2_b64 vcc, exec, s[0:1]
	s_cbranch_vccnz .LBB70_991
; %bb.981:
	s_cmp_lt_i32 s40, 6
	s_cbranch_scc1 .LBB70_984
; %bb.982:
	s_cmp_gt_i32 s40, 6
	s_cbranch_scc0 .LBB70_985
; %bb.983:
	global_load_dwordx2 v[5:6], v[0:1], off
	s_mov_b64 s[0:1], 0
	s_waitcnt vmcnt(0)
	v_cvt_i32_f64_e32 v3, v[5:6]
	s_branch .LBB70_986
.LBB70_984:
	s_mov_b64 s[0:1], -1
                                        ; implicit-def: $vgpr3
	s_branch .LBB70_989
.LBB70_985:
	s_mov_b64 s[0:1], -1
                                        ; implicit-def: $vgpr3
.LBB70_986:
	s_andn2_b64 vcc, exec, s[0:1]
	s_cbranch_vccnz .LBB70_988
; %bb.987:
	global_load_dword v3, v[0:1], off
	s_waitcnt vmcnt(0)
	v_cvt_i32_f32_e32 v3, v3
.LBB70_988:
	s_mov_b64 s[0:1], 0
.LBB70_989:
	s_andn2_b64 vcc, exec, s[0:1]
	s_cbranch_vccnz .LBB70_991
; %bb.990:
	global_load_ushort v3, v[0:1], off
	s_waitcnt vmcnt(0)
	v_cvt_f32_f16_e32 v3, v3
	v_cvt_i32_f32_e32 v3, v3
.LBB70_991:
	s_mov_b64 s[0:1], 0
.LBB70_992:
	s_andn2_b64 vcc, exec, s[0:1]
	s_cbranch_vccnz .LBB70_1012
; %bb.993:
	s_cmp_lt_i32 s40, 2
	s_cbranch_scc1 .LBB70_997
; %bb.994:
	s_cmp_lt_i32 s40, 3
	s_cbranch_scc1 .LBB70_998
; %bb.995:
	s_cmp_gt_i32 s40, 3
	s_cbranch_scc0 .LBB70_999
; %bb.996:
	global_load_dword v3, v[0:1], off
	s_mov_b64 s[0:1], 0
	s_branch .LBB70_1000
.LBB70_997:
	s_mov_b64 s[0:1], -1
                                        ; implicit-def: $vgpr3
	s_branch .LBB70_1006
.LBB70_998:
	s_mov_b64 s[0:1], -1
                                        ; implicit-def: $vgpr3
	s_branch .LBB70_1003
.LBB70_999:
	s_mov_b64 s[0:1], -1
                                        ; implicit-def: $vgpr3
.LBB70_1000:
	s_andn2_b64 vcc, exec, s[0:1]
	s_cbranch_vccnz .LBB70_1002
; %bb.1001:
	global_load_dword v3, v[0:1], off
.LBB70_1002:
	s_mov_b64 s[0:1], 0
.LBB70_1003:
	s_andn2_b64 vcc, exec, s[0:1]
	s_cbranch_vccnz .LBB70_1005
; %bb.1004:
	global_load_sshort v3, v[0:1], off
.LBB70_1005:
	s_mov_b64 s[0:1], 0
.LBB70_1006:
	s_andn2_b64 vcc, exec, s[0:1]
	s_cbranch_vccnz .LBB70_1012
; %bb.1007:
	s_cmp_gt_i32 s40, 0
	s_cbranch_scc0 .LBB70_1009
; %bb.1008:
	global_load_sbyte v3, v[0:1], off
	s_mov_b64 s[0:1], 0
	s_branch .LBB70_1010
.LBB70_1009:
	s_mov_b64 s[0:1], -1
                                        ; implicit-def: $vgpr3
.LBB70_1010:
	s_andn2_b64 vcc, exec, s[0:1]
	s_cbranch_vccnz .LBB70_1012
; %bb.1011:
	global_load_ubyte v3, v[0:1], off
.LBB70_1012:
	s_mov_b64 s[0:1], -1
.LBB70_1013:
	s_andn2_b64 vcc, exec, s[0:1]
	s_cbranch_vccnz .LBB70_1021
; %bb.1014:
	v_mul_lo_u32 v1, v4, s12
	s_waitcnt vmcnt(0)
	v_lshlrev_b32_e32 v0, v3, v2
	v_cmp_gt_u32_e32 vcc, 32, v3
	v_cndmask_b32_e32 v0, 0, v0, vcc
	v_ashrrev_i32_e32 v3, 31, v1
	v_mov_b32_e32 v5, s9
	s_and_b32 s46, s33, 0xff
	v_add_co_u32_e32 v2, vcc, s8, v1
	s_cmp_lt_i32 s46, 11
	v_addc_co_u32_e32 v3, vcc, v5, v3, vcc
	s_cbranch_scc1 .LBB70_1022
; %bb.1015:
	s_and_b32 s47, 0xffff, s46
	s_cmp_gt_i32 s47, 25
	s_cbranch_scc0 .LBB70_1023
; %bb.1016:
	s_cmp_gt_i32 s47, 28
	s_cbranch_scc0 .LBB70_1024
; %bb.1017:
	;; [unrolled: 3-line block ×4, first 2 shown]
	s_mov_b64 s[42:43], 0
	s_mov_b64 s[0:1], -1
	s_cmp_eq_u32 s47, 46
	s_mov_b64 s[40:41], 0
	s_cbranch_scc0 .LBB70_1027
; %bb.1020:
	v_cvt_f32_i32_e32 v1, v0
	s_movk_i32 s0, 0x7fff
	s_mov_b64 s[40:41], -1
	v_bfe_u32 v5, v1, 16, 1
	v_add3_u32 v1, v1, v5, s0
	v_lshrrev_b32_e32 v1, 16, v1
	global_store_dword v[2:3], v1, off
	s_mov_b64 s[0:1], 0
	s_branch .LBB70_1027
.LBB70_1021:
	s_mov_b64 s[42:43], 0
                                        ; implicit-def: $vgpr4
	s_mov_b64 s[0:1], s[28:29]
	s_branch .LBB70_1137
.LBB70_1022:
	s_mov_b64 s[42:43], -1
	s_mov_b64 s[40:41], 0
	s_mov_b64 s[0:1], s[28:29]
	s_branch .LBB70_1096
.LBB70_1023:
	s_mov_b64 s[42:43], -1
	s_mov_b64 s[40:41], 0
	s_mov_b64 s[0:1], s[28:29]
	s_branch .LBB70_1054
.LBB70_1024:
	s_mov_b64 s[42:43], -1
	s_mov_b64 s[40:41], 0
	s_mov_b64 s[0:1], s[28:29]
	s_branch .LBB70_1037
.LBB70_1025:
	s_mov_b64 s[42:43], -1
	s_mov_b64 s[40:41], 0
	s_mov_b64 s[0:1], s[28:29]
	s_branch .LBB70_1033
.LBB70_1026:
	s_mov_b64 s[42:43], -1
	s_mov_b64 s[40:41], 0
	s_mov_b64 s[0:1], s[28:29]
.LBB70_1027:
	s_and_b64 vcc, exec, s[42:43]
	s_cbranch_vccz .LBB70_1032
; %bb.1028:
	s_cmp_eq_u32 s47, 44
	s_mov_b64 s[0:1], -1
	s_cbranch_scc0 .LBB70_1032
; %bb.1029:
	v_cvt_f32_i32_e32 v1, v0
	s_movk_i32 s0, 0xff
	v_mov_b32_e32 v6, 0xff
	v_bfe_u32 v5, v1, 23, 8
	v_cmp_ne_u32_e32 vcc, s0, v5
	s_and_saveexec_b64 s[40:41], vcc
; %bb.1030:
	s_mov_b32 s0, 0x3fffff
	v_lshrrev_b32_e32 v6, 23, v1
	v_and_b32_e32 v7, 0x400000, v1
	v_and_or_b32 v1, v1, s0, v5
	v_cmp_ne_u32_e32 vcc, 0, v7
	v_cmp_ne_u32_e64 s[0:1], 0, v1
	s_and_b64 s[0:1], vcc, s[0:1]
	v_cndmask_b32_e64 v1, 0, 1, s[0:1]
	v_add_u32_e32 v6, v6, v1
; %bb.1031:
	s_or_b64 exec, exec, s[40:41]
	s_mov_b64 s[40:41], -1
	s_mov_b64 s[0:1], 0
	global_store_byte v[2:3], v6, off
.LBB70_1032:
	s_mov_b64 s[42:43], 0
.LBB70_1033:
	s_and_b64 vcc, exec, s[42:43]
	s_cbranch_vccz .LBB70_1036
; %bb.1034:
	s_cmp_eq_u32 s47, 29
	s_mov_b64 s[0:1], -1
	s_cbranch_scc0 .LBB70_1036
; %bb.1035:
	v_ashrrev_i32_e32 v1, 31, v0
	global_store_dwordx2 v[2:3], v[0:1], off
	s_mov_b64 s[40:41], -1
	s_mov_b64 s[0:1], 0
.LBB70_1036:
	s_mov_b64 s[42:43], 0
.LBB70_1037:
	s_and_b64 vcc, exec, s[42:43]
	s_cbranch_vccz .LBB70_1053
; %bb.1038:
	s_cmp_lt_i32 s47, 27
	s_mov_b64 s[40:41], -1
	s_cbranch_scc1 .LBB70_1044
; %bb.1039:
	s_cmp_gt_i32 s47, 27
	s_cbranch_scc0 .LBB70_1041
; %bb.1040:
	s_mov_b64 s[40:41], 0
	global_store_dword v[2:3], v0, off
.LBB70_1041:
	s_andn2_b64 vcc, exec, s[40:41]
	s_cbranch_vccnz .LBB70_1043
; %bb.1042:
	global_store_short v[2:3], v0, off
.LBB70_1043:
	s_mov_b64 s[40:41], 0
.LBB70_1044:
	s_andn2_b64 vcc, exec, s[40:41]
	s_cbranch_vccnz .LBB70_1052
; %bb.1045:
	v_cvt_f32_i32_e32 v1, v0
	s_mov_b32 s40, 0x43800000
	v_mov_b32_e32 v6, 0x80
	v_and_b32_e32 v5, 0x7fffffff, v1
	v_cmp_gt_u32_e32 vcc, s40, v5
	s_and_saveexec_b64 s[40:41], vcc
	s_cbranch_execz .LBB70_1051
; %bb.1046:
	s_mov_b32 s42, 0x3bffffff
	v_cmp_lt_u32_e32 vcc, s42, v5
	s_mov_b64 s[42:43], 0
                                        ; implicit-def: $vgpr5
	s_and_saveexec_b64 s[44:45], vcc
	s_xor_b64 s[44:45], exec, s[44:45]
	s_cbranch_execz .LBB70_1153
; %bb.1047:
	v_bfe_u32 v5, v1, 20, 1
	s_mov_b32 s49, 0x487ffff
	v_add3_u32 v5, v1, v5, s49
	s_mov_b64 s[42:43], exec
	v_lshrrev_b32_e32 v5, 20, v5
	s_andn2_saveexec_b64 s[44:45], s[44:45]
	s_cbranch_execnz .LBB70_1154
.LBB70_1048:
	s_or_b64 exec, exec, s[44:45]
	v_mov_b32_e32 v6, 0
	s_and_saveexec_b64 s[44:45], s[42:43]
.LBB70_1049:
	v_lshrrev_b32_e32 v1, 24, v1
	s_movk_i32 s42, 0x80
	v_and_or_b32 v6, v1, s42, v5
.LBB70_1050:
	s_or_b64 exec, exec, s[44:45]
.LBB70_1051:
	s_or_b64 exec, exec, s[40:41]
	global_store_byte v[2:3], v6, off
.LBB70_1052:
	s_mov_b64 s[40:41], -1
.LBB70_1053:
	s_mov_b64 s[42:43], 0
.LBB70_1054:
	s_and_b64 vcc, exec, s[42:43]
	s_cbranch_vccz .LBB70_1095
; %bb.1055:
	s_cmp_gt_i32 s47, 22
	s_mov_b64 s[42:43], -1
	s_cbranch_scc0 .LBB70_1087
; %bb.1056:
	s_cmp_lt_i32 s47, 24
	s_mov_b64 s[40:41], -1
	s_cbranch_scc1 .LBB70_1076
; %bb.1057:
	s_cmp_gt_i32 s47, 24
	s_cbranch_scc0 .LBB70_1065
; %bb.1058:
	v_cvt_f32_i32_e32 v1, v0
	s_mov_b32 s40, 0x47800000
	v_mov_b32_e32 v6, 0x80
	v_and_b32_e32 v5, 0x7fffffff, v1
	v_cmp_gt_u32_e32 vcc, s40, v5
	s_and_saveexec_b64 s[40:41], vcc
	s_cbranch_execz .LBB70_1064
; %bb.1059:
	s_mov_b32 s42, 0x37ffffff
	v_cmp_lt_u32_e32 vcc, s42, v5
	s_mov_b64 s[42:43], 0
                                        ; implicit-def: $vgpr5
	s_and_saveexec_b64 s[44:45], vcc
	s_xor_b64 s[44:45], exec, s[44:45]
	s_cbranch_execz .LBB70_2147
; %bb.1060:
	v_bfe_u32 v5, v1, 21, 1
	s_mov_b32 s49, 0x88fffff
	v_add3_u32 v5, v1, v5, s49
	s_mov_b64 s[42:43], exec
	v_lshrrev_b32_e32 v5, 21, v5
	s_andn2_saveexec_b64 s[44:45], s[44:45]
	s_cbranch_execnz .LBB70_2148
.LBB70_1061:
	s_or_b64 exec, exec, s[44:45]
	v_mov_b32_e32 v6, 0
	s_and_saveexec_b64 s[44:45], s[42:43]
.LBB70_1062:
	v_lshrrev_b32_e32 v1, 24, v1
	s_movk_i32 s42, 0x80
	v_and_or_b32 v6, v1, s42, v5
.LBB70_1063:
	s_or_b64 exec, exec, s[44:45]
.LBB70_1064:
	s_or_b64 exec, exec, s[40:41]
	s_mov_b64 s[40:41], 0
	global_store_byte v[2:3], v6, off
.LBB70_1065:
	s_and_b64 vcc, exec, s[40:41]
	s_cbranch_vccz .LBB70_1075
; %bb.1066:
	v_cvt_f32_i32_e32 v1, v0
	s_mov_b32 s40, 0x43f00000
                                        ; implicit-def: $vgpr5
	v_and_b32_e32 v6, 0x7fffffff, v1
	v_cmp_gt_u32_e32 vcc, s40, v6
	s_and_saveexec_b64 s[40:41], vcc
	s_xor_b64 s[40:41], exec, s[40:41]
	s_cbranch_execz .LBB70_1072
; %bb.1067:
	s_mov_b32 s42, 0x3c7fffff
	v_cmp_lt_u32_e32 vcc, s42, v6
                                        ; implicit-def: $vgpr5
	s_and_saveexec_b64 s[42:43], vcc
	s_xor_b64 s[42:43], exec, s[42:43]
; %bb.1068:
	v_bfe_u32 v5, v1, 20, 1
	s_mov_b32 s44, 0x407ffff
	v_add3_u32 v5, v1, v5, s44
	v_lshrrev_b32_e32 v6, 20, v5
	v_and_b32_e32 v5, 0xff00000, v5
	s_mov_b32 s44, 0x7f00000
	v_mov_b32_e32 v7, 0x7e
	v_cmp_ne_u32_e32 vcc, s44, v5
	v_cndmask_b32_e32 v5, v7, v6, vcc
; %bb.1069:
	s_andn2_saveexec_b64 s[42:43], s[42:43]
; %bb.1070:
	s_mov_b32 s44, 0x46800000
	v_add_f32_e64 v5, |v1|, s44
; %bb.1071:
	s_or_b64 exec, exec, s[42:43]
                                        ; implicit-def: $vgpr6
.LBB70_1072:
	s_andn2_saveexec_b64 s[40:41], s[40:41]
; %bb.1073:
	s_mov_b32 s42, 0x7f800000
	v_mov_b32_e32 v5, 0x7e
	v_mov_b32_e32 v7, 0x7f
	v_cmp_lt_u32_e32 vcc, s42, v6
	v_cndmask_b32_e32 v5, v5, v7, vcc
; %bb.1074:
	s_or_b64 exec, exec, s[40:41]
	v_lshrrev_b32_e32 v1, 24, v1
	s_movk_i32 s40, 0x80
	v_and_or_b32 v1, v1, s40, v5
	global_store_byte v[2:3], v1, off
.LBB70_1075:
	s_mov_b64 s[40:41], 0
.LBB70_1076:
	s_andn2_b64 vcc, exec, s[40:41]
	s_cbranch_vccnz .LBB70_1086
; %bb.1077:
	v_cvt_f32_i32_e32 v1, v0
	s_mov_b32 s40, 0x47800000
                                        ; implicit-def: $vgpr5
	v_and_b32_e32 v6, 0x7fffffff, v1
	v_cmp_gt_u32_e32 vcc, s40, v6
	s_and_saveexec_b64 s[40:41], vcc
	s_xor_b64 s[40:41], exec, s[40:41]
	s_cbranch_execz .LBB70_1083
; %bb.1078:
	s_mov_b32 s42, 0x387fffff
	v_cmp_lt_u32_e32 vcc, s42, v6
                                        ; implicit-def: $vgpr5
	s_and_saveexec_b64 s[42:43], vcc
	s_xor_b64 s[42:43], exec, s[42:43]
; %bb.1079:
	v_bfe_u32 v5, v1, 21, 1
	s_mov_b32 s44, 0x80fffff
	v_add3_u32 v5, v1, v5, s44
	v_lshrrev_b32_e32 v5, 21, v5
; %bb.1080:
	s_andn2_saveexec_b64 s[42:43], s[42:43]
; %bb.1081:
	s_mov_b32 s44, 0x43000000
	v_add_f32_e64 v5, |v1|, s44
; %bb.1082:
	s_or_b64 exec, exec, s[42:43]
                                        ; implicit-def: $vgpr6
.LBB70_1083:
	s_andn2_saveexec_b64 s[40:41], s[40:41]
; %bb.1084:
	s_mov_b32 s42, 0x7f800000
	v_mov_b32_e32 v5, 0x7c
	v_mov_b32_e32 v7, 0x7f
	v_cmp_lt_u32_e32 vcc, s42, v6
	v_cndmask_b32_e32 v5, v5, v7, vcc
; %bb.1085:
	s_or_b64 exec, exec, s[40:41]
	v_lshrrev_b32_e32 v1, 24, v1
	s_movk_i32 s40, 0x80
	v_and_or_b32 v1, v1, s40, v5
	global_store_byte v[2:3], v1, off
.LBB70_1086:
	s_mov_b64 s[42:43], 0
	s_mov_b64 s[40:41], -1
.LBB70_1087:
	s_andn2_b64 vcc, exec, s[42:43]
	s_cbranch_vccnz .LBB70_1095
; %bb.1088:
	s_cmp_gt_i32 s47, 14
	s_mov_b64 s[42:43], -1
	s_cbranch_scc0 .LBB70_1092
; %bb.1089:
	s_cmp_eq_u32 s47, 15
	s_mov_b64 s[0:1], -1
	s_cbranch_scc0 .LBB70_1091
; %bb.1090:
	v_cvt_f32_i32_e32 v1, v0
	s_movk_i32 s0, 0x7fff
	s_mov_b64 s[40:41], -1
	v_bfe_u32 v5, v1, 16, 1
	v_add3_u32 v1, v1, v5, s0
	global_store_short_d16_hi v[2:3], v1, off
	s_mov_b64 s[0:1], 0
.LBB70_1091:
	s_mov_b64 s[42:43], 0
.LBB70_1092:
	s_and_b64 vcc, exec, s[42:43]
	s_cbranch_vccz .LBB70_1095
; %bb.1093:
	s_cmp_eq_u32 s47, 11
	s_mov_b64 s[0:1], -1
	s_cbranch_scc0 .LBB70_1095
; %bb.1094:
	v_cmp_ne_u32_e32 vcc, 0, v0
	v_cndmask_b32_e64 v1, 0, 1, vcc
	s_mov_b64 s[40:41], -1
	s_mov_b64 s[0:1], 0
	global_store_byte v[2:3], v1, off
.LBB70_1095:
	s_mov_b64 s[42:43], 0
.LBB70_1096:
	s_and_b64 vcc, exec, s[42:43]
	s_cbranch_vccz .LBB70_1135
; %bb.1097:
	s_and_b32 s42, 0xffff, s46
	s_cmp_lt_i32 s42, 5
	s_mov_b64 s[40:41], -1
	s_cbranch_scc1 .LBB70_1118
; %bb.1098:
	s_cmp_lt_i32 s42, 8
	s_cbranch_scc1 .LBB70_1108
; %bb.1099:
	s_cmp_lt_i32 s42, 9
	s_cbranch_scc1 .LBB70_1105
; %bb.1100:
	s_cmp_gt_i32 s42, 9
	s_cbranch_scc0 .LBB70_1102
; %bb.1101:
	v_cvt_f64_i32_e32 v[5:6], v0
	v_mov_b32_e32 v7, 0
	v_mov_b32_e32 v8, v7
	s_mov_b64 s[40:41], 0
	global_store_dwordx4 v[2:3], v[5:8], off
.LBB70_1102:
	s_andn2_b64 vcc, exec, s[40:41]
	s_cbranch_vccnz .LBB70_1104
; %bb.1103:
	v_cvt_f32_i32_e32 v5, v0
	v_mov_b32_e32 v6, 0
	global_store_dwordx2 v[2:3], v[5:6], off
.LBB70_1104:
	s_mov_b64 s[40:41], 0
.LBB70_1105:
	s_andn2_b64 vcc, exec, s[40:41]
	s_cbranch_vccnz .LBB70_1107
; %bb.1106:
	v_cvt_f32_i32_e32 v1, v0
	v_cvt_f16_f32_e32 v1, v1
	global_store_dword v[2:3], v1, off
.LBB70_1107:
	s_mov_b64 s[40:41], 0
.LBB70_1108:
	s_andn2_b64 vcc, exec, s[40:41]
	s_cbranch_vccnz .LBB70_1117
; %bb.1109:
	s_cmp_lt_i32 s42, 6
	s_mov_b64 s[40:41], -1
	s_cbranch_scc1 .LBB70_1115
; %bb.1110:
	s_cmp_gt_i32 s42, 6
	s_cbranch_scc0 .LBB70_1112
; %bb.1111:
	v_cvt_f64_i32_e32 v[5:6], v0
	s_mov_b64 s[40:41], 0
	global_store_dwordx2 v[2:3], v[5:6], off
.LBB70_1112:
	s_andn2_b64 vcc, exec, s[40:41]
	s_cbranch_vccnz .LBB70_1114
; %bb.1113:
	v_cvt_f32_i32_e32 v1, v0
	global_store_dword v[2:3], v1, off
.LBB70_1114:
	s_mov_b64 s[40:41], 0
.LBB70_1115:
	s_andn2_b64 vcc, exec, s[40:41]
	s_cbranch_vccnz .LBB70_1117
; %bb.1116:
	v_cvt_f32_i32_e32 v1, v0
	v_cvt_f16_f32_e32 v1, v1
	global_store_short v[2:3], v1, off
.LBB70_1117:
	s_mov_b64 s[40:41], 0
.LBB70_1118:
	s_andn2_b64 vcc, exec, s[40:41]
	s_cbranch_vccnz .LBB70_1134
; %bb.1119:
	s_cmp_lt_i32 s42, 2
	s_mov_b64 s[40:41], -1
	s_cbranch_scc1 .LBB70_1129
; %bb.1120:
	s_cmp_lt_i32 s42, 3
	s_cbranch_scc1 .LBB70_1126
; %bb.1121:
	s_cmp_gt_i32 s42, 3
	s_cbranch_scc0 .LBB70_1123
; %bb.1122:
	v_ashrrev_i32_e32 v1, 31, v0
	s_mov_b64 s[40:41], 0
	global_store_dwordx2 v[2:3], v[0:1], off
.LBB70_1123:
	s_andn2_b64 vcc, exec, s[40:41]
	s_cbranch_vccnz .LBB70_1125
; %bb.1124:
	global_store_dword v[2:3], v0, off
.LBB70_1125:
	s_mov_b64 s[40:41], 0
.LBB70_1126:
	s_andn2_b64 vcc, exec, s[40:41]
	s_cbranch_vccnz .LBB70_1128
; %bb.1127:
	global_store_short v[2:3], v0, off
.LBB70_1128:
	s_mov_b64 s[40:41], 0
.LBB70_1129:
	s_andn2_b64 vcc, exec, s[40:41]
	s_cbranch_vccnz .LBB70_1134
; %bb.1130:
	s_cmp_gt_i32 s42, 0
	s_mov_b64 s[40:41], -1
	s_cbranch_scc0 .LBB70_1132
; %bb.1131:
	s_mov_b64 s[40:41], 0
	global_store_byte v[2:3], v0, off
.LBB70_1132:
	s_andn2_b64 vcc, exec, s[40:41]
	s_cbranch_vccnz .LBB70_1134
; %bb.1133:
	global_store_byte v[2:3], v0, off
.LBB70_1134:
	s_mov_b64 s[40:41], -1
.LBB70_1135:
	s_andn2_b64 vcc, exec, s[40:41]
	s_cbranch_vccnz .LBB70_1148
; %bb.1136:
	v_add_u32_e32 v4, 0x80, v4
	s_mov_b64 s[42:43], -1
.LBB70_1137:
	s_andn2_b64 s[40:41], s[28:29], exec
	s_and_b64 s[0:1], s[0:1], exec
	s_or_b64 s[40:41], s[40:41], s[0:1]
	s_andn2_b64 s[0:1], s[26:27], exec
	s_and_b64 s[38:39], s[38:39], exec
	s_or_b64 s[38:39], s[0:1], s[38:39]
	;; [unrolled: 3-line block ×3, first 2 shown]
	s_orn2_b64 s[46:47], s[42:43], exec
.LBB70_1138:
	s_or_b64 exec, exec, s[34:35]
	s_mov_b64 s[42:43], 0
	s_mov_b64 s[36:37], 0
	;; [unrolled: 1-line block ×3, first 2 shown]
                                        ; implicit-def: $sgpr55
                                        ; implicit-def: $vgpr0_vgpr1
                                        ; implicit-def: $vgpr5
	s_and_saveexec_b64 s[34:35], s[46:47]
	s_cbranch_execz .LBB70_1218
; %bb.1139:
	v_cmp_gt_i32_e32 vcc, s48, v4
	s_mov_b64 s[46:47], 0
	s_mov_b64 s[48:49], s[0:1]
	;; [unrolled: 1-line block ×4, first 2 shown]
                                        ; implicit-def: $sgpr55
                                        ; implicit-def: $vgpr0_vgpr1
                                        ; implicit-def: $vgpr5
	s_and_saveexec_b64 s[36:37], vcc
	s_cbranch_execz .LBB70_1217
; %bb.1140:
	v_mul_lo_u32 v0, v4, s13
	v_mov_b32_e32 v1, s11
	s_and_b32 s55, s54, 0xff
	s_cmp_lt_i32 s55, 11
	s_waitcnt vmcnt(0)
	v_ashrrev_i32_e32 v2, 31, v0
	v_add_co_u32_e32 v0, vcc, s10, v0
	v_addc_co_u32_e32 v1, vcc, v1, v2, vcc
	s_cbranch_scc1 .LBB70_1147
; %bb.1141:
	s_and_b32 s50, 0xffff, s55
	s_cmp_gt_i32 s50, 25
	s_cbranch_scc0 .LBB70_1149
; %bb.1142:
	s_cmp_gt_i32 s50, 28
	s_cbranch_scc0 .LBB70_1150
; %bb.1143:
	;; [unrolled: 3-line block ×4, first 2 shown]
	s_cmp_eq_u32 s50, 46
	s_mov_b64 s[48:49], 0
	s_cbranch_scc0 .LBB70_1155
; %bb.1146:
	global_load_dword v2, v[0:1], off
	s_mov_b64 s[46:47], -1
	s_waitcnt vmcnt(0)
	v_lshlrev_b32_e32 v2, 16, v2
	v_cvt_i32_f32_e32 v5, v2
	s_branch .LBB70_1157
.LBB70_1147:
	s_mov_b64 s[48:49], -1
                                        ; implicit-def: $vgpr5
	s_mov_b64 s[42:43], s[0:1]
	s_branch .LBB70_1216
.LBB70_1148:
	s_mov_b64 s[42:43], 0
	s_branch .LBB70_894
.LBB70_1149:
	s_mov_b64 s[48:49], -1
	s_mov_b64 s[42:43], s[0:1]
                                        ; implicit-def: $vgpr5
	s_branch .LBB70_1184
.LBB70_1150:
	s_mov_b64 s[48:49], -1
	s_mov_b64 s[42:43], s[0:1]
                                        ; implicit-def: $vgpr5
	s_branch .LBB70_1167
.LBB70_1151:
	s_mov_b64 s[48:49], -1
	s_mov_b64 s[42:43], s[0:1]
                                        ; implicit-def: $vgpr5
	s_branch .LBB70_1162
.LBB70_1152:
	s_mov_b64 s[48:49], -1
	s_mov_b64 s[42:43], s[0:1]
	s_branch .LBB70_1156
.LBB70_1153:
	s_andn2_saveexec_b64 s[44:45], s[44:45]
	s_cbranch_execz .LBB70_1048
.LBB70_1154:
	s_mov_b32 s49, 0x46000000
	v_add_f32_e64 v5, |v1|, s49
	v_and_b32_e32 v5, 0xff, v5
	v_cmp_ne_u32_e32 vcc, 0, v5
	s_andn2_b64 s[42:43], s[42:43], exec
	s_and_b64 s[50:51], vcc, exec
	s_or_b64 s[42:43], s[42:43], s[50:51]
	s_or_b64 exec, exec, s[44:45]
	v_mov_b32_e32 v6, 0
	s_and_saveexec_b64 s[44:45], s[42:43]
	s_cbranch_execnz .LBB70_1049
	s_branch .LBB70_1050
.LBB70_1155:
	s_mov_b64 s[42:43], -1
.LBB70_1156:
                                        ; implicit-def: $vgpr5
.LBB70_1157:
	s_and_b64 vcc, exec, s[48:49]
	s_cbranch_vccz .LBB70_1161
; %bb.1158:
	s_cmp_eq_u32 s50, 44
	s_cbranch_scc0 .LBB70_1160
; %bb.1159:
	global_load_ubyte v2, v[0:1], off
	s_mov_b64 s[42:43], 0
	s_mov_b64 s[46:47], -1
	s_waitcnt vmcnt(0)
	v_lshlrev_b32_e32 v3, 23, v2
	v_cvt_i32_f32_e32 v3, v3
	v_cmp_ne_u32_e32 vcc, 0, v2
	v_cndmask_b32_e32 v5, 0, v3, vcc
	s_branch .LBB70_1161
.LBB70_1160:
	s_mov_b64 s[42:43], -1
                                        ; implicit-def: $vgpr5
.LBB70_1161:
	s_mov_b64 s[48:49], 0
.LBB70_1162:
	s_and_b64 vcc, exec, s[48:49]
	s_cbranch_vccz .LBB70_1166
; %bb.1163:
	s_cmp_eq_u32 s50, 29
	s_cbranch_scc0 .LBB70_1165
; %bb.1164:
	global_load_dword v5, v[0:1], off
	s_mov_b64 s[42:43], 0
	s_mov_b64 s[46:47], -1
	s_branch .LBB70_1166
.LBB70_1165:
	s_mov_b64 s[42:43], -1
                                        ; implicit-def: $vgpr5
.LBB70_1166:
	s_mov_b64 s[48:49], 0
.LBB70_1167:
	s_and_b64 vcc, exec, s[48:49]
	s_cbranch_vccz .LBB70_1183
; %bb.1168:
	s_cmp_lt_i32 s50, 27
	s_cbranch_scc1 .LBB70_1171
; %bb.1169:
	s_cmp_gt_i32 s50, 27
	s_cbranch_scc0 .LBB70_1172
; %bb.1170:
	global_load_dword v5, v[0:1], off
	s_mov_b64 s[46:47], 0
	s_branch .LBB70_1173
.LBB70_1171:
	s_mov_b64 s[46:47], -1
                                        ; implicit-def: $vgpr5
	s_branch .LBB70_1176
.LBB70_1172:
	s_mov_b64 s[46:47], -1
                                        ; implicit-def: $vgpr5
.LBB70_1173:
	s_andn2_b64 vcc, exec, s[46:47]
	s_cbranch_vccnz .LBB70_1175
; %bb.1174:
	global_load_ushort v5, v[0:1], off
.LBB70_1175:
	s_mov_b64 s[46:47], 0
.LBB70_1176:
	s_andn2_b64 vcc, exec, s[46:47]
	s_cbranch_vccnz .LBB70_1182
; %bb.1177:
	global_load_ubyte v2, v[0:1], off
	s_movk_i32 s46, 0x7f
	s_mov_b64 s[48:49], 0
	s_waitcnt vmcnt(0)
	v_cmp_lt_i16_e32 vcc, s46, v2
	s_and_saveexec_b64 s[46:47], vcc
	s_xor_b64 s[46:47], exec, s[46:47]
	s_cbranch_execz .LBB70_1194
; %bb.1178:
	s_movk_i32 s48, 0x80
	v_cmp_ne_u16_e32 vcc, s48, v2
	s_and_b64 s[48:49], vcc, exec
	s_andn2_saveexec_b64 s[46:47], s[46:47]
	s_cbranch_execnz .LBB70_1195
.LBB70_1179:
	s_or_b64 exec, exec, s[46:47]
	v_mov_b32_e32 v5, 0
	s_and_saveexec_b64 s[46:47], s[48:49]
	s_cbranch_execz .LBB70_1181
.LBB70_1180:
	v_lshlrev_b32_e32 v3, 24, v2
	v_and_b32_e32 v2, 0xffff, v2
	v_and_b32_e32 v5, 7, v2
	v_ffbh_u32_e32 v7, v5
	v_min_u32_e32 v7, 32, v7
	v_subrev_u32_e32 v8, 28, v7
	v_bfe_u32 v6, v2, 3, 4
	v_lshlrev_b32_e32 v2, v8, v2
	v_sub_u32_e32 v7, 29, v7
	v_and_b32_e32 v2, 7, v2
	v_cmp_eq_u32_e32 vcc, 0, v6
	v_cndmask_b32_e32 v6, v6, v7, vcc
	v_cndmask_b32_e32 v2, v5, v2, vcc
	v_mov_b32_e32 v5, 0x3b800000
	v_lshlrev_b32_e32 v2, 20, v2
	v_and_b32_e32 v3, 0x80000000, v3
	v_lshl_add_u32 v5, v6, 23, v5
	v_or3_b32 v2, v3, v5, v2
	v_cvt_i32_f32_e32 v5, v2
.LBB70_1181:
	s_or_b64 exec, exec, s[46:47]
.LBB70_1182:
	s_mov_b64 s[46:47], -1
.LBB70_1183:
	s_mov_b64 s[48:49], 0
.LBB70_1184:
	s_and_b64 vcc, exec, s[48:49]
	s_cbranch_vccz .LBB70_1215
; %bb.1185:
	s_cmp_gt_i32 s50, 22
	s_cbranch_scc0 .LBB70_1193
; %bb.1186:
	s_cmp_lt_i32 s50, 24
	s_cbranch_scc1 .LBB70_1196
; %bb.1187:
	s_cmp_gt_i32 s50, 24
	s_cbranch_scc0 .LBB70_1197
; %bb.1188:
	global_load_ubyte v2, v[0:1], off
	s_movk_i32 s44, 0x7f
	s_mov_b64 s[46:47], 0
	s_waitcnt vmcnt(0)
	v_cmp_lt_i16_e32 vcc, s44, v2
	s_and_saveexec_b64 s[44:45], vcc
	s_xor_b64 s[44:45], exec, s[44:45]
	s_cbranch_execz .LBB70_1209
; %bb.1189:
	s_movk_i32 s46, 0x80
	v_cmp_ne_u16_e32 vcc, s46, v2
	s_and_b64 s[46:47], vcc, exec
	s_andn2_saveexec_b64 s[44:45], s[44:45]
	s_cbranch_execnz .LBB70_1210
.LBB70_1190:
	s_or_b64 exec, exec, s[44:45]
	v_mov_b32_e32 v5, 0
	s_and_saveexec_b64 s[44:45], s[46:47]
	s_cbranch_execz .LBB70_1192
.LBB70_1191:
	v_lshlrev_b32_e32 v3, 24, v2
	v_and_b32_e32 v2, 0xffff, v2
	v_and_b32_e32 v5, 3, v2
	v_ffbh_u32_e32 v7, v5
	v_min_u32_e32 v7, 32, v7
	v_subrev_u32_e32 v8, 29, v7
	v_bfe_u32 v6, v2, 2, 5
	v_lshlrev_b32_e32 v2, v8, v2
	v_sub_u32_e32 v7, 30, v7
	v_and_b32_e32 v2, 3, v2
	v_cmp_eq_u32_e32 vcc, 0, v6
	v_cndmask_b32_e32 v6, v6, v7, vcc
	v_cndmask_b32_e32 v2, v5, v2, vcc
	v_mov_b32_e32 v5, 0x37800000
	v_lshlrev_b32_e32 v2, 21, v2
	v_and_b32_e32 v3, 0x80000000, v3
	v_lshl_add_u32 v5, v6, 23, v5
	v_or3_b32 v2, v3, v5, v2
	v_cvt_i32_f32_e32 v5, v2
.LBB70_1192:
	s_or_b64 exec, exec, s[44:45]
	s_mov_b64 s[44:45], 0
	s_branch .LBB70_1198
.LBB70_1193:
	s_mov_b64 s[44:45], -1
                                        ; implicit-def: $vgpr5
	s_branch .LBB70_1204
.LBB70_1194:
	s_andn2_saveexec_b64 s[46:47], s[46:47]
	s_cbranch_execz .LBB70_1179
.LBB70_1195:
	v_cmp_ne_u16_e32 vcc, 0, v2
	s_andn2_b64 s[48:49], s[48:49], exec
	s_and_b64 s[52:53], vcc, exec
	s_or_b64 s[48:49], s[48:49], s[52:53]
	s_or_b64 exec, exec, s[46:47]
	v_mov_b32_e32 v5, 0
	s_and_saveexec_b64 s[46:47], s[48:49]
	s_cbranch_execnz .LBB70_1180
	s_branch .LBB70_1181
.LBB70_1196:
	s_mov_b64 s[44:45], -1
                                        ; implicit-def: $vgpr5
	s_branch .LBB70_1201
.LBB70_1197:
	s_mov_b64 s[44:45], -1
                                        ; implicit-def: $vgpr5
.LBB70_1198:
	s_and_b64 vcc, exec, s[44:45]
	s_cbranch_vccz .LBB70_1200
; %bb.1199:
	global_load_ubyte v2, v[0:1], off
	s_mov_b32 s44, 0x7f800000
	s_waitcnt vmcnt(0)
	v_lshlrev_b32_e32 v2, 24, v2
	v_and_b32_e32 v3, 0x7f000000, v2
	v_ffbh_u32_e32 v5, v3
	v_min_u32_e32 v5, 32, v5
	v_sub_u32_e64 v5, v5, 4 clamp
	v_lshlrev_b32_e32 v7, v5, v3
	v_lshlrev_b32_e32 v5, 23, v5
	v_lshrrev_b32_e32 v7, 4, v7
	v_add_u32_e32 v6, 0x1000000, v3
	v_sub_u32_e32 v5, v7, v5
	v_ashrrev_i32_e32 v6, 8, v6
	v_add_u32_e32 v5, 0x3c000000, v5
	v_and_or_b32 v5, v6, s44, v5
	v_cmp_ne_u32_e32 vcc, 0, v3
	v_cndmask_b32_e32 v3, 0, v5, vcc
	s_brev_b32 s44, 1
	v_and_or_b32 v2, v2, s44, v3
	v_cvt_i32_f32_e32 v5, v2
.LBB70_1200:
	s_mov_b64 s[44:45], 0
.LBB70_1201:
	s_andn2_b64 vcc, exec, s[44:45]
	s_cbranch_vccnz .LBB70_1203
; %bb.1202:
	global_load_ubyte v2, v[0:1], off
	s_movk_i32 s44, 0x7f00
	s_brev_b32 s45, 16
	s_waitcnt vmcnt(0)
	v_lshlrev_b16_e32 v3, 8, v2
	v_lshlrev_b32_e32 v2, 25, v2
	v_lshrrev_b32_e32 v5, 4, v2
	v_and_or_b32 v6, v3, s44, 0.5
	v_or_b32_e32 v5, 0x70000000, v5
	v_add_f32_e32 v6, -0.5, v6
	v_mul_f32_e32 v5, 0x7800000, v5
	v_cmp_gt_u32_e32 vcc, s45, v2
	v_bfe_i32 v3, v3, 0, 16
	v_cndmask_b32_e32 v2, v5, v6, vcc
	s_brev_b32 s44, 1
	v_and_or_b32 v2, v3, s44, v2
	v_cvt_i32_f32_e32 v5, v2
.LBB70_1203:
	s_mov_b64 s[44:45], 0
	s_mov_b64 s[46:47], -1
.LBB70_1204:
	s_andn2_b64 vcc, exec, s[44:45]
	s_mov_b64 s[44:45], 0
	s_cbranch_vccnz .LBB70_1215
; %bb.1205:
	s_cmp_gt_i32 s50, 14
	s_cbranch_scc0 .LBB70_1208
; %bb.1206:
	s_cmp_eq_u32 s50, 15
	s_cbranch_scc0 .LBB70_1211
; %bb.1207:
	global_load_ushort v2, v[0:1], off
	s_mov_b64 s[42:43], 0
	s_mov_b64 s[46:47], -1
	s_waitcnt vmcnt(0)
	v_lshlrev_b32_e32 v2, 16, v2
	v_cvt_i32_f32_e32 v5, v2
	s_branch .LBB70_1212
.LBB70_1208:
	s_mov_b64 s[48:49], -1
                                        ; implicit-def: $vgpr5
	s_branch .LBB70_1213
.LBB70_1209:
	s_andn2_saveexec_b64 s[44:45], s[44:45]
	s_cbranch_execz .LBB70_1190
.LBB70_1210:
	v_cmp_ne_u16_e32 vcc, 0, v2
	s_andn2_b64 s[46:47], s[46:47], exec
	s_and_b64 s[48:49], vcc, exec
	s_or_b64 s[46:47], s[46:47], s[48:49]
	s_or_b64 exec, exec, s[44:45]
	v_mov_b32_e32 v5, 0
	s_and_saveexec_b64 s[44:45], s[46:47]
	s_cbranch_execnz .LBB70_1191
	s_branch .LBB70_1192
.LBB70_1211:
	s_mov_b64 s[42:43], -1
                                        ; implicit-def: $vgpr5
.LBB70_1212:
	s_mov_b64 s[48:49], 0
.LBB70_1213:
	s_and_b64 vcc, exec, s[48:49]
	s_cbranch_vccz .LBB70_1215
; %bb.1214:
	s_cmp_lg_u32 s50, 11
	s_cselect_b64 s[48:49], -1, 0
	s_andn2_b64 s[42:43], s[42:43], exec
	s_and_b64 s[48:49], s[48:49], exec
	s_mov_b64 s[44:45], -1
	s_or_b64 s[42:43], s[42:43], s[48:49]
.LBB70_1215:
	s_mov_b64 s[48:49], 0
.LBB70_1216:
	s_and_b64 s[52:53], s[46:47], exec
	s_and_b64 s[46:47], s[44:45], exec
	s_andn2_b64 s[44:45], s[0:1], exec
	s_and_b64 s[42:43], s[42:43], exec
	s_and_b64 s[50:51], s[48:49], exec
	s_or_b64 s[48:49], s[44:45], s[42:43]
.LBB70_1217:
	s_or_b64 exec, exec, s[36:37]
	s_and_b64 s[42:43], s[46:47], exec
	s_andn2_b64 s[0:1], s[0:1], exec
	s_and_b64 s[46:47], s[48:49], exec
	s_and_b64 s[44:45], s[52:53], exec
	;; [unrolled: 1-line block ×3, first 2 shown]
	s_or_b64 s[0:1], s[0:1], s[46:47]
.LBB70_1218:
	s_or_b64 exec, exec, s[34:35]
	s_andn2_b64 s[28:29], s[28:29], exec
	s_and_b64 s[34:35], s[40:41], exec
	s_or_b64 s[28:29], s[28:29], s[34:35]
	s_andn2_b64 s[26:27], s[26:27], exec
	s_and_b64 s[34:35], s[38:39], exec
	s_andn2_b64 s[24:25], s[24:25], exec
	s_and_b64 s[0:1], s[0:1], exec
	s_or_b64 s[26:27], s[26:27], s[34:35]
	s_and_b64 s[38:39], s[44:45], exec
	s_and_b64 s[36:37], s[36:37], exec
	;; [unrolled: 1-line block ×3, first 2 shown]
	s_or_b64 s[24:25], s[24:25], s[0:1]
.LBB70_1219:
	s_or_b64 exec, exec, s[30:31]
	s_andn2_b64 s[0:1], s[6:7], exec
	s_and_b64 s[6:7], s[28:29], exec
	s_or_b64 s[6:7], s[0:1], s[6:7]
	s_andn2_b64 s[0:1], s[18:19], exec
	s_and_b64 s[18:19], s[26:27], exec
	s_or_b64 s[18:19], s[0:1], s[18:19]
	s_andn2_b64 s[0:1], s[20:21], exec
	s_and_b64 s[20:21], s[24:25], exec
	s_and_b64 s[28:29], s[38:39], exec
	;; [unrolled: 1-line block ×4, first 2 shown]
	s_or_b64 s[20:21], s[0:1], s[20:21]
	s_or_b64 exec, exec, s[22:23]
	s_mov_b64 s[22:23], 0
	s_and_saveexec_b64 s[0:1], s[20:21]
	s_cbranch_execz .LBB70_385
.LBB70_1220:
	s_mov_b64 s[22:23], exec
	s_andn2_b64 s[26:27], s[26:27], exec
	s_trap 2
	s_or_b64 exec, exec, s[0:1]
	s_and_saveexec_b64 s[0:1], s[26:27]
	s_xor_b64 s[0:1], exec, s[0:1]
	s_cbranch_execnz .LBB70_386
.LBB70_1221:
	s_or_b64 exec, exec, s[0:1]
	s_and_saveexec_b64 s[0:1], s[30:31]
	s_cbranch_execz .LBB70_1267
.LBB70_1222:
	s_sext_i32_i16 s20, s55
	s_cmp_lt_i32 s20, 5
	s_cbranch_scc1 .LBB70_1227
; %bb.1223:
	s_cmp_lt_i32 s20, 8
	s_cbranch_scc1 .LBB70_1228
; %bb.1224:
	;; [unrolled: 3-line block ×3, first 2 shown]
	s_cmp_gt_i32 s20, 9
	s_cbranch_scc0 .LBB70_1230
; %bb.1226:
	global_load_dwordx2 v[2:3], v[0:1], off
	s_mov_b64 s[20:21], 0
	s_waitcnt vmcnt(0)
	v_cvt_i32_f64_e32 v5, v[2:3]
	s_branch .LBB70_1231
.LBB70_1227:
                                        ; implicit-def: $vgpr5
	s_branch .LBB70_1248
.LBB70_1228:
                                        ; implicit-def: $vgpr5
	s_branch .LBB70_1237
.LBB70_1229:
	s_mov_b64 s[20:21], -1
                                        ; implicit-def: $vgpr5
	s_branch .LBB70_1234
.LBB70_1230:
	s_mov_b64 s[20:21], -1
                                        ; implicit-def: $vgpr5
.LBB70_1231:
	s_andn2_b64 vcc, exec, s[20:21]
	s_cbranch_vccnz .LBB70_1233
; %bb.1232:
	global_load_dword v2, v[0:1], off
	s_waitcnt vmcnt(0)
	v_cvt_i32_f32_e32 v5, v2
.LBB70_1233:
	s_mov_b64 s[20:21], 0
.LBB70_1234:
	s_andn2_b64 vcc, exec, s[20:21]
	s_cbranch_vccnz .LBB70_1236
; %bb.1235:
	global_load_dword v2, v[0:1], off
	s_waitcnt vmcnt(0)
	v_cvt_f32_f16_e32 v2, v2
	v_cvt_i32_f32_e32 v5, v2
.LBB70_1236:
	s_cbranch_execnz .LBB70_1247
.LBB70_1237:
	s_sext_i32_i16 s20, s55
	s_cmp_lt_i32 s20, 6
	s_cbranch_scc1 .LBB70_1240
; %bb.1238:
	s_cmp_gt_i32 s20, 6
	s_cbranch_scc0 .LBB70_1241
; %bb.1239:
	global_load_dwordx2 v[2:3], v[0:1], off
	s_mov_b64 s[20:21], 0
	s_waitcnt vmcnt(0)
	v_cvt_i32_f64_e32 v5, v[2:3]
	s_branch .LBB70_1242
.LBB70_1240:
	s_mov_b64 s[20:21], -1
                                        ; implicit-def: $vgpr5
	s_branch .LBB70_1245
.LBB70_1241:
	s_mov_b64 s[20:21], -1
                                        ; implicit-def: $vgpr5
.LBB70_1242:
	s_andn2_b64 vcc, exec, s[20:21]
	s_cbranch_vccnz .LBB70_1244
; %bb.1243:
	global_load_dword v2, v[0:1], off
	s_waitcnt vmcnt(0)
	v_cvt_i32_f32_e32 v5, v2
.LBB70_1244:
	s_mov_b64 s[20:21], 0
.LBB70_1245:
	s_andn2_b64 vcc, exec, s[20:21]
	s_cbranch_vccnz .LBB70_1247
; %bb.1246:
	global_load_ushort v2, v[0:1], off
	s_waitcnt vmcnt(0)
	v_cvt_f32_f16_e32 v2, v2
	v_cvt_i32_f32_e32 v5, v2
.LBB70_1247:
	s_cbranch_execnz .LBB70_1266
.LBB70_1248:
	s_sext_i32_i16 s20, s55
	s_cmp_lt_i32 s20, 2
	s_cbranch_scc1 .LBB70_1252
; %bb.1249:
	s_cmp_lt_i32 s20, 3
	s_cbranch_scc1 .LBB70_1253
; %bb.1250:
	s_cmp_gt_i32 s20, 3
	s_cbranch_scc0 .LBB70_1254
; %bb.1251:
	global_load_dword v5, v[0:1], off
	s_mov_b64 s[20:21], 0
	s_branch .LBB70_1255
.LBB70_1252:
                                        ; implicit-def: $vgpr5
	s_branch .LBB70_1261
.LBB70_1253:
	s_mov_b64 s[20:21], -1
                                        ; implicit-def: $vgpr5
	s_branch .LBB70_1258
.LBB70_1254:
	s_mov_b64 s[20:21], -1
                                        ; implicit-def: $vgpr5
.LBB70_1255:
	s_andn2_b64 vcc, exec, s[20:21]
	s_cbranch_vccnz .LBB70_1257
; %bb.1256:
	global_load_dword v5, v[0:1], off
.LBB70_1257:
	s_mov_b64 s[20:21], 0
.LBB70_1258:
	s_andn2_b64 vcc, exec, s[20:21]
	s_cbranch_vccnz .LBB70_1260
; %bb.1259:
	global_load_sshort v5, v[0:1], off
.LBB70_1260:
	s_cbranch_execnz .LBB70_1266
.LBB70_1261:
	s_sext_i32_i16 s20, s55
	s_cmp_gt_i32 s20, 0
	s_cbranch_scc0 .LBB70_1263
; %bb.1262:
	global_load_sbyte v5, v[0:1], off
	s_mov_b64 s[20:21], 0
	s_branch .LBB70_1264
.LBB70_1263:
	s_mov_b64 s[20:21], -1
                                        ; implicit-def: $vgpr5
.LBB70_1264:
	s_andn2_b64 vcc, exec, s[20:21]
	s_cbranch_vccnz .LBB70_1266
; %bb.1265:
	global_load_ubyte v5, v[0:1], off
.LBB70_1266:
	s_or_b64 s[28:29], s[28:29], exec
.LBB70_1267:
	s_or_b64 exec, exec, s[0:1]
	s_mov_b64 s[26:27], 0
	s_mov_b64 s[30:31], 0
	;; [unrolled: 1-line block ×3, first 2 shown]
                                        ; implicit-def: $sgpr34
                                        ; implicit-def: $vgpr0_vgpr1
                                        ; implicit-def: $vgpr6
	s_and_saveexec_b64 s[0:1], s[28:29]
	s_cbranch_execz .LBB70_1275
; %bb.1268:
	v_mul_lo_u32 v0, v4, s14
	v_mov_b32_e32 v1, s3
	s_and_b32 s34, s15, 0xff
	s_cmp_lt_i32 s34, 11
	s_waitcnt vmcnt(0)
	v_ashrrev_i32_e32 v2, 31, v0
	v_add_co_u32_e32 v0, vcc, s2, v0
	v_addc_co_u32_e32 v1, vcc, v1, v2, vcc
	s_cbranch_scc1 .LBB70_1278
; %bb.1269:
	s_and_b32 s30, 0xffff, s34
	s_cmp_gt_i32 s30, 25
	s_cbranch_scc0 .LBB70_1279
; %bb.1270:
	s_cmp_gt_i32 s30, 28
	s_cbranch_scc0 .LBB70_1280
; %bb.1271:
	;; [unrolled: 3-line block ×4, first 2 shown]
	s_cmp_eq_u32 s30, 46
	s_mov_b64 s[28:29], 0
	s_cbranch_scc0 .LBB70_1283
; %bb.1274:
	global_load_dword v2, v[0:1], off
	s_mov_b64 s[20:21], 0
	s_mov_b64 s[24:25], -1
	s_waitcnt vmcnt(0)
	v_lshlrev_b32_e32 v2, 16, v2
	v_cvt_i32_f32_e32 v6, v2
	s_branch .LBB70_1285
.LBB70_1275:
	s_or_b64 exec, exec, s[0:1]
	s_and_saveexec_b64 s[0:1], s[18:19]
	s_cbranch_execnz .LBB70_1344
.LBB70_1276:
	s_or_b64 exec, exec, s[0:1]
	s_and_saveexec_b64 s[0:1], s[26:27]
	s_xor_b64 s[0:1], exec, s[0:1]
	s_cbranch_execz .LBB70_1345
.LBB70_1277:
	global_load_ubyte v2, v[0:1], off
	s_or_b64 s[24:25], s[24:25], exec
	s_waitcnt vmcnt(0)
	v_cmp_ne_u16_e32 vcc, 0, v2
	v_cndmask_b32_e64 v6, 0, 1, vcc
	s_or_b64 exec, exec, s[0:1]
	s_and_saveexec_b64 s[0:1], s[30:31]
	s_cbranch_execz .LBB70_1391
	s_branch .LBB70_1346
.LBB70_1278:
	s_mov_b64 s[28:29], -1
                                        ; implicit-def: $vgpr6
	s_mov_b64 s[20:21], s[18:19]
	s_branch .LBB70_1343
.LBB70_1279:
	s_mov_b64 s[20:21], s[18:19]
                                        ; implicit-def: $vgpr6
	s_cbranch_execnz .LBB70_1312
	s_branch .LBB70_1342
.LBB70_1280:
	s_mov_b64 s[28:29], -1
	s_mov_b64 s[20:21], s[18:19]
                                        ; implicit-def: $vgpr6
	s_branch .LBB70_1295
.LBB70_1281:
	s_mov_b64 s[28:29], -1
	s_mov_b64 s[20:21], s[18:19]
                                        ; implicit-def: $vgpr6
	s_branch .LBB70_1290
.LBB70_1282:
	s_mov_b64 s[28:29], -1
	s_mov_b64 s[20:21], s[18:19]
	s_branch .LBB70_1284
.LBB70_1283:
	s_mov_b64 s[20:21], -1
.LBB70_1284:
                                        ; implicit-def: $vgpr6
.LBB70_1285:
	s_and_b64 vcc, exec, s[28:29]
	s_cbranch_vccz .LBB70_1289
; %bb.1286:
	s_cmp_eq_u32 s30, 44
	s_cbranch_scc0 .LBB70_1288
; %bb.1287:
	global_load_ubyte v2, v[0:1], off
	s_mov_b64 s[20:21], 0
	s_mov_b64 s[24:25], -1
	s_waitcnt vmcnt(0)
	v_lshlrev_b32_e32 v3, 23, v2
	v_cvt_i32_f32_e32 v3, v3
	v_cmp_ne_u32_e32 vcc, 0, v2
	v_cndmask_b32_e32 v6, 0, v3, vcc
	s_branch .LBB70_1289
.LBB70_1288:
	s_mov_b64 s[20:21], -1
                                        ; implicit-def: $vgpr6
.LBB70_1289:
	s_mov_b64 s[28:29], 0
.LBB70_1290:
	s_and_b64 vcc, exec, s[28:29]
	s_cbranch_vccz .LBB70_1294
; %bb.1291:
	s_cmp_eq_u32 s30, 29
	s_cbranch_scc0 .LBB70_1293
; %bb.1292:
	global_load_dword v6, v[0:1], off
	s_mov_b64 s[20:21], 0
	s_mov_b64 s[24:25], -1
	s_branch .LBB70_1294
.LBB70_1293:
	s_mov_b64 s[20:21], -1
                                        ; implicit-def: $vgpr6
.LBB70_1294:
	s_mov_b64 s[28:29], 0
.LBB70_1295:
	s_and_b64 vcc, exec, s[28:29]
	s_cbranch_vccz .LBB70_1311
; %bb.1296:
	s_cmp_lt_i32 s30, 27
	s_cbranch_scc1 .LBB70_1299
; %bb.1297:
	s_cmp_gt_i32 s30, 27
	s_cbranch_scc0 .LBB70_1300
; %bb.1298:
	global_load_dword v6, v[0:1], off
	s_mov_b64 s[24:25], 0
	s_branch .LBB70_1301
.LBB70_1299:
	s_mov_b64 s[24:25], -1
                                        ; implicit-def: $vgpr6
	s_branch .LBB70_1304
.LBB70_1300:
	s_mov_b64 s[24:25], -1
                                        ; implicit-def: $vgpr6
.LBB70_1301:
	s_andn2_b64 vcc, exec, s[24:25]
	s_cbranch_vccnz .LBB70_1303
; %bb.1302:
	global_load_ushort v6, v[0:1], off
.LBB70_1303:
	s_mov_b64 s[24:25], 0
.LBB70_1304:
	s_andn2_b64 vcc, exec, s[24:25]
	s_cbranch_vccnz .LBB70_1310
; %bb.1305:
	global_load_ubyte v2, v[0:1], off
	s_movk_i32 s24, 0x7f
	s_mov_b64 s[28:29], 0
	s_waitcnt vmcnt(0)
	v_cmp_lt_i16_e32 vcc, s24, v2
	s_and_saveexec_b64 s[24:25], vcc
	s_xor_b64 s[24:25], exec, s[24:25]
	s_cbranch_execz .LBB70_1321
; %bb.1306:
	s_movk_i32 s28, 0x80
	v_cmp_ne_u16_e32 vcc, s28, v2
	s_and_b64 s[28:29], vcc, exec
	s_andn2_saveexec_b64 s[24:25], s[24:25]
	s_cbranch_execnz .LBB70_1322
.LBB70_1307:
	s_or_b64 exec, exec, s[24:25]
	v_mov_b32_e32 v6, 0
	s_and_saveexec_b64 s[24:25], s[28:29]
	s_cbranch_execz .LBB70_1309
.LBB70_1308:
	v_lshlrev_b32_e32 v3, 24, v2
	v_and_b32_e32 v2, 0xffff, v2
	v_and_b32_e32 v6, 7, v2
	v_ffbh_u32_e32 v8, v6
	v_min_u32_e32 v8, 32, v8
	v_subrev_u32_e32 v9, 28, v8
	v_bfe_u32 v7, v2, 3, 4
	v_lshlrev_b32_e32 v2, v9, v2
	v_sub_u32_e32 v8, 29, v8
	v_and_b32_e32 v2, 7, v2
	v_cmp_eq_u32_e32 vcc, 0, v7
	v_cndmask_b32_e32 v7, v7, v8, vcc
	v_cndmask_b32_e32 v2, v6, v2, vcc
	v_mov_b32_e32 v6, 0x3b800000
	v_lshlrev_b32_e32 v2, 20, v2
	v_and_b32_e32 v3, 0x80000000, v3
	v_lshl_add_u32 v6, v7, 23, v6
	v_or3_b32 v2, v3, v6, v2
	v_cvt_i32_f32_e32 v6, v2
.LBB70_1309:
	s_or_b64 exec, exec, s[24:25]
.LBB70_1310:
	s_mov_b64 s[24:25], -1
.LBB70_1311:
	s_branch .LBB70_1342
.LBB70_1312:
	s_cmp_gt_i32 s30, 22
	s_cbranch_scc0 .LBB70_1320
; %bb.1313:
	s_cmp_lt_i32 s30, 24
	s_cbranch_scc1 .LBB70_1323
; %bb.1314:
	s_cmp_gt_i32 s30, 24
	s_cbranch_scc0 .LBB70_1324
; %bb.1315:
	global_load_ubyte v2, v[0:1], off
	s_movk_i32 s24, 0x7f
	s_waitcnt vmcnt(0)
	v_cmp_lt_i16_e32 vcc, s24, v2
	s_and_saveexec_b64 s[24:25], vcc
	s_xor_b64 s[24:25], exec, s[24:25]
	s_cbranch_execz .LBB70_1336
; %bb.1316:
	s_movk_i32 s26, 0x80
	v_cmp_ne_u16_e32 vcc, s26, v2
	s_and_b64 s[26:27], vcc, exec
	s_andn2_saveexec_b64 s[24:25], s[24:25]
	s_cbranch_execnz .LBB70_1337
.LBB70_1317:
	s_or_b64 exec, exec, s[24:25]
	v_mov_b32_e32 v6, 0
	s_and_saveexec_b64 s[24:25], s[26:27]
	s_cbranch_execz .LBB70_1319
.LBB70_1318:
	v_lshlrev_b32_e32 v3, 24, v2
	v_and_b32_e32 v2, 0xffff, v2
	v_and_b32_e32 v6, 3, v2
	v_ffbh_u32_e32 v8, v6
	v_min_u32_e32 v8, 32, v8
	v_subrev_u32_e32 v9, 29, v8
	v_bfe_u32 v7, v2, 2, 5
	v_lshlrev_b32_e32 v2, v9, v2
	v_sub_u32_e32 v8, 30, v8
	v_and_b32_e32 v2, 3, v2
	v_cmp_eq_u32_e32 vcc, 0, v7
	v_cndmask_b32_e32 v7, v7, v8, vcc
	v_cndmask_b32_e32 v2, v6, v2, vcc
	v_mov_b32_e32 v6, 0x37800000
	v_lshlrev_b32_e32 v2, 21, v2
	v_and_b32_e32 v3, 0x80000000, v3
	v_lshl_add_u32 v6, v7, 23, v6
	v_or3_b32 v2, v3, v6, v2
	v_cvt_i32_f32_e32 v6, v2
.LBB70_1319:
	s_or_b64 exec, exec, s[24:25]
	s_mov_b64 s[24:25], 0
	s_branch .LBB70_1325
.LBB70_1320:
	s_mov_b64 s[26:27], -1
                                        ; implicit-def: $vgpr6
	s_branch .LBB70_1331
.LBB70_1321:
	s_andn2_saveexec_b64 s[24:25], s[24:25]
	s_cbranch_execz .LBB70_1307
.LBB70_1322:
	v_cmp_ne_u16_e32 vcc, 0, v2
	s_andn2_b64 s[28:29], s[28:29], exec
	s_and_b64 s[36:37], vcc, exec
	s_or_b64 s[28:29], s[28:29], s[36:37]
	s_or_b64 exec, exec, s[24:25]
	v_mov_b32_e32 v6, 0
	s_and_saveexec_b64 s[24:25], s[28:29]
	s_cbranch_execnz .LBB70_1308
	s_branch .LBB70_1309
.LBB70_1323:
	s_mov_b64 s[24:25], -1
                                        ; implicit-def: $vgpr6
	s_branch .LBB70_1328
.LBB70_1324:
	s_mov_b64 s[24:25], -1
                                        ; implicit-def: $vgpr6
.LBB70_1325:
	s_and_b64 vcc, exec, s[24:25]
	s_cbranch_vccz .LBB70_1327
; %bb.1326:
	global_load_ubyte v2, v[0:1], off
	s_mov_b32 s24, 0x7f800000
	s_waitcnt vmcnt(0)
	v_lshlrev_b32_e32 v2, 24, v2
	v_and_b32_e32 v3, 0x7f000000, v2
	v_ffbh_u32_e32 v6, v3
	v_min_u32_e32 v6, 32, v6
	v_sub_u32_e64 v6, v6, 4 clamp
	v_lshlrev_b32_e32 v8, v6, v3
	v_lshlrev_b32_e32 v6, 23, v6
	v_lshrrev_b32_e32 v8, 4, v8
	v_add_u32_e32 v7, 0x1000000, v3
	v_sub_u32_e32 v6, v8, v6
	v_ashrrev_i32_e32 v7, 8, v7
	v_add_u32_e32 v6, 0x3c000000, v6
	v_and_or_b32 v6, v7, s24, v6
	v_cmp_ne_u32_e32 vcc, 0, v3
	v_cndmask_b32_e32 v3, 0, v6, vcc
	s_brev_b32 s24, 1
	v_and_or_b32 v2, v2, s24, v3
	v_cvt_i32_f32_e32 v6, v2
.LBB70_1327:
	s_mov_b64 s[24:25], 0
.LBB70_1328:
	s_andn2_b64 vcc, exec, s[24:25]
	s_cbranch_vccnz .LBB70_1330
; %bb.1329:
	global_load_ubyte v2, v[0:1], off
	s_movk_i32 s24, 0x7f00
	s_brev_b32 s25, 16
	s_waitcnt vmcnt(0)
	v_lshlrev_b16_e32 v3, 8, v2
	v_lshlrev_b32_e32 v2, 25, v2
	v_lshrrev_b32_e32 v6, 4, v2
	v_and_or_b32 v7, v3, s24, 0.5
	v_or_b32_e32 v6, 0x70000000, v6
	v_add_f32_e32 v7, -0.5, v7
	v_mul_f32_e32 v6, 0x7800000, v6
	v_cmp_gt_u32_e32 vcc, s25, v2
	v_bfe_i32 v3, v3, 0, 16
	v_cndmask_b32_e32 v2, v6, v7, vcc
	s_brev_b32 s24, 1
	v_and_or_b32 v2, v3, s24, v2
	v_cvt_i32_f32_e32 v6, v2
.LBB70_1330:
	s_mov_b64 s[26:27], 0
	s_mov_b64 s[24:25], -1
.LBB70_1331:
	s_andn2_b64 vcc, exec, s[26:27]
	s_mov_b64 s[26:27], 0
	s_cbranch_vccnz .LBB70_1342
; %bb.1332:
	s_cmp_gt_i32 s30, 14
	s_cbranch_scc0 .LBB70_1335
; %bb.1333:
	s_cmp_eq_u32 s30, 15
	s_cbranch_scc0 .LBB70_1338
; %bb.1334:
	global_load_ushort v2, v[0:1], off
	s_mov_b64 s[20:21], 0
	s_mov_b64 s[24:25], -1
	s_waitcnt vmcnt(0)
	v_lshlrev_b32_e32 v2, 16, v2
	v_cvt_i32_f32_e32 v6, v2
	s_branch .LBB70_1339
.LBB70_1335:
	s_mov_b64 s[28:29], -1
                                        ; implicit-def: $vgpr6
	s_branch .LBB70_1340
.LBB70_1336:
	s_andn2_saveexec_b64 s[24:25], s[24:25]
	s_cbranch_execz .LBB70_1317
.LBB70_1337:
	v_cmp_ne_u16_e32 vcc, 0, v2
	s_andn2_b64 s[26:27], s[26:27], exec
	s_and_b64 s[28:29], vcc, exec
	s_or_b64 s[26:27], s[26:27], s[28:29]
	s_or_b64 exec, exec, s[24:25]
	v_mov_b32_e32 v6, 0
	s_and_saveexec_b64 s[24:25], s[26:27]
	s_cbranch_execnz .LBB70_1318
	s_branch .LBB70_1319
.LBB70_1338:
	s_mov_b64 s[20:21], -1
                                        ; implicit-def: $vgpr6
.LBB70_1339:
	s_mov_b64 s[28:29], 0
.LBB70_1340:
	s_and_b64 vcc, exec, s[28:29]
	s_cbranch_vccz .LBB70_1342
; %bb.1341:
	s_cmp_lg_u32 s30, 11
	s_cselect_b64 s[28:29], -1, 0
	s_andn2_b64 s[20:21], s[20:21], exec
	s_and_b64 s[28:29], s[28:29], exec
	s_mov_b64 s[26:27], -1
	s_or_b64 s[20:21], s[20:21], s[28:29]
.LBB70_1342:
	s_mov_b64 s[28:29], 0
.LBB70_1343:
	s_andn2_b64 s[18:19], s[18:19], exec
	s_and_b64 s[20:21], s[20:21], exec
	s_and_b64 s[24:25], s[24:25], exec
	;; [unrolled: 1-line block ×4, first 2 shown]
	s_or_b64 s[18:19], s[18:19], s[20:21]
	s_or_b64 exec, exec, s[0:1]
	s_and_saveexec_b64 s[0:1], s[18:19]
	s_cbranch_execz .LBB70_1276
.LBB70_1344:
	s_or_b64 s[22:23], s[22:23], exec
	s_andn2_b64 s[26:27], s[26:27], exec
	s_trap 2
	s_or_b64 exec, exec, s[0:1]
	s_and_saveexec_b64 s[0:1], s[26:27]
	s_xor_b64 s[0:1], exec, s[0:1]
	s_cbranch_execnz .LBB70_1277
.LBB70_1345:
	s_or_b64 exec, exec, s[0:1]
	s_and_saveexec_b64 s[0:1], s[30:31]
	s_cbranch_execz .LBB70_1391
.LBB70_1346:
	s_sext_i32_i16 s18, s34
	s_cmp_lt_i32 s18, 5
	s_cbranch_scc1 .LBB70_1351
; %bb.1347:
	s_cmp_lt_i32 s18, 8
	s_cbranch_scc1 .LBB70_1352
; %bb.1348:
	;; [unrolled: 3-line block ×3, first 2 shown]
	s_cmp_gt_i32 s18, 9
	s_cbranch_scc0 .LBB70_1354
; %bb.1350:
	global_load_dwordx2 v[2:3], v[0:1], off
	s_mov_b64 s[18:19], 0
	s_waitcnt vmcnt(0)
	v_cvt_i32_f64_e32 v6, v[2:3]
	s_branch .LBB70_1355
.LBB70_1351:
                                        ; implicit-def: $vgpr6
	s_branch .LBB70_1372
.LBB70_1352:
                                        ; implicit-def: $vgpr6
	s_branch .LBB70_1361
.LBB70_1353:
	s_mov_b64 s[18:19], -1
                                        ; implicit-def: $vgpr6
	s_branch .LBB70_1358
.LBB70_1354:
	s_mov_b64 s[18:19], -1
                                        ; implicit-def: $vgpr6
.LBB70_1355:
	s_andn2_b64 vcc, exec, s[18:19]
	s_cbranch_vccnz .LBB70_1357
; %bb.1356:
	global_load_dword v2, v[0:1], off
	s_waitcnt vmcnt(0)
	v_cvt_i32_f32_e32 v6, v2
.LBB70_1357:
	s_mov_b64 s[18:19], 0
.LBB70_1358:
	s_andn2_b64 vcc, exec, s[18:19]
	s_cbranch_vccnz .LBB70_1360
; %bb.1359:
	global_load_dword v2, v[0:1], off
	s_waitcnt vmcnt(0)
	v_cvt_f32_f16_e32 v2, v2
	v_cvt_i32_f32_e32 v6, v2
.LBB70_1360:
	s_cbranch_execnz .LBB70_1371
.LBB70_1361:
	s_sext_i32_i16 s18, s34
	s_cmp_lt_i32 s18, 6
	s_cbranch_scc1 .LBB70_1364
; %bb.1362:
	s_cmp_gt_i32 s18, 6
	s_cbranch_scc0 .LBB70_1365
; %bb.1363:
	global_load_dwordx2 v[2:3], v[0:1], off
	s_mov_b64 s[18:19], 0
	s_waitcnt vmcnt(0)
	v_cvt_i32_f64_e32 v6, v[2:3]
	s_branch .LBB70_1366
.LBB70_1364:
	s_mov_b64 s[18:19], -1
                                        ; implicit-def: $vgpr6
	s_branch .LBB70_1369
.LBB70_1365:
	s_mov_b64 s[18:19], -1
                                        ; implicit-def: $vgpr6
.LBB70_1366:
	s_andn2_b64 vcc, exec, s[18:19]
	s_cbranch_vccnz .LBB70_1368
; %bb.1367:
	global_load_dword v2, v[0:1], off
	s_waitcnt vmcnt(0)
	v_cvt_i32_f32_e32 v6, v2
.LBB70_1368:
	s_mov_b64 s[18:19], 0
.LBB70_1369:
	s_andn2_b64 vcc, exec, s[18:19]
	s_cbranch_vccnz .LBB70_1371
; %bb.1370:
	global_load_ushort v2, v[0:1], off
	s_waitcnt vmcnt(0)
	v_cvt_f32_f16_e32 v2, v2
	v_cvt_i32_f32_e32 v6, v2
.LBB70_1371:
	s_cbranch_execnz .LBB70_1390
.LBB70_1372:
	s_sext_i32_i16 s18, s34
	s_cmp_lt_i32 s18, 2
	s_cbranch_scc1 .LBB70_1376
; %bb.1373:
	s_cmp_lt_i32 s18, 3
	s_cbranch_scc1 .LBB70_1377
; %bb.1374:
	s_cmp_gt_i32 s18, 3
	s_cbranch_scc0 .LBB70_1378
; %bb.1375:
	global_load_dword v6, v[0:1], off
	s_mov_b64 s[18:19], 0
	s_branch .LBB70_1379
.LBB70_1376:
                                        ; implicit-def: $vgpr6
	s_branch .LBB70_1385
.LBB70_1377:
	s_mov_b64 s[18:19], -1
                                        ; implicit-def: $vgpr6
	s_branch .LBB70_1382
.LBB70_1378:
	s_mov_b64 s[18:19], -1
                                        ; implicit-def: $vgpr6
.LBB70_1379:
	s_andn2_b64 vcc, exec, s[18:19]
	s_cbranch_vccnz .LBB70_1381
; %bb.1380:
	global_load_dword v6, v[0:1], off
.LBB70_1381:
	s_mov_b64 s[18:19], 0
.LBB70_1382:
	s_andn2_b64 vcc, exec, s[18:19]
	s_cbranch_vccnz .LBB70_1384
; %bb.1383:
	global_load_sshort v6, v[0:1], off
.LBB70_1384:
	s_cbranch_execnz .LBB70_1390
.LBB70_1385:
	s_sext_i32_i16 s18, s34
	s_cmp_gt_i32 s18, 0
	s_cbranch_scc0 .LBB70_1387
; %bb.1386:
	global_load_sbyte v6, v[0:1], off
	s_mov_b64 s[18:19], 0
	s_branch .LBB70_1388
.LBB70_1387:
	s_mov_b64 s[18:19], -1
                                        ; implicit-def: $vgpr6
.LBB70_1388:
	s_andn2_b64 vcc, exec, s[18:19]
	s_cbranch_vccnz .LBB70_1390
; %bb.1389:
	global_load_ubyte v6, v[0:1], off
.LBB70_1390:
	s_or_b64 s[24:25], s[24:25], exec
.LBB70_1391:
	s_or_b64 exec, exec, s[0:1]
	s_mov_b64 s[26:27], 0
	s_mov_b64 s[20:21], 0
                                        ; implicit-def: $sgpr30
                                        ; implicit-def: $vgpr2_vgpr3
                                        ; implicit-def: $vgpr0
	s_and_saveexec_b64 s[18:19], s[24:25]
	s_cbranch_execz .LBB70_1399
; %bb.1392:
	v_mul_lo_u32 v1, v4, s12
	s_waitcnt vmcnt(0)
	v_lshlrev_b32_e32 v0, v6, v5
	v_cmp_gt_u32_e32 vcc, 32, v6
	v_cndmask_b32_e32 v0, 0, v0, vcc
	v_ashrrev_i32_e32 v3, 31, v1
	v_mov_b32_e32 v4, s9
	s_and_b32 s30, s33, 0xff
	v_add_co_u32_e32 v2, vcc, s8, v1
	s_cmp_lt_i32 s30, 11
	v_addc_co_u32_e32 v3, vcc, v4, v3, vcc
	s_cbranch_scc1 .LBB70_1402
; %bb.1393:
	s_and_b32 s31, 0xffff, s30
	s_mov_b64 s[24:25], -1
	s_cmp_gt_i32 s31, 25
	s_mov_b64 s[0:1], s[6:7]
	s_cbranch_scc0 .LBB70_1430
; %bb.1394:
	s_mov_b64 s[20:21], -1
	s_cmp_gt_i32 s31, 28
	s_mov_b64 s[0:1], s[6:7]
	s_cbranch_scc0 .LBB70_1414
; %bb.1395:
	s_cmp_gt_i32 s31, 43
	s_mov_b64 s[0:1], s[6:7]
	s_cbranch_scc0 .LBB70_1410
; %bb.1396:
	;; [unrolled: 4-line block ×3, first 2 shown]
	s_cmp_eq_u32 s31, 46
	s_mov_b64 s[0:1], -1
	s_cbranch_scc0 .LBB70_1403
; %bb.1398:
	v_cvt_f32_i32_e32 v1, v0
	s_movk_i32 s0, 0x7fff
	s_mov_b64 s[20:21], 0
	v_bfe_u32 v4, v1, 16, 1
	v_add3_u32 v1, v1, v4, s0
	v_lshrrev_b32_e32 v1, 16, v1
	global_store_dword v[2:3], v1, off
	s_mov_b64 s[0:1], 0
	s_branch .LBB70_1404
.LBB70_1399:
	s_or_b64 exec, exec, s[18:19]
	s_and_saveexec_b64 s[0:1], s[6:7]
	s_cbranch_execnz .LBB70_1472
.LBB70_1400:
	s_or_b64 exec, exec, s[0:1]
	s_and_saveexec_b64 s[0:1], s[26:27]
	s_xor_b64 s[0:1], exec, s[0:1]
	s_cbranch_execz .LBB70_1473
.LBB70_1401:
	v_cmp_ne_u32_e32 vcc, 0, v0
	v_cndmask_b32_e64 v1, 0, 1, vcc
	s_waitcnt vmcnt(0)
	global_store_byte v[2:3], v1, off
	s_or_b64 exec, exec, s[0:1]
	s_and_saveexec_b64 s[0:1], s[20:21]
	s_xor_b64 s[0:1], exec, s[0:1]
	s_cbranch_execz .LBB70_1511
	s_branch .LBB70_1474
.LBB70_1402:
	s_mov_b64 s[24:25], 0
	s_mov_b64 s[20:21], -1
	s_mov_b64 s[0:1], s[6:7]
	s_branch .LBB70_1471
.LBB70_1403:
	s_mov_b64 s[20:21], 0
.LBB70_1404:
	s_and_b64 vcc, exec, s[20:21]
	s_cbranch_vccz .LBB70_1409
; %bb.1405:
	s_cmp_eq_u32 s31, 44
	s_mov_b64 s[0:1], -1
	s_cbranch_scc0 .LBB70_1409
; %bb.1406:
	v_cvt_f32_i32_e32 v1, v0
	s_movk_i32 s0, 0xff
	v_mov_b32_e32 v5, 0xff
	v_bfe_u32 v4, v1, 23, 8
	v_cmp_ne_u32_e32 vcc, s0, v4
	s_and_saveexec_b64 s[20:21], vcc
; %bb.1407:
	s_mov_b32 s0, 0x3fffff
	v_lshrrev_b32_e32 v5, 23, v1
	v_and_b32_e32 v6, 0x400000, v1
	v_and_or_b32 v1, v1, s0, v4
	v_cmp_ne_u32_e32 vcc, 0, v6
	v_cmp_ne_u32_e64 s[0:1], 0, v1
	s_and_b64 s[0:1], vcc, s[0:1]
	v_cndmask_b32_e64 v1, 0, 1, s[0:1]
	v_add_u32_e32 v5, v5, v1
; %bb.1408:
	s_or_b64 exec, exec, s[20:21]
	s_mov_b64 s[0:1], 0
	global_store_byte v[2:3], v5, off
.LBB70_1409:
	s_mov_b64 s[20:21], 0
.LBB70_1410:
	s_and_b64 vcc, exec, s[20:21]
	s_cbranch_vccz .LBB70_1413
; %bb.1411:
	s_cmp_eq_u32 s31, 29
	s_mov_b64 s[0:1], -1
	s_cbranch_scc0 .LBB70_1413
; %bb.1412:
	v_ashrrev_i32_e32 v1, 31, v0
	global_store_dwordx2 v[2:3], v[0:1], off
	s_mov_b64 s[0:1], 0
.LBB70_1413:
	s_mov_b64 s[20:21], 0
.LBB70_1414:
	s_and_b64 vcc, exec, s[20:21]
	s_cbranch_vccz .LBB70_1429
; %bb.1415:
	s_cmp_lt_i32 s31, 27
	s_mov_b64 s[20:21], -1
	s_cbranch_scc1 .LBB70_1421
; %bb.1416:
	s_cmp_gt_i32 s31, 27
	s_cbranch_scc0 .LBB70_1418
; %bb.1417:
	s_mov_b64 s[20:21], 0
	global_store_dword v[2:3], v0, off
.LBB70_1418:
	s_andn2_b64 vcc, exec, s[20:21]
	s_cbranch_vccnz .LBB70_1420
; %bb.1419:
	global_store_short v[2:3], v0, off
.LBB70_1420:
	s_mov_b64 s[20:21], 0
.LBB70_1421:
	s_andn2_b64 vcc, exec, s[20:21]
	s_cbranch_vccnz .LBB70_1429
; %bb.1422:
	v_cvt_f32_i32_e32 v1, v0
	s_mov_b32 s20, 0x43800000
	v_mov_b32_e32 v5, 0x80
	v_and_b32_e32 v4, 0x7fffffff, v1
	v_cmp_gt_u32_e32 vcc, s20, v4
	s_and_saveexec_b64 s[20:21], vcc
	s_cbranch_execz .LBB70_1428
; %bb.1423:
	s_mov_b32 s24, 0x3bffffff
	v_cmp_lt_u32_e32 vcc, s24, v4
	s_mov_b64 s[24:25], 0
                                        ; implicit-def: $vgpr4
	s_and_saveexec_b64 s[26:27], vcc
	s_xor_b64 s[26:27], exec, s[26:27]
	s_cbranch_execz .LBB70_1526
; %bb.1424:
	v_bfe_u32 v4, v1, 20, 1
	s_mov_b32 s28, 0x487ffff
	v_add3_u32 v4, v1, v4, s28
	s_mov_b64 s[24:25], exec
	v_lshrrev_b32_e32 v4, 20, v4
	s_andn2_saveexec_b64 s[26:27], s[26:27]
	s_cbranch_execnz .LBB70_1527
.LBB70_1425:
	s_or_b64 exec, exec, s[26:27]
	v_mov_b32_e32 v5, 0
	s_and_saveexec_b64 s[26:27], s[24:25]
.LBB70_1426:
	v_lshrrev_b32_e32 v1, 24, v1
	s_movk_i32 s24, 0x80
	v_and_or_b32 v5, v1, s24, v4
.LBB70_1427:
	s_or_b64 exec, exec, s[26:27]
.LBB70_1428:
	s_or_b64 exec, exec, s[20:21]
	global_store_byte v[2:3], v5, off
.LBB70_1429:
	s_mov_b64 s[24:25], 0
.LBB70_1430:
	s_mov_b64 s[20:21], 0
	s_and_b64 vcc, exec, s[24:25]
	s_cbranch_vccz .LBB70_1470
; %bb.1431:
	s_cmp_gt_i32 s31, 22
	s_mov_b64 s[24:25], -1
	s_cbranch_scc0 .LBB70_1463
; %bb.1432:
	s_cmp_lt_i32 s31, 24
	s_cbranch_scc1 .LBB70_1452
; %bb.1433:
	s_cmp_gt_i32 s31, 24
	s_cbranch_scc0 .LBB70_1441
; %bb.1434:
	v_cvt_f32_i32_e32 v1, v0
	s_mov_b32 s24, 0x47800000
	v_mov_b32_e32 v5, 0x80
	v_and_b32_e32 v4, 0x7fffffff, v1
	v_cmp_gt_u32_e32 vcc, s24, v4
	s_and_saveexec_b64 s[24:25], vcc
	s_cbranch_execz .LBB70_1440
; %bb.1435:
	s_mov_b32 s26, 0x37ffffff
	v_cmp_lt_u32_e32 vcc, s26, v4
	s_mov_b64 s[26:27], 0
                                        ; implicit-def: $vgpr4
	s_and_saveexec_b64 s[28:29], vcc
	s_xor_b64 s[28:29], exec, s[28:29]
	s_cbranch_execz .LBB70_1646
; %bb.1436:
	v_bfe_u32 v4, v1, 21, 1
	s_mov_b32 s34, 0x88fffff
	v_add3_u32 v4, v1, v4, s34
	s_mov_b64 s[26:27], exec
	v_lshrrev_b32_e32 v4, 21, v4
	s_andn2_saveexec_b64 s[28:29], s[28:29]
	s_cbranch_execnz .LBB70_1647
.LBB70_1437:
	s_or_b64 exec, exec, s[28:29]
	v_mov_b32_e32 v5, 0
	s_and_saveexec_b64 s[28:29], s[26:27]
.LBB70_1438:
	v_lshrrev_b32_e32 v1, 24, v1
	s_movk_i32 s26, 0x80
	v_and_or_b32 v5, v1, s26, v4
.LBB70_1439:
	s_or_b64 exec, exec, s[28:29]
.LBB70_1440:
	s_or_b64 exec, exec, s[24:25]
	s_mov_b64 s[24:25], 0
	global_store_byte v[2:3], v5, off
.LBB70_1441:
	s_and_b64 vcc, exec, s[24:25]
	s_cbranch_vccz .LBB70_1451
; %bb.1442:
	v_cvt_f32_i32_e32 v1, v0
	s_mov_b32 s24, 0x43f00000
                                        ; implicit-def: $vgpr4
	v_and_b32_e32 v5, 0x7fffffff, v1
	v_cmp_gt_u32_e32 vcc, s24, v5
	s_and_saveexec_b64 s[24:25], vcc
	s_xor_b64 s[24:25], exec, s[24:25]
	s_cbranch_execz .LBB70_1448
; %bb.1443:
	s_mov_b32 s26, 0x3c7fffff
	v_cmp_lt_u32_e32 vcc, s26, v5
                                        ; implicit-def: $vgpr4
	s_and_saveexec_b64 s[26:27], vcc
	s_xor_b64 s[26:27], exec, s[26:27]
; %bb.1444:
	v_bfe_u32 v4, v1, 20, 1
	s_mov_b32 s28, 0x407ffff
	v_add3_u32 v4, v1, v4, s28
	v_lshrrev_b32_e32 v5, 20, v4
	v_and_b32_e32 v4, 0xff00000, v4
	s_mov_b32 s28, 0x7f00000
	v_mov_b32_e32 v6, 0x7e
	v_cmp_ne_u32_e32 vcc, s28, v4
	v_cndmask_b32_e32 v4, v6, v5, vcc
; %bb.1445:
	s_andn2_saveexec_b64 s[26:27], s[26:27]
; %bb.1446:
	s_mov_b32 s28, 0x46800000
	v_add_f32_e64 v4, |v1|, s28
; %bb.1447:
	s_or_b64 exec, exec, s[26:27]
                                        ; implicit-def: $vgpr5
.LBB70_1448:
	s_andn2_saveexec_b64 s[24:25], s[24:25]
; %bb.1449:
	s_mov_b32 s26, 0x7f800000
	v_mov_b32_e32 v4, 0x7e
	v_mov_b32_e32 v6, 0x7f
	v_cmp_lt_u32_e32 vcc, s26, v5
	v_cndmask_b32_e32 v4, v4, v6, vcc
; %bb.1450:
	s_or_b64 exec, exec, s[24:25]
	v_lshrrev_b32_e32 v1, 24, v1
	s_movk_i32 s24, 0x80
	v_and_or_b32 v1, v1, s24, v4
	global_store_byte v[2:3], v1, off
.LBB70_1451:
	s_mov_b64 s[24:25], 0
.LBB70_1452:
	s_andn2_b64 vcc, exec, s[24:25]
	s_cbranch_vccnz .LBB70_1462
; %bb.1453:
	v_cvt_f32_i32_e32 v1, v0
	s_mov_b32 s24, 0x47800000
                                        ; implicit-def: $vgpr4
	v_and_b32_e32 v5, 0x7fffffff, v1
	v_cmp_gt_u32_e32 vcc, s24, v5
	s_and_saveexec_b64 s[24:25], vcc
	s_xor_b64 s[24:25], exec, s[24:25]
	s_cbranch_execz .LBB70_1459
; %bb.1454:
	s_mov_b32 s26, 0x387fffff
	v_cmp_lt_u32_e32 vcc, s26, v5
                                        ; implicit-def: $vgpr4
	s_and_saveexec_b64 s[26:27], vcc
	s_xor_b64 s[26:27], exec, s[26:27]
; %bb.1455:
	v_bfe_u32 v4, v1, 21, 1
	s_mov_b32 s28, 0x80fffff
	v_add3_u32 v4, v1, v4, s28
	v_lshrrev_b32_e32 v4, 21, v4
; %bb.1456:
	s_andn2_saveexec_b64 s[26:27], s[26:27]
; %bb.1457:
	s_mov_b32 s28, 0x43000000
	v_add_f32_e64 v4, |v1|, s28
; %bb.1458:
	s_or_b64 exec, exec, s[26:27]
                                        ; implicit-def: $vgpr5
.LBB70_1459:
	s_andn2_saveexec_b64 s[24:25], s[24:25]
; %bb.1460:
	s_mov_b32 s26, 0x7f800000
	v_mov_b32_e32 v4, 0x7c
	v_mov_b32_e32 v6, 0x7f
	v_cmp_lt_u32_e32 vcc, s26, v5
	v_cndmask_b32_e32 v4, v4, v6, vcc
; %bb.1461:
	s_or_b64 exec, exec, s[24:25]
	v_lshrrev_b32_e32 v1, 24, v1
	s_movk_i32 s24, 0x80
	v_and_or_b32 v1, v1, s24, v4
	global_store_byte v[2:3], v1, off
.LBB70_1462:
	s_mov_b64 s[24:25], 0
.LBB70_1463:
	s_andn2_b64 vcc, exec, s[24:25]
	s_mov_b64 s[24:25], 0
	s_cbranch_vccnz .LBB70_1471
; %bb.1464:
	s_cmp_gt_i32 s31, 14
	s_mov_b64 s[26:27], -1
	s_cbranch_scc0 .LBB70_1468
; %bb.1465:
	s_cmp_eq_u32 s31, 15
	s_mov_b64 s[0:1], -1
	s_cbranch_scc0 .LBB70_1467
; %bb.1466:
	v_cvt_f32_i32_e32 v1, v0
	s_movk_i32 s0, 0x7fff
	v_bfe_u32 v4, v1, 16, 1
	v_add3_u32 v1, v1, v4, s0
	global_store_short_d16_hi v[2:3], v1, off
	s_mov_b64 s[0:1], 0
.LBB70_1467:
	s_mov_b64 s[26:27], 0
.LBB70_1468:
	s_and_b64 vcc, exec, s[26:27]
	s_cbranch_vccz .LBB70_1471
; %bb.1469:
	s_cmp_lg_u32 s31, 11
	s_cselect_b64 s[26:27], -1, 0
	s_andn2_b64 s[0:1], s[0:1], exec
	s_and_b64 s[26:27], s[26:27], exec
	s_mov_b64 s[24:25], -1
	s_or_b64 s[0:1], s[0:1], s[26:27]
	s_branch .LBB70_1471
.LBB70_1470:
	s_mov_b64 s[24:25], 0
.LBB70_1471:
	s_andn2_b64 s[6:7], s[6:7], exec
	s_and_b64 s[0:1], s[0:1], exec
	s_and_b64 s[20:21], s[20:21], exec
	;; [unrolled: 1-line block ×3, first 2 shown]
	s_or_b64 s[6:7], s[6:7], s[0:1]
	s_or_b64 exec, exec, s[18:19]
	s_and_saveexec_b64 s[0:1], s[6:7]
	s_cbranch_execz .LBB70_1400
.LBB70_1472:
	s_or_b64 s[22:23], s[22:23], exec
	s_andn2_b64 s[26:27], s[26:27], exec
	s_trap 2
	s_or_b64 exec, exec, s[0:1]
	s_and_saveexec_b64 s[0:1], s[26:27]
	s_xor_b64 s[0:1], exec, s[0:1]
	s_cbranch_execnz .LBB70_1401
.LBB70_1473:
	s_or_b64 exec, exec, s[0:1]
	s_and_saveexec_b64 s[0:1], s[20:21]
	s_xor_b64 s[0:1], exec, s[0:1]
	s_cbranch_execz .LBB70_1511
.LBB70_1474:
	s_sext_i32_i16 s18, s30
	s_cmp_lt_i32 s18, 5
	s_mov_b64 s[6:7], -1
	s_cbranch_scc1 .LBB70_1495
; %bb.1475:
	s_cmp_lt_i32 s18, 8
	s_cbranch_scc1 .LBB70_1485
; %bb.1476:
	s_cmp_lt_i32 s18, 9
	s_cbranch_scc1 .LBB70_1482
; %bb.1477:
	s_cmp_gt_i32 s18, 9
	s_cbranch_scc0 .LBB70_1479
; %bb.1478:
	s_waitcnt vmcnt(0)
	v_cvt_f64_i32_e32 v[4:5], v0
	v_mov_b32_e32 v6, 0
	v_mov_b32_e32 v7, v6
	s_mov_b64 s[6:7], 0
	global_store_dwordx4 v[2:3], v[4:7], off
.LBB70_1479:
	s_andn2_b64 vcc, exec, s[6:7]
	s_cbranch_vccnz .LBB70_1481
; %bb.1480:
	v_cvt_f32_i32_e32 v4, v0
	s_waitcnt vmcnt(0)
	v_mov_b32_e32 v5, 0
	global_store_dwordx2 v[2:3], v[4:5], off
.LBB70_1481:
	s_mov_b64 s[6:7], 0
.LBB70_1482:
	s_andn2_b64 vcc, exec, s[6:7]
	s_cbranch_vccnz .LBB70_1484
; %bb.1483:
	v_cvt_f32_i32_e32 v1, v0
	v_cvt_f16_f32_e32 v1, v1
	s_waitcnt vmcnt(0)
	global_store_dword v[2:3], v1, off
.LBB70_1484:
	s_mov_b64 s[6:7], 0
.LBB70_1485:
	s_andn2_b64 vcc, exec, s[6:7]
	s_cbranch_vccnz .LBB70_1494
; %bb.1486:
	s_sext_i32_i16 s18, s30
	s_cmp_lt_i32 s18, 6
	s_mov_b64 s[6:7], -1
	s_cbranch_scc1 .LBB70_1492
; %bb.1487:
	s_cmp_gt_i32 s18, 6
	s_cbranch_scc0 .LBB70_1489
; %bb.1488:
	s_waitcnt vmcnt(0)
	v_cvt_f64_i32_e32 v[4:5], v0
	s_mov_b64 s[6:7], 0
	global_store_dwordx2 v[2:3], v[4:5], off
.LBB70_1489:
	s_andn2_b64 vcc, exec, s[6:7]
	s_cbranch_vccnz .LBB70_1491
; %bb.1490:
	v_cvt_f32_i32_e32 v1, v0
	s_waitcnt vmcnt(0)
	global_store_dword v[2:3], v1, off
.LBB70_1491:
	s_mov_b64 s[6:7], 0
.LBB70_1492:
	s_andn2_b64 vcc, exec, s[6:7]
	s_cbranch_vccnz .LBB70_1494
; %bb.1493:
	v_cvt_f32_i32_e32 v1, v0
	v_cvt_f16_f32_e32 v1, v1
	s_waitcnt vmcnt(0)
	global_store_short v[2:3], v1, off
.LBB70_1494:
	s_mov_b64 s[6:7], 0
.LBB70_1495:
	s_andn2_b64 vcc, exec, s[6:7]
	s_cbranch_vccnz .LBB70_1511
; %bb.1496:
	s_sext_i32_i16 s18, s30
	s_cmp_lt_i32 s18, 2
	s_mov_b64 s[6:7], -1
	s_cbranch_scc1 .LBB70_1506
; %bb.1497:
	s_cmp_lt_i32 s18, 3
	s_cbranch_scc1 .LBB70_1503
; %bb.1498:
	s_cmp_gt_i32 s18, 3
	s_cbranch_scc0 .LBB70_1500
; %bb.1499:
	v_ashrrev_i32_e32 v1, 31, v0
	s_mov_b64 s[6:7], 0
	s_waitcnt vmcnt(0)
	global_store_dwordx2 v[2:3], v[0:1], off
.LBB70_1500:
	s_andn2_b64 vcc, exec, s[6:7]
	s_cbranch_vccnz .LBB70_1502
; %bb.1501:
	s_waitcnt vmcnt(0)
	global_store_dword v[2:3], v0, off
.LBB70_1502:
	s_mov_b64 s[6:7], 0
.LBB70_1503:
	s_andn2_b64 vcc, exec, s[6:7]
	s_cbranch_vccnz .LBB70_1505
; %bb.1504:
	s_waitcnt vmcnt(0)
	global_store_short v[2:3], v0, off
.LBB70_1505:
	s_mov_b64 s[6:7], 0
.LBB70_1506:
	s_andn2_b64 vcc, exec, s[6:7]
	s_cbranch_vccnz .LBB70_1511
; %bb.1507:
	s_sext_i32_i16 s6, s30
	s_cmp_gt_i32 s6, 0
	s_mov_b64 s[6:7], -1
	s_cbranch_scc0 .LBB70_1509
; %bb.1508:
	s_mov_b64 s[6:7], 0
	s_waitcnt vmcnt(0)
	global_store_byte v[2:3], v0, off
.LBB70_1509:
	s_andn2_b64 vcc, exec, s[6:7]
	s_cbranch_vccnz .LBB70_1511
; %bb.1510:
	s_waitcnt vmcnt(0)
	global_store_byte v[2:3], v0, off
.LBB70_1511:
	s_or_b64 exec, exec, s[0:1]
	s_and_b64 s[6:7], s[22:23], exec
                                        ; implicit-def: $vgpr4
.LBB70_1512:
	s_or_saveexec_b64 s[4:5], s[4:5]
	s_mov_b64 s[0:1], 0
                                        ; implicit-def: $sgpr20
                                        ; implicit-def: $vgpr0_vgpr1
                                        ; implicit-def: $vgpr2
	s_xor_b64 exec, exec, s[4:5]
	s_cbranch_execz .LBB70_2949
; %bb.1513:
	s_waitcnt vmcnt(0)
	v_mul_lo_u32 v5, s13, v4
	v_mov_b32_e32 v1, s11
	s_and_b32 s24, s54, 0xff
	s_cmp_lt_i32 s24, 11
	v_ashrrev_i32_e32 v2, 31, v5
	v_add_co_u32_e32 v0, vcc, s10, v5
	v_addc_co_u32_e32 v1, vcc, v1, v2, vcc
	s_cbranch_scc1 .LBB70_1520
; %bb.1514:
	s_and_b32 s22, 0xffff, s24
	s_cmp_gt_i32 s22, 25
	s_cbranch_scc0 .LBB70_1522
; %bb.1515:
	s_cmp_gt_i32 s22, 28
	s_cbranch_scc0 .LBB70_1523
; %bb.1516:
	;; [unrolled: 3-line block ×4, first 2 shown]
	s_cmp_eq_u32 s22, 46
	s_mov_b64 s[18:19], 0
	s_cbranch_scc0 .LBB70_1528
; %bb.1519:
	global_load_dword v2, v[0:1], off
	s_mov_b64 s[20:21], -1
	s_waitcnt vmcnt(0)
	v_lshlrev_b32_e32 v2, 16, v2
	v_cvt_i32_f32_e32 v2, v2
	s_branch .LBB70_1529
.LBB70_1520:
	s_mov_b64 s[20:21], 0
                                        ; implicit-def: $vgpr2
	s_mov_b64 s[18:19], s[6:7]
	s_cbranch_execnz .LBB70_1587
.LBB70_1521:
	s_andn2_b64 vcc, exec, s[20:21]
	s_cbranch_vccz .LBB70_1632
	s_branch .LBB70_2947
.LBB70_1522:
	s_mov_b64 s[20:21], 0
                                        ; implicit-def: $vgpr2
	s_cbranch_execnz .LBB70_1554
	s_branch .LBB70_1583
.LBB70_1523:
	s_mov_b64 s[20:21], 0
                                        ; implicit-def: $vgpr2
	s_cbranch_execz .LBB70_1553
	s_branch .LBB70_1538
.LBB70_1524:
	s_mov_b64 s[20:21], 0
                                        ; implicit-def: $vgpr2
	s_cbranch_execnz .LBB70_1534
	s_branch .LBB70_1537
.LBB70_1525:
	s_mov_b64 s[18:19], -1
	s_mov_b64 s[20:21], 0
                                        ; implicit-def: $vgpr2
	s_branch .LBB70_1529
.LBB70_1526:
	s_andn2_saveexec_b64 s[26:27], s[26:27]
	s_cbranch_execz .LBB70_1425
.LBB70_1527:
	s_mov_b32 s28, 0x46000000
	v_add_f32_e64 v4, |v1|, s28
	v_and_b32_e32 v4, 0xff, v4
	v_cmp_ne_u32_e32 vcc, 0, v4
	s_andn2_b64 s[24:25], s[24:25], exec
	s_and_b64 s[28:29], vcc, exec
	s_or_b64 s[24:25], s[24:25], s[28:29]
	s_or_b64 exec, exec, s[26:27]
	v_mov_b32_e32 v5, 0
	s_and_saveexec_b64 s[26:27], s[24:25]
	s_cbranch_execnz .LBB70_1426
	s_branch .LBB70_1427
.LBB70_1528:
	s_mov_b64 s[0:1], -1
                                        ; implicit-def: $vgpr2
	s_mov_b64 s[20:21], 0
.LBB70_1529:
	s_and_b64 vcc, exec, s[18:19]
	s_cbranch_vccz .LBB70_1532
; %bb.1530:
	s_cmp_eq_u32 s22, 44
	s_cbranch_scc0 .LBB70_1533
; %bb.1531:
	global_load_ubyte v2, v[0:1], off
	s_mov_b64 s[0:1], 0
	s_mov_b64 s[20:21], -1
	s_waitcnt vmcnt(0)
	v_lshlrev_b32_e32 v3, 23, v2
	v_cvt_i32_f32_e32 v3, v3
	v_cmp_ne_u32_e32 vcc, 0, v2
	v_cndmask_b32_e32 v2, 0, v3, vcc
.LBB70_1532:
	s_branch .LBB70_1537
.LBB70_1533:
	s_mov_b64 s[0:1], -1
                                        ; implicit-def: $vgpr2
	s_branch .LBB70_1537
.LBB70_1534:
	s_cmp_eq_u32 s22, 29
	s_cbranch_scc0 .LBB70_1536
; %bb.1535:
	global_load_dword v2, v[0:1], off
	s_mov_b64 s[0:1], 0
	s_mov_b64 s[20:21], -1
	s_branch .LBB70_1537
.LBB70_1536:
	s_mov_b64 s[0:1], -1
                                        ; implicit-def: $vgpr2
.LBB70_1537:
	s_branch .LBB70_1553
.LBB70_1538:
	s_cmp_lt_i32 s22, 27
	s_cbranch_scc1 .LBB70_1541
; %bb.1539:
	s_cmp_gt_i32 s22, 27
	s_cbranch_scc0 .LBB70_1542
; %bb.1540:
	global_load_dword v2, v[0:1], off
	s_mov_b64 s[18:19], 0
	s_branch .LBB70_1543
.LBB70_1541:
	s_mov_b64 s[18:19], -1
                                        ; implicit-def: $vgpr2
	s_branch .LBB70_1546
.LBB70_1542:
	s_mov_b64 s[18:19], -1
                                        ; implicit-def: $vgpr2
.LBB70_1543:
	s_andn2_b64 vcc, exec, s[18:19]
	s_cbranch_vccnz .LBB70_1545
; %bb.1544:
	global_load_ushort v2, v[0:1], off
.LBB70_1545:
	s_mov_b64 s[18:19], 0
.LBB70_1546:
	s_andn2_b64 vcc, exec, s[18:19]
	s_cbranch_vccnz .LBB70_1552
; %bb.1547:
	global_load_ubyte v3, v[0:1], off
	s_movk_i32 s18, 0x7f
	s_mov_b64 s[20:21], 0
	s_waitcnt vmcnt(0)
	v_cmp_lt_i16_e32 vcc, s18, v3
	s_and_saveexec_b64 s[18:19], vcc
	s_xor_b64 s[18:19], exec, s[18:19]
	s_cbranch_execz .LBB70_1563
; %bb.1548:
	s_movk_i32 s20, 0x80
	v_cmp_ne_u16_e32 vcc, s20, v3
	s_and_b64 s[20:21], vcc, exec
	s_andn2_saveexec_b64 s[18:19], s[18:19]
	s_cbranch_execnz .LBB70_1564
.LBB70_1549:
	s_or_b64 exec, exec, s[18:19]
	v_mov_b32_e32 v2, 0
	s_and_saveexec_b64 s[18:19], s[20:21]
	s_cbranch_execz .LBB70_1551
.LBB70_1550:
	v_lshlrev_b32_e32 v2, 24, v3
	v_and_b32_e32 v3, 0xffff, v3
	v_and_b32_e32 v6, 7, v3
	v_ffbh_u32_e32 v8, v6
	v_min_u32_e32 v8, 32, v8
	v_subrev_u32_e32 v9, 28, v8
	v_bfe_u32 v7, v3, 3, 4
	v_lshlrev_b32_e32 v3, v9, v3
	v_sub_u32_e32 v8, 29, v8
	v_and_b32_e32 v3, 7, v3
	v_cmp_eq_u32_e32 vcc, 0, v7
	v_cndmask_b32_e32 v7, v7, v8, vcc
	v_cndmask_b32_e32 v3, v6, v3, vcc
	v_mov_b32_e32 v6, 0x3b800000
	v_lshlrev_b32_e32 v3, 20, v3
	v_and_b32_e32 v2, 0x80000000, v2
	v_lshl_add_u32 v6, v7, 23, v6
	v_or3_b32 v2, v2, v6, v3
	v_cvt_i32_f32_e32 v2, v2
.LBB70_1551:
	s_or_b64 exec, exec, s[18:19]
.LBB70_1552:
	s_mov_b64 s[20:21], -1
.LBB70_1553:
	s_branch .LBB70_1583
.LBB70_1554:
	s_cmp_gt_i32 s22, 22
	s_cbranch_scc0 .LBB70_1562
; %bb.1555:
	s_cmp_lt_i32 s22, 24
	s_cbranch_scc1 .LBB70_1565
; %bb.1556:
	s_cmp_gt_i32 s22, 24
	s_cbranch_scc0 .LBB70_1566
; %bb.1557:
	global_load_ubyte v3, v[0:1], off
	s_movk_i32 s16, 0x7f
	s_mov_b64 s[18:19], 0
	s_waitcnt vmcnt(0)
	v_cmp_lt_i16_e32 vcc, s16, v3
	s_and_saveexec_b64 s[16:17], vcc
	s_xor_b64 s[16:17], exec, s[16:17]
	s_cbranch_execz .LBB70_1577
; %bb.1558:
	s_movk_i32 s18, 0x80
	v_cmp_ne_u16_e32 vcc, s18, v3
	s_and_b64 s[18:19], vcc, exec
	s_andn2_saveexec_b64 s[16:17], s[16:17]
	s_cbranch_execnz .LBB70_1578
.LBB70_1559:
	s_or_b64 exec, exec, s[16:17]
	v_mov_b32_e32 v2, 0
	s_and_saveexec_b64 s[16:17], s[18:19]
	s_cbranch_execz .LBB70_1561
.LBB70_1560:
	v_lshlrev_b32_e32 v2, 24, v3
	v_and_b32_e32 v3, 0xffff, v3
	v_and_b32_e32 v6, 3, v3
	v_ffbh_u32_e32 v8, v6
	v_min_u32_e32 v8, 32, v8
	v_subrev_u32_e32 v9, 29, v8
	v_bfe_u32 v7, v3, 2, 5
	v_lshlrev_b32_e32 v3, v9, v3
	v_sub_u32_e32 v8, 30, v8
	v_and_b32_e32 v3, 3, v3
	v_cmp_eq_u32_e32 vcc, 0, v7
	v_cndmask_b32_e32 v7, v7, v8, vcc
	v_cndmask_b32_e32 v3, v6, v3, vcc
	v_mov_b32_e32 v6, 0x37800000
	v_lshlrev_b32_e32 v3, 21, v3
	v_and_b32_e32 v2, 0x80000000, v2
	v_lshl_add_u32 v6, v7, 23, v6
	v_or3_b32 v2, v2, v6, v3
	v_cvt_i32_f32_e32 v2, v2
.LBB70_1561:
	s_or_b64 exec, exec, s[16:17]
	s_mov_b64 s[16:17], 0
	s_branch .LBB70_1567
.LBB70_1562:
                                        ; implicit-def: $vgpr2
	s_mov_b64 s[16:17], 0
	s_branch .LBB70_1573
.LBB70_1563:
	s_andn2_saveexec_b64 s[18:19], s[18:19]
	s_cbranch_execz .LBB70_1549
.LBB70_1564:
	v_cmp_ne_u16_e32 vcc, 0, v3
	s_andn2_b64 s[20:21], s[20:21], exec
	s_and_b64 s[26:27], vcc, exec
	s_or_b64 s[20:21], s[20:21], s[26:27]
	s_or_b64 exec, exec, s[18:19]
	v_mov_b32_e32 v2, 0
	s_and_saveexec_b64 s[18:19], s[20:21]
	s_cbranch_execnz .LBB70_1550
	s_branch .LBB70_1551
.LBB70_1565:
	s_mov_b64 s[16:17], -1
                                        ; implicit-def: $vgpr2
	s_branch .LBB70_1570
.LBB70_1566:
	s_mov_b64 s[16:17], -1
                                        ; implicit-def: $vgpr2
.LBB70_1567:
	s_and_b64 vcc, exec, s[16:17]
	s_cbranch_vccz .LBB70_1569
; %bb.1568:
	global_load_ubyte v2, v[0:1], off
	s_mov_b32 s16, 0x7f800000
	s_waitcnt vmcnt(0)
	v_lshlrev_b32_e32 v2, 24, v2
	v_and_b32_e32 v3, 0x7f000000, v2
	v_ffbh_u32_e32 v6, v3
	v_min_u32_e32 v6, 32, v6
	v_sub_u32_e64 v6, v6, 4 clamp
	v_lshlrev_b32_e32 v8, v6, v3
	v_lshlrev_b32_e32 v6, 23, v6
	v_lshrrev_b32_e32 v8, 4, v8
	v_add_u32_e32 v7, 0x1000000, v3
	v_sub_u32_e32 v6, v8, v6
	v_ashrrev_i32_e32 v7, 8, v7
	v_add_u32_e32 v6, 0x3c000000, v6
	v_and_or_b32 v6, v7, s16, v6
	v_cmp_ne_u32_e32 vcc, 0, v3
	v_cndmask_b32_e32 v3, 0, v6, vcc
	s_brev_b32 s16, 1
	v_and_or_b32 v2, v2, s16, v3
	v_cvt_i32_f32_e32 v2, v2
.LBB70_1569:
	s_mov_b64 s[16:17], 0
.LBB70_1570:
	s_andn2_b64 vcc, exec, s[16:17]
	s_cbranch_vccnz .LBB70_1572
; %bb.1571:
	global_load_ubyte v2, v[0:1], off
	s_movk_i32 s16, 0x7f00
	s_brev_b32 s17, 16
	s_waitcnt vmcnt(0)
	v_lshlrev_b16_e32 v3, 8, v2
	v_lshlrev_b32_e32 v2, 25, v2
	v_lshrrev_b32_e32 v6, 4, v2
	v_and_or_b32 v7, v3, s16, 0.5
	v_or_b32_e32 v6, 0x70000000, v6
	v_add_f32_e32 v7, -0.5, v7
	v_mul_f32_e32 v6, 0x7800000, v6
	v_cmp_gt_u32_e32 vcc, s17, v2
	v_bfe_i32 v3, v3, 0, 16
	v_cndmask_b32_e32 v2, v6, v7, vcc
	s_brev_b32 s16, 1
	v_and_or_b32 v2, v3, s16, v2
	v_cvt_i32_f32_e32 v2, v2
.LBB70_1572:
	s_mov_b64 s[20:21], -1
	s_mov_b64 s[16:17], 0
	s_cbranch_execnz .LBB70_1583
.LBB70_1573:
	s_cmp_gt_i32 s22, 14
	s_cbranch_scc0 .LBB70_1576
; %bb.1574:
	s_cmp_eq_u32 s22, 15
	s_cbranch_scc0 .LBB70_1579
; %bb.1575:
	global_load_ushort v2, v[0:1], off
	s_mov_b64 s[0:1], 0
	s_mov_b64 s[20:21], -1
	s_waitcnt vmcnt(0)
	v_lshlrev_b32_e32 v2, 16, v2
	v_cvt_i32_f32_e32 v2, v2
	s_branch .LBB70_1580
.LBB70_1576:
	s_mov_b64 s[18:19], -1
                                        ; implicit-def: $vgpr2
	s_branch .LBB70_1581
.LBB70_1577:
	s_andn2_saveexec_b64 s[16:17], s[16:17]
	s_cbranch_execz .LBB70_1559
.LBB70_1578:
	v_cmp_ne_u16_e32 vcc, 0, v3
	s_andn2_b64 s[18:19], s[18:19], exec
	s_and_b64 s[20:21], vcc, exec
	s_or_b64 s[18:19], s[18:19], s[20:21]
	s_or_b64 exec, exec, s[16:17]
	v_mov_b32_e32 v2, 0
	s_and_saveexec_b64 s[16:17], s[18:19]
	s_cbranch_execnz .LBB70_1560
	s_branch .LBB70_1561
.LBB70_1579:
	s_mov_b64 s[0:1], -1
                                        ; implicit-def: $vgpr2
.LBB70_1580:
	s_mov_b64 s[18:19], 0
.LBB70_1581:
	s_and_b64 vcc, exec, s[18:19]
	s_cbranch_vccz .LBB70_1583
; %bb.1582:
	s_cmp_lg_u32 s22, 11
	s_mov_b64 s[16:17], -1
	s_cselect_b64 s[0:1], -1, 0
.LBB70_1583:
	s_and_b64 vcc, exec, s[0:1]
	s_mov_b64 s[18:19], s[6:7]
	s_cbranch_vccnz .LBB70_1644
; %bb.1584:
	s_andn2_b64 vcc, exec, s[16:17]
	s_cbranch_vccnz .LBB70_1586
.LBB70_1585:
	global_load_ubyte v2, v[0:1], off
	s_mov_b64 s[20:21], -1
	s_waitcnt vmcnt(0)
	v_cmp_ne_u16_e32 vcc, 0, v2
	v_cndmask_b32_e64 v2, 0, 1, vcc
.LBB70_1586:
	s_branch .LBB70_1521
.LBB70_1587:
	s_and_b32 s16, 0xffff, s24
	s_cmp_lt_i32 s16, 5
	s_cbranch_scc1 .LBB70_1592
; %bb.1588:
	s_cmp_lt_i32 s16, 8
	s_cbranch_scc1 .LBB70_1593
; %bb.1589:
	s_cmp_lt_i32 s16, 9
	s_cbranch_scc1 .LBB70_1594
; %bb.1590:
	s_cmp_gt_i32 s16, 9
	s_cbranch_scc0 .LBB70_1595
; %bb.1591:
	global_load_dwordx2 v[2:3], v[0:1], off
	s_mov_b64 s[0:1], 0
	s_waitcnt vmcnt(0)
	v_cvt_i32_f64_e32 v2, v[2:3]
	s_branch .LBB70_1596
.LBB70_1592:
                                        ; implicit-def: $vgpr2
	s_branch .LBB70_1613
.LBB70_1593:
                                        ; implicit-def: $vgpr2
	s_branch .LBB70_1602
.LBB70_1594:
	s_mov_b64 s[0:1], -1
                                        ; implicit-def: $vgpr2
	s_branch .LBB70_1599
.LBB70_1595:
	s_mov_b64 s[0:1], -1
                                        ; implicit-def: $vgpr2
.LBB70_1596:
	s_andn2_b64 vcc, exec, s[0:1]
	s_cbranch_vccnz .LBB70_1598
; %bb.1597:
	global_load_dword v2, v[0:1], off
	s_waitcnt vmcnt(0)
	v_cvt_i32_f32_e32 v2, v2
.LBB70_1598:
	s_mov_b64 s[0:1], 0
.LBB70_1599:
	s_andn2_b64 vcc, exec, s[0:1]
	s_cbranch_vccnz .LBB70_1601
; %bb.1600:
	global_load_dword v2, v[0:1], off
	s_waitcnt vmcnt(0)
	v_cvt_f32_f16_e32 v2, v2
	v_cvt_i32_f32_e32 v2, v2
.LBB70_1601:
	s_cbranch_execnz .LBB70_1612
.LBB70_1602:
	s_cmp_lt_i32 s16, 6
	s_cbranch_scc1 .LBB70_1605
; %bb.1603:
	s_cmp_gt_i32 s16, 6
	s_cbranch_scc0 .LBB70_1606
; %bb.1604:
	global_load_dwordx2 v[2:3], v[0:1], off
	s_mov_b64 s[0:1], 0
	s_waitcnt vmcnt(0)
	v_cvt_i32_f64_e32 v2, v[2:3]
	s_branch .LBB70_1607
.LBB70_1605:
	s_mov_b64 s[0:1], -1
                                        ; implicit-def: $vgpr2
	s_branch .LBB70_1610
.LBB70_1606:
	s_mov_b64 s[0:1], -1
                                        ; implicit-def: $vgpr2
.LBB70_1607:
	s_andn2_b64 vcc, exec, s[0:1]
	s_cbranch_vccnz .LBB70_1609
; %bb.1608:
	global_load_dword v2, v[0:1], off
	s_waitcnt vmcnt(0)
	v_cvt_i32_f32_e32 v2, v2
.LBB70_1609:
	s_mov_b64 s[0:1], 0
.LBB70_1610:
	s_andn2_b64 vcc, exec, s[0:1]
	s_cbranch_vccnz .LBB70_1612
; %bb.1611:
	global_load_ushort v2, v[0:1], off
	s_waitcnt vmcnt(0)
	v_cvt_f32_f16_e32 v2, v2
	v_cvt_i32_f32_e32 v2, v2
.LBB70_1612:
	s_cbranch_execnz .LBB70_1631
.LBB70_1613:
	s_cmp_lt_i32 s16, 2
	s_cbranch_scc1 .LBB70_1617
; %bb.1614:
	s_cmp_lt_i32 s16, 3
	s_cbranch_scc1 .LBB70_1618
; %bb.1615:
	s_cmp_gt_i32 s16, 3
	s_cbranch_scc0 .LBB70_1619
; %bb.1616:
	global_load_dword v2, v[0:1], off
	s_mov_b64 s[0:1], 0
	s_branch .LBB70_1620
.LBB70_1617:
                                        ; implicit-def: $vgpr2
	s_branch .LBB70_1626
.LBB70_1618:
	s_mov_b64 s[0:1], -1
                                        ; implicit-def: $vgpr2
	s_branch .LBB70_1623
.LBB70_1619:
	s_mov_b64 s[0:1], -1
                                        ; implicit-def: $vgpr2
.LBB70_1620:
	s_andn2_b64 vcc, exec, s[0:1]
	s_cbranch_vccnz .LBB70_1622
; %bb.1621:
	global_load_dword v2, v[0:1], off
.LBB70_1622:
	s_mov_b64 s[0:1], 0
.LBB70_1623:
	s_andn2_b64 vcc, exec, s[0:1]
	s_cbranch_vccnz .LBB70_1625
; %bb.1624:
	global_load_sshort v2, v[0:1], off
.LBB70_1625:
	s_cbranch_execnz .LBB70_1631
.LBB70_1626:
	s_cmp_gt_i32 s16, 0
	s_cbranch_scc0 .LBB70_1628
; %bb.1627:
	global_load_sbyte v2, v[0:1], off
	s_mov_b64 s[0:1], 0
	s_branch .LBB70_1629
.LBB70_1628:
	s_mov_b64 s[0:1], -1
                                        ; implicit-def: $vgpr2
.LBB70_1629:
	s_andn2_b64 vcc, exec, s[0:1]
	s_cbranch_vccnz .LBB70_1631
; %bb.1630:
	global_load_ubyte v2, v[0:1], off
.LBB70_1631:
.LBB70_1632:
	v_mul_lo_u32 v6, s14, v4
	v_mov_b32_e32 v1, s3
	s_and_b32 s25, s15, 0xff
	s_cmp_lt_i32 s25, 11
	v_ashrrev_i32_e32 v3, 31, v6
	v_add_co_u32_e32 v0, vcc, s2, v6
	v_addc_co_u32_e32 v1, vcc, v1, v3, vcc
	s_cbranch_scc1 .LBB70_1639
; %bb.1633:
	s_and_b32 s15, 0xffff, s25
	s_cmp_gt_i32 s15, 25
	s_mov_b64 s[16:17], 0
	s_cbranch_scc0 .LBB70_1641
; %bb.1634:
	s_cmp_gt_i32 s15, 28
	s_cbranch_scc0 .LBB70_1642
; %bb.1635:
	s_cmp_gt_i32 s15, 43
	;; [unrolled: 3-line block ×3, first 2 shown]
	s_cbranch_scc0 .LBB70_1645
; %bb.1637:
	s_cmp_eq_u32 s15, 46
	s_mov_b64 s[22:23], 0
	s_cbranch_scc0 .LBB70_1648
; %bb.1638:
	global_load_dword v3, v[0:1], off
	s_mov_b64 s[0:1], 0
	s_mov_b64 s[20:21], -1
	s_waitcnt vmcnt(0)
	v_lshlrev_b32_e32 v3, 16, v3
	v_cvt_i32_f32_e32 v3, v3
	s_branch .LBB70_1649
.LBB70_1639:
	s_mov_b64 s[20:21], 0
                                        ; implicit-def: $vgpr3
	s_cbranch_execnz .LBB70_1710
.LBB70_1640:
	s_andn2_b64 vcc, exec, s[20:21]
	s_cbranch_vccnz .LBB70_2947
	s_branch .LBB70_1757
.LBB70_1641:
	s_mov_b64 s[20:21], 0
	s_mov_b64 s[0:1], 0
                                        ; implicit-def: $vgpr3
	s_cbranch_execnz .LBB70_1676
	s_branch .LBB70_1706
.LBB70_1642:
	s_mov_b64 s[22:23], -1
	s_mov_b64 s[20:21], 0
	s_mov_b64 s[0:1], 0
                                        ; implicit-def: $vgpr3
	s_branch .LBB70_1659
.LBB70_1643:
	s_mov_b64 s[22:23], -1
	s_mov_b64 s[20:21], 0
	s_mov_b64 s[0:1], 0
                                        ; implicit-def: $vgpr3
	s_branch .LBB70_1654
.LBB70_1644:
	s_or_b64 s[18:19], s[6:7], exec
	s_trap 2
	s_cbranch_execz .LBB70_1585
	s_branch .LBB70_1586
.LBB70_1645:
	s_mov_b64 s[22:23], -1
	s_mov_b64 s[20:21], 0
	s_mov_b64 s[0:1], 0
                                        ; implicit-def: $vgpr3
	s_branch .LBB70_1649
.LBB70_1646:
	s_andn2_saveexec_b64 s[28:29], s[28:29]
	s_cbranch_execz .LBB70_1437
.LBB70_1647:
	s_mov_b32 s34, 0x42800000
	v_add_f32_e64 v4, |v1|, s34
	v_and_b32_e32 v4, 0xff, v4
	v_cmp_ne_u32_e32 vcc, 0, v4
	s_andn2_b64 s[26:27], s[26:27], exec
	s_and_b64 s[34:35], vcc, exec
	s_or_b64 s[26:27], s[26:27], s[34:35]
	s_or_b64 exec, exec, s[28:29]
	v_mov_b32_e32 v5, 0
	s_and_saveexec_b64 s[28:29], s[26:27]
	s_cbranch_execnz .LBB70_1438
	s_branch .LBB70_1439
.LBB70_1648:
	s_mov_b64 s[0:1], -1
                                        ; implicit-def: $vgpr3
	s_mov_b64 s[20:21], 0
.LBB70_1649:
	s_and_b64 vcc, exec, s[22:23]
	s_cbranch_vccz .LBB70_1653
; %bb.1650:
	s_cmp_eq_u32 s15, 44
	s_cbranch_scc0 .LBB70_1652
; %bb.1651:
	global_load_ubyte v3, v[0:1], off
	s_mov_b64 s[0:1], 0
	s_mov_b64 s[20:21], -1
	s_waitcnt vmcnt(0)
	v_lshlrev_b32_e32 v7, 23, v3
	v_cvt_i32_f32_e32 v7, v7
	v_cmp_ne_u32_e32 vcc, 0, v3
	v_cndmask_b32_e32 v3, 0, v7, vcc
	s_branch .LBB70_1653
.LBB70_1652:
	s_mov_b64 s[0:1], -1
                                        ; implicit-def: $vgpr3
.LBB70_1653:
	s_mov_b64 s[22:23], 0
.LBB70_1654:
	s_and_b64 vcc, exec, s[22:23]
	s_cbranch_vccz .LBB70_1658
; %bb.1655:
	s_cmp_eq_u32 s15, 29
	s_cbranch_scc0 .LBB70_1657
; %bb.1656:
	global_load_dword v3, v[0:1], off
	s_mov_b64 s[0:1], 0
	s_mov_b64 s[20:21], -1
	s_branch .LBB70_1658
.LBB70_1657:
	s_mov_b64 s[0:1], -1
                                        ; implicit-def: $vgpr3
.LBB70_1658:
	s_mov_b64 s[22:23], 0
.LBB70_1659:
	s_and_b64 vcc, exec, s[22:23]
	s_cbranch_vccz .LBB70_1675
; %bb.1660:
	s_cmp_lt_i32 s15, 27
	s_cbranch_scc1 .LBB70_1663
; %bb.1661:
	s_cmp_gt_i32 s15, 27
	s_cbranch_scc0 .LBB70_1664
; %bb.1662:
	global_load_dword v3, v[0:1], off
	s_mov_b64 s[20:21], 0
	s_branch .LBB70_1665
.LBB70_1663:
	s_mov_b64 s[20:21], -1
                                        ; implicit-def: $vgpr3
	s_branch .LBB70_1668
.LBB70_1664:
	s_mov_b64 s[20:21], -1
                                        ; implicit-def: $vgpr3
.LBB70_1665:
	s_andn2_b64 vcc, exec, s[20:21]
	s_cbranch_vccnz .LBB70_1667
; %bb.1666:
	global_load_ushort v3, v[0:1], off
.LBB70_1667:
	s_mov_b64 s[20:21], 0
.LBB70_1668:
	s_andn2_b64 vcc, exec, s[20:21]
	s_cbranch_vccnz .LBB70_1674
; %bb.1669:
	global_load_ubyte v7, v[0:1], off
	s_movk_i32 s20, 0x7f
	s_mov_b64 s[22:23], 0
	s_waitcnt vmcnt(0)
	v_cmp_lt_i16_e32 vcc, s20, v7
	s_and_saveexec_b64 s[20:21], vcc
	s_xor_b64 s[20:21], exec, s[20:21]
	s_cbranch_execz .LBB70_1685
; %bb.1670:
	s_movk_i32 s22, 0x80
	v_cmp_ne_u16_e32 vcc, s22, v7
	s_and_b64 s[22:23], vcc, exec
	s_andn2_saveexec_b64 s[20:21], s[20:21]
	s_cbranch_execnz .LBB70_1686
.LBB70_1671:
	s_or_b64 exec, exec, s[20:21]
	v_mov_b32_e32 v3, 0
	s_and_saveexec_b64 s[20:21], s[22:23]
	s_cbranch_execz .LBB70_1673
.LBB70_1672:
	v_lshlrev_b32_e32 v3, 24, v7
	v_and_b32_e32 v7, 0xffff, v7
	v_and_b32_e32 v8, 7, v7
	v_ffbh_u32_e32 v10, v8
	v_min_u32_e32 v10, 32, v10
	v_subrev_u32_e32 v11, 28, v10
	v_bfe_u32 v9, v7, 3, 4
	v_lshlrev_b32_e32 v7, v11, v7
	v_sub_u32_e32 v10, 29, v10
	v_and_b32_e32 v7, 7, v7
	v_cmp_eq_u32_e32 vcc, 0, v9
	v_cndmask_b32_e32 v9, v9, v10, vcc
	v_cndmask_b32_e32 v7, v8, v7, vcc
	v_mov_b32_e32 v8, 0x3b800000
	v_lshlrev_b32_e32 v7, 20, v7
	v_and_b32_e32 v3, 0x80000000, v3
	v_lshl_add_u32 v8, v9, 23, v8
	v_or3_b32 v3, v3, v8, v7
	v_cvt_i32_f32_e32 v3, v3
.LBB70_1673:
	s_or_b64 exec, exec, s[20:21]
.LBB70_1674:
	s_mov_b64 s[20:21], -1
.LBB70_1675:
	s_branch .LBB70_1706
.LBB70_1676:
	s_cmp_gt_i32 s15, 22
	s_cbranch_scc0 .LBB70_1684
; %bb.1677:
	s_cmp_lt_i32 s15, 24
	s_cbranch_scc1 .LBB70_1687
; %bb.1678:
	s_cmp_gt_i32 s15, 24
	s_cbranch_scc0 .LBB70_1688
; %bb.1679:
	global_load_ubyte v7, v[0:1], off
	s_movk_i32 s16, 0x7f
	s_mov_b64 s[20:21], 0
	s_waitcnt vmcnt(0)
	v_cmp_lt_i16_e32 vcc, s16, v7
	s_and_saveexec_b64 s[16:17], vcc
	s_xor_b64 s[16:17], exec, s[16:17]
	s_cbranch_execz .LBB70_1700
; %bb.1680:
	s_movk_i32 s20, 0x80
	v_cmp_ne_u16_e32 vcc, s20, v7
	s_and_b64 s[20:21], vcc, exec
	s_andn2_saveexec_b64 s[16:17], s[16:17]
	s_cbranch_execnz .LBB70_1701
.LBB70_1681:
	s_or_b64 exec, exec, s[16:17]
	v_mov_b32_e32 v3, 0
	s_and_saveexec_b64 s[16:17], s[20:21]
	s_cbranch_execz .LBB70_1683
.LBB70_1682:
	v_lshlrev_b32_e32 v3, 24, v7
	v_and_b32_e32 v7, 0xffff, v7
	v_and_b32_e32 v8, 3, v7
	v_ffbh_u32_e32 v10, v8
	v_min_u32_e32 v10, 32, v10
	v_subrev_u32_e32 v11, 29, v10
	v_bfe_u32 v9, v7, 2, 5
	v_lshlrev_b32_e32 v7, v11, v7
	v_sub_u32_e32 v10, 30, v10
	v_and_b32_e32 v7, 3, v7
	v_cmp_eq_u32_e32 vcc, 0, v9
	v_cndmask_b32_e32 v9, v9, v10, vcc
	v_cndmask_b32_e32 v7, v8, v7, vcc
	v_mov_b32_e32 v8, 0x37800000
	v_lshlrev_b32_e32 v7, 21, v7
	v_and_b32_e32 v3, 0x80000000, v3
	v_lshl_add_u32 v8, v9, 23, v8
	v_or3_b32 v3, v3, v8, v7
	v_cvt_i32_f32_e32 v3, v3
.LBB70_1683:
	s_or_b64 exec, exec, s[16:17]
	s_mov_b64 s[16:17], 0
	s_branch .LBB70_1689
.LBB70_1684:
	s_mov_b64 s[16:17], -1
                                        ; implicit-def: $vgpr3
	s_branch .LBB70_1695
.LBB70_1685:
	s_andn2_saveexec_b64 s[20:21], s[20:21]
	s_cbranch_execz .LBB70_1671
.LBB70_1686:
	v_cmp_ne_u16_e32 vcc, 0, v7
	s_andn2_b64 s[22:23], s[22:23], exec
	s_and_b64 s[26:27], vcc, exec
	s_or_b64 s[22:23], s[22:23], s[26:27]
	s_or_b64 exec, exec, s[20:21]
	v_mov_b32_e32 v3, 0
	s_and_saveexec_b64 s[20:21], s[22:23]
	s_cbranch_execnz .LBB70_1672
	s_branch .LBB70_1673
.LBB70_1687:
	s_mov_b64 s[16:17], -1
                                        ; implicit-def: $vgpr3
	s_branch .LBB70_1692
.LBB70_1688:
	s_mov_b64 s[16:17], -1
                                        ; implicit-def: $vgpr3
.LBB70_1689:
	s_and_b64 vcc, exec, s[16:17]
	s_cbranch_vccz .LBB70_1691
; %bb.1690:
	global_load_ubyte v3, v[0:1], off
	s_mov_b32 s16, 0x7f800000
	s_waitcnt vmcnt(0)
	v_lshlrev_b32_e32 v3, 24, v3
	v_and_b32_e32 v7, 0x7f000000, v3
	v_ffbh_u32_e32 v8, v7
	v_min_u32_e32 v8, 32, v8
	v_sub_u32_e64 v8, v8, 4 clamp
	v_lshlrev_b32_e32 v10, v8, v7
	v_lshlrev_b32_e32 v8, 23, v8
	v_lshrrev_b32_e32 v10, 4, v10
	v_add_u32_e32 v9, 0x1000000, v7
	v_sub_u32_e32 v8, v10, v8
	v_ashrrev_i32_e32 v9, 8, v9
	v_add_u32_e32 v8, 0x3c000000, v8
	v_and_or_b32 v8, v9, s16, v8
	v_cmp_ne_u32_e32 vcc, 0, v7
	v_cndmask_b32_e32 v7, 0, v8, vcc
	s_brev_b32 s16, 1
	v_and_or_b32 v3, v3, s16, v7
	v_cvt_i32_f32_e32 v3, v3
.LBB70_1691:
	s_mov_b64 s[16:17], 0
.LBB70_1692:
	s_andn2_b64 vcc, exec, s[16:17]
	s_cbranch_vccnz .LBB70_1694
; %bb.1693:
	global_load_ubyte v3, v[0:1], off
	s_movk_i32 s16, 0x7f00
	s_brev_b32 s17, 16
	s_waitcnt vmcnt(0)
	v_lshlrev_b16_e32 v7, 8, v3
	v_lshlrev_b32_e32 v3, 25, v3
	v_lshrrev_b32_e32 v8, 4, v3
	v_and_or_b32 v9, v7, s16, 0.5
	v_or_b32_e32 v8, 0x70000000, v8
	v_add_f32_e32 v9, -0.5, v9
	v_mul_f32_e32 v8, 0x7800000, v8
	v_cmp_gt_u32_e32 vcc, s17, v3
	v_bfe_i32 v7, v7, 0, 16
	v_cndmask_b32_e32 v3, v8, v9, vcc
	s_brev_b32 s16, 1
	v_and_or_b32 v3, v7, s16, v3
	v_cvt_i32_f32_e32 v3, v3
.LBB70_1694:
	s_mov_b64 s[16:17], 0
	s_mov_b64 s[20:21], -1
.LBB70_1695:
	s_andn2_b64 vcc, exec, s[16:17]
	s_mov_b64 s[16:17], 0
	s_cbranch_vccnz .LBB70_1706
; %bb.1696:
	s_cmp_gt_i32 s15, 14
	s_cbranch_scc0 .LBB70_1699
; %bb.1697:
	s_cmp_eq_u32 s15, 15
	s_cbranch_scc0 .LBB70_1702
; %bb.1698:
	global_load_ushort v3, v[0:1], off
	s_mov_b64 s[0:1], 0
	s_mov_b64 s[20:21], -1
	s_waitcnt vmcnt(0)
	v_lshlrev_b32_e32 v3, 16, v3
	v_cvt_i32_f32_e32 v3, v3
	s_branch .LBB70_1703
.LBB70_1699:
	s_mov_b64 s[22:23], -1
                                        ; implicit-def: $vgpr3
	s_branch .LBB70_1704
.LBB70_1700:
	s_andn2_saveexec_b64 s[16:17], s[16:17]
	s_cbranch_execz .LBB70_1681
.LBB70_1701:
	v_cmp_ne_u16_e32 vcc, 0, v7
	s_andn2_b64 s[20:21], s[20:21], exec
	s_and_b64 s[22:23], vcc, exec
	s_or_b64 s[20:21], s[20:21], s[22:23]
	s_or_b64 exec, exec, s[16:17]
	v_mov_b32_e32 v3, 0
	s_and_saveexec_b64 s[16:17], s[20:21]
	s_cbranch_execnz .LBB70_1682
	s_branch .LBB70_1683
.LBB70_1702:
	s_mov_b64 s[0:1], -1
                                        ; implicit-def: $vgpr3
.LBB70_1703:
	s_mov_b64 s[22:23], 0
.LBB70_1704:
	s_and_b64 vcc, exec, s[22:23]
	s_cbranch_vccz .LBB70_1706
; %bb.1705:
	s_cmp_lg_u32 s15, 11
	s_mov_b64 s[16:17], -1
	s_cselect_b64 s[0:1], -1, 0
.LBB70_1706:
	s_and_b64 vcc, exec, s[0:1]
	s_cbranch_vccnz .LBB70_1769
; %bb.1707:
	s_andn2_b64 vcc, exec, s[16:17]
	s_cbranch_vccnz .LBB70_1709
.LBB70_1708:
	global_load_ubyte v3, v[0:1], off
	s_mov_b64 s[20:21], -1
	s_waitcnt vmcnt(0)
	v_cmp_ne_u16_e32 vcc, 0, v3
	v_cndmask_b32_e64 v3, 0, 1, vcc
.LBB70_1709:
	s_branch .LBB70_1640
.LBB70_1710:
	s_and_b32 s15, 0xffff, s25
	s_cmp_lt_i32 s15, 5
	s_cbranch_scc1 .LBB70_1715
; %bb.1711:
	s_cmp_lt_i32 s15, 8
	s_cbranch_scc1 .LBB70_1716
; %bb.1712:
	;; [unrolled: 3-line block ×3, first 2 shown]
	s_cmp_gt_i32 s15, 9
	s_cbranch_scc0 .LBB70_1718
; %bb.1714:
	global_load_dwordx2 v[7:8], v[0:1], off
	s_mov_b64 s[0:1], 0
	s_waitcnt vmcnt(0)
	v_cvt_i32_f64_e32 v3, v[7:8]
	s_branch .LBB70_1719
.LBB70_1715:
                                        ; implicit-def: $vgpr3
	s_branch .LBB70_1737
.LBB70_1716:
	s_mov_b64 s[0:1], -1
                                        ; implicit-def: $vgpr3
	s_branch .LBB70_1725
.LBB70_1717:
	s_mov_b64 s[0:1], -1
                                        ; implicit-def: $vgpr3
	s_branch .LBB70_1722
.LBB70_1718:
	s_mov_b64 s[0:1], -1
                                        ; implicit-def: $vgpr3
.LBB70_1719:
	s_andn2_b64 vcc, exec, s[0:1]
	s_cbranch_vccnz .LBB70_1721
; %bb.1720:
	global_load_dword v3, v[0:1], off
	s_waitcnt vmcnt(0)
	v_cvt_i32_f32_e32 v3, v3
.LBB70_1721:
	s_mov_b64 s[0:1], 0
.LBB70_1722:
	s_andn2_b64 vcc, exec, s[0:1]
	s_cbranch_vccnz .LBB70_1724
; %bb.1723:
	global_load_dword v3, v[0:1], off
	s_waitcnt vmcnt(0)
	v_cvt_f32_f16_e32 v3, v3
	v_cvt_i32_f32_e32 v3, v3
.LBB70_1724:
	s_mov_b64 s[0:1], 0
.LBB70_1725:
	s_andn2_b64 vcc, exec, s[0:1]
	s_cbranch_vccnz .LBB70_1736
; %bb.1726:
	s_cmp_lt_i32 s15, 6
	s_cbranch_scc1 .LBB70_1729
; %bb.1727:
	s_cmp_gt_i32 s15, 6
	s_cbranch_scc0 .LBB70_1730
; %bb.1728:
	global_load_dwordx2 v[7:8], v[0:1], off
	s_mov_b64 s[0:1], 0
	s_waitcnt vmcnt(0)
	v_cvt_i32_f64_e32 v3, v[7:8]
	s_branch .LBB70_1731
.LBB70_1729:
	s_mov_b64 s[0:1], -1
                                        ; implicit-def: $vgpr3
	s_branch .LBB70_1734
.LBB70_1730:
	s_mov_b64 s[0:1], -1
                                        ; implicit-def: $vgpr3
.LBB70_1731:
	s_andn2_b64 vcc, exec, s[0:1]
	s_cbranch_vccnz .LBB70_1733
; %bb.1732:
	global_load_dword v3, v[0:1], off
	s_waitcnt vmcnt(0)
	v_cvt_i32_f32_e32 v3, v3
.LBB70_1733:
	s_mov_b64 s[0:1], 0
.LBB70_1734:
	s_andn2_b64 vcc, exec, s[0:1]
	s_cbranch_vccnz .LBB70_1736
; %bb.1735:
	global_load_ushort v3, v[0:1], off
	s_waitcnt vmcnt(0)
	v_cvt_f32_f16_e32 v3, v3
	v_cvt_i32_f32_e32 v3, v3
.LBB70_1736:
	s_cbranch_execnz .LBB70_1756
.LBB70_1737:
	s_cmp_lt_i32 s15, 2
	s_cbranch_scc1 .LBB70_1741
; %bb.1738:
	s_cmp_lt_i32 s15, 3
	s_cbranch_scc1 .LBB70_1742
; %bb.1739:
	s_cmp_gt_i32 s15, 3
	s_cbranch_scc0 .LBB70_1743
; %bb.1740:
	global_load_dword v3, v[0:1], off
	s_mov_b64 s[0:1], 0
	s_branch .LBB70_1744
.LBB70_1741:
	s_mov_b64 s[0:1], -1
                                        ; implicit-def: $vgpr3
	s_branch .LBB70_1750
.LBB70_1742:
	s_mov_b64 s[0:1], -1
                                        ; implicit-def: $vgpr3
	s_branch .LBB70_1747
.LBB70_1743:
	s_mov_b64 s[0:1], -1
                                        ; implicit-def: $vgpr3
.LBB70_1744:
	s_andn2_b64 vcc, exec, s[0:1]
	s_cbranch_vccnz .LBB70_1746
; %bb.1745:
	global_load_dword v3, v[0:1], off
.LBB70_1746:
	s_mov_b64 s[0:1], 0
.LBB70_1747:
	s_andn2_b64 vcc, exec, s[0:1]
	s_cbranch_vccnz .LBB70_1749
; %bb.1748:
	global_load_sshort v3, v[0:1], off
.LBB70_1749:
	s_mov_b64 s[0:1], 0
.LBB70_1750:
	s_andn2_b64 vcc, exec, s[0:1]
	s_cbranch_vccnz .LBB70_1756
; %bb.1751:
	s_cmp_gt_i32 s15, 0
	s_cbranch_scc0 .LBB70_1753
; %bb.1752:
	global_load_sbyte v3, v[0:1], off
	s_mov_b64 s[0:1], 0
	s_branch .LBB70_1754
.LBB70_1753:
	s_mov_b64 s[0:1], -1
                                        ; implicit-def: $vgpr3
.LBB70_1754:
	s_andn2_b64 vcc, exec, s[0:1]
	s_cbranch_vccnz .LBB70_1756
; %bb.1755:
	global_load_ubyte v3, v[0:1], off
.LBB70_1756:
.LBB70_1757:
	s_lshl_b32 s13, s13, 7
	v_add_u32_e32 v8, s13, v5
	v_ashrrev_i32_e32 v1, 31, v8
	v_mov_b32_e32 v5, s11
	v_add_co_u32_e32 v0, vcc, s10, v8
	s_cmp_lt_i32 s24, 11
	v_addc_co_u32_e32 v1, vcc, v5, v1, vcc
	s_cbranch_scc1 .LBB70_1764
; %bb.1758:
	s_and_b32 s15, 0xffff, s24
	s_cmp_gt_i32 s15, 25
	s_mov_b64 s[16:17], 0
	s_cbranch_scc0 .LBB70_1766
; %bb.1759:
	s_cmp_gt_i32 s15, 28
	s_cbranch_scc0 .LBB70_1767
; %bb.1760:
	s_cmp_gt_i32 s15, 43
	;; [unrolled: 3-line block ×3, first 2 shown]
	s_cbranch_scc0 .LBB70_1770
; %bb.1762:
	s_cmp_eq_u32 s15, 46
	s_mov_b64 s[22:23], 0
	s_cbranch_scc0 .LBB70_1771
; %bb.1763:
	global_load_dword v5, v[0:1], off
	s_mov_b64 s[0:1], 0
	s_mov_b64 s[20:21], -1
	s_waitcnt vmcnt(0)
	v_lshlrev_b32_e32 v5, 16, v5
	v_cvt_i32_f32_e32 v5, v5
	s_branch .LBB70_1772
.LBB70_1764:
	s_mov_b64 s[20:21], 0
                                        ; implicit-def: $vgpr5
	s_cbranch_execnz .LBB70_1834
.LBB70_1765:
	s_andn2_b64 vcc, exec, s[20:21]
	s_cbranch_vccnz .LBB70_2947
	s_branch .LBB70_1882
.LBB70_1766:
	s_mov_b64 s[22:23], -1
	s_mov_b64 s[20:21], 0
	s_mov_b64 s[0:1], 0
                                        ; implicit-def: $vgpr5
	s_branch .LBB70_1799
.LBB70_1767:
	s_mov_b64 s[22:23], -1
	s_mov_b64 s[20:21], 0
	s_mov_b64 s[0:1], 0
                                        ; implicit-def: $vgpr5
	s_branch .LBB70_1782
.LBB70_1768:
	s_mov_b64 s[22:23], -1
	s_mov_b64 s[20:21], 0
	s_mov_b64 s[0:1], 0
                                        ; implicit-def: $vgpr5
	s_branch .LBB70_1777
.LBB70_1769:
	s_trap 2
	s_or_b64 s[18:19], s[18:19], exec
	s_cbranch_execz .LBB70_1708
	s_branch .LBB70_1709
.LBB70_1770:
	s_mov_b64 s[22:23], -1
	s_mov_b64 s[20:21], 0
	s_mov_b64 s[0:1], 0
                                        ; implicit-def: $vgpr5
	s_branch .LBB70_1772
.LBB70_1771:
	s_mov_b64 s[0:1], -1
                                        ; implicit-def: $vgpr5
	s_mov_b64 s[20:21], 0
.LBB70_1772:
	s_and_b64 vcc, exec, s[22:23]
	s_cbranch_vccz .LBB70_1776
; %bb.1773:
	s_cmp_eq_u32 s15, 44
	s_cbranch_scc0 .LBB70_1775
; %bb.1774:
	global_load_ubyte v5, v[0:1], off
	s_mov_b64 s[0:1], 0
	s_mov_b64 s[20:21], -1
	s_waitcnt vmcnt(0)
	v_lshlrev_b32_e32 v7, 23, v5
	v_cvt_i32_f32_e32 v7, v7
	v_cmp_ne_u32_e32 vcc, 0, v5
	v_cndmask_b32_e32 v5, 0, v7, vcc
	s_branch .LBB70_1776
.LBB70_1775:
	s_mov_b64 s[0:1], -1
                                        ; implicit-def: $vgpr5
.LBB70_1776:
	s_mov_b64 s[22:23], 0
.LBB70_1777:
	s_and_b64 vcc, exec, s[22:23]
	s_cbranch_vccz .LBB70_1781
; %bb.1778:
	s_cmp_eq_u32 s15, 29
	s_cbranch_scc0 .LBB70_1780
; %bb.1779:
	global_load_dword v5, v[0:1], off
	s_mov_b64 s[0:1], 0
	s_mov_b64 s[20:21], -1
	s_branch .LBB70_1781
.LBB70_1780:
	s_mov_b64 s[0:1], -1
                                        ; implicit-def: $vgpr5
.LBB70_1781:
	s_mov_b64 s[22:23], 0
.LBB70_1782:
	s_and_b64 vcc, exec, s[22:23]
	s_cbranch_vccz .LBB70_1798
; %bb.1783:
	s_cmp_lt_i32 s15, 27
	s_cbranch_scc1 .LBB70_1786
; %bb.1784:
	s_cmp_gt_i32 s15, 27
	s_cbranch_scc0 .LBB70_1787
; %bb.1785:
	global_load_dword v5, v[0:1], off
	s_mov_b64 s[20:21], 0
	s_branch .LBB70_1788
.LBB70_1786:
	s_mov_b64 s[20:21], -1
                                        ; implicit-def: $vgpr5
	s_branch .LBB70_1791
.LBB70_1787:
	s_mov_b64 s[20:21], -1
                                        ; implicit-def: $vgpr5
.LBB70_1788:
	s_andn2_b64 vcc, exec, s[20:21]
	s_cbranch_vccnz .LBB70_1790
; %bb.1789:
	global_load_ushort v5, v[0:1], off
.LBB70_1790:
	s_mov_b64 s[20:21], 0
.LBB70_1791:
	s_andn2_b64 vcc, exec, s[20:21]
	s_cbranch_vccnz .LBB70_1797
; %bb.1792:
	global_load_ubyte v7, v[0:1], off
	s_movk_i32 s20, 0x7f
	s_mov_b64 s[22:23], 0
	s_waitcnt vmcnt(0)
	v_cmp_lt_i16_e32 vcc, s20, v7
	s_and_saveexec_b64 s[20:21], vcc
	s_xor_b64 s[20:21], exec, s[20:21]
	s_cbranch_execz .LBB70_1809
; %bb.1793:
	s_movk_i32 s22, 0x80
	v_cmp_ne_u16_e32 vcc, s22, v7
	s_and_b64 s[22:23], vcc, exec
	s_andn2_saveexec_b64 s[20:21], s[20:21]
	s_cbranch_execnz .LBB70_1810
.LBB70_1794:
	s_or_b64 exec, exec, s[20:21]
	v_mov_b32_e32 v5, 0
	s_and_saveexec_b64 s[20:21], s[22:23]
	s_cbranch_execz .LBB70_1796
.LBB70_1795:
	v_lshlrev_b32_e32 v5, 24, v7
	v_and_b32_e32 v7, 0xffff, v7
	v_and_b32_e32 v9, 7, v7
	v_ffbh_u32_e32 v11, v9
	v_min_u32_e32 v11, 32, v11
	v_subrev_u32_e32 v12, 28, v11
	v_bfe_u32 v10, v7, 3, 4
	v_lshlrev_b32_e32 v7, v12, v7
	v_sub_u32_e32 v11, 29, v11
	v_and_b32_e32 v7, 7, v7
	v_cmp_eq_u32_e32 vcc, 0, v10
	v_cndmask_b32_e32 v10, v10, v11, vcc
	v_cndmask_b32_e32 v7, v9, v7, vcc
	v_mov_b32_e32 v9, 0x3b800000
	v_lshlrev_b32_e32 v7, 20, v7
	v_and_b32_e32 v5, 0x80000000, v5
	v_lshl_add_u32 v9, v10, 23, v9
	v_or3_b32 v5, v5, v9, v7
	v_cvt_i32_f32_e32 v5, v5
.LBB70_1796:
	s_or_b64 exec, exec, s[20:21]
.LBB70_1797:
	s_mov_b64 s[20:21], -1
.LBB70_1798:
	s_mov_b64 s[22:23], 0
.LBB70_1799:
	s_and_b64 vcc, exec, s[22:23]
	s_cbranch_vccz .LBB70_1830
; %bb.1800:
	s_cmp_gt_i32 s15, 22
	s_cbranch_scc0 .LBB70_1808
; %bb.1801:
	s_cmp_lt_i32 s15, 24
	s_cbranch_scc1 .LBB70_1811
; %bb.1802:
	s_cmp_gt_i32 s15, 24
	s_cbranch_scc0 .LBB70_1812
; %bb.1803:
	global_load_ubyte v7, v[0:1], off
	s_movk_i32 s16, 0x7f
	s_mov_b64 s[20:21], 0
	s_waitcnt vmcnt(0)
	v_cmp_lt_i16_e32 vcc, s16, v7
	s_and_saveexec_b64 s[16:17], vcc
	s_xor_b64 s[16:17], exec, s[16:17]
	s_cbranch_execz .LBB70_1824
; %bb.1804:
	s_movk_i32 s20, 0x80
	v_cmp_ne_u16_e32 vcc, s20, v7
	s_and_b64 s[20:21], vcc, exec
	s_andn2_saveexec_b64 s[16:17], s[16:17]
	s_cbranch_execnz .LBB70_1825
.LBB70_1805:
	s_or_b64 exec, exec, s[16:17]
	v_mov_b32_e32 v5, 0
	s_and_saveexec_b64 s[16:17], s[20:21]
	s_cbranch_execz .LBB70_1807
.LBB70_1806:
	v_lshlrev_b32_e32 v5, 24, v7
	v_and_b32_e32 v7, 0xffff, v7
	v_and_b32_e32 v9, 3, v7
	v_ffbh_u32_e32 v11, v9
	v_min_u32_e32 v11, 32, v11
	v_subrev_u32_e32 v12, 29, v11
	v_bfe_u32 v10, v7, 2, 5
	v_lshlrev_b32_e32 v7, v12, v7
	v_sub_u32_e32 v11, 30, v11
	v_and_b32_e32 v7, 3, v7
	v_cmp_eq_u32_e32 vcc, 0, v10
	v_cndmask_b32_e32 v10, v10, v11, vcc
	v_cndmask_b32_e32 v7, v9, v7, vcc
	v_mov_b32_e32 v9, 0x37800000
	v_lshlrev_b32_e32 v7, 21, v7
	v_and_b32_e32 v5, 0x80000000, v5
	v_lshl_add_u32 v9, v10, 23, v9
	v_or3_b32 v5, v5, v9, v7
	v_cvt_i32_f32_e32 v5, v5
.LBB70_1807:
	s_or_b64 exec, exec, s[16:17]
	s_mov_b64 s[16:17], 0
	s_branch .LBB70_1813
.LBB70_1808:
	s_mov_b64 s[16:17], -1
                                        ; implicit-def: $vgpr5
	s_branch .LBB70_1819
.LBB70_1809:
	s_andn2_saveexec_b64 s[20:21], s[20:21]
	s_cbranch_execz .LBB70_1794
.LBB70_1810:
	v_cmp_ne_u16_e32 vcc, 0, v7
	s_andn2_b64 s[22:23], s[22:23], exec
	s_and_b64 s[26:27], vcc, exec
	s_or_b64 s[22:23], s[22:23], s[26:27]
	s_or_b64 exec, exec, s[20:21]
	v_mov_b32_e32 v5, 0
	s_and_saveexec_b64 s[20:21], s[22:23]
	s_cbranch_execnz .LBB70_1795
	s_branch .LBB70_1796
.LBB70_1811:
	s_mov_b64 s[16:17], -1
                                        ; implicit-def: $vgpr5
	s_branch .LBB70_1816
.LBB70_1812:
	s_mov_b64 s[16:17], -1
                                        ; implicit-def: $vgpr5
.LBB70_1813:
	s_and_b64 vcc, exec, s[16:17]
	s_cbranch_vccz .LBB70_1815
; %bb.1814:
	global_load_ubyte v5, v[0:1], off
	s_mov_b32 s16, 0x7f800000
	s_waitcnt vmcnt(0)
	v_lshlrev_b32_e32 v5, 24, v5
	v_and_b32_e32 v7, 0x7f000000, v5
	v_ffbh_u32_e32 v9, v7
	v_min_u32_e32 v9, 32, v9
	v_sub_u32_e64 v9, v9, 4 clamp
	v_lshlrev_b32_e32 v11, v9, v7
	v_lshlrev_b32_e32 v9, 23, v9
	v_lshrrev_b32_e32 v11, 4, v11
	v_add_u32_e32 v10, 0x1000000, v7
	v_sub_u32_e32 v9, v11, v9
	v_ashrrev_i32_e32 v10, 8, v10
	v_add_u32_e32 v9, 0x3c000000, v9
	v_and_or_b32 v9, v10, s16, v9
	v_cmp_ne_u32_e32 vcc, 0, v7
	v_cndmask_b32_e32 v7, 0, v9, vcc
	s_brev_b32 s16, 1
	v_and_or_b32 v5, v5, s16, v7
	v_cvt_i32_f32_e32 v5, v5
.LBB70_1815:
	s_mov_b64 s[16:17], 0
.LBB70_1816:
	s_andn2_b64 vcc, exec, s[16:17]
	s_cbranch_vccnz .LBB70_1818
; %bb.1817:
	global_load_ubyte v5, v[0:1], off
	s_movk_i32 s16, 0x7f00
	s_brev_b32 s17, 16
	s_waitcnt vmcnt(0)
	v_lshlrev_b16_e32 v7, 8, v5
	v_lshlrev_b32_e32 v5, 25, v5
	v_lshrrev_b32_e32 v9, 4, v5
	v_and_or_b32 v10, v7, s16, 0.5
	v_or_b32_e32 v9, 0x70000000, v9
	v_add_f32_e32 v10, -0.5, v10
	v_mul_f32_e32 v9, 0x7800000, v9
	v_cmp_gt_u32_e32 vcc, s17, v5
	v_bfe_i32 v7, v7, 0, 16
	v_cndmask_b32_e32 v5, v9, v10, vcc
	s_brev_b32 s16, 1
	v_and_or_b32 v5, v7, s16, v5
	v_cvt_i32_f32_e32 v5, v5
.LBB70_1818:
	s_mov_b64 s[16:17], 0
	s_mov_b64 s[20:21], -1
.LBB70_1819:
	s_andn2_b64 vcc, exec, s[16:17]
	s_mov_b64 s[16:17], 0
	s_cbranch_vccnz .LBB70_1830
; %bb.1820:
	s_cmp_gt_i32 s15, 14
	s_cbranch_scc0 .LBB70_1823
; %bb.1821:
	s_cmp_eq_u32 s15, 15
	s_cbranch_scc0 .LBB70_1826
; %bb.1822:
	global_load_ushort v5, v[0:1], off
	s_mov_b64 s[0:1], 0
	s_mov_b64 s[20:21], -1
	s_waitcnt vmcnt(0)
	v_lshlrev_b32_e32 v5, 16, v5
	v_cvt_i32_f32_e32 v5, v5
	s_branch .LBB70_1827
.LBB70_1823:
	s_mov_b64 s[22:23], -1
                                        ; implicit-def: $vgpr5
	s_branch .LBB70_1828
.LBB70_1824:
	s_andn2_saveexec_b64 s[16:17], s[16:17]
	s_cbranch_execz .LBB70_1805
.LBB70_1825:
	v_cmp_ne_u16_e32 vcc, 0, v7
	s_andn2_b64 s[20:21], s[20:21], exec
	s_and_b64 s[22:23], vcc, exec
	s_or_b64 s[20:21], s[20:21], s[22:23]
	s_or_b64 exec, exec, s[16:17]
	v_mov_b32_e32 v5, 0
	s_and_saveexec_b64 s[16:17], s[20:21]
	s_cbranch_execnz .LBB70_1806
	s_branch .LBB70_1807
.LBB70_1826:
	s_mov_b64 s[0:1], -1
                                        ; implicit-def: $vgpr5
.LBB70_1827:
	s_mov_b64 s[22:23], 0
.LBB70_1828:
	s_and_b64 vcc, exec, s[22:23]
	s_cbranch_vccz .LBB70_1830
; %bb.1829:
	s_cmp_lg_u32 s15, 11
	s_mov_b64 s[16:17], -1
	s_cselect_b64 s[0:1], -1, 0
.LBB70_1830:
	s_and_b64 vcc, exec, s[0:1]
	s_cbranch_vccnz .LBB70_1893
; %bb.1831:
	s_andn2_b64 vcc, exec, s[16:17]
	s_cbranch_vccnz .LBB70_1833
.LBB70_1832:
	global_load_ubyte v5, v[0:1], off
	s_mov_b64 s[20:21], -1
	s_waitcnt vmcnt(0)
	v_cmp_ne_u16_e32 vcc, 0, v5
	v_cndmask_b32_e64 v5, 0, 1, vcc
.LBB70_1833:
	s_branch .LBB70_1765
.LBB70_1834:
	s_and_b32 s15, 0xffff, s24
	s_cmp_lt_i32 s15, 5
	s_cbranch_scc1 .LBB70_1839
; %bb.1835:
	s_cmp_lt_i32 s15, 8
	s_cbranch_scc1 .LBB70_1840
; %bb.1836:
	;; [unrolled: 3-line block ×3, first 2 shown]
	s_cmp_gt_i32 s15, 9
	s_cbranch_scc0 .LBB70_1842
; %bb.1838:
	global_load_dwordx2 v[9:10], v[0:1], off
	s_mov_b64 s[0:1], 0
	s_waitcnt vmcnt(0)
	v_cvt_i32_f64_e32 v5, v[9:10]
	s_branch .LBB70_1843
.LBB70_1839:
	s_mov_b64 s[0:1], -1
                                        ; implicit-def: $vgpr5
	s_branch .LBB70_1861
.LBB70_1840:
	s_mov_b64 s[0:1], -1
                                        ; implicit-def: $vgpr5
	s_branch .LBB70_1849
.LBB70_1841:
	s_mov_b64 s[0:1], -1
                                        ; implicit-def: $vgpr5
	s_branch .LBB70_1846
.LBB70_1842:
	s_mov_b64 s[0:1], -1
                                        ; implicit-def: $vgpr5
.LBB70_1843:
	s_andn2_b64 vcc, exec, s[0:1]
	s_cbranch_vccnz .LBB70_1845
; %bb.1844:
	global_load_dword v5, v[0:1], off
	s_waitcnt vmcnt(0)
	v_cvt_i32_f32_e32 v5, v5
.LBB70_1845:
	s_mov_b64 s[0:1], 0
.LBB70_1846:
	s_andn2_b64 vcc, exec, s[0:1]
	s_cbranch_vccnz .LBB70_1848
; %bb.1847:
	global_load_dword v5, v[0:1], off
	s_waitcnt vmcnt(0)
	v_cvt_f32_f16_e32 v5, v5
	v_cvt_i32_f32_e32 v5, v5
.LBB70_1848:
	s_mov_b64 s[0:1], 0
.LBB70_1849:
	s_andn2_b64 vcc, exec, s[0:1]
	s_cbranch_vccnz .LBB70_1860
; %bb.1850:
	s_cmp_lt_i32 s15, 6
	s_cbranch_scc1 .LBB70_1853
; %bb.1851:
	s_cmp_gt_i32 s15, 6
	s_cbranch_scc0 .LBB70_1854
; %bb.1852:
	global_load_dwordx2 v[9:10], v[0:1], off
	s_mov_b64 s[0:1], 0
	s_waitcnt vmcnt(0)
	v_cvt_i32_f64_e32 v5, v[9:10]
	s_branch .LBB70_1855
.LBB70_1853:
	s_mov_b64 s[0:1], -1
                                        ; implicit-def: $vgpr5
	s_branch .LBB70_1858
.LBB70_1854:
	s_mov_b64 s[0:1], -1
                                        ; implicit-def: $vgpr5
.LBB70_1855:
	s_andn2_b64 vcc, exec, s[0:1]
	s_cbranch_vccnz .LBB70_1857
; %bb.1856:
	global_load_dword v5, v[0:1], off
	s_waitcnt vmcnt(0)
	v_cvt_i32_f32_e32 v5, v5
.LBB70_1857:
	s_mov_b64 s[0:1], 0
.LBB70_1858:
	s_andn2_b64 vcc, exec, s[0:1]
	s_cbranch_vccnz .LBB70_1860
; %bb.1859:
	global_load_ushort v5, v[0:1], off
	s_waitcnt vmcnt(0)
	v_cvt_f32_f16_e32 v5, v5
	v_cvt_i32_f32_e32 v5, v5
.LBB70_1860:
	s_mov_b64 s[0:1], 0
.LBB70_1861:
	s_andn2_b64 vcc, exec, s[0:1]
	s_cbranch_vccnz .LBB70_1881
; %bb.1862:
	s_cmp_lt_i32 s15, 2
	s_cbranch_scc1 .LBB70_1866
; %bb.1863:
	s_cmp_lt_i32 s15, 3
	s_cbranch_scc1 .LBB70_1867
; %bb.1864:
	s_cmp_gt_i32 s15, 3
	s_cbranch_scc0 .LBB70_1868
; %bb.1865:
	global_load_dword v5, v[0:1], off
	s_mov_b64 s[0:1], 0
	s_branch .LBB70_1869
.LBB70_1866:
	s_mov_b64 s[0:1], -1
                                        ; implicit-def: $vgpr5
	s_branch .LBB70_1875
.LBB70_1867:
	s_mov_b64 s[0:1], -1
                                        ; implicit-def: $vgpr5
	s_branch .LBB70_1872
.LBB70_1868:
	s_mov_b64 s[0:1], -1
                                        ; implicit-def: $vgpr5
.LBB70_1869:
	s_andn2_b64 vcc, exec, s[0:1]
	s_cbranch_vccnz .LBB70_1871
; %bb.1870:
	global_load_dword v5, v[0:1], off
.LBB70_1871:
	s_mov_b64 s[0:1], 0
.LBB70_1872:
	s_andn2_b64 vcc, exec, s[0:1]
	s_cbranch_vccnz .LBB70_1874
; %bb.1873:
	global_load_sshort v5, v[0:1], off
.LBB70_1874:
	s_mov_b64 s[0:1], 0
.LBB70_1875:
	s_andn2_b64 vcc, exec, s[0:1]
	s_cbranch_vccnz .LBB70_1881
; %bb.1876:
	s_cmp_gt_i32 s15, 0
	s_cbranch_scc0 .LBB70_1878
; %bb.1877:
	global_load_sbyte v5, v[0:1], off
	s_mov_b64 s[0:1], 0
	s_branch .LBB70_1879
.LBB70_1878:
	s_mov_b64 s[0:1], -1
                                        ; implicit-def: $vgpr5
.LBB70_1879:
	s_andn2_b64 vcc, exec, s[0:1]
	s_cbranch_vccnz .LBB70_1881
; %bb.1880:
	global_load_ubyte v5, v[0:1], off
.LBB70_1881:
.LBB70_1882:
	s_lshl_b32 s22, s14, 7
	v_add_u32_e32 v9, s22, v6
	v_ashrrev_i32_e32 v1, 31, v9
	v_mov_b32_e32 v6, s3
	v_add_co_u32_e32 v0, vcc, s2, v9
	s_cmp_lt_i32 s25, 11
	v_addc_co_u32_e32 v1, vcc, v6, v1, vcc
	s_cbranch_scc1 .LBB70_1889
; %bb.1883:
	s_and_b32 s23, 0xffff, s25
	s_cmp_gt_i32 s23, 25
	s_mov_b64 s[14:15], 0
	s_cbranch_scc0 .LBB70_1890
; %bb.1884:
	s_cmp_gt_i32 s23, 28
	s_cbranch_scc0 .LBB70_1891
; %bb.1885:
	s_cmp_gt_i32 s23, 43
	;; [unrolled: 3-line block ×3, first 2 shown]
	s_cbranch_scc0 .LBB70_1894
; %bb.1887:
	s_cmp_eq_u32 s23, 46
	s_mov_b64 s[20:21], 0
	s_cbranch_scc0 .LBB70_1895
; %bb.1888:
	global_load_dword v6, v[0:1], off
	s_mov_b64 s[0:1], 0
	s_mov_b64 s[16:17], -1
	s_waitcnt vmcnt(0)
	v_lshlrev_b32_e32 v6, 16, v6
	v_cvt_i32_f32_e32 v7, v6
	s_branch .LBB70_1896
.LBB70_1889:
	s_mov_b64 s[0:1], -1
	s_mov_b64 s[16:17], 0
                                        ; implicit-def: $vgpr7
	s_branch .LBB70_1958
.LBB70_1890:
	s_mov_b64 s[20:21], -1
	s_mov_b64 s[16:17], 0
	s_mov_b64 s[0:1], 0
                                        ; implicit-def: $vgpr7
	s_branch .LBB70_1923
.LBB70_1891:
	s_mov_b64 s[20:21], -1
	s_mov_b64 s[16:17], 0
	s_mov_b64 s[0:1], 0
                                        ; implicit-def: $vgpr7
	s_branch .LBB70_1906
.LBB70_1892:
	s_mov_b64 s[20:21], -1
	s_mov_b64 s[16:17], 0
	s_mov_b64 s[0:1], 0
                                        ; implicit-def: $vgpr7
	s_branch .LBB70_1901
.LBB70_1893:
	s_trap 2
	s_or_b64 s[18:19], s[18:19], exec
	s_cbranch_execz .LBB70_1832
	s_branch .LBB70_1833
.LBB70_1894:
	s_mov_b64 s[20:21], -1
	s_mov_b64 s[16:17], 0
	s_mov_b64 s[0:1], 0
                                        ; implicit-def: $vgpr7
	s_branch .LBB70_1896
.LBB70_1895:
	s_mov_b64 s[0:1], -1
                                        ; implicit-def: $vgpr7
	s_mov_b64 s[16:17], 0
.LBB70_1896:
	s_and_b64 vcc, exec, s[20:21]
	s_cbranch_vccz .LBB70_1900
; %bb.1897:
	s_cmp_eq_u32 s23, 44
	s_cbranch_scc0 .LBB70_1899
; %bb.1898:
	global_load_ubyte v6, v[0:1], off
	s_mov_b64 s[0:1], 0
	s_mov_b64 s[16:17], -1
	s_waitcnt vmcnt(0)
	v_lshlrev_b32_e32 v7, 23, v6
	v_cvt_i32_f32_e32 v7, v7
	v_cmp_ne_u32_e32 vcc, 0, v6
	v_cndmask_b32_e32 v7, 0, v7, vcc
	s_branch .LBB70_1900
.LBB70_1899:
	s_mov_b64 s[0:1], -1
                                        ; implicit-def: $vgpr7
.LBB70_1900:
	s_mov_b64 s[20:21], 0
.LBB70_1901:
	s_and_b64 vcc, exec, s[20:21]
	s_cbranch_vccz .LBB70_1905
; %bb.1902:
	s_cmp_eq_u32 s23, 29
	s_cbranch_scc0 .LBB70_1904
; %bb.1903:
	global_load_dword v7, v[0:1], off
	s_mov_b64 s[0:1], 0
	s_mov_b64 s[16:17], -1
	s_branch .LBB70_1905
.LBB70_1904:
	s_mov_b64 s[0:1], -1
                                        ; implicit-def: $vgpr7
.LBB70_1905:
	s_mov_b64 s[20:21], 0
.LBB70_1906:
	s_and_b64 vcc, exec, s[20:21]
	s_cbranch_vccz .LBB70_1922
; %bb.1907:
	s_cmp_lt_i32 s23, 27
	s_cbranch_scc1 .LBB70_1910
; %bb.1908:
	s_cmp_gt_i32 s23, 27
	s_cbranch_scc0 .LBB70_1911
; %bb.1909:
	global_load_dword v7, v[0:1], off
	s_mov_b64 s[16:17], 0
	s_branch .LBB70_1912
.LBB70_1910:
	s_mov_b64 s[16:17], -1
                                        ; implicit-def: $vgpr7
	s_branch .LBB70_1915
.LBB70_1911:
	s_mov_b64 s[16:17], -1
                                        ; implicit-def: $vgpr7
.LBB70_1912:
	s_andn2_b64 vcc, exec, s[16:17]
	s_cbranch_vccnz .LBB70_1914
; %bb.1913:
	global_load_ushort v7, v[0:1], off
.LBB70_1914:
	s_mov_b64 s[16:17], 0
.LBB70_1915:
	s_andn2_b64 vcc, exec, s[16:17]
	s_cbranch_vccnz .LBB70_1921
; %bb.1916:
	global_load_ubyte v6, v[0:1], off
	s_movk_i32 s16, 0x7f
	s_mov_b64 s[20:21], 0
	s_waitcnt vmcnt(0)
	v_cmp_lt_i16_e32 vcc, s16, v6
	s_and_saveexec_b64 s[16:17], vcc
	s_xor_b64 s[16:17], exec, s[16:17]
	s_cbranch_execz .LBB70_1933
; %bb.1917:
	s_movk_i32 s20, 0x80
	v_cmp_ne_u16_e32 vcc, s20, v6
	s_and_b64 s[20:21], vcc, exec
	s_andn2_saveexec_b64 s[16:17], s[16:17]
	s_cbranch_execnz .LBB70_1934
.LBB70_1918:
	s_or_b64 exec, exec, s[16:17]
	v_mov_b32_e32 v7, 0
	s_and_saveexec_b64 s[16:17], s[20:21]
	s_cbranch_execz .LBB70_1920
.LBB70_1919:
	v_lshlrev_b32_e32 v7, 24, v6
	v_and_b32_e32 v6, 0xffff, v6
	v_and_b32_e32 v10, 7, v6
	v_ffbh_u32_e32 v12, v10
	v_min_u32_e32 v12, 32, v12
	v_subrev_u32_e32 v13, 28, v12
	v_bfe_u32 v11, v6, 3, 4
	v_lshlrev_b32_e32 v6, v13, v6
	v_sub_u32_e32 v12, 29, v12
	v_and_b32_e32 v6, 7, v6
	v_cmp_eq_u32_e32 vcc, 0, v11
	v_cndmask_b32_e32 v11, v11, v12, vcc
	v_cndmask_b32_e32 v6, v10, v6, vcc
	v_mov_b32_e32 v10, 0x3b800000
	v_lshlrev_b32_e32 v6, 20, v6
	v_and_b32_e32 v7, 0x80000000, v7
	v_lshl_add_u32 v10, v11, 23, v10
	v_or3_b32 v6, v7, v10, v6
	v_cvt_i32_f32_e32 v7, v6
.LBB70_1920:
	s_or_b64 exec, exec, s[16:17]
.LBB70_1921:
	s_mov_b64 s[16:17], -1
.LBB70_1922:
	s_mov_b64 s[20:21], 0
.LBB70_1923:
	s_and_b64 vcc, exec, s[20:21]
	s_cbranch_vccz .LBB70_1954
; %bb.1924:
	s_cmp_gt_i32 s23, 22
	s_cbranch_scc0 .LBB70_1932
; %bb.1925:
	s_cmp_lt_i32 s23, 24
	s_cbranch_scc1 .LBB70_1935
; %bb.1926:
	s_cmp_gt_i32 s23, 24
	s_cbranch_scc0 .LBB70_1936
; %bb.1927:
	global_load_ubyte v6, v[0:1], off
	s_movk_i32 s14, 0x7f
	s_mov_b64 s[16:17], 0
	s_waitcnt vmcnt(0)
	v_cmp_lt_i16_e32 vcc, s14, v6
	s_and_saveexec_b64 s[14:15], vcc
	s_xor_b64 s[14:15], exec, s[14:15]
	s_cbranch_execz .LBB70_1948
; %bb.1928:
	s_movk_i32 s16, 0x80
	v_cmp_ne_u16_e32 vcc, s16, v6
	s_and_b64 s[16:17], vcc, exec
	s_andn2_saveexec_b64 s[14:15], s[14:15]
	s_cbranch_execnz .LBB70_1949
.LBB70_1929:
	s_or_b64 exec, exec, s[14:15]
	v_mov_b32_e32 v7, 0
	s_and_saveexec_b64 s[14:15], s[16:17]
	s_cbranch_execz .LBB70_1931
.LBB70_1930:
	v_lshlrev_b32_e32 v7, 24, v6
	v_and_b32_e32 v6, 0xffff, v6
	v_and_b32_e32 v10, 3, v6
	v_ffbh_u32_e32 v12, v10
	v_min_u32_e32 v12, 32, v12
	v_subrev_u32_e32 v13, 29, v12
	v_bfe_u32 v11, v6, 2, 5
	v_lshlrev_b32_e32 v6, v13, v6
	v_sub_u32_e32 v12, 30, v12
	v_and_b32_e32 v6, 3, v6
	v_cmp_eq_u32_e32 vcc, 0, v11
	v_cndmask_b32_e32 v11, v11, v12, vcc
	v_cndmask_b32_e32 v6, v10, v6, vcc
	v_mov_b32_e32 v10, 0x37800000
	v_lshlrev_b32_e32 v6, 21, v6
	v_and_b32_e32 v7, 0x80000000, v7
	v_lshl_add_u32 v10, v11, 23, v10
	v_or3_b32 v6, v7, v10, v6
	v_cvt_i32_f32_e32 v7, v6
.LBB70_1931:
	s_or_b64 exec, exec, s[14:15]
	s_mov_b64 s[14:15], 0
	s_branch .LBB70_1937
.LBB70_1932:
	s_mov_b64 s[14:15], -1
                                        ; implicit-def: $vgpr7
	s_branch .LBB70_1943
.LBB70_1933:
	s_andn2_saveexec_b64 s[16:17], s[16:17]
	s_cbranch_execz .LBB70_1918
.LBB70_1934:
	v_cmp_ne_u16_e32 vcc, 0, v6
	s_andn2_b64 s[20:21], s[20:21], exec
	s_and_b64 s[26:27], vcc, exec
	s_or_b64 s[20:21], s[20:21], s[26:27]
	s_or_b64 exec, exec, s[16:17]
	v_mov_b32_e32 v7, 0
	s_and_saveexec_b64 s[16:17], s[20:21]
	s_cbranch_execnz .LBB70_1919
	s_branch .LBB70_1920
.LBB70_1935:
	s_mov_b64 s[14:15], -1
                                        ; implicit-def: $vgpr7
	s_branch .LBB70_1940
.LBB70_1936:
	s_mov_b64 s[14:15], -1
                                        ; implicit-def: $vgpr7
.LBB70_1937:
	s_and_b64 vcc, exec, s[14:15]
	s_cbranch_vccz .LBB70_1939
; %bb.1938:
	global_load_ubyte v6, v[0:1], off
	s_mov_b32 s14, 0x7f800000
	s_waitcnt vmcnt(0)
	v_lshlrev_b32_e32 v6, 24, v6
	v_and_b32_e32 v7, 0x7f000000, v6
	v_ffbh_u32_e32 v10, v7
	v_min_u32_e32 v10, 32, v10
	v_sub_u32_e64 v10, v10, 4 clamp
	v_lshlrev_b32_e32 v12, v10, v7
	v_lshlrev_b32_e32 v10, 23, v10
	v_lshrrev_b32_e32 v12, 4, v12
	v_add_u32_e32 v11, 0x1000000, v7
	v_sub_u32_e32 v10, v12, v10
	v_ashrrev_i32_e32 v11, 8, v11
	v_add_u32_e32 v10, 0x3c000000, v10
	v_and_or_b32 v10, v11, s14, v10
	v_cmp_ne_u32_e32 vcc, 0, v7
	v_cndmask_b32_e32 v7, 0, v10, vcc
	s_brev_b32 s14, 1
	v_and_or_b32 v6, v6, s14, v7
	v_cvt_i32_f32_e32 v7, v6
.LBB70_1939:
	s_mov_b64 s[14:15], 0
.LBB70_1940:
	s_andn2_b64 vcc, exec, s[14:15]
	s_cbranch_vccnz .LBB70_1942
; %bb.1941:
	global_load_ubyte v6, v[0:1], off
	s_movk_i32 s14, 0x7f00
	s_brev_b32 s15, 16
	s_waitcnt vmcnt(0)
	v_lshlrev_b16_e32 v7, 8, v6
	v_lshlrev_b32_e32 v6, 25, v6
	v_lshrrev_b32_e32 v10, 4, v6
	v_and_or_b32 v11, v7, s14, 0.5
	v_or_b32_e32 v10, 0x70000000, v10
	v_add_f32_e32 v11, -0.5, v11
	v_mul_f32_e32 v10, 0x7800000, v10
	v_cmp_gt_u32_e32 vcc, s15, v6
	v_bfe_i32 v7, v7, 0, 16
	v_cndmask_b32_e32 v6, v10, v11, vcc
	s_brev_b32 s14, 1
	v_and_or_b32 v6, v7, s14, v6
	v_cvt_i32_f32_e32 v7, v6
.LBB70_1942:
	s_mov_b64 s[14:15], 0
	s_mov_b64 s[16:17], -1
.LBB70_1943:
	s_andn2_b64 vcc, exec, s[14:15]
	s_mov_b64 s[14:15], 0
	s_cbranch_vccnz .LBB70_1954
; %bb.1944:
	s_cmp_gt_i32 s23, 14
	s_cbranch_scc0 .LBB70_1947
; %bb.1945:
	s_cmp_eq_u32 s23, 15
	s_cbranch_scc0 .LBB70_1950
; %bb.1946:
	global_load_ushort v6, v[0:1], off
	s_mov_b64 s[0:1], 0
	s_mov_b64 s[16:17], -1
	s_waitcnt vmcnt(0)
	v_lshlrev_b32_e32 v6, 16, v6
	v_cvt_i32_f32_e32 v7, v6
	s_branch .LBB70_1951
.LBB70_1947:
	s_mov_b64 s[20:21], -1
                                        ; implicit-def: $vgpr7
	s_branch .LBB70_1952
.LBB70_1948:
	s_andn2_saveexec_b64 s[14:15], s[14:15]
	s_cbranch_execz .LBB70_1929
.LBB70_1949:
	v_cmp_ne_u16_e32 vcc, 0, v6
	s_andn2_b64 s[16:17], s[16:17], exec
	s_and_b64 s[20:21], vcc, exec
	s_or_b64 s[16:17], s[16:17], s[20:21]
	s_or_b64 exec, exec, s[14:15]
	v_mov_b32_e32 v7, 0
	s_and_saveexec_b64 s[14:15], s[16:17]
	s_cbranch_execnz .LBB70_1930
	s_branch .LBB70_1931
.LBB70_1950:
	s_mov_b64 s[0:1], -1
                                        ; implicit-def: $vgpr7
.LBB70_1951:
	s_mov_b64 s[20:21], 0
.LBB70_1952:
	s_and_b64 vcc, exec, s[20:21]
	s_cbranch_vccz .LBB70_1954
; %bb.1953:
	s_cmp_lg_u32 s23, 11
	s_mov_b64 s[14:15], -1
	s_cselect_b64 s[0:1], -1, 0
.LBB70_1954:
	s_and_b64 vcc, exec, s[0:1]
	s_cbranch_vccnz .LBB70_2019
; %bb.1955:
	s_andn2_b64 vcc, exec, s[14:15]
	s_cbranch_vccnz .LBB70_1957
.LBB70_1956:
	global_load_ubyte v6, v[0:1], off
	s_mov_b64 s[16:17], -1
	s_waitcnt vmcnt(0)
	v_cmp_ne_u16_e32 vcc, 0, v6
	v_cndmask_b32_e64 v7, 0, 1, vcc
.LBB70_1957:
	s_mov_b64 s[0:1], 0
.LBB70_1958:
	s_and_b64 vcc, exec, s[0:1]
	s_cbranch_vccz .LBB70_2007
; %bb.1959:
	s_and_b32 s14, 0xffff, s25
	s_cmp_lt_i32 s14, 5
	s_cbranch_scc1 .LBB70_1964
; %bb.1960:
	s_cmp_lt_i32 s14, 8
	s_cbranch_scc1 .LBB70_1965
; %bb.1961:
	;; [unrolled: 3-line block ×3, first 2 shown]
	s_cmp_gt_i32 s14, 9
	s_cbranch_scc0 .LBB70_1967
; %bb.1963:
	global_load_dwordx2 v[6:7], v[0:1], off
	s_mov_b64 s[0:1], 0
	s_waitcnt vmcnt(0)
	v_cvt_i32_f64_e32 v7, v[6:7]
	s_branch .LBB70_1968
.LBB70_1964:
	s_mov_b64 s[0:1], -1
                                        ; implicit-def: $vgpr7
	s_branch .LBB70_1986
.LBB70_1965:
	s_mov_b64 s[0:1], -1
                                        ; implicit-def: $vgpr7
	s_branch .LBB70_1974
.LBB70_1966:
	s_mov_b64 s[0:1], -1
                                        ; implicit-def: $vgpr7
	s_branch .LBB70_1971
.LBB70_1967:
	s_mov_b64 s[0:1], -1
                                        ; implicit-def: $vgpr7
.LBB70_1968:
	s_andn2_b64 vcc, exec, s[0:1]
	s_cbranch_vccnz .LBB70_1970
; %bb.1969:
	global_load_dword v6, v[0:1], off
	s_waitcnt vmcnt(0)
	v_cvt_i32_f32_e32 v7, v6
.LBB70_1970:
	s_mov_b64 s[0:1], 0
.LBB70_1971:
	s_andn2_b64 vcc, exec, s[0:1]
	s_cbranch_vccnz .LBB70_1973
; %bb.1972:
	global_load_dword v6, v[0:1], off
	s_waitcnt vmcnt(0)
	v_cvt_f32_f16_e32 v6, v6
	v_cvt_i32_f32_e32 v7, v6
.LBB70_1973:
	s_mov_b64 s[0:1], 0
.LBB70_1974:
	s_andn2_b64 vcc, exec, s[0:1]
	s_cbranch_vccnz .LBB70_1985
; %bb.1975:
	s_cmp_lt_i32 s14, 6
	s_cbranch_scc1 .LBB70_1978
; %bb.1976:
	s_cmp_gt_i32 s14, 6
	s_cbranch_scc0 .LBB70_1979
; %bb.1977:
	global_load_dwordx2 v[6:7], v[0:1], off
	s_mov_b64 s[0:1], 0
	s_waitcnt vmcnt(0)
	v_cvt_i32_f64_e32 v7, v[6:7]
	s_branch .LBB70_1980
.LBB70_1978:
	s_mov_b64 s[0:1], -1
                                        ; implicit-def: $vgpr7
	s_branch .LBB70_1983
.LBB70_1979:
	s_mov_b64 s[0:1], -1
                                        ; implicit-def: $vgpr7
.LBB70_1980:
	s_andn2_b64 vcc, exec, s[0:1]
	s_cbranch_vccnz .LBB70_1982
; %bb.1981:
	global_load_dword v6, v[0:1], off
	s_waitcnt vmcnt(0)
	v_cvt_i32_f32_e32 v7, v6
.LBB70_1982:
	s_mov_b64 s[0:1], 0
.LBB70_1983:
	s_andn2_b64 vcc, exec, s[0:1]
	s_cbranch_vccnz .LBB70_1985
; %bb.1984:
	global_load_ushort v6, v[0:1], off
	s_waitcnt vmcnt(0)
	v_cvt_f32_f16_e32 v6, v6
	v_cvt_i32_f32_e32 v7, v6
.LBB70_1985:
	s_mov_b64 s[0:1], 0
.LBB70_1986:
	s_andn2_b64 vcc, exec, s[0:1]
	s_cbranch_vccnz .LBB70_2006
; %bb.1987:
	s_cmp_lt_i32 s14, 2
	s_cbranch_scc1 .LBB70_1991
; %bb.1988:
	s_cmp_lt_i32 s14, 3
	s_cbranch_scc1 .LBB70_1992
; %bb.1989:
	s_cmp_gt_i32 s14, 3
	s_cbranch_scc0 .LBB70_1993
; %bb.1990:
	global_load_dword v7, v[0:1], off
	s_mov_b64 s[0:1], 0
	s_branch .LBB70_1994
.LBB70_1991:
	s_mov_b64 s[0:1], -1
                                        ; implicit-def: $vgpr7
	s_branch .LBB70_2000
.LBB70_1992:
	s_mov_b64 s[0:1], -1
                                        ; implicit-def: $vgpr7
	s_branch .LBB70_1997
.LBB70_1993:
	s_mov_b64 s[0:1], -1
                                        ; implicit-def: $vgpr7
.LBB70_1994:
	s_andn2_b64 vcc, exec, s[0:1]
	s_cbranch_vccnz .LBB70_1996
; %bb.1995:
	global_load_dword v7, v[0:1], off
.LBB70_1996:
	s_mov_b64 s[0:1], 0
.LBB70_1997:
	s_andn2_b64 vcc, exec, s[0:1]
	s_cbranch_vccnz .LBB70_1999
; %bb.1998:
	global_load_sshort v7, v[0:1], off
.LBB70_1999:
	s_mov_b64 s[0:1], 0
.LBB70_2000:
	s_andn2_b64 vcc, exec, s[0:1]
	s_cbranch_vccnz .LBB70_2006
; %bb.2001:
	s_cmp_gt_i32 s14, 0
	s_cbranch_scc0 .LBB70_2003
; %bb.2002:
	global_load_sbyte v7, v[0:1], off
	s_mov_b64 s[0:1], 0
	s_branch .LBB70_2004
.LBB70_2003:
	s_mov_b64 s[0:1], -1
                                        ; implicit-def: $vgpr7
.LBB70_2004:
	s_andn2_b64 vcc, exec, s[0:1]
	s_cbranch_vccnz .LBB70_2006
; %bb.2005:
	global_load_ubyte v7, v[0:1], off
.LBB70_2006:
	s_mov_b64 s[16:17], -1
.LBB70_2007:
	s_andn2_b64 vcc, exec, s[16:17]
	s_cbranch_vccnz .LBB70_2947
; %bb.2008:
	v_add_u32_e32 v8, s13, v8
	v_ashrrev_i32_e32 v1, 31, v8
	v_mov_b32_e32 v6, s11
	v_add_co_u32_e32 v0, vcc, s10, v8
	s_cmp_lt_i32 s24, 11
	v_addc_co_u32_e32 v1, vcc, v6, v1, vcc
	s_cbranch_scc1 .LBB70_2015
; %bb.2009:
	s_and_b32 s23, 0xffff, s24
	s_cmp_gt_i32 s23, 25
	s_mov_b64 s[14:15], 0
	s_cbranch_scc0 .LBB70_2016
; %bb.2010:
	s_cmp_gt_i32 s23, 28
	s_cbranch_scc0 .LBB70_2017
; %bb.2011:
	s_cmp_gt_i32 s23, 43
	;; [unrolled: 3-line block ×3, first 2 shown]
	s_cbranch_scc0 .LBB70_2020
; %bb.2013:
	s_cmp_eq_u32 s23, 46
	s_mov_b64 s[20:21], 0
	s_cbranch_scc0 .LBB70_2021
; %bb.2014:
	global_load_dword v6, v[0:1], off
	s_mov_b64 s[0:1], 0
	s_mov_b64 s[16:17], -1
	s_waitcnt vmcnt(0)
	v_lshlrev_b32_e32 v6, 16, v6
	v_cvt_i32_f32_e32 v6, v6
	s_branch .LBB70_2022
.LBB70_2015:
	s_mov_b64 s[0:1], -1
	s_mov_b64 s[16:17], 0
                                        ; implicit-def: $vgpr6
	s_branch .LBB70_2084
.LBB70_2016:
	s_mov_b64 s[20:21], -1
	s_mov_b64 s[16:17], 0
	s_mov_b64 s[0:1], 0
                                        ; implicit-def: $vgpr6
	s_branch .LBB70_2049
.LBB70_2017:
	s_mov_b64 s[20:21], -1
	s_mov_b64 s[16:17], 0
	s_mov_b64 s[0:1], 0
                                        ; implicit-def: $vgpr6
	s_branch .LBB70_2032
.LBB70_2018:
	s_mov_b64 s[20:21], -1
	s_mov_b64 s[16:17], 0
	s_mov_b64 s[0:1], 0
                                        ; implicit-def: $vgpr6
	s_branch .LBB70_2027
.LBB70_2019:
	s_trap 2
	s_or_b64 s[18:19], s[18:19], exec
	s_cbranch_execz .LBB70_1956
	s_branch .LBB70_1957
.LBB70_2020:
	s_mov_b64 s[20:21], -1
	s_mov_b64 s[16:17], 0
	s_mov_b64 s[0:1], 0
                                        ; implicit-def: $vgpr6
	s_branch .LBB70_2022
.LBB70_2021:
	s_mov_b64 s[0:1], -1
                                        ; implicit-def: $vgpr6
	s_mov_b64 s[16:17], 0
.LBB70_2022:
	s_and_b64 vcc, exec, s[20:21]
	s_cbranch_vccz .LBB70_2026
; %bb.2023:
	s_cmp_eq_u32 s23, 44
	s_cbranch_scc0 .LBB70_2025
; %bb.2024:
	global_load_ubyte v6, v[0:1], off
	s_mov_b64 s[0:1], 0
	s_mov_b64 s[16:17], -1
	s_waitcnt vmcnt(0)
	v_lshlrev_b32_e32 v10, 23, v6
	v_cvt_i32_f32_e32 v10, v10
	v_cmp_ne_u32_e32 vcc, 0, v6
	v_cndmask_b32_e32 v6, 0, v10, vcc
	s_branch .LBB70_2026
.LBB70_2025:
	s_mov_b64 s[0:1], -1
                                        ; implicit-def: $vgpr6
.LBB70_2026:
	s_mov_b64 s[20:21], 0
.LBB70_2027:
	s_and_b64 vcc, exec, s[20:21]
	s_cbranch_vccz .LBB70_2031
; %bb.2028:
	s_cmp_eq_u32 s23, 29
	s_cbranch_scc0 .LBB70_2030
; %bb.2029:
	global_load_dword v6, v[0:1], off
	s_mov_b64 s[0:1], 0
	s_mov_b64 s[16:17], -1
	s_branch .LBB70_2031
.LBB70_2030:
	s_mov_b64 s[0:1], -1
                                        ; implicit-def: $vgpr6
.LBB70_2031:
	s_mov_b64 s[20:21], 0
.LBB70_2032:
	s_and_b64 vcc, exec, s[20:21]
	s_cbranch_vccz .LBB70_2048
; %bb.2033:
	s_cmp_lt_i32 s23, 27
	s_cbranch_scc1 .LBB70_2036
; %bb.2034:
	s_cmp_gt_i32 s23, 27
	s_cbranch_scc0 .LBB70_2037
; %bb.2035:
	global_load_dword v6, v[0:1], off
	s_mov_b64 s[16:17], 0
	s_branch .LBB70_2038
.LBB70_2036:
	s_mov_b64 s[16:17], -1
                                        ; implicit-def: $vgpr6
	s_branch .LBB70_2041
.LBB70_2037:
	s_mov_b64 s[16:17], -1
                                        ; implicit-def: $vgpr6
.LBB70_2038:
	s_andn2_b64 vcc, exec, s[16:17]
	s_cbranch_vccnz .LBB70_2040
; %bb.2039:
	global_load_ushort v6, v[0:1], off
.LBB70_2040:
	s_mov_b64 s[16:17], 0
.LBB70_2041:
	s_andn2_b64 vcc, exec, s[16:17]
	s_cbranch_vccnz .LBB70_2047
; %bb.2042:
	global_load_ubyte v10, v[0:1], off
	s_movk_i32 s16, 0x7f
	s_mov_b64 s[20:21], 0
	s_waitcnt vmcnt(0)
	v_cmp_lt_i16_e32 vcc, s16, v10
	s_and_saveexec_b64 s[16:17], vcc
	s_xor_b64 s[16:17], exec, s[16:17]
	s_cbranch_execz .LBB70_2059
; %bb.2043:
	s_movk_i32 s20, 0x80
	v_cmp_ne_u16_e32 vcc, s20, v10
	s_and_b64 s[20:21], vcc, exec
	s_andn2_saveexec_b64 s[16:17], s[16:17]
	s_cbranch_execnz .LBB70_2060
.LBB70_2044:
	s_or_b64 exec, exec, s[16:17]
	v_mov_b32_e32 v6, 0
	s_and_saveexec_b64 s[16:17], s[20:21]
	s_cbranch_execz .LBB70_2046
.LBB70_2045:
	v_lshlrev_b32_e32 v6, 24, v10
	v_and_b32_e32 v10, 0xffff, v10
	v_and_b32_e32 v11, 7, v10
	v_ffbh_u32_e32 v13, v11
	v_min_u32_e32 v13, 32, v13
	v_subrev_u32_e32 v14, 28, v13
	v_bfe_u32 v12, v10, 3, 4
	v_lshlrev_b32_e32 v10, v14, v10
	v_sub_u32_e32 v13, 29, v13
	v_and_b32_e32 v10, 7, v10
	v_cmp_eq_u32_e32 vcc, 0, v12
	v_cndmask_b32_e32 v12, v12, v13, vcc
	v_cndmask_b32_e32 v10, v11, v10, vcc
	v_mov_b32_e32 v11, 0x3b800000
	v_lshlrev_b32_e32 v10, 20, v10
	v_and_b32_e32 v6, 0x80000000, v6
	v_lshl_add_u32 v11, v12, 23, v11
	v_or3_b32 v6, v6, v11, v10
	v_cvt_i32_f32_e32 v6, v6
.LBB70_2046:
	s_or_b64 exec, exec, s[16:17]
.LBB70_2047:
	s_mov_b64 s[16:17], -1
.LBB70_2048:
	s_mov_b64 s[20:21], 0
.LBB70_2049:
	s_and_b64 vcc, exec, s[20:21]
	s_cbranch_vccz .LBB70_2080
; %bb.2050:
	s_cmp_gt_i32 s23, 22
	s_cbranch_scc0 .LBB70_2058
; %bb.2051:
	s_cmp_lt_i32 s23, 24
	s_cbranch_scc1 .LBB70_2061
; %bb.2052:
	s_cmp_gt_i32 s23, 24
	s_cbranch_scc0 .LBB70_2062
; %bb.2053:
	global_load_ubyte v10, v[0:1], off
	s_movk_i32 s14, 0x7f
	s_mov_b64 s[16:17], 0
	s_waitcnt vmcnt(0)
	v_cmp_lt_i16_e32 vcc, s14, v10
	s_and_saveexec_b64 s[14:15], vcc
	s_xor_b64 s[14:15], exec, s[14:15]
	s_cbranch_execz .LBB70_2074
; %bb.2054:
	s_movk_i32 s16, 0x80
	v_cmp_ne_u16_e32 vcc, s16, v10
	s_and_b64 s[16:17], vcc, exec
	s_andn2_saveexec_b64 s[14:15], s[14:15]
	s_cbranch_execnz .LBB70_2075
.LBB70_2055:
	s_or_b64 exec, exec, s[14:15]
	v_mov_b32_e32 v6, 0
	s_and_saveexec_b64 s[14:15], s[16:17]
	s_cbranch_execz .LBB70_2057
.LBB70_2056:
	v_lshlrev_b32_e32 v6, 24, v10
	v_and_b32_e32 v10, 0xffff, v10
	v_and_b32_e32 v11, 3, v10
	v_ffbh_u32_e32 v13, v11
	v_min_u32_e32 v13, 32, v13
	v_subrev_u32_e32 v14, 29, v13
	v_bfe_u32 v12, v10, 2, 5
	v_lshlrev_b32_e32 v10, v14, v10
	v_sub_u32_e32 v13, 30, v13
	v_and_b32_e32 v10, 3, v10
	v_cmp_eq_u32_e32 vcc, 0, v12
	v_cndmask_b32_e32 v12, v12, v13, vcc
	v_cndmask_b32_e32 v10, v11, v10, vcc
	v_mov_b32_e32 v11, 0x37800000
	v_lshlrev_b32_e32 v10, 21, v10
	v_and_b32_e32 v6, 0x80000000, v6
	v_lshl_add_u32 v11, v12, 23, v11
	v_or3_b32 v6, v6, v11, v10
	v_cvt_i32_f32_e32 v6, v6
.LBB70_2057:
	s_or_b64 exec, exec, s[14:15]
	s_mov_b64 s[14:15], 0
	s_branch .LBB70_2063
.LBB70_2058:
	s_mov_b64 s[14:15], -1
                                        ; implicit-def: $vgpr6
	s_branch .LBB70_2069
.LBB70_2059:
	s_andn2_saveexec_b64 s[16:17], s[16:17]
	s_cbranch_execz .LBB70_2044
.LBB70_2060:
	v_cmp_ne_u16_e32 vcc, 0, v10
	s_andn2_b64 s[20:21], s[20:21], exec
	s_and_b64 s[26:27], vcc, exec
	s_or_b64 s[20:21], s[20:21], s[26:27]
	s_or_b64 exec, exec, s[16:17]
	v_mov_b32_e32 v6, 0
	s_and_saveexec_b64 s[16:17], s[20:21]
	s_cbranch_execnz .LBB70_2045
	s_branch .LBB70_2046
.LBB70_2061:
	s_mov_b64 s[14:15], -1
                                        ; implicit-def: $vgpr6
	s_branch .LBB70_2066
.LBB70_2062:
	s_mov_b64 s[14:15], -1
                                        ; implicit-def: $vgpr6
.LBB70_2063:
	s_and_b64 vcc, exec, s[14:15]
	s_cbranch_vccz .LBB70_2065
; %bb.2064:
	global_load_ubyte v6, v[0:1], off
	s_mov_b32 s14, 0x7f800000
	s_waitcnt vmcnt(0)
	v_lshlrev_b32_e32 v6, 24, v6
	v_and_b32_e32 v10, 0x7f000000, v6
	v_ffbh_u32_e32 v11, v10
	v_min_u32_e32 v11, 32, v11
	v_sub_u32_e64 v11, v11, 4 clamp
	v_lshlrev_b32_e32 v13, v11, v10
	v_lshlrev_b32_e32 v11, 23, v11
	v_lshrrev_b32_e32 v13, 4, v13
	v_add_u32_e32 v12, 0x1000000, v10
	v_sub_u32_e32 v11, v13, v11
	v_ashrrev_i32_e32 v12, 8, v12
	v_add_u32_e32 v11, 0x3c000000, v11
	v_and_or_b32 v11, v12, s14, v11
	v_cmp_ne_u32_e32 vcc, 0, v10
	v_cndmask_b32_e32 v10, 0, v11, vcc
	s_brev_b32 s14, 1
	v_and_or_b32 v6, v6, s14, v10
	v_cvt_i32_f32_e32 v6, v6
.LBB70_2065:
	s_mov_b64 s[14:15], 0
.LBB70_2066:
	s_andn2_b64 vcc, exec, s[14:15]
	s_cbranch_vccnz .LBB70_2068
; %bb.2067:
	global_load_ubyte v6, v[0:1], off
	s_movk_i32 s14, 0x7f00
	s_brev_b32 s15, 16
	s_waitcnt vmcnt(0)
	v_lshlrev_b16_e32 v10, 8, v6
	v_lshlrev_b32_e32 v6, 25, v6
	v_lshrrev_b32_e32 v11, 4, v6
	v_and_or_b32 v12, v10, s14, 0.5
	v_or_b32_e32 v11, 0x70000000, v11
	v_add_f32_e32 v12, -0.5, v12
	v_mul_f32_e32 v11, 0x7800000, v11
	v_cmp_gt_u32_e32 vcc, s15, v6
	v_bfe_i32 v10, v10, 0, 16
	v_cndmask_b32_e32 v6, v11, v12, vcc
	s_brev_b32 s14, 1
	v_and_or_b32 v6, v10, s14, v6
	v_cvt_i32_f32_e32 v6, v6
.LBB70_2068:
	s_mov_b64 s[14:15], 0
	s_mov_b64 s[16:17], -1
.LBB70_2069:
	s_andn2_b64 vcc, exec, s[14:15]
	s_mov_b64 s[14:15], 0
	s_cbranch_vccnz .LBB70_2080
; %bb.2070:
	s_cmp_gt_i32 s23, 14
	s_cbranch_scc0 .LBB70_2073
; %bb.2071:
	s_cmp_eq_u32 s23, 15
	s_cbranch_scc0 .LBB70_2076
; %bb.2072:
	global_load_ushort v6, v[0:1], off
	s_mov_b64 s[0:1], 0
	s_mov_b64 s[16:17], -1
	s_waitcnt vmcnt(0)
	v_lshlrev_b32_e32 v6, 16, v6
	v_cvt_i32_f32_e32 v6, v6
	s_branch .LBB70_2077
.LBB70_2073:
	s_mov_b64 s[20:21], -1
                                        ; implicit-def: $vgpr6
	s_branch .LBB70_2078
.LBB70_2074:
	s_andn2_saveexec_b64 s[14:15], s[14:15]
	s_cbranch_execz .LBB70_2055
.LBB70_2075:
	v_cmp_ne_u16_e32 vcc, 0, v10
	s_andn2_b64 s[16:17], s[16:17], exec
	s_and_b64 s[20:21], vcc, exec
	s_or_b64 s[16:17], s[16:17], s[20:21]
	s_or_b64 exec, exec, s[14:15]
	v_mov_b32_e32 v6, 0
	s_and_saveexec_b64 s[14:15], s[16:17]
	s_cbranch_execnz .LBB70_2056
	s_branch .LBB70_2057
.LBB70_2076:
	s_mov_b64 s[0:1], -1
                                        ; implicit-def: $vgpr6
.LBB70_2077:
	s_mov_b64 s[20:21], 0
.LBB70_2078:
	s_and_b64 vcc, exec, s[20:21]
	s_cbranch_vccz .LBB70_2080
; %bb.2079:
	s_cmp_lg_u32 s23, 11
	s_mov_b64 s[14:15], -1
	s_cselect_b64 s[0:1], -1, 0
.LBB70_2080:
	s_and_b64 vcc, exec, s[0:1]
	s_cbranch_vccnz .LBB70_2145
; %bb.2081:
	s_andn2_b64 vcc, exec, s[14:15]
	s_cbranch_vccnz .LBB70_2083
.LBB70_2082:
	global_load_ubyte v6, v[0:1], off
	s_mov_b64 s[16:17], -1
	s_waitcnt vmcnt(0)
	v_cmp_ne_u16_e32 vcc, 0, v6
	v_cndmask_b32_e64 v6, 0, 1, vcc
.LBB70_2083:
	s_mov_b64 s[0:1], 0
.LBB70_2084:
	s_and_b64 vcc, exec, s[0:1]
	s_cbranch_vccz .LBB70_2133
; %bb.2085:
	s_and_b32 s14, 0xffff, s24
	s_cmp_lt_i32 s14, 5
	s_cbranch_scc1 .LBB70_2090
; %bb.2086:
	s_cmp_lt_i32 s14, 8
	s_cbranch_scc1 .LBB70_2091
; %bb.2087:
	;; [unrolled: 3-line block ×3, first 2 shown]
	s_cmp_gt_i32 s14, 9
	s_cbranch_scc0 .LBB70_2093
; %bb.2089:
	global_load_dwordx2 v[10:11], v[0:1], off
	s_mov_b64 s[0:1], 0
	s_waitcnt vmcnt(0)
	v_cvt_i32_f64_e32 v6, v[10:11]
	s_branch .LBB70_2094
.LBB70_2090:
	s_mov_b64 s[0:1], -1
                                        ; implicit-def: $vgpr6
	s_branch .LBB70_2112
.LBB70_2091:
	s_mov_b64 s[0:1], -1
                                        ; implicit-def: $vgpr6
	s_branch .LBB70_2100
.LBB70_2092:
	s_mov_b64 s[0:1], -1
                                        ; implicit-def: $vgpr6
	s_branch .LBB70_2097
.LBB70_2093:
	s_mov_b64 s[0:1], -1
                                        ; implicit-def: $vgpr6
.LBB70_2094:
	s_andn2_b64 vcc, exec, s[0:1]
	s_cbranch_vccnz .LBB70_2096
; %bb.2095:
	global_load_dword v6, v[0:1], off
	s_waitcnt vmcnt(0)
	v_cvt_i32_f32_e32 v6, v6
.LBB70_2096:
	s_mov_b64 s[0:1], 0
.LBB70_2097:
	s_andn2_b64 vcc, exec, s[0:1]
	s_cbranch_vccnz .LBB70_2099
; %bb.2098:
	global_load_dword v6, v[0:1], off
	s_waitcnt vmcnt(0)
	v_cvt_f32_f16_e32 v6, v6
	v_cvt_i32_f32_e32 v6, v6
.LBB70_2099:
	s_mov_b64 s[0:1], 0
.LBB70_2100:
	s_andn2_b64 vcc, exec, s[0:1]
	s_cbranch_vccnz .LBB70_2111
; %bb.2101:
	s_cmp_lt_i32 s14, 6
	s_cbranch_scc1 .LBB70_2104
; %bb.2102:
	s_cmp_gt_i32 s14, 6
	s_cbranch_scc0 .LBB70_2105
; %bb.2103:
	global_load_dwordx2 v[10:11], v[0:1], off
	s_mov_b64 s[0:1], 0
	s_waitcnt vmcnt(0)
	v_cvt_i32_f64_e32 v6, v[10:11]
	s_branch .LBB70_2106
.LBB70_2104:
	s_mov_b64 s[0:1], -1
                                        ; implicit-def: $vgpr6
	s_branch .LBB70_2109
.LBB70_2105:
	s_mov_b64 s[0:1], -1
                                        ; implicit-def: $vgpr6
.LBB70_2106:
	s_andn2_b64 vcc, exec, s[0:1]
	s_cbranch_vccnz .LBB70_2108
; %bb.2107:
	global_load_dword v6, v[0:1], off
	s_waitcnt vmcnt(0)
	v_cvt_i32_f32_e32 v6, v6
.LBB70_2108:
	s_mov_b64 s[0:1], 0
.LBB70_2109:
	s_andn2_b64 vcc, exec, s[0:1]
	s_cbranch_vccnz .LBB70_2111
; %bb.2110:
	global_load_ushort v6, v[0:1], off
	s_waitcnt vmcnt(0)
	v_cvt_f32_f16_e32 v6, v6
	v_cvt_i32_f32_e32 v6, v6
.LBB70_2111:
	s_mov_b64 s[0:1], 0
.LBB70_2112:
	s_andn2_b64 vcc, exec, s[0:1]
	s_cbranch_vccnz .LBB70_2132
; %bb.2113:
	s_cmp_lt_i32 s14, 2
	s_cbranch_scc1 .LBB70_2117
; %bb.2114:
	s_cmp_lt_i32 s14, 3
	s_cbranch_scc1 .LBB70_2118
; %bb.2115:
	s_cmp_gt_i32 s14, 3
	s_cbranch_scc0 .LBB70_2119
; %bb.2116:
	global_load_dword v6, v[0:1], off
	s_mov_b64 s[0:1], 0
	s_branch .LBB70_2120
.LBB70_2117:
	s_mov_b64 s[0:1], -1
                                        ; implicit-def: $vgpr6
	s_branch .LBB70_2126
.LBB70_2118:
	s_mov_b64 s[0:1], -1
                                        ; implicit-def: $vgpr6
	s_branch .LBB70_2123
.LBB70_2119:
	s_mov_b64 s[0:1], -1
                                        ; implicit-def: $vgpr6
.LBB70_2120:
	s_andn2_b64 vcc, exec, s[0:1]
	s_cbranch_vccnz .LBB70_2122
; %bb.2121:
	global_load_dword v6, v[0:1], off
.LBB70_2122:
	s_mov_b64 s[0:1], 0
.LBB70_2123:
	s_andn2_b64 vcc, exec, s[0:1]
	s_cbranch_vccnz .LBB70_2125
; %bb.2124:
	global_load_sshort v6, v[0:1], off
.LBB70_2125:
	s_mov_b64 s[0:1], 0
.LBB70_2126:
	s_andn2_b64 vcc, exec, s[0:1]
	s_cbranch_vccnz .LBB70_2132
; %bb.2127:
	s_cmp_gt_i32 s14, 0
	s_cbranch_scc0 .LBB70_2129
; %bb.2128:
	global_load_sbyte v6, v[0:1], off
	s_mov_b64 s[0:1], 0
	s_branch .LBB70_2130
.LBB70_2129:
	s_mov_b64 s[0:1], -1
                                        ; implicit-def: $vgpr6
.LBB70_2130:
	s_andn2_b64 vcc, exec, s[0:1]
	s_cbranch_vccnz .LBB70_2132
; %bb.2131:
	global_load_ubyte v6, v[0:1], off
.LBB70_2132:
	s_mov_b64 s[16:17], -1
.LBB70_2133:
	s_andn2_b64 vcc, exec, s[16:17]
	s_cbranch_vccnz .LBB70_2947
; %bb.2134:
	v_add_u32_e32 v10, s22, v9
	v_ashrrev_i32_e32 v1, 31, v10
	v_mov_b32_e32 v9, s3
	v_add_co_u32_e32 v0, vcc, s2, v10
	s_cmp_lt_i32 s25, 11
	v_addc_co_u32_e32 v1, vcc, v9, v1, vcc
	s_cbranch_scc1 .LBB70_2141
; %bb.2135:
	s_and_b32 s23, 0xffff, s25
	s_cmp_gt_i32 s23, 25
	s_mov_b64 s[14:15], 0
	s_cbranch_scc0 .LBB70_2142
; %bb.2136:
	s_cmp_gt_i32 s23, 28
	s_cbranch_scc0 .LBB70_2143
; %bb.2137:
	s_cmp_gt_i32 s23, 43
	;; [unrolled: 3-line block ×3, first 2 shown]
	s_cbranch_scc0 .LBB70_2146
; %bb.2139:
	s_cmp_eq_u32 s23, 46
	s_mov_b64 s[20:21], 0
	s_cbranch_scc0 .LBB70_2149
; %bb.2140:
	global_load_dword v9, v[0:1], off
	s_mov_b64 s[0:1], 0
	s_mov_b64 s[16:17], -1
	s_waitcnt vmcnt(0)
	v_lshlrev_b32_e32 v9, 16, v9
	v_cvt_i32_f32_e32 v9, v9
	s_branch .LBB70_2150
.LBB70_2141:
	s_mov_b64 s[0:1], -1
	s_mov_b64 s[16:17], 0
                                        ; implicit-def: $vgpr9
	s_branch .LBB70_2212
.LBB70_2142:
	s_mov_b64 s[20:21], -1
	s_mov_b64 s[16:17], 0
	s_mov_b64 s[0:1], 0
                                        ; implicit-def: $vgpr9
	s_branch .LBB70_2177
.LBB70_2143:
	s_mov_b64 s[20:21], -1
	s_mov_b64 s[16:17], 0
	s_mov_b64 s[0:1], 0
                                        ; implicit-def: $vgpr9
	s_branch .LBB70_2160
.LBB70_2144:
	s_mov_b64 s[20:21], -1
	s_mov_b64 s[16:17], 0
	s_mov_b64 s[0:1], 0
                                        ; implicit-def: $vgpr9
	s_branch .LBB70_2155
.LBB70_2145:
	s_trap 2
	s_or_b64 s[18:19], s[18:19], exec
	s_cbranch_execz .LBB70_2082
	s_branch .LBB70_2083
.LBB70_2146:
	s_mov_b64 s[20:21], -1
	s_mov_b64 s[16:17], 0
	s_mov_b64 s[0:1], 0
                                        ; implicit-def: $vgpr9
	s_branch .LBB70_2150
.LBB70_2147:
	s_andn2_saveexec_b64 s[44:45], s[44:45]
	s_cbranch_execz .LBB70_1061
.LBB70_2148:
	s_mov_b32 s49, 0x42800000
	v_add_f32_e64 v5, |v1|, s49
	v_and_b32_e32 v5, 0xff, v5
	v_cmp_ne_u32_e32 vcc, 0, v5
	s_andn2_b64 s[42:43], s[42:43], exec
	s_and_b64 s[50:51], vcc, exec
	s_or_b64 s[42:43], s[42:43], s[50:51]
	s_or_b64 exec, exec, s[44:45]
	v_mov_b32_e32 v6, 0
	s_and_saveexec_b64 s[44:45], s[42:43]
	s_cbranch_execnz .LBB70_1062
	s_branch .LBB70_1063
.LBB70_2149:
	s_mov_b64 s[0:1], -1
                                        ; implicit-def: $vgpr9
	s_mov_b64 s[16:17], 0
.LBB70_2150:
	s_and_b64 vcc, exec, s[20:21]
	s_cbranch_vccz .LBB70_2154
; %bb.2151:
	s_cmp_eq_u32 s23, 44
	s_cbranch_scc0 .LBB70_2153
; %bb.2152:
	global_load_ubyte v9, v[0:1], off
	s_mov_b64 s[0:1], 0
	s_mov_b64 s[16:17], -1
	s_waitcnt vmcnt(0)
	v_lshlrev_b32_e32 v11, 23, v9
	v_cvt_i32_f32_e32 v11, v11
	v_cmp_ne_u32_e32 vcc, 0, v9
	v_cndmask_b32_e32 v9, 0, v11, vcc
	s_branch .LBB70_2154
.LBB70_2153:
	s_mov_b64 s[0:1], -1
                                        ; implicit-def: $vgpr9
.LBB70_2154:
	s_mov_b64 s[20:21], 0
.LBB70_2155:
	s_and_b64 vcc, exec, s[20:21]
	s_cbranch_vccz .LBB70_2159
; %bb.2156:
	s_cmp_eq_u32 s23, 29
	s_cbranch_scc0 .LBB70_2158
; %bb.2157:
	global_load_dword v9, v[0:1], off
	s_mov_b64 s[0:1], 0
	s_mov_b64 s[16:17], -1
	s_branch .LBB70_2159
.LBB70_2158:
	s_mov_b64 s[0:1], -1
                                        ; implicit-def: $vgpr9
.LBB70_2159:
	s_mov_b64 s[20:21], 0
.LBB70_2160:
	s_and_b64 vcc, exec, s[20:21]
	s_cbranch_vccz .LBB70_2176
; %bb.2161:
	s_cmp_lt_i32 s23, 27
	s_cbranch_scc1 .LBB70_2164
; %bb.2162:
	s_cmp_gt_i32 s23, 27
	s_cbranch_scc0 .LBB70_2165
; %bb.2163:
	global_load_dword v9, v[0:1], off
	s_mov_b64 s[16:17], 0
	s_branch .LBB70_2166
.LBB70_2164:
	s_mov_b64 s[16:17], -1
                                        ; implicit-def: $vgpr9
	s_branch .LBB70_2169
.LBB70_2165:
	s_mov_b64 s[16:17], -1
                                        ; implicit-def: $vgpr9
.LBB70_2166:
	s_andn2_b64 vcc, exec, s[16:17]
	s_cbranch_vccnz .LBB70_2168
; %bb.2167:
	global_load_ushort v9, v[0:1], off
.LBB70_2168:
	s_mov_b64 s[16:17], 0
.LBB70_2169:
	s_andn2_b64 vcc, exec, s[16:17]
	s_cbranch_vccnz .LBB70_2175
; %bb.2170:
	global_load_ubyte v11, v[0:1], off
	s_movk_i32 s16, 0x7f
	s_mov_b64 s[20:21], 0
	s_waitcnt vmcnt(0)
	v_cmp_lt_i16_e32 vcc, s16, v11
	s_and_saveexec_b64 s[16:17], vcc
	s_xor_b64 s[16:17], exec, s[16:17]
	s_cbranch_execz .LBB70_2187
; %bb.2171:
	s_movk_i32 s20, 0x80
	v_cmp_ne_u16_e32 vcc, s20, v11
	s_and_b64 s[20:21], vcc, exec
	s_andn2_saveexec_b64 s[16:17], s[16:17]
	s_cbranch_execnz .LBB70_2188
.LBB70_2172:
	s_or_b64 exec, exec, s[16:17]
	v_mov_b32_e32 v9, 0
	s_and_saveexec_b64 s[16:17], s[20:21]
	s_cbranch_execz .LBB70_2174
.LBB70_2173:
	v_lshlrev_b32_e32 v9, 24, v11
	v_and_b32_e32 v11, 0xffff, v11
	v_and_b32_e32 v12, 7, v11
	v_ffbh_u32_e32 v14, v12
	v_min_u32_e32 v14, 32, v14
	v_subrev_u32_e32 v15, 28, v14
	v_bfe_u32 v13, v11, 3, 4
	v_lshlrev_b32_e32 v11, v15, v11
	v_sub_u32_e32 v14, 29, v14
	v_and_b32_e32 v11, 7, v11
	v_cmp_eq_u32_e32 vcc, 0, v13
	v_cndmask_b32_e32 v13, v13, v14, vcc
	v_cndmask_b32_e32 v11, v12, v11, vcc
	v_mov_b32_e32 v12, 0x3b800000
	v_lshlrev_b32_e32 v11, 20, v11
	v_and_b32_e32 v9, 0x80000000, v9
	v_lshl_add_u32 v12, v13, 23, v12
	v_or3_b32 v9, v9, v12, v11
	v_cvt_i32_f32_e32 v9, v9
.LBB70_2174:
	s_or_b64 exec, exec, s[16:17]
.LBB70_2175:
	s_mov_b64 s[16:17], -1
.LBB70_2176:
	s_mov_b64 s[20:21], 0
.LBB70_2177:
	s_and_b64 vcc, exec, s[20:21]
	s_cbranch_vccz .LBB70_2208
; %bb.2178:
	s_cmp_gt_i32 s23, 22
	s_cbranch_scc0 .LBB70_2186
; %bb.2179:
	s_cmp_lt_i32 s23, 24
	s_cbranch_scc1 .LBB70_2189
; %bb.2180:
	s_cmp_gt_i32 s23, 24
	s_cbranch_scc0 .LBB70_2190
; %bb.2181:
	global_load_ubyte v11, v[0:1], off
	s_movk_i32 s14, 0x7f
	s_mov_b64 s[16:17], 0
	s_waitcnt vmcnt(0)
	v_cmp_lt_i16_e32 vcc, s14, v11
	s_and_saveexec_b64 s[14:15], vcc
	s_xor_b64 s[14:15], exec, s[14:15]
	s_cbranch_execz .LBB70_2202
; %bb.2182:
	s_movk_i32 s16, 0x80
	v_cmp_ne_u16_e32 vcc, s16, v11
	s_and_b64 s[16:17], vcc, exec
	s_andn2_saveexec_b64 s[14:15], s[14:15]
	s_cbranch_execnz .LBB70_2203
.LBB70_2183:
	s_or_b64 exec, exec, s[14:15]
	v_mov_b32_e32 v9, 0
	s_and_saveexec_b64 s[14:15], s[16:17]
	s_cbranch_execz .LBB70_2185
.LBB70_2184:
	v_lshlrev_b32_e32 v9, 24, v11
	v_and_b32_e32 v11, 0xffff, v11
	v_and_b32_e32 v12, 3, v11
	v_ffbh_u32_e32 v14, v12
	v_min_u32_e32 v14, 32, v14
	v_subrev_u32_e32 v15, 29, v14
	v_bfe_u32 v13, v11, 2, 5
	v_lshlrev_b32_e32 v11, v15, v11
	v_sub_u32_e32 v14, 30, v14
	v_and_b32_e32 v11, 3, v11
	v_cmp_eq_u32_e32 vcc, 0, v13
	v_cndmask_b32_e32 v13, v13, v14, vcc
	v_cndmask_b32_e32 v11, v12, v11, vcc
	v_mov_b32_e32 v12, 0x37800000
	v_lshlrev_b32_e32 v11, 21, v11
	v_and_b32_e32 v9, 0x80000000, v9
	v_lshl_add_u32 v12, v13, 23, v12
	v_or3_b32 v9, v9, v12, v11
	v_cvt_i32_f32_e32 v9, v9
.LBB70_2185:
	s_or_b64 exec, exec, s[14:15]
	s_mov_b64 s[14:15], 0
	s_branch .LBB70_2191
.LBB70_2186:
	s_mov_b64 s[14:15], -1
                                        ; implicit-def: $vgpr9
	s_branch .LBB70_2197
.LBB70_2187:
	s_andn2_saveexec_b64 s[16:17], s[16:17]
	s_cbranch_execz .LBB70_2172
.LBB70_2188:
	v_cmp_ne_u16_e32 vcc, 0, v11
	s_andn2_b64 s[20:21], s[20:21], exec
	s_and_b64 s[26:27], vcc, exec
	s_or_b64 s[20:21], s[20:21], s[26:27]
	s_or_b64 exec, exec, s[16:17]
	v_mov_b32_e32 v9, 0
	s_and_saveexec_b64 s[16:17], s[20:21]
	s_cbranch_execnz .LBB70_2173
	s_branch .LBB70_2174
.LBB70_2189:
	s_mov_b64 s[14:15], -1
                                        ; implicit-def: $vgpr9
	s_branch .LBB70_2194
.LBB70_2190:
	s_mov_b64 s[14:15], -1
                                        ; implicit-def: $vgpr9
.LBB70_2191:
	s_and_b64 vcc, exec, s[14:15]
	s_cbranch_vccz .LBB70_2193
; %bb.2192:
	global_load_ubyte v9, v[0:1], off
	s_mov_b32 s14, 0x7f800000
	s_waitcnt vmcnt(0)
	v_lshlrev_b32_e32 v9, 24, v9
	v_and_b32_e32 v11, 0x7f000000, v9
	v_ffbh_u32_e32 v12, v11
	v_min_u32_e32 v12, 32, v12
	v_sub_u32_e64 v12, v12, 4 clamp
	v_lshlrev_b32_e32 v14, v12, v11
	v_lshlrev_b32_e32 v12, 23, v12
	v_lshrrev_b32_e32 v14, 4, v14
	v_add_u32_e32 v13, 0x1000000, v11
	v_sub_u32_e32 v12, v14, v12
	v_ashrrev_i32_e32 v13, 8, v13
	v_add_u32_e32 v12, 0x3c000000, v12
	v_and_or_b32 v12, v13, s14, v12
	v_cmp_ne_u32_e32 vcc, 0, v11
	v_cndmask_b32_e32 v11, 0, v12, vcc
	s_brev_b32 s14, 1
	v_and_or_b32 v9, v9, s14, v11
	v_cvt_i32_f32_e32 v9, v9
.LBB70_2193:
	s_mov_b64 s[14:15], 0
.LBB70_2194:
	s_andn2_b64 vcc, exec, s[14:15]
	s_cbranch_vccnz .LBB70_2196
; %bb.2195:
	global_load_ubyte v9, v[0:1], off
	s_movk_i32 s14, 0x7f00
	s_brev_b32 s15, 16
	s_waitcnt vmcnt(0)
	v_lshlrev_b16_e32 v11, 8, v9
	v_lshlrev_b32_e32 v9, 25, v9
	v_lshrrev_b32_e32 v12, 4, v9
	v_and_or_b32 v13, v11, s14, 0.5
	v_or_b32_e32 v12, 0x70000000, v12
	v_add_f32_e32 v13, -0.5, v13
	v_mul_f32_e32 v12, 0x7800000, v12
	v_cmp_gt_u32_e32 vcc, s15, v9
	v_bfe_i32 v11, v11, 0, 16
	v_cndmask_b32_e32 v9, v12, v13, vcc
	s_brev_b32 s14, 1
	v_and_or_b32 v9, v11, s14, v9
	v_cvt_i32_f32_e32 v9, v9
.LBB70_2196:
	s_mov_b64 s[14:15], 0
	s_mov_b64 s[16:17], -1
.LBB70_2197:
	s_andn2_b64 vcc, exec, s[14:15]
	s_mov_b64 s[14:15], 0
	s_cbranch_vccnz .LBB70_2208
; %bb.2198:
	s_cmp_gt_i32 s23, 14
	s_cbranch_scc0 .LBB70_2201
; %bb.2199:
	s_cmp_eq_u32 s23, 15
	s_cbranch_scc0 .LBB70_2204
; %bb.2200:
	global_load_ushort v9, v[0:1], off
	s_mov_b64 s[0:1], 0
	s_mov_b64 s[16:17], -1
	s_waitcnt vmcnt(0)
	v_lshlrev_b32_e32 v9, 16, v9
	v_cvt_i32_f32_e32 v9, v9
	s_branch .LBB70_2205
.LBB70_2201:
	s_mov_b64 s[20:21], -1
                                        ; implicit-def: $vgpr9
	s_branch .LBB70_2206
.LBB70_2202:
	s_andn2_saveexec_b64 s[14:15], s[14:15]
	s_cbranch_execz .LBB70_2183
.LBB70_2203:
	v_cmp_ne_u16_e32 vcc, 0, v11
	s_andn2_b64 s[16:17], s[16:17], exec
	s_and_b64 s[20:21], vcc, exec
	s_or_b64 s[16:17], s[16:17], s[20:21]
	s_or_b64 exec, exec, s[14:15]
	v_mov_b32_e32 v9, 0
	s_and_saveexec_b64 s[14:15], s[16:17]
	s_cbranch_execnz .LBB70_2184
	s_branch .LBB70_2185
.LBB70_2204:
	s_mov_b64 s[0:1], -1
                                        ; implicit-def: $vgpr9
.LBB70_2205:
	s_mov_b64 s[20:21], 0
.LBB70_2206:
	s_and_b64 vcc, exec, s[20:21]
	s_cbranch_vccz .LBB70_2208
; %bb.2207:
	s_cmp_lg_u32 s23, 11
	s_mov_b64 s[14:15], -1
	s_cselect_b64 s[0:1], -1, 0
.LBB70_2208:
	s_and_b64 vcc, exec, s[0:1]
	s_cbranch_vccnz .LBB70_2273
; %bb.2209:
	s_andn2_b64 vcc, exec, s[14:15]
	s_cbranch_vccnz .LBB70_2211
.LBB70_2210:
	global_load_ubyte v9, v[0:1], off
	s_mov_b64 s[16:17], -1
	s_waitcnt vmcnt(0)
	v_cmp_ne_u16_e32 vcc, 0, v9
	v_cndmask_b32_e64 v9, 0, 1, vcc
.LBB70_2211:
	s_mov_b64 s[0:1], 0
.LBB70_2212:
	s_and_b64 vcc, exec, s[0:1]
	s_cbranch_vccz .LBB70_2261
; %bb.2213:
	s_and_b32 s14, 0xffff, s25
	s_cmp_lt_i32 s14, 5
	s_cbranch_scc1 .LBB70_2218
; %bb.2214:
	s_cmp_lt_i32 s14, 8
	s_cbranch_scc1 .LBB70_2219
; %bb.2215:
	;; [unrolled: 3-line block ×3, first 2 shown]
	s_cmp_gt_i32 s14, 9
	s_cbranch_scc0 .LBB70_2221
; %bb.2217:
	global_load_dwordx2 v[11:12], v[0:1], off
	s_mov_b64 s[0:1], 0
	s_waitcnt vmcnt(0)
	v_cvt_i32_f64_e32 v9, v[11:12]
	s_branch .LBB70_2222
.LBB70_2218:
	s_mov_b64 s[0:1], -1
                                        ; implicit-def: $vgpr9
	s_branch .LBB70_2240
.LBB70_2219:
	s_mov_b64 s[0:1], -1
                                        ; implicit-def: $vgpr9
	s_branch .LBB70_2228
.LBB70_2220:
	s_mov_b64 s[0:1], -1
                                        ; implicit-def: $vgpr9
	s_branch .LBB70_2225
.LBB70_2221:
	s_mov_b64 s[0:1], -1
                                        ; implicit-def: $vgpr9
.LBB70_2222:
	s_andn2_b64 vcc, exec, s[0:1]
	s_cbranch_vccnz .LBB70_2224
; %bb.2223:
	global_load_dword v9, v[0:1], off
	s_waitcnt vmcnt(0)
	v_cvt_i32_f32_e32 v9, v9
.LBB70_2224:
	s_mov_b64 s[0:1], 0
.LBB70_2225:
	s_andn2_b64 vcc, exec, s[0:1]
	s_cbranch_vccnz .LBB70_2227
; %bb.2226:
	global_load_dword v9, v[0:1], off
	s_waitcnt vmcnt(0)
	v_cvt_f32_f16_e32 v9, v9
	v_cvt_i32_f32_e32 v9, v9
.LBB70_2227:
	s_mov_b64 s[0:1], 0
.LBB70_2228:
	s_andn2_b64 vcc, exec, s[0:1]
	s_cbranch_vccnz .LBB70_2239
; %bb.2229:
	s_cmp_lt_i32 s14, 6
	s_cbranch_scc1 .LBB70_2232
; %bb.2230:
	s_cmp_gt_i32 s14, 6
	s_cbranch_scc0 .LBB70_2233
; %bb.2231:
	global_load_dwordx2 v[11:12], v[0:1], off
	s_mov_b64 s[0:1], 0
	s_waitcnt vmcnt(0)
	v_cvt_i32_f64_e32 v9, v[11:12]
	s_branch .LBB70_2234
.LBB70_2232:
	s_mov_b64 s[0:1], -1
                                        ; implicit-def: $vgpr9
	s_branch .LBB70_2237
.LBB70_2233:
	s_mov_b64 s[0:1], -1
                                        ; implicit-def: $vgpr9
.LBB70_2234:
	s_andn2_b64 vcc, exec, s[0:1]
	s_cbranch_vccnz .LBB70_2236
; %bb.2235:
	global_load_dword v9, v[0:1], off
	s_waitcnt vmcnt(0)
	v_cvt_i32_f32_e32 v9, v9
.LBB70_2236:
	s_mov_b64 s[0:1], 0
.LBB70_2237:
	s_andn2_b64 vcc, exec, s[0:1]
	s_cbranch_vccnz .LBB70_2239
; %bb.2238:
	global_load_ushort v9, v[0:1], off
	s_waitcnt vmcnt(0)
	v_cvt_f32_f16_e32 v9, v9
	v_cvt_i32_f32_e32 v9, v9
.LBB70_2239:
	s_mov_b64 s[0:1], 0
.LBB70_2240:
	s_andn2_b64 vcc, exec, s[0:1]
	s_cbranch_vccnz .LBB70_2260
; %bb.2241:
	s_cmp_lt_i32 s14, 2
	s_cbranch_scc1 .LBB70_2245
; %bb.2242:
	s_cmp_lt_i32 s14, 3
	s_cbranch_scc1 .LBB70_2246
; %bb.2243:
	s_cmp_gt_i32 s14, 3
	s_cbranch_scc0 .LBB70_2247
; %bb.2244:
	global_load_dword v9, v[0:1], off
	s_mov_b64 s[0:1], 0
	s_branch .LBB70_2248
.LBB70_2245:
	s_mov_b64 s[0:1], -1
                                        ; implicit-def: $vgpr9
	s_branch .LBB70_2254
.LBB70_2246:
	s_mov_b64 s[0:1], -1
                                        ; implicit-def: $vgpr9
	s_branch .LBB70_2251
.LBB70_2247:
	s_mov_b64 s[0:1], -1
                                        ; implicit-def: $vgpr9
.LBB70_2248:
	s_andn2_b64 vcc, exec, s[0:1]
	s_cbranch_vccnz .LBB70_2250
; %bb.2249:
	global_load_dword v9, v[0:1], off
.LBB70_2250:
	s_mov_b64 s[0:1], 0
.LBB70_2251:
	s_andn2_b64 vcc, exec, s[0:1]
	s_cbranch_vccnz .LBB70_2253
; %bb.2252:
	global_load_sshort v9, v[0:1], off
.LBB70_2253:
	s_mov_b64 s[0:1], 0
.LBB70_2254:
	s_andn2_b64 vcc, exec, s[0:1]
	s_cbranch_vccnz .LBB70_2260
; %bb.2255:
	s_cmp_gt_i32 s14, 0
	s_cbranch_scc0 .LBB70_2257
; %bb.2256:
	global_load_sbyte v9, v[0:1], off
	s_mov_b64 s[0:1], 0
	s_branch .LBB70_2258
.LBB70_2257:
	s_mov_b64 s[0:1], -1
                                        ; implicit-def: $vgpr9
.LBB70_2258:
	s_andn2_b64 vcc, exec, s[0:1]
	s_cbranch_vccnz .LBB70_2260
; %bb.2259:
	global_load_ubyte v9, v[0:1], off
.LBB70_2260:
	s_mov_b64 s[16:17], -1
.LBB70_2261:
	s_andn2_b64 vcc, exec, s[16:17]
	s_cbranch_vccnz .LBB70_2947
; %bb.2262:
	v_add_u32_e32 v0, s13, v8
	v_ashrrev_i32_e32 v1, 31, v0
	v_mov_b32_e32 v8, s11
	v_add_co_u32_e32 v0, vcc, s10, v0
	s_cmp_lt_i32 s24, 11
	v_addc_co_u32_e32 v1, vcc, v8, v1, vcc
	s_cbranch_scc1 .LBB70_2269
; %bb.2263:
	s_and_b32 s13, 0xffff, s24
	s_cmp_gt_i32 s13, 25
	s_mov_b64 s[10:11], 0
	s_cbranch_scc0 .LBB70_2270
; %bb.2264:
	s_cmp_gt_i32 s13, 28
	s_cbranch_scc0 .LBB70_2271
; %bb.2265:
	s_cmp_gt_i32 s13, 43
	;; [unrolled: 3-line block ×3, first 2 shown]
	s_cbranch_scc0 .LBB70_2274
; %bb.2267:
	s_cmp_eq_u32 s13, 46
	s_mov_b64 s[16:17], 0
	s_cbranch_scc0 .LBB70_2275
; %bb.2268:
	global_load_dword v8, v[0:1], off
	s_mov_b64 s[0:1], 0
	s_mov_b64 s[14:15], -1
	s_waitcnt vmcnt(0)
	v_lshlrev_b32_e32 v8, 16, v8
	v_cvt_i32_f32_e32 v8, v8
	s_branch .LBB70_2276
.LBB70_2269:
	s_mov_b64 s[0:1], -1
	s_mov_b64 s[14:15], 0
                                        ; implicit-def: $vgpr8
	s_branch .LBB70_2338
.LBB70_2270:
	s_mov_b64 s[16:17], -1
	s_mov_b64 s[14:15], 0
	s_mov_b64 s[0:1], 0
                                        ; implicit-def: $vgpr8
	s_branch .LBB70_2303
.LBB70_2271:
	s_mov_b64 s[16:17], -1
	s_mov_b64 s[14:15], 0
	s_mov_b64 s[0:1], 0
                                        ; implicit-def: $vgpr8
	s_branch .LBB70_2286
.LBB70_2272:
	s_mov_b64 s[16:17], -1
	s_mov_b64 s[14:15], 0
	s_mov_b64 s[0:1], 0
                                        ; implicit-def: $vgpr8
	s_branch .LBB70_2281
.LBB70_2273:
	s_trap 2
	s_or_b64 s[18:19], s[18:19], exec
	s_cbranch_execz .LBB70_2210
	s_branch .LBB70_2211
.LBB70_2274:
	s_mov_b64 s[16:17], -1
	s_mov_b64 s[14:15], 0
	s_mov_b64 s[0:1], 0
                                        ; implicit-def: $vgpr8
	s_branch .LBB70_2276
.LBB70_2275:
	s_mov_b64 s[0:1], -1
                                        ; implicit-def: $vgpr8
	s_mov_b64 s[14:15], 0
.LBB70_2276:
	s_and_b64 vcc, exec, s[16:17]
	s_cbranch_vccz .LBB70_2280
; %bb.2277:
	s_cmp_eq_u32 s13, 44
	s_cbranch_scc0 .LBB70_2279
; %bb.2278:
	global_load_ubyte v8, v[0:1], off
	s_mov_b64 s[0:1], 0
	s_mov_b64 s[14:15], -1
	s_waitcnt vmcnt(0)
	v_lshlrev_b32_e32 v11, 23, v8
	v_cvt_i32_f32_e32 v11, v11
	v_cmp_ne_u32_e32 vcc, 0, v8
	v_cndmask_b32_e32 v8, 0, v11, vcc
	s_branch .LBB70_2280
.LBB70_2279:
	s_mov_b64 s[0:1], -1
                                        ; implicit-def: $vgpr8
.LBB70_2280:
	s_mov_b64 s[16:17], 0
.LBB70_2281:
	s_and_b64 vcc, exec, s[16:17]
	s_cbranch_vccz .LBB70_2285
; %bb.2282:
	s_cmp_eq_u32 s13, 29
	s_cbranch_scc0 .LBB70_2284
; %bb.2283:
	global_load_dword v8, v[0:1], off
	s_mov_b64 s[0:1], 0
	s_mov_b64 s[14:15], -1
	s_branch .LBB70_2285
.LBB70_2284:
	s_mov_b64 s[0:1], -1
                                        ; implicit-def: $vgpr8
.LBB70_2285:
	s_mov_b64 s[16:17], 0
.LBB70_2286:
	s_and_b64 vcc, exec, s[16:17]
	s_cbranch_vccz .LBB70_2302
; %bb.2287:
	s_cmp_lt_i32 s13, 27
	s_cbranch_scc1 .LBB70_2290
; %bb.2288:
	s_cmp_gt_i32 s13, 27
	s_cbranch_scc0 .LBB70_2291
; %bb.2289:
	global_load_dword v8, v[0:1], off
	s_mov_b64 s[14:15], 0
	s_branch .LBB70_2292
.LBB70_2290:
	s_mov_b64 s[14:15], -1
                                        ; implicit-def: $vgpr8
	s_branch .LBB70_2295
.LBB70_2291:
	s_mov_b64 s[14:15], -1
                                        ; implicit-def: $vgpr8
.LBB70_2292:
	s_andn2_b64 vcc, exec, s[14:15]
	s_cbranch_vccnz .LBB70_2294
; %bb.2293:
	global_load_ushort v8, v[0:1], off
.LBB70_2294:
	s_mov_b64 s[14:15], 0
.LBB70_2295:
	s_andn2_b64 vcc, exec, s[14:15]
	s_cbranch_vccnz .LBB70_2301
; %bb.2296:
	global_load_ubyte v11, v[0:1], off
	s_movk_i32 s14, 0x7f
	s_mov_b64 s[16:17], 0
	s_waitcnt vmcnt(0)
	v_cmp_lt_i16_e32 vcc, s14, v11
	s_and_saveexec_b64 s[14:15], vcc
	s_xor_b64 s[14:15], exec, s[14:15]
	s_cbranch_execz .LBB70_2313
; %bb.2297:
	s_movk_i32 s16, 0x80
	v_cmp_ne_u16_e32 vcc, s16, v11
	s_and_b64 s[16:17], vcc, exec
	s_andn2_saveexec_b64 s[14:15], s[14:15]
	s_cbranch_execnz .LBB70_2314
.LBB70_2298:
	s_or_b64 exec, exec, s[14:15]
	v_mov_b32_e32 v8, 0
	s_and_saveexec_b64 s[14:15], s[16:17]
	s_cbranch_execz .LBB70_2300
.LBB70_2299:
	v_lshlrev_b32_e32 v8, 24, v11
	v_and_b32_e32 v11, 0xffff, v11
	v_and_b32_e32 v12, 7, v11
	v_ffbh_u32_e32 v14, v12
	v_min_u32_e32 v14, 32, v14
	v_subrev_u32_e32 v15, 28, v14
	v_bfe_u32 v13, v11, 3, 4
	v_lshlrev_b32_e32 v11, v15, v11
	v_sub_u32_e32 v14, 29, v14
	v_and_b32_e32 v11, 7, v11
	v_cmp_eq_u32_e32 vcc, 0, v13
	v_cndmask_b32_e32 v13, v13, v14, vcc
	v_cndmask_b32_e32 v11, v12, v11, vcc
	v_mov_b32_e32 v12, 0x3b800000
	v_lshlrev_b32_e32 v11, 20, v11
	v_and_b32_e32 v8, 0x80000000, v8
	v_lshl_add_u32 v12, v13, 23, v12
	v_or3_b32 v8, v8, v12, v11
	v_cvt_i32_f32_e32 v8, v8
.LBB70_2300:
	s_or_b64 exec, exec, s[14:15]
.LBB70_2301:
	s_mov_b64 s[14:15], -1
.LBB70_2302:
	s_mov_b64 s[16:17], 0
.LBB70_2303:
	s_and_b64 vcc, exec, s[16:17]
	s_cbranch_vccz .LBB70_2334
; %bb.2304:
	s_cmp_gt_i32 s13, 22
	s_cbranch_scc0 .LBB70_2312
; %bb.2305:
	s_cmp_lt_i32 s13, 24
	s_cbranch_scc1 .LBB70_2315
; %bb.2306:
	s_cmp_gt_i32 s13, 24
	s_cbranch_scc0 .LBB70_2316
; %bb.2307:
	global_load_ubyte v11, v[0:1], off
	s_movk_i32 s10, 0x7f
	s_mov_b64 s[14:15], 0
	s_waitcnt vmcnt(0)
	v_cmp_lt_i16_e32 vcc, s10, v11
	s_and_saveexec_b64 s[10:11], vcc
	s_xor_b64 s[10:11], exec, s[10:11]
	s_cbranch_execz .LBB70_2328
; %bb.2308:
	s_movk_i32 s14, 0x80
	v_cmp_ne_u16_e32 vcc, s14, v11
	s_and_b64 s[14:15], vcc, exec
	s_andn2_saveexec_b64 s[10:11], s[10:11]
	s_cbranch_execnz .LBB70_2329
.LBB70_2309:
	s_or_b64 exec, exec, s[10:11]
	v_mov_b32_e32 v8, 0
	s_and_saveexec_b64 s[10:11], s[14:15]
	s_cbranch_execz .LBB70_2311
.LBB70_2310:
	v_lshlrev_b32_e32 v8, 24, v11
	v_and_b32_e32 v11, 0xffff, v11
	v_and_b32_e32 v12, 3, v11
	v_ffbh_u32_e32 v14, v12
	v_min_u32_e32 v14, 32, v14
	v_subrev_u32_e32 v15, 29, v14
	v_bfe_u32 v13, v11, 2, 5
	v_lshlrev_b32_e32 v11, v15, v11
	v_sub_u32_e32 v14, 30, v14
	v_and_b32_e32 v11, 3, v11
	v_cmp_eq_u32_e32 vcc, 0, v13
	v_cndmask_b32_e32 v13, v13, v14, vcc
	v_cndmask_b32_e32 v11, v12, v11, vcc
	v_mov_b32_e32 v12, 0x37800000
	v_lshlrev_b32_e32 v11, 21, v11
	v_and_b32_e32 v8, 0x80000000, v8
	v_lshl_add_u32 v12, v13, 23, v12
	v_or3_b32 v8, v8, v12, v11
	v_cvt_i32_f32_e32 v8, v8
.LBB70_2311:
	s_or_b64 exec, exec, s[10:11]
	s_mov_b64 s[10:11], 0
	s_branch .LBB70_2317
.LBB70_2312:
	s_mov_b64 s[10:11], -1
                                        ; implicit-def: $vgpr8
	s_branch .LBB70_2323
.LBB70_2313:
	s_andn2_saveexec_b64 s[14:15], s[14:15]
	s_cbranch_execz .LBB70_2298
.LBB70_2314:
	v_cmp_ne_u16_e32 vcc, 0, v11
	s_andn2_b64 s[16:17], s[16:17], exec
	s_and_b64 s[20:21], vcc, exec
	s_or_b64 s[16:17], s[16:17], s[20:21]
	s_or_b64 exec, exec, s[14:15]
	v_mov_b32_e32 v8, 0
	s_and_saveexec_b64 s[14:15], s[16:17]
	s_cbranch_execnz .LBB70_2299
	s_branch .LBB70_2300
.LBB70_2315:
	s_mov_b64 s[10:11], -1
                                        ; implicit-def: $vgpr8
	s_branch .LBB70_2320
.LBB70_2316:
	s_mov_b64 s[10:11], -1
                                        ; implicit-def: $vgpr8
.LBB70_2317:
	s_and_b64 vcc, exec, s[10:11]
	s_cbranch_vccz .LBB70_2319
; %bb.2318:
	global_load_ubyte v8, v[0:1], off
	s_mov_b32 s10, 0x7f800000
	s_waitcnt vmcnt(0)
	v_lshlrev_b32_e32 v8, 24, v8
	v_and_b32_e32 v11, 0x7f000000, v8
	v_ffbh_u32_e32 v12, v11
	v_min_u32_e32 v12, 32, v12
	v_sub_u32_e64 v12, v12, 4 clamp
	v_lshlrev_b32_e32 v14, v12, v11
	v_lshlrev_b32_e32 v12, 23, v12
	v_lshrrev_b32_e32 v14, 4, v14
	v_add_u32_e32 v13, 0x1000000, v11
	v_sub_u32_e32 v12, v14, v12
	v_ashrrev_i32_e32 v13, 8, v13
	v_add_u32_e32 v12, 0x3c000000, v12
	v_and_or_b32 v12, v13, s10, v12
	v_cmp_ne_u32_e32 vcc, 0, v11
	v_cndmask_b32_e32 v11, 0, v12, vcc
	s_brev_b32 s10, 1
	v_and_or_b32 v8, v8, s10, v11
	v_cvt_i32_f32_e32 v8, v8
.LBB70_2319:
	s_mov_b64 s[10:11], 0
.LBB70_2320:
	s_andn2_b64 vcc, exec, s[10:11]
	s_cbranch_vccnz .LBB70_2322
; %bb.2321:
	global_load_ubyte v8, v[0:1], off
	s_movk_i32 s10, 0x7f00
	s_brev_b32 s11, 16
	s_waitcnt vmcnt(0)
	v_lshlrev_b16_e32 v11, 8, v8
	v_lshlrev_b32_e32 v8, 25, v8
	v_lshrrev_b32_e32 v12, 4, v8
	v_and_or_b32 v13, v11, s10, 0.5
	v_or_b32_e32 v12, 0x70000000, v12
	v_add_f32_e32 v13, -0.5, v13
	v_mul_f32_e32 v12, 0x7800000, v12
	v_cmp_gt_u32_e32 vcc, s11, v8
	v_bfe_i32 v11, v11, 0, 16
	v_cndmask_b32_e32 v8, v12, v13, vcc
	s_brev_b32 s10, 1
	v_and_or_b32 v8, v11, s10, v8
	v_cvt_i32_f32_e32 v8, v8
.LBB70_2322:
	s_mov_b64 s[10:11], 0
	s_mov_b64 s[14:15], -1
.LBB70_2323:
	s_andn2_b64 vcc, exec, s[10:11]
	s_mov_b64 s[10:11], 0
	s_cbranch_vccnz .LBB70_2334
; %bb.2324:
	s_cmp_gt_i32 s13, 14
	s_cbranch_scc0 .LBB70_2327
; %bb.2325:
	s_cmp_eq_u32 s13, 15
	s_cbranch_scc0 .LBB70_2330
; %bb.2326:
	global_load_ushort v8, v[0:1], off
	s_mov_b64 s[0:1], 0
	s_mov_b64 s[14:15], -1
	s_waitcnt vmcnt(0)
	v_lshlrev_b32_e32 v8, 16, v8
	v_cvt_i32_f32_e32 v8, v8
	s_branch .LBB70_2331
.LBB70_2327:
	s_mov_b64 s[16:17], -1
                                        ; implicit-def: $vgpr8
	s_branch .LBB70_2332
.LBB70_2328:
	s_andn2_saveexec_b64 s[10:11], s[10:11]
	s_cbranch_execz .LBB70_2309
.LBB70_2329:
	v_cmp_ne_u16_e32 vcc, 0, v11
	s_andn2_b64 s[14:15], s[14:15], exec
	s_and_b64 s[16:17], vcc, exec
	s_or_b64 s[14:15], s[14:15], s[16:17]
	s_or_b64 exec, exec, s[10:11]
	v_mov_b32_e32 v8, 0
	s_and_saveexec_b64 s[10:11], s[14:15]
	s_cbranch_execnz .LBB70_2310
	s_branch .LBB70_2311
.LBB70_2330:
	s_mov_b64 s[0:1], -1
                                        ; implicit-def: $vgpr8
.LBB70_2331:
	s_mov_b64 s[16:17], 0
.LBB70_2332:
	s_and_b64 vcc, exec, s[16:17]
	s_cbranch_vccz .LBB70_2334
; %bb.2333:
	s_cmp_lg_u32 s13, 11
	s_mov_b64 s[10:11], -1
	s_cselect_b64 s[0:1], -1, 0
.LBB70_2334:
	s_and_b64 vcc, exec, s[0:1]
	s_cbranch_vccnz .LBB70_2399
; %bb.2335:
	s_andn2_b64 vcc, exec, s[10:11]
	s_cbranch_vccnz .LBB70_2337
.LBB70_2336:
	global_load_ubyte v8, v[0:1], off
	s_mov_b64 s[14:15], -1
	s_waitcnt vmcnt(0)
	v_cmp_ne_u16_e32 vcc, 0, v8
	v_cndmask_b32_e64 v8, 0, 1, vcc
.LBB70_2337:
	s_mov_b64 s[0:1], 0
.LBB70_2338:
	s_and_b64 vcc, exec, s[0:1]
	s_cbranch_vccz .LBB70_2387
; %bb.2339:
	s_and_b32 s10, 0xffff, s24
	s_cmp_lt_i32 s10, 5
	s_cbranch_scc1 .LBB70_2344
; %bb.2340:
	s_cmp_lt_i32 s10, 8
	s_cbranch_scc1 .LBB70_2345
; %bb.2341:
	;; [unrolled: 3-line block ×3, first 2 shown]
	s_cmp_gt_i32 s10, 9
	s_cbranch_scc0 .LBB70_2347
; %bb.2343:
	global_load_dwordx2 v[11:12], v[0:1], off
	s_mov_b64 s[0:1], 0
	s_waitcnt vmcnt(0)
	v_cvt_i32_f64_e32 v8, v[11:12]
	s_branch .LBB70_2348
.LBB70_2344:
	s_mov_b64 s[0:1], -1
                                        ; implicit-def: $vgpr8
	s_branch .LBB70_2366
.LBB70_2345:
	s_mov_b64 s[0:1], -1
                                        ; implicit-def: $vgpr8
	s_branch .LBB70_2354
.LBB70_2346:
	s_mov_b64 s[0:1], -1
                                        ; implicit-def: $vgpr8
	s_branch .LBB70_2351
.LBB70_2347:
	s_mov_b64 s[0:1], -1
                                        ; implicit-def: $vgpr8
.LBB70_2348:
	s_andn2_b64 vcc, exec, s[0:1]
	s_cbranch_vccnz .LBB70_2350
; %bb.2349:
	global_load_dword v8, v[0:1], off
	s_waitcnt vmcnt(0)
	v_cvt_i32_f32_e32 v8, v8
.LBB70_2350:
	s_mov_b64 s[0:1], 0
.LBB70_2351:
	s_andn2_b64 vcc, exec, s[0:1]
	s_cbranch_vccnz .LBB70_2353
; %bb.2352:
	global_load_dword v8, v[0:1], off
	s_waitcnt vmcnt(0)
	v_cvt_f32_f16_e32 v8, v8
	v_cvt_i32_f32_e32 v8, v8
.LBB70_2353:
	s_mov_b64 s[0:1], 0
.LBB70_2354:
	s_andn2_b64 vcc, exec, s[0:1]
	s_cbranch_vccnz .LBB70_2365
; %bb.2355:
	s_cmp_lt_i32 s10, 6
	s_cbranch_scc1 .LBB70_2358
; %bb.2356:
	s_cmp_gt_i32 s10, 6
	s_cbranch_scc0 .LBB70_2359
; %bb.2357:
	global_load_dwordx2 v[11:12], v[0:1], off
	s_mov_b64 s[0:1], 0
	s_waitcnt vmcnt(0)
	v_cvt_i32_f64_e32 v8, v[11:12]
	s_branch .LBB70_2360
.LBB70_2358:
	s_mov_b64 s[0:1], -1
                                        ; implicit-def: $vgpr8
	s_branch .LBB70_2363
.LBB70_2359:
	s_mov_b64 s[0:1], -1
                                        ; implicit-def: $vgpr8
.LBB70_2360:
	s_andn2_b64 vcc, exec, s[0:1]
	s_cbranch_vccnz .LBB70_2362
; %bb.2361:
	global_load_dword v8, v[0:1], off
	s_waitcnt vmcnt(0)
	v_cvt_i32_f32_e32 v8, v8
.LBB70_2362:
	s_mov_b64 s[0:1], 0
.LBB70_2363:
	s_andn2_b64 vcc, exec, s[0:1]
	s_cbranch_vccnz .LBB70_2365
; %bb.2364:
	global_load_ushort v8, v[0:1], off
	s_waitcnt vmcnt(0)
	v_cvt_f32_f16_e32 v8, v8
	v_cvt_i32_f32_e32 v8, v8
.LBB70_2365:
	s_mov_b64 s[0:1], 0
.LBB70_2366:
	s_andn2_b64 vcc, exec, s[0:1]
	s_cbranch_vccnz .LBB70_2386
; %bb.2367:
	s_cmp_lt_i32 s10, 2
	s_cbranch_scc1 .LBB70_2371
; %bb.2368:
	s_cmp_lt_i32 s10, 3
	s_cbranch_scc1 .LBB70_2372
; %bb.2369:
	s_cmp_gt_i32 s10, 3
	s_cbranch_scc0 .LBB70_2373
; %bb.2370:
	global_load_dword v8, v[0:1], off
	s_mov_b64 s[0:1], 0
	s_branch .LBB70_2374
.LBB70_2371:
	s_mov_b64 s[0:1], -1
                                        ; implicit-def: $vgpr8
	s_branch .LBB70_2380
.LBB70_2372:
	s_mov_b64 s[0:1], -1
                                        ; implicit-def: $vgpr8
	s_branch .LBB70_2377
.LBB70_2373:
	s_mov_b64 s[0:1], -1
                                        ; implicit-def: $vgpr8
.LBB70_2374:
	s_andn2_b64 vcc, exec, s[0:1]
	s_cbranch_vccnz .LBB70_2376
; %bb.2375:
	global_load_dword v8, v[0:1], off
.LBB70_2376:
	s_mov_b64 s[0:1], 0
.LBB70_2377:
	s_andn2_b64 vcc, exec, s[0:1]
	s_cbranch_vccnz .LBB70_2379
; %bb.2378:
	global_load_sshort v8, v[0:1], off
.LBB70_2379:
	s_mov_b64 s[0:1], 0
.LBB70_2380:
	s_andn2_b64 vcc, exec, s[0:1]
	s_cbranch_vccnz .LBB70_2386
; %bb.2381:
	s_cmp_gt_i32 s10, 0
	s_cbranch_scc0 .LBB70_2383
; %bb.2382:
	global_load_sbyte v8, v[0:1], off
	s_mov_b64 s[0:1], 0
	s_branch .LBB70_2384
.LBB70_2383:
	s_mov_b64 s[0:1], -1
                                        ; implicit-def: $vgpr8
.LBB70_2384:
	s_andn2_b64 vcc, exec, s[0:1]
	s_cbranch_vccnz .LBB70_2386
; %bb.2385:
	global_load_ubyte v8, v[0:1], off
.LBB70_2386:
	s_mov_b64 s[14:15], -1
.LBB70_2387:
	s_andn2_b64 vcc, exec, s[14:15]
	s_cbranch_vccnz .LBB70_2947
; %bb.2388:
	v_add_u32_e32 v0, s22, v10
	v_ashrrev_i32_e32 v1, 31, v0
	v_mov_b32_e32 v10, s3
	v_add_co_u32_e32 v0, vcc, s2, v0
	s_cmp_lt_i32 s25, 11
	v_addc_co_u32_e32 v1, vcc, v10, v1, vcc
	s_cbranch_scc1 .LBB70_2395
; %bb.2389:
	s_and_b32 s13, 0xffff, s25
	s_cmp_gt_i32 s13, 25
	s_mov_b64 s[2:3], 0
	s_cbranch_scc0 .LBB70_2396
; %bb.2390:
	s_cmp_gt_i32 s13, 28
	s_cbranch_scc0 .LBB70_2397
; %bb.2391:
	s_cmp_gt_i32 s13, 43
	;; [unrolled: 3-line block ×3, first 2 shown]
	s_cbranch_scc0 .LBB70_2400
; %bb.2393:
	s_cmp_eq_u32 s13, 46
	s_mov_b64 s[14:15], 0
	s_cbranch_scc0 .LBB70_2401
; %bb.2394:
	global_load_dword v10, v[0:1], off
	s_mov_b64 s[0:1], 0
	s_mov_b64 s[10:11], -1
	s_waitcnt vmcnt(0)
	v_lshlrev_b32_e32 v10, 16, v10
	v_cvt_i32_f32_e32 v10, v10
	s_branch .LBB70_2402
.LBB70_2395:
	s_mov_b64 s[0:1], -1
	s_mov_b64 s[10:11], 0
                                        ; implicit-def: $vgpr10
	s_branch .LBB70_2464
.LBB70_2396:
	s_mov_b64 s[14:15], -1
	s_mov_b64 s[10:11], 0
	s_mov_b64 s[0:1], 0
                                        ; implicit-def: $vgpr10
	s_branch .LBB70_2429
.LBB70_2397:
	s_mov_b64 s[14:15], -1
	s_mov_b64 s[10:11], 0
	s_mov_b64 s[0:1], 0
                                        ; implicit-def: $vgpr10
	s_branch .LBB70_2412
.LBB70_2398:
	s_mov_b64 s[14:15], -1
	s_mov_b64 s[10:11], 0
	s_mov_b64 s[0:1], 0
                                        ; implicit-def: $vgpr10
	s_branch .LBB70_2407
.LBB70_2399:
	s_trap 2
	s_or_b64 s[18:19], s[18:19], exec
	s_cbranch_execz .LBB70_2336
	s_branch .LBB70_2337
.LBB70_2400:
	s_mov_b64 s[14:15], -1
	s_mov_b64 s[10:11], 0
	s_mov_b64 s[0:1], 0
                                        ; implicit-def: $vgpr10
	s_branch .LBB70_2402
.LBB70_2401:
	s_mov_b64 s[0:1], -1
                                        ; implicit-def: $vgpr10
	s_mov_b64 s[10:11], 0
.LBB70_2402:
	s_and_b64 vcc, exec, s[14:15]
	s_cbranch_vccz .LBB70_2406
; %bb.2403:
	s_cmp_eq_u32 s13, 44
	s_cbranch_scc0 .LBB70_2405
; %bb.2404:
	global_load_ubyte v10, v[0:1], off
	s_mov_b64 s[0:1], 0
	s_mov_b64 s[10:11], -1
	s_waitcnt vmcnt(0)
	v_lshlrev_b32_e32 v11, 23, v10
	v_cvt_i32_f32_e32 v11, v11
	v_cmp_ne_u32_e32 vcc, 0, v10
	v_cndmask_b32_e32 v10, 0, v11, vcc
	s_branch .LBB70_2406
.LBB70_2405:
	s_mov_b64 s[0:1], -1
                                        ; implicit-def: $vgpr10
.LBB70_2406:
	s_mov_b64 s[14:15], 0
.LBB70_2407:
	s_and_b64 vcc, exec, s[14:15]
	s_cbranch_vccz .LBB70_2411
; %bb.2408:
	s_cmp_eq_u32 s13, 29
	s_cbranch_scc0 .LBB70_2410
; %bb.2409:
	global_load_dword v10, v[0:1], off
	s_mov_b64 s[0:1], 0
	s_mov_b64 s[10:11], -1
	s_branch .LBB70_2411
.LBB70_2410:
	s_mov_b64 s[0:1], -1
                                        ; implicit-def: $vgpr10
.LBB70_2411:
	s_mov_b64 s[14:15], 0
.LBB70_2412:
	s_and_b64 vcc, exec, s[14:15]
	s_cbranch_vccz .LBB70_2428
; %bb.2413:
	s_cmp_lt_i32 s13, 27
	s_cbranch_scc1 .LBB70_2416
; %bb.2414:
	s_cmp_gt_i32 s13, 27
	s_cbranch_scc0 .LBB70_2417
; %bb.2415:
	global_load_dword v10, v[0:1], off
	s_mov_b64 s[10:11], 0
	s_branch .LBB70_2418
.LBB70_2416:
	s_mov_b64 s[10:11], -1
                                        ; implicit-def: $vgpr10
	s_branch .LBB70_2421
.LBB70_2417:
	s_mov_b64 s[10:11], -1
                                        ; implicit-def: $vgpr10
.LBB70_2418:
	s_andn2_b64 vcc, exec, s[10:11]
	s_cbranch_vccnz .LBB70_2420
; %bb.2419:
	global_load_ushort v10, v[0:1], off
.LBB70_2420:
	s_mov_b64 s[10:11], 0
.LBB70_2421:
	s_andn2_b64 vcc, exec, s[10:11]
	s_cbranch_vccnz .LBB70_2427
; %bb.2422:
	global_load_ubyte v11, v[0:1], off
	s_movk_i32 s10, 0x7f
	s_mov_b64 s[14:15], 0
	s_waitcnt vmcnt(0)
	v_cmp_lt_i16_e32 vcc, s10, v11
	s_and_saveexec_b64 s[10:11], vcc
	s_xor_b64 s[10:11], exec, s[10:11]
	s_cbranch_execz .LBB70_2439
; %bb.2423:
	s_movk_i32 s14, 0x80
	v_cmp_ne_u16_e32 vcc, s14, v11
	s_and_b64 s[14:15], vcc, exec
	s_andn2_saveexec_b64 s[10:11], s[10:11]
	s_cbranch_execnz .LBB70_2440
.LBB70_2424:
	s_or_b64 exec, exec, s[10:11]
	v_mov_b32_e32 v10, 0
	s_and_saveexec_b64 s[10:11], s[14:15]
	s_cbranch_execz .LBB70_2426
.LBB70_2425:
	v_lshlrev_b32_e32 v10, 24, v11
	v_and_b32_e32 v11, 0xffff, v11
	v_and_b32_e32 v12, 7, v11
	v_ffbh_u32_e32 v14, v12
	v_min_u32_e32 v14, 32, v14
	v_subrev_u32_e32 v15, 28, v14
	v_bfe_u32 v13, v11, 3, 4
	v_lshlrev_b32_e32 v11, v15, v11
	v_sub_u32_e32 v14, 29, v14
	v_and_b32_e32 v11, 7, v11
	v_cmp_eq_u32_e32 vcc, 0, v13
	v_cndmask_b32_e32 v13, v13, v14, vcc
	v_cndmask_b32_e32 v11, v12, v11, vcc
	v_mov_b32_e32 v12, 0x3b800000
	v_lshlrev_b32_e32 v11, 20, v11
	v_and_b32_e32 v10, 0x80000000, v10
	v_lshl_add_u32 v12, v13, 23, v12
	v_or3_b32 v10, v10, v12, v11
	v_cvt_i32_f32_e32 v10, v10
.LBB70_2426:
	s_or_b64 exec, exec, s[10:11]
.LBB70_2427:
	s_mov_b64 s[10:11], -1
.LBB70_2428:
	s_mov_b64 s[14:15], 0
.LBB70_2429:
	s_and_b64 vcc, exec, s[14:15]
	s_cbranch_vccz .LBB70_2460
; %bb.2430:
	s_cmp_gt_i32 s13, 22
	s_cbranch_scc0 .LBB70_2438
; %bb.2431:
	s_cmp_lt_i32 s13, 24
	s_cbranch_scc1 .LBB70_2441
; %bb.2432:
	s_cmp_gt_i32 s13, 24
	s_cbranch_scc0 .LBB70_2442
; %bb.2433:
	global_load_ubyte v11, v[0:1], off
	s_movk_i32 s2, 0x7f
	s_mov_b64 s[10:11], 0
	s_waitcnt vmcnt(0)
	v_cmp_lt_i16_e32 vcc, s2, v11
	s_and_saveexec_b64 s[2:3], vcc
	s_xor_b64 s[2:3], exec, s[2:3]
	s_cbranch_execz .LBB70_2454
; %bb.2434:
	s_movk_i32 s10, 0x80
	v_cmp_ne_u16_e32 vcc, s10, v11
	s_and_b64 s[10:11], vcc, exec
	s_andn2_saveexec_b64 s[2:3], s[2:3]
	s_cbranch_execnz .LBB70_2455
.LBB70_2435:
	s_or_b64 exec, exec, s[2:3]
	v_mov_b32_e32 v10, 0
	s_and_saveexec_b64 s[2:3], s[10:11]
	s_cbranch_execz .LBB70_2437
.LBB70_2436:
	v_lshlrev_b32_e32 v10, 24, v11
	v_and_b32_e32 v11, 0xffff, v11
	v_and_b32_e32 v12, 3, v11
	v_ffbh_u32_e32 v14, v12
	v_min_u32_e32 v14, 32, v14
	v_subrev_u32_e32 v15, 29, v14
	v_bfe_u32 v13, v11, 2, 5
	v_lshlrev_b32_e32 v11, v15, v11
	v_sub_u32_e32 v14, 30, v14
	v_and_b32_e32 v11, 3, v11
	v_cmp_eq_u32_e32 vcc, 0, v13
	v_cndmask_b32_e32 v13, v13, v14, vcc
	v_cndmask_b32_e32 v11, v12, v11, vcc
	v_mov_b32_e32 v12, 0x37800000
	v_lshlrev_b32_e32 v11, 21, v11
	v_and_b32_e32 v10, 0x80000000, v10
	v_lshl_add_u32 v12, v13, 23, v12
	v_or3_b32 v10, v10, v12, v11
	v_cvt_i32_f32_e32 v10, v10
.LBB70_2437:
	s_or_b64 exec, exec, s[2:3]
	s_mov_b64 s[2:3], 0
	s_branch .LBB70_2443
.LBB70_2438:
	s_mov_b64 s[2:3], -1
                                        ; implicit-def: $vgpr10
	s_branch .LBB70_2449
.LBB70_2439:
	s_andn2_saveexec_b64 s[10:11], s[10:11]
	s_cbranch_execz .LBB70_2424
.LBB70_2440:
	v_cmp_ne_u16_e32 vcc, 0, v11
	s_andn2_b64 s[14:15], s[14:15], exec
	s_and_b64 s[16:17], vcc, exec
	s_or_b64 s[14:15], s[14:15], s[16:17]
	s_or_b64 exec, exec, s[10:11]
	v_mov_b32_e32 v10, 0
	s_and_saveexec_b64 s[10:11], s[14:15]
	s_cbranch_execnz .LBB70_2425
	s_branch .LBB70_2426
.LBB70_2441:
	s_mov_b64 s[2:3], -1
                                        ; implicit-def: $vgpr10
	s_branch .LBB70_2446
.LBB70_2442:
	s_mov_b64 s[2:3], -1
                                        ; implicit-def: $vgpr10
.LBB70_2443:
	s_and_b64 vcc, exec, s[2:3]
	s_cbranch_vccz .LBB70_2445
; %bb.2444:
	global_load_ubyte v10, v[0:1], off
	s_mov_b32 s2, 0x7f800000
	s_waitcnt vmcnt(0)
	v_lshlrev_b32_e32 v10, 24, v10
	v_and_b32_e32 v11, 0x7f000000, v10
	v_ffbh_u32_e32 v12, v11
	v_min_u32_e32 v12, 32, v12
	v_sub_u32_e64 v12, v12, 4 clamp
	v_lshlrev_b32_e32 v14, v12, v11
	v_lshlrev_b32_e32 v12, 23, v12
	v_lshrrev_b32_e32 v14, 4, v14
	v_add_u32_e32 v13, 0x1000000, v11
	v_sub_u32_e32 v12, v14, v12
	v_ashrrev_i32_e32 v13, 8, v13
	v_add_u32_e32 v12, 0x3c000000, v12
	v_and_or_b32 v12, v13, s2, v12
	v_cmp_ne_u32_e32 vcc, 0, v11
	v_cndmask_b32_e32 v11, 0, v12, vcc
	s_brev_b32 s2, 1
	v_and_or_b32 v10, v10, s2, v11
	v_cvt_i32_f32_e32 v10, v10
.LBB70_2445:
	s_mov_b64 s[2:3], 0
.LBB70_2446:
	s_andn2_b64 vcc, exec, s[2:3]
	s_cbranch_vccnz .LBB70_2448
; %bb.2447:
	global_load_ubyte v10, v[0:1], off
	s_movk_i32 s2, 0x7f00
	s_brev_b32 s3, 16
	s_waitcnt vmcnt(0)
	v_lshlrev_b16_e32 v11, 8, v10
	v_lshlrev_b32_e32 v10, 25, v10
	v_lshrrev_b32_e32 v12, 4, v10
	v_and_or_b32 v13, v11, s2, 0.5
	v_or_b32_e32 v12, 0x70000000, v12
	v_add_f32_e32 v13, -0.5, v13
	v_mul_f32_e32 v12, 0x7800000, v12
	v_cmp_gt_u32_e32 vcc, s3, v10
	v_bfe_i32 v11, v11, 0, 16
	v_cndmask_b32_e32 v10, v12, v13, vcc
	s_brev_b32 s2, 1
	v_and_or_b32 v10, v11, s2, v10
	v_cvt_i32_f32_e32 v10, v10
.LBB70_2448:
	s_mov_b64 s[2:3], 0
	s_mov_b64 s[10:11], -1
.LBB70_2449:
	s_andn2_b64 vcc, exec, s[2:3]
	s_mov_b64 s[2:3], 0
	s_cbranch_vccnz .LBB70_2460
; %bb.2450:
	s_cmp_gt_i32 s13, 14
	s_cbranch_scc0 .LBB70_2453
; %bb.2451:
	s_cmp_eq_u32 s13, 15
	s_cbranch_scc0 .LBB70_2456
; %bb.2452:
	global_load_ushort v10, v[0:1], off
	s_mov_b64 s[0:1], 0
	s_mov_b64 s[10:11], -1
	s_waitcnt vmcnt(0)
	v_lshlrev_b32_e32 v10, 16, v10
	v_cvt_i32_f32_e32 v10, v10
	s_branch .LBB70_2457
.LBB70_2453:
	s_mov_b64 s[14:15], -1
                                        ; implicit-def: $vgpr10
	s_branch .LBB70_2458
.LBB70_2454:
	s_andn2_saveexec_b64 s[2:3], s[2:3]
	s_cbranch_execz .LBB70_2435
.LBB70_2455:
	v_cmp_ne_u16_e32 vcc, 0, v11
	s_andn2_b64 s[10:11], s[10:11], exec
	s_and_b64 s[14:15], vcc, exec
	s_or_b64 s[10:11], s[10:11], s[14:15]
	s_or_b64 exec, exec, s[2:3]
	v_mov_b32_e32 v10, 0
	s_and_saveexec_b64 s[2:3], s[10:11]
	s_cbranch_execnz .LBB70_2436
	s_branch .LBB70_2437
.LBB70_2456:
	s_mov_b64 s[0:1], -1
                                        ; implicit-def: $vgpr10
.LBB70_2457:
	s_mov_b64 s[14:15], 0
.LBB70_2458:
	s_and_b64 vcc, exec, s[14:15]
	s_cbranch_vccz .LBB70_2460
; %bb.2459:
	s_cmp_lg_u32 s13, 11
	s_mov_b64 s[2:3], -1
	s_cselect_b64 s[0:1], -1, 0
.LBB70_2460:
	s_and_b64 vcc, exec, s[0:1]
	s_cbranch_vccnz .LBB70_2993
; %bb.2461:
	s_andn2_b64 vcc, exec, s[2:3]
	s_cbranch_vccnz .LBB70_2463
.LBB70_2462:
	global_load_ubyte v10, v[0:1], off
	s_mov_b64 s[10:11], -1
	s_waitcnt vmcnt(0)
	v_cmp_ne_u16_e32 vcc, 0, v10
	v_cndmask_b32_e64 v10, 0, 1, vcc
.LBB70_2463:
	s_mov_b64 s[0:1], 0
.LBB70_2464:
	s_and_b64 vcc, exec, s[0:1]
	s_cbranch_vccz .LBB70_2513
; %bb.2465:
	s_and_b32 s2, 0xffff, s25
	s_cmp_lt_i32 s2, 5
	s_cbranch_scc1 .LBB70_2470
; %bb.2466:
	s_cmp_lt_i32 s2, 8
	s_cbranch_scc1 .LBB70_2471
; %bb.2467:
	;; [unrolled: 3-line block ×3, first 2 shown]
	s_cmp_gt_i32 s2, 9
	s_cbranch_scc0 .LBB70_2473
; %bb.2469:
	global_load_dwordx2 v[10:11], v[0:1], off
	s_mov_b64 s[0:1], 0
	s_waitcnt vmcnt(0)
	v_cvt_i32_f64_e32 v10, v[10:11]
	s_branch .LBB70_2474
.LBB70_2470:
	s_mov_b64 s[0:1], -1
                                        ; implicit-def: $vgpr10
	s_branch .LBB70_2492
.LBB70_2471:
	s_mov_b64 s[0:1], -1
                                        ; implicit-def: $vgpr10
	s_branch .LBB70_2480
.LBB70_2472:
	s_mov_b64 s[0:1], -1
                                        ; implicit-def: $vgpr10
	s_branch .LBB70_2477
.LBB70_2473:
	s_mov_b64 s[0:1], -1
                                        ; implicit-def: $vgpr10
.LBB70_2474:
	s_andn2_b64 vcc, exec, s[0:1]
	s_cbranch_vccnz .LBB70_2476
; %bb.2475:
	global_load_dword v10, v[0:1], off
	s_waitcnt vmcnt(0)
	v_cvt_i32_f32_e32 v10, v10
.LBB70_2476:
	s_mov_b64 s[0:1], 0
.LBB70_2477:
	s_andn2_b64 vcc, exec, s[0:1]
	s_cbranch_vccnz .LBB70_2479
; %bb.2478:
	global_load_dword v10, v[0:1], off
	s_waitcnt vmcnt(0)
	v_cvt_f32_f16_e32 v10, v10
	v_cvt_i32_f32_e32 v10, v10
.LBB70_2479:
	s_mov_b64 s[0:1], 0
.LBB70_2480:
	s_andn2_b64 vcc, exec, s[0:1]
	s_cbranch_vccnz .LBB70_2491
; %bb.2481:
	s_cmp_lt_i32 s2, 6
	s_cbranch_scc1 .LBB70_2484
; %bb.2482:
	s_cmp_gt_i32 s2, 6
	s_cbranch_scc0 .LBB70_2485
; %bb.2483:
	global_load_dwordx2 v[10:11], v[0:1], off
	s_mov_b64 s[0:1], 0
	s_waitcnt vmcnt(0)
	v_cvt_i32_f64_e32 v10, v[10:11]
	s_branch .LBB70_2486
.LBB70_2484:
	s_mov_b64 s[0:1], -1
                                        ; implicit-def: $vgpr10
	s_branch .LBB70_2489
.LBB70_2485:
	s_mov_b64 s[0:1], -1
                                        ; implicit-def: $vgpr10
.LBB70_2486:
	s_andn2_b64 vcc, exec, s[0:1]
	s_cbranch_vccnz .LBB70_2488
; %bb.2487:
	global_load_dword v10, v[0:1], off
	s_waitcnt vmcnt(0)
	v_cvt_i32_f32_e32 v10, v10
.LBB70_2488:
	s_mov_b64 s[0:1], 0
.LBB70_2489:
	s_andn2_b64 vcc, exec, s[0:1]
	s_cbranch_vccnz .LBB70_2491
; %bb.2490:
	global_load_ushort v10, v[0:1], off
	s_waitcnt vmcnt(0)
	v_cvt_f32_f16_e32 v10, v10
	v_cvt_i32_f32_e32 v10, v10
.LBB70_2491:
	s_mov_b64 s[0:1], 0
.LBB70_2492:
	s_andn2_b64 vcc, exec, s[0:1]
	s_cbranch_vccnz .LBB70_2512
; %bb.2493:
	s_cmp_lt_i32 s2, 2
	s_cbranch_scc1 .LBB70_2497
; %bb.2494:
	s_cmp_lt_i32 s2, 3
	s_cbranch_scc1 .LBB70_2498
; %bb.2495:
	s_cmp_gt_i32 s2, 3
	s_cbranch_scc0 .LBB70_2499
; %bb.2496:
	global_load_dword v10, v[0:1], off
	s_mov_b64 s[0:1], 0
	s_branch .LBB70_2500
.LBB70_2497:
	s_mov_b64 s[0:1], -1
                                        ; implicit-def: $vgpr10
	s_branch .LBB70_2506
.LBB70_2498:
	s_mov_b64 s[0:1], -1
                                        ; implicit-def: $vgpr10
	s_branch .LBB70_2503
.LBB70_2499:
	s_mov_b64 s[0:1], -1
                                        ; implicit-def: $vgpr10
.LBB70_2500:
	s_andn2_b64 vcc, exec, s[0:1]
	s_cbranch_vccnz .LBB70_2502
; %bb.2501:
	global_load_dword v10, v[0:1], off
.LBB70_2502:
	s_mov_b64 s[0:1], 0
.LBB70_2503:
	s_andn2_b64 vcc, exec, s[0:1]
	s_cbranch_vccnz .LBB70_2505
; %bb.2504:
	global_load_sshort v10, v[0:1], off
.LBB70_2505:
	s_mov_b64 s[0:1], 0
.LBB70_2506:
	s_andn2_b64 vcc, exec, s[0:1]
	s_cbranch_vccnz .LBB70_2512
; %bb.2507:
	s_cmp_gt_i32 s2, 0
	s_cbranch_scc0 .LBB70_2509
; %bb.2508:
	global_load_sbyte v10, v[0:1], off
	s_mov_b64 s[0:1], 0
	s_branch .LBB70_2510
.LBB70_2509:
	s_mov_b64 s[0:1], -1
                                        ; implicit-def: $vgpr10
.LBB70_2510:
	s_andn2_b64 vcc, exec, s[0:1]
	s_cbranch_vccnz .LBB70_2512
; %bb.2511:
	global_load_ubyte v10, v[0:1], off
.LBB70_2512:
	s_mov_b64 s[10:11], -1
.LBB70_2513:
	s_andn2_b64 vcc, exec, s[10:11]
	s_cbranch_vccnz .LBB70_2947
; %bb.2514:
	v_mul_lo_u32 v4, s12, v4
	s_waitcnt vmcnt(0)
	v_lshlrev_b32_e32 v0, v3, v2
	v_cmp_gt_u32_e32 vcc, 32, v3
	v_cndmask_b32_e32 v0, 0, v0, vcc
	v_ashrrev_i32_e32 v1, 31, v4
	v_mov_b32_e32 v3, s9
	s_and_b32 s20, s33, 0xff
	v_add_co_u32_e32 v2, vcc, s8, v4
	s_cmp_lt_i32 s20, 11
	v_addc_co_u32_e32 v3, vcc, v3, v1, vcc
	s_cbranch_scc1 .LBB70_2592
; %bb.2515:
	s_and_b32 s13, 0xffff, s20
	s_mov_b64 s[14:15], -1
	s_mov_b64 s[2:3], 0
	s_cmp_gt_i32 s13, 25
	s_mov_b64 s[10:11], 0
	s_mov_b64 s[0:1], 0
	s_cbranch_scc0 .LBB70_2548
; %bb.2516:
	s_cmp_gt_i32 s13, 28
	s_cbranch_scc0 .LBB70_2531
; %bb.2517:
	s_cmp_gt_i32 s13, 43
	;; [unrolled: 3-line block ×3, first 2 shown]
	s_cbranch_scc0 .LBB70_2521
; %bb.2519:
	s_mov_b64 s[0:1], -1
	s_mov_b64 s[14:15], 0
	s_cmp_eq_u32 s13, 46
	s_cbranch_scc0 .LBB70_2521
; %bb.2520:
	v_cvt_f32_i32_e32 v1, v0
	s_movk_i32 s10, 0x7fff
	s_mov_b64 s[0:1], 0
	v_bfe_u32 v11, v1, 16, 1
	v_add3_u32 v1, v1, v11, s10
	v_lshrrev_b32_e32 v1, 16, v1
	global_store_dword v[2:3], v1, off
	s_mov_b64 s[10:11], -1
.LBB70_2521:
	s_and_b64 vcc, exec, s[14:15]
	s_cbranch_vccz .LBB70_2526
; %bb.2522:
	s_cmp_eq_u32 s13, 44
	s_mov_b64 s[0:1], -1
	s_cbranch_scc0 .LBB70_2526
; %bb.2523:
	v_cvt_f32_i32_e32 v1, v0
	s_movk_i32 s0, 0xff
	v_mov_b32_e32 v12, 0xff
	v_bfe_u32 v11, v1, 23, 8
	v_cmp_ne_u32_e32 vcc, s0, v11
	s_and_saveexec_b64 s[10:11], vcc
; %bb.2524:
	s_mov_b32 s0, 0x3fffff
	v_lshrrev_b32_e32 v12, 23, v1
	v_and_b32_e32 v13, 0x400000, v1
	v_and_or_b32 v1, v1, s0, v11
	v_cmp_ne_u32_e32 vcc, 0, v13
	v_cmp_ne_u32_e64 s[0:1], 0, v1
	s_and_b64 s[0:1], vcc, s[0:1]
	v_cndmask_b32_e64 v1, 0, 1, s[0:1]
	v_add_u32_e32 v12, v12, v1
; %bb.2525:
	s_or_b64 exec, exec, s[10:11]
	s_mov_b64 s[0:1], 0
	s_mov_b64 s[10:11], -1
	global_store_byte v[2:3], v12, off
.LBB70_2526:
	s_mov_b64 s[14:15], 0
.LBB70_2527:
	s_and_b64 vcc, exec, s[14:15]
	s_cbranch_vccz .LBB70_2530
; %bb.2528:
	s_cmp_eq_u32 s13, 29
	s_mov_b64 s[0:1], -1
	s_cbranch_scc0 .LBB70_2530
; %bb.2529:
	v_ashrrev_i32_e32 v1, 31, v0
	global_store_dwordx2 v[2:3], v[0:1], off
	s_mov_b64 s[0:1], 0
	s_mov_b64 s[10:11], -1
.LBB70_2530:
	s_mov_b64 s[14:15], 0
.LBB70_2531:
	s_and_b64 vcc, exec, s[14:15]
	s_cbranch_vccz .LBB70_2547
; %bb.2532:
	s_cmp_lt_i32 s13, 27
	s_mov_b64 s[10:11], -1
	s_cbranch_scc1 .LBB70_2538
; %bb.2533:
	s_cmp_gt_i32 s13, 27
	s_cbranch_scc0 .LBB70_2535
; %bb.2534:
	s_mov_b64 s[10:11], 0
	global_store_dword v[2:3], v0, off
.LBB70_2535:
	s_andn2_b64 vcc, exec, s[10:11]
	s_cbranch_vccnz .LBB70_2537
; %bb.2536:
	global_store_short v[2:3], v0, off
.LBB70_2537:
	s_mov_b64 s[10:11], 0
.LBB70_2538:
	s_andn2_b64 vcc, exec, s[10:11]
	s_cbranch_vccnz .LBB70_2546
; %bb.2539:
	v_cvt_f32_i32_e32 v1, v0
	s_mov_b32 s10, 0x43800000
	v_mov_b32_e32 v12, 0x80
	v_and_b32_e32 v11, 0x7fffffff, v1
	v_cmp_gt_u32_e32 vcc, s10, v11
	s_and_saveexec_b64 s[10:11], vcc
	s_cbranch_execz .LBB70_2545
; %bb.2540:
	s_mov_b32 s14, 0x3bffffff
	v_cmp_lt_u32_e32 vcc, s14, v11
	s_mov_b64 s[14:15], 0
                                        ; implicit-def: $vgpr11
	s_and_saveexec_b64 s[16:17], vcc
	s_xor_b64 s[16:17], exec, s[16:17]
	s_cbranch_execz .LBB70_2994
; %bb.2541:
	v_bfe_u32 v11, v1, 20, 1
	s_mov_b32 s21, 0x487ffff
	v_add3_u32 v11, v1, v11, s21
	s_mov_b64 s[14:15], exec
	v_lshrrev_b32_e32 v11, 20, v11
	s_andn2_saveexec_b64 s[16:17], s[16:17]
	s_cbranch_execnz .LBB70_2995
.LBB70_2542:
	s_or_b64 exec, exec, s[16:17]
	v_mov_b32_e32 v12, 0
	s_and_saveexec_b64 s[16:17], s[14:15]
.LBB70_2543:
	v_lshrrev_b32_e32 v1, 24, v1
	s_movk_i32 s14, 0x80
	v_and_or_b32 v12, v1, s14, v11
.LBB70_2544:
	s_or_b64 exec, exec, s[16:17]
.LBB70_2545:
	s_or_b64 exec, exec, s[10:11]
	global_store_byte v[2:3], v12, off
.LBB70_2546:
	s_mov_b64 s[10:11], -1
.LBB70_2547:
	s_mov_b64 s[14:15], 0
.LBB70_2548:
	s_and_b64 vcc, exec, s[14:15]
	s_cbranch_vccz .LBB70_2588
; %bb.2549:
	s_cmp_gt_i32 s13, 22
	s_mov_b64 s[2:3], -1
	s_cbranch_scc0 .LBB70_2581
; %bb.2550:
	s_cmp_lt_i32 s13, 24
	s_cbranch_scc1 .LBB70_2570
; %bb.2551:
	s_cmp_gt_i32 s13, 24
	s_cbranch_scc0 .LBB70_2559
; %bb.2552:
	v_cvt_f32_i32_e32 v1, v0
	s_mov_b32 s2, 0x47800000
	v_mov_b32_e32 v12, 0x80
	v_and_b32_e32 v11, 0x7fffffff, v1
	v_cmp_gt_u32_e32 vcc, s2, v11
	s_and_saveexec_b64 s[2:3], vcc
	s_cbranch_execz .LBB70_2558
; %bb.2553:
	s_mov_b32 s10, 0x37ffffff
	v_cmp_lt_u32_e32 vcc, s10, v11
	s_mov_b64 s[10:11], 0
                                        ; implicit-def: $vgpr11
	s_and_saveexec_b64 s[14:15], vcc
	s_xor_b64 s[14:15], exec, s[14:15]
	s_cbranch_execz .LBB70_2997
; %bb.2554:
	v_bfe_u32 v11, v1, 21, 1
	s_mov_b32 s16, 0x88fffff
	v_add3_u32 v11, v1, v11, s16
	s_mov_b64 s[10:11], exec
	v_lshrrev_b32_e32 v11, 21, v11
	s_andn2_saveexec_b64 s[14:15], s[14:15]
	s_cbranch_execnz .LBB70_2998
.LBB70_2555:
	s_or_b64 exec, exec, s[14:15]
	v_mov_b32_e32 v12, 0
	s_and_saveexec_b64 s[14:15], s[10:11]
.LBB70_2556:
	v_lshrrev_b32_e32 v1, 24, v1
	s_movk_i32 s10, 0x80
	v_and_or_b32 v12, v1, s10, v11
.LBB70_2557:
	s_or_b64 exec, exec, s[14:15]
.LBB70_2558:
	s_or_b64 exec, exec, s[2:3]
	s_mov_b64 s[2:3], 0
	global_store_byte v[2:3], v12, off
.LBB70_2559:
	s_and_b64 vcc, exec, s[2:3]
	s_cbranch_vccz .LBB70_2569
; %bb.2560:
	v_cvt_f32_i32_e32 v1, v0
	s_mov_b32 s2, 0x43f00000
                                        ; implicit-def: $vgpr11
	v_and_b32_e32 v12, 0x7fffffff, v1
	v_cmp_gt_u32_e32 vcc, s2, v12
	s_and_saveexec_b64 s[2:3], vcc
	s_xor_b64 s[2:3], exec, s[2:3]
	s_cbranch_execz .LBB70_2566
; %bb.2561:
	s_mov_b32 s10, 0x3c7fffff
	v_cmp_lt_u32_e32 vcc, s10, v12
                                        ; implicit-def: $vgpr11
	s_and_saveexec_b64 s[10:11], vcc
	s_xor_b64 s[10:11], exec, s[10:11]
; %bb.2562:
	v_bfe_u32 v11, v1, 20, 1
	s_mov_b32 s14, 0x407ffff
	v_add3_u32 v11, v1, v11, s14
	v_lshrrev_b32_e32 v12, 20, v11
	v_and_b32_e32 v11, 0xff00000, v11
	s_mov_b32 s14, 0x7f00000
	v_mov_b32_e32 v13, 0x7e
	v_cmp_ne_u32_e32 vcc, s14, v11
	v_cndmask_b32_e32 v11, v13, v12, vcc
; %bb.2563:
	s_andn2_saveexec_b64 s[10:11], s[10:11]
; %bb.2564:
	s_mov_b32 s14, 0x46800000
	v_add_f32_e64 v11, |v1|, s14
; %bb.2565:
	s_or_b64 exec, exec, s[10:11]
                                        ; implicit-def: $vgpr12
.LBB70_2566:
	s_andn2_saveexec_b64 s[2:3], s[2:3]
; %bb.2567:
	s_mov_b32 s10, 0x7f800000
	v_mov_b32_e32 v11, 0x7e
	v_mov_b32_e32 v13, 0x7f
	v_cmp_lt_u32_e32 vcc, s10, v12
	v_cndmask_b32_e32 v11, v11, v13, vcc
; %bb.2568:
	s_or_b64 exec, exec, s[2:3]
	v_lshrrev_b32_e32 v1, 24, v1
	s_movk_i32 s2, 0x80
	v_and_or_b32 v1, v1, s2, v11
	global_store_byte v[2:3], v1, off
.LBB70_2569:
	s_mov_b64 s[2:3], 0
.LBB70_2570:
	s_andn2_b64 vcc, exec, s[2:3]
	s_cbranch_vccnz .LBB70_2580
; %bb.2571:
	v_cvt_f32_i32_e32 v1, v0
	s_mov_b32 s2, 0x47800000
                                        ; implicit-def: $vgpr11
	v_and_b32_e32 v12, 0x7fffffff, v1
	v_cmp_gt_u32_e32 vcc, s2, v12
	s_and_saveexec_b64 s[2:3], vcc
	s_xor_b64 s[2:3], exec, s[2:3]
	s_cbranch_execz .LBB70_2577
; %bb.2572:
	s_mov_b32 s10, 0x387fffff
	v_cmp_lt_u32_e32 vcc, s10, v12
                                        ; implicit-def: $vgpr11
	s_and_saveexec_b64 s[10:11], vcc
	s_xor_b64 s[10:11], exec, s[10:11]
; %bb.2573:
	v_bfe_u32 v11, v1, 21, 1
	s_mov_b32 s14, 0x80fffff
	v_add3_u32 v11, v1, v11, s14
	v_lshrrev_b32_e32 v11, 21, v11
; %bb.2574:
	s_andn2_saveexec_b64 s[10:11], s[10:11]
; %bb.2575:
	s_mov_b32 s14, 0x43000000
	v_add_f32_e64 v11, |v1|, s14
; %bb.2576:
	s_or_b64 exec, exec, s[10:11]
                                        ; implicit-def: $vgpr12
.LBB70_2577:
	s_andn2_saveexec_b64 s[2:3], s[2:3]
; %bb.2578:
	s_mov_b32 s10, 0x7f800000
	v_mov_b32_e32 v11, 0x7c
	v_mov_b32_e32 v13, 0x7f
	v_cmp_lt_u32_e32 vcc, s10, v12
	v_cndmask_b32_e32 v11, v11, v13, vcc
; %bb.2579:
	s_or_b64 exec, exec, s[2:3]
	v_lshrrev_b32_e32 v1, 24, v1
	s_movk_i32 s2, 0x80
	v_and_or_b32 v1, v1, s2, v11
	global_store_byte v[2:3], v1, off
.LBB70_2580:
	s_mov_b64 s[2:3], 0
	s_mov_b64 s[10:11], -1
.LBB70_2581:
	s_andn2_b64 vcc, exec, s[2:3]
	s_mov_b64 s[2:3], 0
	s_cbranch_vccnz .LBB70_2588
; %bb.2582:
	s_cmp_gt_i32 s13, 14
	s_mov_b64 s[14:15], -1
	s_cbranch_scc0 .LBB70_2586
; %bb.2583:
	s_cmp_eq_u32 s13, 15
	s_mov_b64 s[0:1], -1
	s_cbranch_scc0 .LBB70_2585
; %bb.2584:
	v_cvt_f32_i32_e32 v1, v0
	s_movk_i32 s2, 0x7fff
	s_mov_b64 s[0:1], 0
	s_mov_b64 s[10:11], -1
	v_bfe_u32 v11, v1, 16, 1
	v_add3_u32 v1, v1, v11, s2
	global_store_short_d16_hi v[2:3], v1, off
.LBB70_2585:
	s_mov_b64 s[14:15], 0
.LBB70_2586:
	s_mov_b64 s[2:3], 0
	s_and_b64 vcc, exec, s[14:15]
	s_cbranch_vccz .LBB70_2588
; %bb.2587:
	s_cmp_lg_u32 s13, 11
	s_mov_b64 s[2:3], -1
	s_cselect_b64 s[0:1], -1, 0
.LBB70_2588:
	s_and_b64 vcc, exec, s[0:1]
	s_cbranch_vccnz .LBB70_2996
; %bb.2589:
	s_andn2_b64 vcc, exec, s[2:3]
	s_cbranch_vccnz .LBB70_2591
.LBB70_2590:
	v_cmp_ne_u32_e32 vcc, 0, v0
	v_cndmask_b32_e64 v1, 0, 1, vcc
	s_mov_b64 s[10:11], -1
	global_store_byte v[2:3], v1, off
.LBB70_2591:
	s_mov_b64 s[0:1], 0
	s_branch .LBB70_2593
.LBB70_2592:
	s_mov_b64 s[0:1], -1
	s_mov_b64 s[10:11], 0
.LBB70_2593:
	s_and_b64 vcc, exec, s[0:1]
	s_cbranch_vccz .LBB70_2632
; %bb.2594:
	s_and_b32 s2, 0xffff, s20
	s_cmp_lt_i32 s2, 5
	s_mov_b64 s[0:1], -1
	s_cbranch_scc1 .LBB70_2615
; %bb.2595:
	s_cmp_lt_i32 s2, 8
	s_cbranch_scc1 .LBB70_2605
; %bb.2596:
	s_cmp_lt_i32 s2, 9
	s_cbranch_scc1 .LBB70_2602
; %bb.2597:
	s_cmp_gt_i32 s2, 9
	s_cbranch_scc0 .LBB70_2599
; %bb.2598:
	v_cvt_f64_i32_e32 v[11:12], v0
	v_mov_b32_e32 v13, 0
	v_mov_b32_e32 v14, v13
	s_mov_b64 s[0:1], 0
	global_store_dwordx4 v[2:3], v[11:14], off
.LBB70_2599:
	s_andn2_b64 vcc, exec, s[0:1]
	s_cbranch_vccnz .LBB70_2601
; %bb.2600:
	v_cvt_f32_i32_e32 v11, v0
	v_mov_b32_e32 v12, 0
	global_store_dwordx2 v[2:3], v[11:12], off
.LBB70_2601:
	s_mov_b64 s[0:1], 0
.LBB70_2602:
	s_andn2_b64 vcc, exec, s[0:1]
	s_cbranch_vccnz .LBB70_2604
; %bb.2603:
	v_cvt_f32_i32_e32 v1, v0
	v_cvt_f16_f32_e32 v1, v1
	global_store_dword v[2:3], v1, off
.LBB70_2604:
	s_mov_b64 s[0:1], 0
.LBB70_2605:
	s_andn2_b64 vcc, exec, s[0:1]
	s_cbranch_vccnz .LBB70_2614
; %bb.2606:
	s_cmp_lt_i32 s2, 6
	s_mov_b64 s[0:1], -1
	s_cbranch_scc1 .LBB70_2612
; %bb.2607:
	s_cmp_gt_i32 s2, 6
	s_cbranch_scc0 .LBB70_2609
; %bb.2608:
	v_cvt_f64_i32_e32 v[11:12], v0
	s_mov_b64 s[0:1], 0
	global_store_dwordx2 v[2:3], v[11:12], off
.LBB70_2609:
	s_andn2_b64 vcc, exec, s[0:1]
	s_cbranch_vccnz .LBB70_2611
; %bb.2610:
	v_cvt_f32_i32_e32 v1, v0
	global_store_dword v[2:3], v1, off
.LBB70_2611:
	s_mov_b64 s[0:1], 0
.LBB70_2612:
	s_andn2_b64 vcc, exec, s[0:1]
	s_cbranch_vccnz .LBB70_2614
; %bb.2613:
	v_cvt_f32_i32_e32 v1, v0
	v_cvt_f16_f32_e32 v1, v1
	global_store_short v[2:3], v1, off
.LBB70_2614:
	s_mov_b64 s[0:1], 0
.LBB70_2615:
	s_andn2_b64 vcc, exec, s[0:1]
	s_cbranch_vccnz .LBB70_2631
; %bb.2616:
	s_cmp_lt_i32 s2, 2
	s_mov_b64 s[0:1], -1
	s_cbranch_scc1 .LBB70_2626
; %bb.2617:
	s_cmp_lt_i32 s2, 3
	s_cbranch_scc1 .LBB70_2623
; %bb.2618:
	s_cmp_gt_i32 s2, 3
	s_cbranch_scc0 .LBB70_2620
; %bb.2619:
	v_ashrrev_i32_e32 v1, 31, v0
	global_store_dwordx2 v[2:3], v[0:1], off
	s_mov_b64 s[0:1], 0
.LBB70_2620:
	s_andn2_b64 vcc, exec, s[0:1]
	s_cbranch_vccnz .LBB70_2622
; %bb.2621:
	global_store_dword v[2:3], v0, off
.LBB70_2622:
	s_mov_b64 s[0:1], 0
.LBB70_2623:
	s_andn2_b64 vcc, exec, s[0:1]
	s_cbranch_vccnz .LBB70_2625
; %bb.2624:
	global_store_short v[2:3], v0, off
.LBB70_2625:
	s_mov_b64 s[0:1], 0
.LBB70_2626:
	s_andn2_b64 vcc, exec, s[0:1]
	s_cbranch_vccnz .LBB70_2631
; %bb.2627:
	s_cmp_gt_i32 s2, 0
	s_mov_b64 s[0:1], -1
	s_cbranch_scc0 .LBB70_2629
; %bb.2628:
	global_store_byte v[2:3], v0, off
	s_mov_b64 s[0:1], 0
.LBB70_2629:
	s_andn2_b64 vcc, exec, s[0:1]
	s_cbranch_vccnz .LBB70_2631
; %bb.2630:
	global_store_byte v[2:3], v0, off
.LBB70_2631:
	s_mov_b64 s[10:11], -1
.LBB70_2632:
	s_andn2_b64 vcc, exec, s[10:11]
	s_cbranch_vccnz .LBB70_2947
; %bb.2633:
	s_lshl_b32 s16, s12, 7
	v_lshlrev_b32_e32 v0, v7, v5
	v_cmp_gt_u32_e32 vcc, 32, v7
	v_add_u32_e32 v4, s16, v4
	v_cndmask_b32_e32 v0, 0, v0, vcc
	v_ashrrev_i32_e32 v1, 31, v4
	v_mov_b32_e32 v3, s9
	v_add_co_u32_e32 v2, vcc, s8, v4
	s_cmp_lt_i32 s20, 11
	v_addc_co_u32_e32 v3, vcc, v3, v1, vcc
	s_cbranch_scc1 .LBB70_2711
; %bb.2634:
	s_and_b32 s17, 0xffff, s20
	s_mov_b64 s[12:13], -1
	s_mov_b64 s[2:3], 0
	s_cmp_gt_i32 s17, 25
	s_mov_b64 s[10:11], 0
	s_mov_b64 s[0:1], 0
	s_cbranch_scc0 .LBB70_2667
; %bb.2635:
	s_cmp_gt_i32 s17, 28
	s_cbranch_scc0 .LBB70_2650
; %bb.2636:
	s_cmp_gt_i32 s17, 43
	;; [unrolled: 3-line block ×3, first 2 shown]
	s_cbranch_scc0 .LBB70_2640
; %bb.2638:
	s_mov_b64 s[0:1], -1
	s_mov_b64 s[12:13], 0
	s_cmp_eq_u32 s17, 46
	s_cbranch_scc0 .LBB70_2640
; %bb.2639:
	v_cvt_f32_i32_e32 v1, v0
	s_movk_i32 s10, 0x7fff
	s_mov_b64 s[0:1], 0
	v_bfe_u32 v5, v1, 16, 1
	v_add3_u32 v1, v1, v5, s10
	v_lshrrev_b32_e32 v1, 16, v1
	global_store_dword v[2:3], v1, off
	s_mov_b64 s[10:11], -1
.LBB70_2640:
	s_and_b64 vcc, exec, s[12:13]
	s_cbranch_vccz .LBB70_2645
; %bb.2641:
	s_cmp_eq_u32 s17, 44
	s_mov_b64 s[0:1], -1
	s_cbranch_scc0 .LBB70_2645
; %bb.2642:
	v_cvt_f32_i32_e32 v1, v0
	s_movk_i32 s0, 0xff
	v_mov_b32_e32 v7, 0xff
	v_bfe_u32 v5, v1, 23, 8
	v_cmp_ne_u32_e32 vcc, s0, v5
	s_and_saveexec_b64 s[10:11], vcc
; %bb.2643:
	s_mov_b32 s0, 0x3fffff
	v_lshrrev_b32_e32 v7, 23, v1
	v_and_b32_e32 v11, 0x400000, v1
	v_and_or_b32 v1, v1, s0, v5
	v_cmp_ne_u32_e32 vcc, 0, v11
	v_cmp_ne_u32_e64 s[0:1], 0, v1
	s_and_b64 s[0:1], vcc, s[0:1]
	v_cndmask_b32_e64 v1, 0, 1, s[0:1]
	v_add_u32_e32 v7, v7, v1
; %bb.2644:
	s_or_b64 exec, exec, s[10:11]
	s_mov_b64 s[0:1], 0
	s_mov_b64 s[10:11], -1
	global_store_byte v[2:3], v7, off
.LBB70_2645:
	s_mov_b64 s[12:13], 0
.LBB70_2646:
	s_and_b64 vcc, exec, s[12:13]
	s_cbranch_vccz .LBB70_2649
; %bb.2647:
	s_cmp_eq_u32 s17, 29
	s_mov_b64 s[0:1], -1
	s_cbranch_scc0 .LBB70_2649
; %bb.2648:
	v_ashrrev_i32_e32 v1, 31, v0
	global_store_dwordx2 v[2:3], v[0:1], off
	s_mov_b64 s[0:1], 0
	s_mov_b64 s[10:11], -1
.LBB70_2649:
	s_mov_b64 s[12:13], 0
.LBB70_2650:
	s_and_b64 vcc, exec, s[12:13]
	s_cbranch_vccz .LBB70_2666
; %bb.2651:
	s_cmp_lt_i32 s17, 27
	s_mov_b64 s[10:11], -1
	s_cbranch_scc1 .LBB70_2657
; %bb.2652:
	s_cmp_gt_i32 s17, 27
	s_cbranch_scc0 .LBB70_2654
; %bb.2653:
	s_mov_b64 s[10:11], 0
	global_store_dword v[2:3], v0, off
.LBB70_2654:
	s_andn2_b64 vcc, exec, s[10:11]
	s_cbranch_vccnz .LBB70_2656
; %bb.2655:
	global_store_short v[2:3], v0, off
.LBB70_2656:
	s_mov_b64 s[10:11], 0
.LBB70_2657:
	s_andn2_b64 vcc, exec, s[10:11]
	s_cbranch_vccnz .LBB70_2665
; %bb.2658:
	v_cvt_f32_i32_e32 v1, v0
	s_mov_b32 s10, 0x43800000
	v_mov_b32_e32 v7, 0x80
	v_and_b32_e32 v5, 0x7fffffff, v1
	v_cmp_gt_u32_e32 vcc, s10, v5
	s_and_saveexec_b64 s[10:11], vcc
	s_cbranch_execz .LBB70_2664
; %bb.2659:
	s_mov_b32 s12, 0x3bffffff
	v_cmp_lt_u32_e32 vcc, s12, v5
	s_mov_b64 s[12:13], 0
                                        ; implicit-def: $vgpr5
	s_and_saveexec_b64 s[14:15], vcc
	s_xor_b64 s[14:15], exec, s[14:15]
	s_cbranch_execz .LBB70_2999
; %bb.2660:
	v_bfe_u32 v5, v1, 20, 1
	s_mov_b32 s21, 0x487ffff
	v_add3_u32 v5, v1, v5, s21
	s_mov_b64 s[12:13], exec
	v_lshrrev_b32_e32 v5, 20, v5
	s_andn2_saveexec_b64 s[14:15], s[14:15]
	s_cbranch_execnz .LBB70_3000
.LBB70_2661:
	s_or_b64 exec, exec, s[14:15]
	v_mov_b32_e32 v7, 0
	s_and_saveexec_b64 s[14:15], s[12:13]
.LBB70_2662:
	v_lshrrev_b32_e32 v1, 24, v1
	s_movk_i32 s12, 0x80
	v_and_or_b32 v7, v1, s12, v5
.LBB70_2663:
	s_or_b64 exec, exec, s[14:15]
.LBB70_2664:
	s_or_b64 exec, exec, s[10:11]
	global_store_byte v[2:3], v7, off
.LBB70_2665:
	s_mov_b64 s[10:11], -1
.LBB70_2666:
	s_mov_b64 s[12:13], 0
.LBB70_2667:
	s_and_b64 vcc, exec, s[12:13]
	s_cbranch_vccz .LBB70_2707
; %bb.2668:
	s_cmp_gt_i32 s17, 22
	s_mov_b64 s[2:3], -1
	s_cbranch_scc0 .LBB70_2700
; %bb.2669:
	s_cmp_lt_i32 s17, 24
	s_cbranch_scc1 .LBB70_2689
; %bb.2670:
	s_cmp_gt_i32 s17, 24
	s_cbranch_scc0 .LBB70_2678
; %bb.2671:
	v_cvt_f32_i32_e32 v1, v0
	s_mov_b32 s2, 0x47800000
	v_mov_b32_e32 v7, 0x80
	v_and_b32_e32 v5, 0x7fffffff, v1
	v_cmp_gt_u32_e32 vcc, s2, v5
	s_and_saveexec_b64 s[2:3], vcc
	s_cbranch_execz .LBB70_2677
; %bb.2672:
	s_mov_b32 s10, 0x37ffffff
	v_cmp_lt_u32_e32 vcc, s10, v5
	s_mov_b64 s[10:11], 0
                                        ; implicit-def: $vgpr5
	s_and_saveexec_b64 s[12:13], vcc
	s_xor_b64 s[12:13], exec, s[12:13]
	s_cbranch_execz .LBB70_3002
; %bb.2673:
	v_bfe_u32 v5, v1, 21, 1
	s_mov_b32 s14, 0x88fffff
	v_add3_u32 v5, v1, v5, s14
	s_mov_b64 s[10:11], exec
	v_lshrrev_b32_e32 v5, 21, v5
	s_andn2_saveexec_b64 s[12:13], s[12:13]
	s_cbranch_execnz .LBB70_3003
.LBB70_2674:
	s_or_b64 exec, exec, s[12:13]
	v_mov_b32_e32 v7, 0
	s_and_saveexec_b64 s[12:13], s[10:11]
.LBB70_2675:
	v_lshrrev_b32_e32 v1, 24, v1
	s_movk_i32 s10, 0x80
	v_and_or_b32 v7, v1, s10, v5
.LBB70_2676:
	s_or_b64 exec, exec, s[12:13]
.LBB70_2677:
	s_or_b64 exec, exec, s[2:3]
	s_mov_b64 s[2:3], 0
	global_store_byte v[2:3], v7, off
.LBB70_2678:
	s_and_b64 vcc, exec, s[2:3]
	s_cbranch_vccz .LBB70_2688
; %bb.2679:
	v_cvt_f32_i32_e32 v1, v0
	s_mov_b32 s2, 0x43f00000
                                        ; implicit-def: $vgpr5
	v_and_b32_e32 v7, 0x7fffffff, v1
	v_cmp_gt_u32_e32 vcc, s2, v7
	s_and_saveexec_b64 s[2:3], vcc
	s_xor_b64 s[2:3], exec, s[2:3]
	s_cbranch_execz .LBB70_2685
; %bb.2680:
	s_mov_b32 s10, 0x3c7fffff
	v_cmp_lt_u32_e32 vcc, s10, v7
                                        ; implicit-def: $vgpr5
	s_and_saveexec_b64 s[10:11], vcc
	s_xor_b64 s[10:11], exec, s[10:11]
; %bb.2681:
	v_bfe_u32 v5, v1, 20, 1
	s_mov_b32 s12, 0x407ffff
	v_add3_u32 v5, v1, v5, s12
	v_lshrrev_b32_e32 v7, 20, v5
	v_and_b32_e32 v5, 0xff00000, v5
	s_mov_b32 s12, 0x7f00000
	v_mov_b32_e32 v11, 0x7e
	v_cmp_ne_u32_e32 vcc, s12, v5
	v_cndmask_b32_e32 v5, v11, v7, vcc
; %bb.2682:
	s_andn2_saveexec_b64 s[10:11], s[10:11]
; %bb.2683:
	s_mov_b32 s12, 0x46800000
	v_add_f32_e64 v5, |v1|, s12
; %bb.2684:
	s_or_b64 exec, exec, s[10:11]
                                        ; implicit-def: $vgpr7
.LBB70_2685:
	s_andn2_saveexec_b64 s[2:3], s[2:3]
; %bb.2686:
	s_mov_b32 s10, 0x7f800000
	v_mov_b32_e32 v5, 0x7e
	v_mov_b32_e32 v11, 0x7f
	v_cmp_lt_u32_e32 vcc, s10, v7
	v_cndmask_b32_e32 v5, v5, v11, vcc
; %bb.2687:
	s_or_b64 exec, exec, s[2:3]
	v_lshrrev_b32_e32 v1, 24, v1
	s_movk_i32 s2, 0x80
	v_and_or_b32 v1, v1, s2, v5
	global_store_byte v[2:3], v1, off
.LBB70_2688:
	s_mov_b64 s[2:3], 0
.LBB70_2689:
	s_andn2_b64 vcc, exec, s[2:3]
	s_cbranch_vccnz .LBB70_2699
; %bb.2690:
	v_cvt_f32_i32_e32 v1, v0
	s_mov_b32 s2, 0x47800000
                                        ; implicit-def: $vgpr5
	v_and_b32_e32 v7, 0x7fffffff, v1
	v_cmp_gt_u32_e32 vcc, s2, v7
	s_and_saveexec_b64 s[2:3], vcc
	s_xor_b64 s[2:3], exec, s[2:3]
	s_cbranch_execz .LBB70_2696
; %bb.2691:
	s_mov_b32 s10, 0x387fffff
	v_cmp_lt_u32_e32 vcc, s10, v7
                                        ; implicit-def: $vgpr5
	s_and_saveexec_b64 s[10:11], vcc
	s_xor_b64 s[10:11], exec, s[10:11]
; %bb.2692:
	v_bfe_u32 v5, v1, 21, 1
	s_mov_b32 s12, 0x80fffff
	v_add3_u32 v5, v1, v5, s12
	v_lshrrev_b32_e32 v5, 21, v5
; %bb.2693:
	s_andn2_saveexec_b64 s[10:11], s[10:11]
; %bb.2694:
	s_mov_b32 s12, 0x43000000
	v_add_f32_e64 v5, |v1|, s12
; %bb.2695:
	s_or_b64 exec, exec, s[10:11]
                                        ; implicit-def: $vgpr7
.LBB70_2696:
	s_andn2_saveexec_b64 s[2:3], s[2:3]
; %bb.2697:
	s_mov_b32 s10, 0x7f800000
	v_mov_b32_e32 v5, 0x7c
	v_mov_b32_e32 v11, 0x7f
	v_cmp_lt_u32_e32 vcc, s10, v7
	v_cndmask_b32_e32 v5, v5, v11, vcc
; %bb.2698:
	s_or_b64 exec, exec, s[2:3]
	v_lshrrev_b32_e32 v1, 24, v1
	s_movk_i32 s2, 0x80
	v_and_or_b32 v1, v1, s2, v5
	global_store_byte v[2:3], v1, off
.LBB70_2699:
	s_mov_b64 s[2:3], 0
	s_mov_b64 s[10:11], -1
.LBB70_2700:
	s_andn2_b64 vcc, exec, s[2:3]
	s_mov_b64 s[2:3], 0
	s_cbranch_vccnz .LBB70_2707
; %bb.2701:
	s_cmp_gt_i32 s17, 14
	s_mov_b64 s[12:13], -1
	s_cbranch_scc0 .LBB70_2705
; %bb.2702:
	s_cmp_eq_u32 s17, 15
	s_mov_b64 s[0:1], -1
	s_cbranch_scc0 .LBB70_2704
; %bb.2703:
	v_cvt_f32_i32_e32 v1, v0
	s_movk_i32 s2, 0x7fff
	s_mov_b64 s[0:1], 0
	s_mov_b64 s[10:11], -1
	v_bfe_u32 v5, v1, 16, 1
	v_add3_u32 v1, v1, v5, s2
	global_store_short_d16_hi v[2:3], v1, off
.LBB70_2704:
	s_mov_b64 s[12:13], 0
.LBB70_2705:
	s_mov_b64 s[2:3], 0
	s_and_b64 vcc, exec, s[12:13]
	s_cbranch_vccz .LBB70_2707
; %bb.2706:
	s_cmp_lg_u32 s17, 11
	s_mov_b64 s[2:3], -1
	s_cselect_b64 s[0:1], -1, 0
.LBB70_2707:
	s_and_b64 vcc, exec, s[0:1]
	s_cbranch_vccnz .LBB70_3001
; %bb.2708:
	s_andn2_b64 vcc, exec, s[2:3]
	s_cbranch_vccnz .LBB70_2710
.LBB70_2709:
	v_cmp_ne_u32_e32 vcc, 0, v0
	v_cndmask_b32_e64 v1, 0, 1, vcc
	s_mov_b64 s[10:11], -1
	global_store_byte v[2:3], v1, off
.LBB70_2710:
	s_mov_b64 s[0:1], 0
	s_branch .LBB70_2712
.LBB70_2711:
	s_mov_b64 s[0:1], -1
	s_mov_b64 s[10:11], 0
.LBB70_2712:
	s_and_b64 vcc, exec, s[0:1]
	s_cbranch_vccz .LBB70_2751
; %bb.2713:
	s_and_b32 s2, 0xffff, s20
	s_cmp_lt_i32 s2, 5
	s_mov_b64 s[0:1], -1
	s_cbranch_scc1 .LBB70_2734
; %bb.2714:
	s_cmp_lt_i32 s2, 8
	s_cbranch_scc1 .LBB70_2724
; %bb.2715:
	s_cmp_lt_i32 s2, 9
	s_cbranch_scc1 .LBB70_2721
; %bb.2716:
	s_cmp_gt_i32 s2, 9
	s_cbranch_scc0 .LBB70_2718
; %bb.2717:
	v_cvt_f64_i32_e32 v[11:12], v0
	v_mov_b32_e32 v13, 0
	v_mov_b32_e32 v14, v13
	s_mov_b64 s[0:1], 0
	global_store_dwordx4 v[2:3], v[11:14], off
.LBB70_2718:
	s_andn2_b64 vcc, exec, s[0:1]
	s_cbranch_vccnz .LBB70_2720
; %bb.2719:
	v_cvt_f32_i32_e32 v11, v0
	v_mov_b32_e32 v12, 0
	global_store_dwordx2 v[2:3], v[11:12], off
.LBB70_2720:
	s_mov_b64 s[0:1], 0
.LBB70_2721:
	s_andn2_b64 vcc, exec, s[0:1]
	s_cbranch_vccnz .LBB70_2723
; %bb.2722:
	v_cvt_f32_i32_e32 v1, v0
	v_cvt_f16_f32_e32 v1, v1
	global_store_dword v[2:3], v1, off
.LBB70_2723:
	s_mov_b64 s[0:1], 0
.LBB70_2724:
	s_andn2_b64 vcc, exec, s[0:1]
	s_cbranch_vccnz .LBB70_2733
; %bb.2725:
	s_cmp_lt_i32 s2, 6
	s_mov_b64 s[0:1], -1
	s_cbranch_scc1 .LBB70_2731
; %bb.2726:
	s_cmp_gt_i32 s2, 6
	s_cbranch_scc0 .LBB70_2728
; %bb.2727:
	v_cvt_f64_i32_e32 v[11:12], v0
	s_mov_b64 s[0:1], 0
	global_store_dwordx2 v[2:3], v[11:12], off
.LBB70_2728:
	s_andn2_b64 vcc, exec, s[0:1]
	s_cbranch_vccnz .LBB70_2730
; %bb.2729:
	v_cvt_f32_i32_e32 v1, v0
	global_store_dword v[2:3], v1, off
.LBB70_2730:
	s_mov_b64 s[0:1], 0
.LBB70_2731:
	s_andn2_b64 vcc, exec, s[0:1]
	s_cbranch_vccnz .LBB70_2733
; %bb.2732:
	v_cvt_f32_i32_e32 v1, v0
	v_cvt_f16_f32_e32 v1, v1
	global_store_short v[2:3], v1, off
.LBB70_2733:
	s_mov_b64 s[0:1], 0
.LBB70_2734:
	s_andn2_b64 vcc, exec, s[0:1]
	s_cbranch_vccnz .LBB70_2750
; %bb.2735:
	s_cmp_lt_i32 s2, 2
	s_mov_b64 s[0:1], -1
	s_cbranch_scc1 .LBB70_2745
; %bb.2736:
	s_cmp_lt_i32 s2, 3
	s_cbranch_scc1 .LBB70_2742
; %bb.2737:
	s_cmp_gt_i32 s2, 3
	s_cbranch_scc0 .LBB70_2739
; %bb.2738:
	v_ashrrev_i32_e32 v1, 31, v0
	global_store_dwordx2 v[2:3], v[0:1], off
	s_mov_b64 s[0:1], 0
.LBB70_2739:
	s_andn2_b64 vcc, exec, s[0:1]
	s_cbranch_vccnz .LBB70_2741
; %bb.2740:
	global_store_dword v[2:3], v0, off
.LBB70_2741:
	s_mov_b64 s[0:1], 0
.LBB70_2742:
	s_andn2_b64 vcc, exec, s[0:1]
	s_cbranch_vccnz .LBB70_2744
; %bb.2743:
	global_store_short v[2:3], v0, off
.LBB70_2744:
	s_mov_b64 s[0:1], 0
.LBB70_2745:
	s_andn2_b64 vcc, exec, s[0:1]
	s_cbranch_vccnz .LBB70_2750
; %bb.2746:
	s_cmp_gt_i32 s2, 0
	s_mov_b64 s[0:1], -1
	s_cbranch_scc0 .LBB70_2748
; %bb.2747:
	global_store_byte v[2:3], v0, off
	s_mov_b64 s[0:1], 0
.LBB70_2748:
	s_andn2_b64 vcc, exec, s[0:1]
	s_cbranch_vccnz .LBB70_2750
; %bb.2749:
	global_store_byte v[2:3], v0, off
.LBB70_2750:
	s_mov_b64 s[10:11], -1
.LBB70_2751:
	s_andn2_b64 vcc, exec, s[10:11]
	s_cbranch_vccnz .LBB70_2947
; %bb.2752:
	v_lshlrev_b32_e32 v0, v9, v6
	v_cmp_gt_u32_e32 vcc, 32, v9
	v_add_u32_e32 v4, s16, v4
	v_cndmask_b32_e32 v0, 0, v0, vcc
	v_ashrrev_i32_e32 v1, 31, v4
	v_mov_b32_e32 v3, s9
	v_add_co_u32_e32 v2, vcc, s8, v4
	s_cmp_lt_i32 s20, 11
	v_addc_co_u32_e32 v3, vcc, v3, v1, vcc
	s_cbranch_scc1 .LBB70_2830
; %bb.2753:
	s_and_b32 s17, 0xffff, s20
	s_mov_b64 s[12:13], -1
	s_mov_b64 s[2:3], 0
	s_cmp_gt_i32 s17, 25
	s_mov_b64 s[10:11], 0
	s_mov_b64 s[0:1], 0
	s_cbranch_scc0 .LBB70_2786
; %bb.2754:
	s_cmp_gt_i32 s17, 28
	s_cbranch_scc0 .LBB70_2769
; %bb.2755:
	s_cmp_gt_i32 s17, 43
	;; [unrolled: 3-line block ×3, first 2 shown]
	s_cbranch_scc0 .LBB70_2759
; %bb.2757:
	s_mov_b64 s[0:1], -1
	s_mov_b64 s[12:13], 0
	s_cmp_eq_u32 s17, 46
	s_cbranch_scc0 .LBB70_2759
; %bb.2758:
	v_cvt_f32_i32_e32 v1, v0
	s_movk_i32 s10, 0x7fff
	s_mov_b64 s[0:1], 0
	v_bfe_u32 v5, v1, 16, 1
	v_add3_u32 v1, v1, v5, s10
	v_lshrrev_b32_e32 v1, 16, v1
	global_store_dword v[2:3], v1, off
	s_mov_b64 s[10:11], -1
.LBB70_2759:
	s_and_b64 vcc, exec, s[12:13]
	s_cbranch_vccz .LBB70_2764
; %bb.2760:
	s_cmp_eq_u32 s17, 44
	s_mov_b64 s[0:1], -1
	s_cbranch_scc0 .LBB70_2764
; %bb.2761:
	v_cvt_f32_i32_e32 v1, v0
	s_movk_i32 s0, 0xff
	v_mov_b32_e32 v6, 0xff
	v_bfe_u32 v5, v1, 23, 8
	v_cmp_ne_u32_e32 vcc, s0, v5
	s_and_saveexec_b64 s[10:11], vcc
; %bb.2762:
	s_mov_b32 s0, 0x3fffff
	v_lshrrev_b32_e32 v6, 23, v1
	v_and_b32_e32 v7, 0x400000, v1
	v_and_or_b32 v1, v1, s0, v5
	v_cmp_ne_u32_e32 vcc, 0, v7
	v_cmp_ne_u32_e64 s[0:1], 0, v1
	s_and_b64 s[0:1], vcc, s[0:1]
	v_cndmask_b32_e64 v1, 0, 1, s[0:1]
	v_add_u32_e32 v6, v6, v1
; %bb.2763:
	s_or_b64 exec, exec, s[10:11]
	s_mov_b64 s[0:1], 0
	s_mov_b64 s[10:11], -1
	global_store_byte v[2:3], v6, off
.LBB70_2764:
	s_mov_b64 s[12:13], 0
.LBB70_2765:
	s_and_b64 vcc, exec, s[12:13]
	s_cbranch_vccz .LBB70_2768
; %bb.2766:
	s_cmp_eq_u32 s17, 29
	s_mov_b64 s[0:1], -1
	s_cbranch_scc0 .LBB70_2768
; %bb.2767:
	v_ashrrev_i32_e32 v1, 31, v0
	global_store_dwordx2 v[2:3], v[0:1], off
	s_mov_b64 s[0:1], 0
	s_mov_b64 s[10:11], -1
.LBB70_2768:
	s_mov_b64 s[12:13], 0
.LBB70_2769:
	s_and_b64 vcc, exec, s[12:13]
	s_cbranch_vccz .LBB70_2785
; %bb.2770:
	s_cmp_lt_i32 s17, 27
	s_mov_b64 s[10:11], -1
	s_cbranch_scc1 .LBB70_2776
; %bb.2771:
	s_cmp_gt_i32 s17, 27
	s_cbranch_scc0 .LBB70_2773
; %bb.2772:
	s_mov_b64 s[10:11], 0
	global_store_dword v[2:3], v0, off
.LBB70_2773:
	s_andn2_b64 vcc, exec, s[10:11]
	s_cbranch_vccnz .LBB70_2775
; %bb.2774:
	global_store_short v[2:3], v0, off
.LBB70_2775:
	s_mov_b64 s[10:11], 0
.LBB70_2776:
	s_andn2_b64 vcc, exec, s[10:11]
	s_cbranch_vccnz .LBB70_2784
; %bb.2777:
	v_cvt_f32_i32_e32 v1, v0
	s_mov_b32 s10, 0x43800000
	v_mov_b32_e32 v6, 0x80
	v_and_b32_e32 v5, 0x7fffffff, v1
	v_cmp_gt_u32_e32 vcc, s10, v5
	s_and_saveexec_b64 s[10:11], vcc
	s_cbranch_execz .LBB70_2783
; %bb.2778:
	s_mov_b32 s12, 0x3bffffff
	v_cmp_lt_u32_e32 vcc, s12, v5
	s_mov_b64 s[12:13], 0
                                        ; implicit-def: $vgpr5
	s_and_saveexec_b64 s[14:15], vcc
	s_xor_b64 s[14:15], exec, s[14:15]
	s_cbranch_execz .LBB70_3004
; %bb.2779:
	v_bfe_u32 v5, v1, 20, 1
	s_mov_b32 s21, 0x487ffff
	v_add3_u32 v5, v1, v5, s21
	s_mov_b64 s[12:13], exec
	v_lshrrev_b32_e32 v5, 20, v5
	s_andn2_saveexec_b64 s[14:15], s[14:15]
	s_cbranch_execnz .LBB70_3005
.LBB70_2780:
	s_or_b64 exec, exec, s[14:15]
	v_mov_b32_e32 v6, 0
	s_and_saveexec_b64 s[14:15], s[12:13]
.LBB70_2781:
	v_lshrrev_b32_e32 v1, 24, v1
	s_movk_i32 s12, 0x80
	v_and_or_b32 v6, v1, s12, v5
.LBB70_2782:
	s_or_b64 exec, exec, s[14:15]
.LBB70_2783:
	s_or_b64 exec, exec, s[10:11]
	global_store_byte v[2:3], v6, off
.LBB70_2784:
	s_mov_b64 s[10:11], -1
.LBB70_2785:
	s_mov_b64 s[12:13], 0
.LBB70_2786:
	s_and_b64 vcc, exec, s[12:13]
	s_cbranch_vccz .LBB70_2826
; %bb.2787:
	s_cmp_gt_i32 s17, 22
	s_mov_b64 s[2:3], -1
	s_cbranch_scc0 .LBB70_2819
; %bb.2788:
	s_cmp_lt_i32 s17, 24
	s_cbranch_scc1 .LBB70_2808
; %bb.2789:
	s_cmp_gt_i32 s17, 24
	s_cbranch_scc0 .LBB70_2797
; %bb.2790:
	v_cvt_f32_i32_e32 v1, v0
	s_mov_b32 s2, 0x47800000
	v_mov_b32_e32 v6, 0x80
	v_and_b32_e32 v5, 0x7fffffff, v1
	v_cmp_gt_u32_e32 vcc, s2, v5
	s_and_saveexec_b64 s[2:3], vcc
	s_cbranch_execz .LBB70_2796
; %bb.2791:
	s_mov_b32 s10, 0x37ffffff
	v_cmp_lt_u32_e32 vcc, s10, v5
	s_mov_b64 s[10:11], 0
                                        ; implicit-def: $vgpr5
	s_and_saveexec_b64 s[12:13], vcc
	s_xor_b64 s[12:13], exec, s[12:13]
	s_cbranch_execz .LBB70_3007
; %bb.2792:
	v_bfe_u32 v5, v1, 21, 1
	s_mov_b32 s14, 0x88fffff
	v_add3_u32 v5, v1, v5, s14
	s_mov_b64 s[10:11], exec
	v_lshrrev_b32_e32 v5, 21, v5
	s_andn2_saveexec_b64 s[12:13], s[12:13]
	s_cbranch_execnz .LBB70_3008
.LBB70_2793:
	s_or_b64 exec, exec, s[12:13]
	v_mov_b32_e32 v6, 0
	s_and_saveexec_b64 s[12:13], s[10:11]
.LBB70_2794:
	v_lshrrev_b32_e32 v1, 24, v1
	s_movk_i32 s10, 0x80
	v_and_or_b32 v6, v1, s10, v5
.LBB70_2795:
	s_or_b64 exec, exec, s[12:13]
.LBB70_2796:
	s_or_b64 exec, exec, s[2:3]
	s_mov_b64 s[2:3], 0
	global_store_byte v[2:3], v6, off
.LBB70_2797:
	s_and_b64 vcc, exec, s[2:3]
	s_cbranch_vccz .LBB70_2807
; %bb.2798:
	v_cvt_f32_i32_e32 v1, v0
	s_mov_b32 s2, 0x43f00000
                                        ; implicit-def: $vgpr5
	v_and_b32_e32 v6, 0x7fffffff, v1
	v_cmp_gt_u32_e32 vcc, s2, v6
	s_and_saveexec_b64 s[2:3], vcc
	s_xor_b64 s[2:3], exec, s[2:3]
	s_cbranch_execz .LBB70_2804
; %bb.2799:
	s_mov_b32 s10, 0x3c7fffff
	v_cmp_lt_u32_e32 vcc, s10, v6
                                        ; implicit-def: $vgpr5
	s_and_saveexec_b64 s[10:11], vcc
	s_xor_b64 s[10:11], exec, s[10:11]
; %bb.2800:
	v_bfe_u32 v5, v1, 20, 1
	s_mov_b32 s12, 0x407ffff
	v_add3_u32 v5, v1, v5, s12
	v_lshrrev_b32_e32 v6, 20, v5
	v_and_b32_e32 v5, 0xff00000, v5
	s_mov_b32 s12, 0x7f00000
	v_mov_b32_e32 v7, 0x7e
	v_cmp_ne_u32_e32 vcc, s12, v5
	v_cndmask_b32_e32 v5, v7, v6, vcc
; %bb.2801:
	s_andn2_saveexec_b64 s[10:11], s[10:11]
; %bb.2802:
	s_mov_b32 s12, 0x46800000
	v_add_f32_e64 v5, |v1|, s12
; %bb.2803:
	s_or_b64 exec, exec, s[10:11]
                                        ; implicit-def: $vgpr6
.LBB70_2804:
	s_andn2_saveexec_b64 s[2:3], s[2:3]
; %bb.2805:
	s_mov_b32 s10, 0x7f800000
	v_mov_b32_e32 v5, 0x7e
	v_mov_b32_e32 v7, 0x7f
	v_cmp_lt_u32_e32 vcc, s10, v6
	v_cndmask_b32_e32 v5, v5, v7, vcc
; %bb.2806:
	s_or_b64 exec, exec, s[2:3]
	v_lshrrev_b32_e32 v1, 24, v1
	s_movk_i32 s2, 0x80
	v_and_or_b32 v1, v1, s2, v5
	global_store_byte v[2:3], v1, off
.LBB70_2807:
	s_mov_b64 s[2:3], 0
.LBB70_2808:
	s_andn2_b64 vcc, exec, s[2:3]
	s_cbranch_vccnz .LBB70_2818
; %bb.2809:
	v_cvt_f32_i32_e32 v1, v0
	s_mov_b32 s2, 0x47800000
                                        ; implicit-def: $vgpr5
	v_and_b32_e32 v6, 0x7fffffff, v1
	v_cmp_gt_u32_e32 vcc, s2, v6
	s_and_saveexec_b64 s[2:3], vcc
	s_xor_b64 s[2:3], exec, s[2:3]
	s_cbranch_execz .LBB70_2815
; %bb.2810:
	s_mov_b32 s10, 0x387fffff
	v_cmp_lt_u32_e32 vcc, s10, v6
                                        ; implicit-def: $vgpr5
	s_and_saveexec_b64 s[10:11], vcc
	s_xor_b64 s[10:11], exec, s[10:11]
; %bb.2811:
	v_bfe_u32 v5, v1, 21, 1
	s_mov_b32 s12, 0x80fffff
	v_add3_u32 v5, v1, v5, s12
	v_lshrrev_b32_e32 v5, 21, v5
; %bb.2812:
	s_andn2_saveexec_b64 s[10:11], s[10:11]
; %bb.2813:
	s_mov_b32 s12, 0x43000000
	v_add_f32_e64 v5, |v1|, s12
; %bb.2814:
	s_or_b64 exec, exec, s[10:11]
                                        ; implicit-def: $vgpr6
.LBB70_2815:
	s_andn2_saveexec_b64 s[2:3], s[2:3]
; %bb.2816:
	s_mov_b32 s10, 0x7f800000
	v_mov_b32_e32 v5, 0x7c
	v_mov_b32_e32 v7, 0x7f
	v_cmp_lt_u32_e32 vcc, s10, v6
	v_cndmask_b32_e32 v5, v5, v7, vcc
; %bb.2817:
	s_or_b64 exec, exec, s[2:3]
	v_lshrrev_b32_e32 v1, 24, v1
	s_movk_i32 s2, 0x80
	v_and_or_b32 v1, v1, s2, v5
	global_store_byte v[2:3], v1, off
.LBB70_2818:
	s_mov_b64 s[2:3], 0
	s_mov_b64 s[10:11], -1
.LBB70_2819:
	s_andn2_b64 vcc, exec, s[2:3]
	s_mov_b64 s[2:3], 0
	s_cbranch_vccnz .LBB70_2826
; %bb.2820:
	s_cmp_gt_i32 s17, 14
	s_mov_b64 s[12:13], -1
	s_cbranch_scc0 .LBB70_2824
; %bb.2821:
	s_cmp_eq_u32 s17, 15
	s_mov_b64 s[0:1], -1
	s_cbranch_scc0 .LBB70_2823
; %bb.2822:
	v_cvt_f32_i32_e32 v1, v0
	s_movk_i32 s2, 0x7fff
	s_mov_b64 s[0:1], 0
	s_mov_b64 s[10:11], -1
	v_bfe_u32 v5, v1, 16, 1
	v_add3_u32 v1, v1, v5, s2
	global_store_short_d16_hi v[2:3], v1, off
.LBB70_2823:
	s_mov_b64 s[12:13], 0
.LBB70_2824:
	s_mov_b64 s[2:3], 0
	s_and_b64 vcc, exec, s[12:13]
	s_cbranch_vccz .LBB70_2826
; %bb.2825:
	s_cmp_lg_u32 s17, 11
	s_mov_b64 s[2:3], -1
	s_cselect_b64 s[0:1], -1, 0
.LBB70_2826:
	s_and_b64 vcc, exec, s[0:1]
	s_cbranch_vccnz .LBB70_3006
; %bb.2827:
	s_andn2_b64 vcc, exec, s[2:3]
	s_cbranch_vccnz .LBB70_2829
.LBB70_2828:
	v_cmp_ne_u32_e32 vcc, 0, v0
	v_cndmask_b32_e64 v1, 0, 1, vcc
	s_mov_b64 s[10:11], -1
	global_store_byte v[2:3], v1, off
.LBB70_2829:
	s_mov_b64 s[0:1], 0
	s_branch .LBB70_2831
.LBB70_2830:
	s_mov_b64 s[0:1], -1
	s_mov_b64 s[10:11], 0
.LBB70_2831:
	s_and_b64 vcc, exec, s[0:1]
	s_cbranch_vccz .LBB70_2870
; %bb.2832:
	s_and_b32 s2, 0xffff, s20
	s_cmp_lt_i32 s2, 5
	s_mov_b64 s[0:1], -1
	s_cbranch_scc1 .LBB70_2853
; %bb.2833:
	s_cmp_lt_i32 s2, 8
	s_cbranch_scc1 .LBB70_2843
; %bb.2834:
	s_cmp_lt_i32 s2, 9
	s_cbranch_scc1 .LBB70_2840
; %bb.2835:
	s_cmp_gt_i32 s2, 9
	s_cbranch_scc0 .LBB70_2837
; %bb.2836:
	v_cvt_f64_i32_e32 v[11:12], v0
	v_mov_b32_e32 v13, 0
	v_mov_b32_e32 v14, v13
	s_mov_b64 s[0:1], 0
	global_store_dwordx4 v[2:3], v[11:14], off
.LBB70_2837:
	s_andn2_b64 vcc, exec, s[0:1]
	s_cbranch_vccnz .LBB70_2839
; %bb.2838:
	v_cvt_f32_i32_e32 v5, v0
	v_mov_b32_e32 v6, 0
	global_store_dwordx2 v[2:3], v[5:6], off
.LBB70_2839:
	s_mov_b64 s[0:1], 0
.LBB70_2840:
	s_andn2_b64 vcc, exec, s[0:1]
	s_cbranch_vccnz .LBB70_2842
; %bb.2841:
	v_cvt_f32_i32_e32 v1, v0
	v_cvt_f16_f32_e32 v1, v1
	global_store_dword v[2:3], v1, off
.LBB70_2842:
	s_mov_b64 s[0:1], 0
.LBB70_2843:
	s_andn2_b64 vcc, exec, s[0:1]
	s_cbranch_vccnz .LBB70_2852
; %bb.2844:
	s_cmp_lt_i32 s2, 6
	s_mov_b64 s[0:1], -1
	s_cbranch_scc1 .LBB70_2850
; %bb.2845:
	s_cmp_gt_i32 s2, 6
	s_cbranch_scc0 .LBB70_2847
; %bb.2846:
	v_cvt_f64_i32_e32 v[5:6], v0
	s_mov_b64 s[0:1], 0
	global_store_dwordx2 v[2:3], v[5:6], off
.LBB70_2847:
	s_andn2_b64 vcc, exec, s[0:1]
	s_cbranch_vccnz .LBB70_2849
; %bb.2848:
	v_cvt_f32_i32_e32 v1, v0
	global_store_dword v[2:3], v1, off
.LBB70_2849:
	s_mov_b64 s[0:1], 0
.LBB70_2850:
	s_andn2_b64 vcc, exec, s[0:1]
	s_cbranch_vccnz .LBB70_2852
; %bb.2851:
	v_cvt_f32_i32_e32 v1, v0
	v_cvt_f16_f32_e32 v1, v1
	global_store_short v[2:3], v1, off
.LBB70_2852:
	s_mov_b64 s[0:1], 0
.LBB70_2853:
	s_andn2_b64 vcc, exec, s[0:1]
	s_cbranch_vccnz .LBB70_2869
; %bb.2854:
	s_cmp_lt_i32 s2, 2
	s_mov_b64 s[0:1], -1
	s_cbranch_scc1 .LBB70_2864
; %bb.2855:
	s_cmp_lt_i32 s2, 3
	s_cbranch_scc1 .LBB70_2861
; %bb.2856:
	s_cmp_gt_i32 s2, 3
	s_cbranch_scc0 .LBB70_2858
; %bb.2857:
	v_ashrrev_i32_e32 v1, 31, v0
	global_store_dwordx2 v[2:3], v[0:1], off
	s_mov_b64 s[0:1], 0
.LBB70_2858:
	s_andn2_b64 vcc, exec, s[0:1]
	s_cbranch_vccnz .LBB70_2860
; %bb.2859:
	global_store_dword v[2:3], v0, off
.LBB70_2860:
	s_mov_b64 s[0:1], 0
.LBB70_2861:
	s_andn2_b64 vcc, exec, s[0:1]
	s_cbranch_vccnz .LBB70_2863
; %bb.2862:
	global_store_short v[2:3], v0, off
.LBB70_2863:
	s_mov_b64 s[0:1], 0
.LBB70_2864:
	s_andn2_b64 vcc, exec, s[0:1]
	s_cbranch_vccnz .LBB70_2869
; %bb.2865:
	s_cmp_gt_i32 s2, 0
	s_mov_b64 s[0:1], -1
	s_cbranch_scc0 .LBB70_2867
; %bb.2866:
	global_store_byte v[2:3], v0, off
	s_mov_b64 s[0:1], 0
.LBB70_2867:
	s_andn2_b64 vcc, exec, s[0:1]
	s_cbranch_vccnz .LBB70_2869
; %bb.2868:
	global_store_byte v[2:3], v0, off
.LBB70_2869:
	s_mov_b64 s[10:11], -1
.LBB70_2870:
	s_andn2_b64 vcc, exec, s[10:11]
	s_cbranch_vccnz .LBB70_2947
; %bb.2871:
	v_lshlrev_b32_e32 v0, v10, v8
	v_cmp_gt_u32_e32 vcc, 32, v10
	v_cndmask_b32_e32 v2, 0, v0, vcc
	v_add_u32_e32 v0, s16, v4
	v_ashrrev_i32_e32 v1, 31, v0
	v_mov_b32_e32 v3, s9
	v_add_co_u32_e32 v0, vcc, s8, v0
	s_cmp_lt_i32 s20, 11
	v_addc_co_u32_e32 v1, vcc, v3, v1, vcc
	s_cbranch_scc1 .LBB70_2992
; %bb.2872:
	s_and_b32 s14, 0xffff, s20
	s_mov_b64 s[8:9], -1
	s_mov_b64 s[2:3], 0
	s_cmp_gt_i32 s14, 25
	s_mov_b64 s[0:1], 0
	s_cbranch_scc0 .LBB70_2905
; %bb.2873:
	s_cmp_gt_i32 s14, 28
	s_cbranch_scc0 .LBB70_2889
; %bb.2874:
	s_cmp_gt_i32 s14, 43
	;; [unrolled: 3-line block ×3, first 2 shown]
	s_cbranch_scc0 .LBB70_2879
; %bb.2876:
	s_cmp_eq_u32 s14, 46
	s_mov_b64 s[0:1], -1
	s_cbranch_scc0 .LBB70_2878
; %bb.2877:
	v_cvt_f32_i32_e32 v3, v2
	s_movk_i32 s0, 0x7fff
	v_bfe_u32 v4, v3, 16, 1
	v_add3_u32 v3, v3, v4, s0
	v_lshrrev_b32_e32 v3, 16, v3
	global_store_dword v[0:1], v3, off
	s_mov_b64 s[0:1], 0
.LBB70_2878:
	s_mov_b64 s[8:9], 0
.LBB70_2879:
	s_and_b64 vcc, exec, s[8:9]
	s_cbranch_vccz .LBB70_2884
; %bb.2880:
	s_cmp_eq_u32 s14, 44
	s_mov_b64 s[0:1], -1
	s_cbranch_scc0 .LBB70_2884
; %bb.2881:
	v_cvt_f32_i32_e32 v3, v2
	s_movk_i32 s0, 0xff
	v_mov_b32_e32 v5, 0xff
	v_bfe_u32 v4, v3, 23, 8
	v_cmp_ne_u32_e32 vcc, s0, v4
	s_and_saveexec_b64 s[8:9], vcc
; %bb.2882:
	s_mov_b32 s0, 0x3fffff
	v_lshrrev_b32_e32 v5, 23, v3
	v_and_b32_e32 v6, 0x400000, v3
	v_and_or_b32 v3, v3, s0, v4
	v_cmp_ne_u32_e32 vcc, 0, v6
	v_cmp_ne_u32_e64 s[0:1], 0, v3
	s_and_b64 s[0:1], vcc, s[0:1]
	v_cndmask_b32_e64 v3, 0, 1, s[0:1]
	v_add_u32_e32 v5, v5, v3
; %bb.2883:
	s_or_b64 exec, exec, s[8:9]
	s_mov_b64 s[0:1], 0
	global_store_byte v[0:1], v5, off
.LBB70_2884:
	s_mov_b64 s[8:9], 0
.LBB70_2885:
	s_and_b64 vcc, exec, s[8:9]
	s_cbranch_vccz .LBB70_2888
; %bb.2886:
	s_cmp_eq_u32 s14, 29
	s_mov_b64 s[0:1], -1
	s_cbranch_scc0 .LBB70_2888
; %bb.2887:
	v_ashrrev_i32_e32 v3, 31, v2
	global_store_dwordx2 v[0:1], v[2:3], off
	s_mov_b64 s[0:1], 0
.LBB70_2888:
	s_mov_b64 s[8:9], 0
.LBB70_2889:
	s_and_b64 vcc, exec, s[8:9]
	s_cbranch_vccz .LBB70_2904
; %bb.2890:
	s_cmp_lt_i32 s14, 27
	s_mov_b64 s[8:9], -1
	s_cbranch_scc1 .LBB70_2896
; %bb.2891:
	s_cmp_gt_i32 s14, 27
	s_cbranch_scc0 .LBB70_2893
; %bb.2892:
	global_store_dword v[0:1], v2, off
	s_mov_b64 s[8:9], 0
.LBB70_2893:
	s_andn2_b64 vcc, exec, s[8:9]
	s_cbranch_vccnz .LBB70_2895
; %bb.2894:
	global_store_short v[0:1], v2, off
.LBB70_2895:
	s_mov_b64 s[8:9], 0
.LBB70_2896:
	s_andn2_b64 vcc, exec, s[8:9]
	s_cbranch_vccnz .LBB70_2904
; %bb.2897:
	v_cvt_f32_i32_e32 v3, v2
	s_mov_b32 s8, 0x43800000
	v_mov_b32_e32 v5, 0x80
	v_and_b32_e32 v4, 0x7fffffff, v3
	v_cmp_gt_u32_e32 vcc, s8, v4
	s_and_saveexec_b64 s[8:9], vcc
	s_cbranch_execz .LBB70_2903
; %bb.2898:
	s_mov_b32 s10, 0x3bffffff
	v_cmp_lt_u32_e32 vcc, s10, v4
	s_mov_b64 s[10:11], 0
                                        ; implicit-def: $vgpr4
	s_and_saveexec_b64 s[12:13], vcc
	s_xor_b64 s[12:13], exec, s[12:13]
	s_cbranch_execz .LBB70_3009
; %bb.2899:
	v_bfe_u32 v4, v3, 20, 1
	s_mov_b32 s15, 0x487ffff
	v_add3_u32 v4, v3, v4, s15
	s_mov_b64 s[10:11], exec
	v_lshrrev_b32_e32 v4, 20, v4
	s_andn2_saveexec_b64 s[12:13], s[12:13]
	s_cbranch_execnz .LBB70_3010
.LBB70_2900:
	s_or_b64 exec, exec, s[12:13]
	v_mov_b32_e32 v5, 0
	s_and_saveexec_b64 s[12:13], s[10:11]
.LBB70_2901:
	v_lshrrev_b32_e32 v3, 24, v3
	s_movk_i32 s10, 0x80
	v_and_or_b32 v5, v3, s10, v4
.LBB70_2902:
	s_or_b64 exec, exec, s[12:13]
.LBB70_2903:
	s_or_b64 exec, exec, s[8:9]
	global_store_byte v[0:1], v5, off
.LBB70_2904:
	s_mov_b64 s[8:9], 0
.LBB70_2905:
	s_and_b64 vcc, exec, s[8:9]
	s_cbranch_vccz .LBB70_2945
; %bb.2906:
	s_cmp_gt_i32 s14, 22
	s_mov_b64 s[2:3], -1
	s_cbranch_scc0 .LBB70_2938
; %bb.2907:
	s_cmp_lt_i32 s14, 24
	s_cbranch_scc1 .LBB70_2927
; %bb.2908:
	s_cmp_gt_i32 s14, 24
	s_cbranch_scc0 .LBB70_2916
; %bb.2909:
	v_cvt_f32_i32_e32 v3, v2
	s_mov_b32 s2, 0x47800000
	v_mov_b32_e32 v5, 0x80
	v_and_b32_e32 v4, 0x7fffffff, v3
	v_cmp_gt_u32_e32 vcc, s2, v4
	s_and_saveexec_b64 s[2:3], vcc
	s_cbranch_execz .LBB70_2915
; %bb.2910:
	s_mov_b32 s8, 0x37ffffff
	v_cmp_lt_u32_e32 vcc, s8, v4
	s_mov_b64 s[8:9], 0
                                        ; implicit-def: $vgpr4
	s_and_saveexec_b64 s[10:11], vcc
	s_xor_b64 s[10:11], exec, s[10:11]
	s_cbranch_execz .LBB70_3012
; %bb.2911:
	v_bfe_u32 v4, v3, 21, 1
	s_mov_b32 s12, 0x88fffff
	v_add3_u32 v4, v3, v4, s12
	s_mov_b64 s[8:9], exec
	v_lshrrev_b32_e32 v4, 21, v4
	s_andn2_saveexec_b64 s[10:11], s[10:11]
	s_cbranch_execnz .LBB70_3013
.LBB70_2912:
	s_or_b64 exec, exec, s[10:11]
	v_mov_b32_e32 v5, 0
	s_and_saveexec_b64 s[10:11], s[8:9]
.LBB70_2913:
	v_lshrrev_b32_e32 v3, 24, v3
	s_movk_i32 s8, 0x80
	v_and_or_b32 v5, v3, s8, v4
.LBB70_2914:
	s_or_b64 exec, exec, s[10:11]
.LBB70_2915:
	s_or_b64 exec, exec, s[2:3]
	s_mov_b64 s[2:3], 0
	global_store_byte v[0:1], v5, off
.LBB70_2916:
	s_and_b64 vcc, exec, s[2:3]
	s_cbranch_vccz .LBB70_2926
; %bb.2917:
	v_cvt_f32_i32_e32 v3, v2
	s_mov_b32 s2, 0x43f00000
                                        ; implicit-def: $vgpr4
	v_and_b32_e32 v5, 0x7fffffff, v3
	v_cmp_gt_u32_e32 vcc, s2, v5
	s_and_saveexec_b64 s[2:3], vcc
	s_xor_b64 s[2:3], exec, s[2:3]
	s_cbranch_execz .LBB70_2923
; %bb.2918:
	s_mov_b32 s8, 0x3c7fffff
	v_cmp_lt_u32_e32 vcc, s8, v5
                                        ; implicit-def: $vgpr4
	s_and_saveexec_b64 s[8:9], vcc
	s_xor_b64 s[8:9], exec, s[8:9]
; %bb.2919:
	v_bfe_u32 v4, v3, 20, 1
	s_mov_b32 s10, 0x407ffff
	v_add3_u32 v4, v3, v4, s10
	v_lshrrev_b32_e32 v5, 20, v4
	v_and_b32_e32 v4, 0xff00000, v4
	s_mov_b32 s10, 0x7f00000
	v_mov_b32_e32 v6, 0x7e
	v_cmp_ne_u32_e32 vcc, s10, v4
	v_cndmask_b32_e32 v4, v6, v5, vcc
; %bb.2920:
	s_andn2_saveexec_b64 s[8:9], s[8:9]
; %bb.2921:
	s_mov_b32 s10, 0x46800000
	v_add_f32_e64 v4, |v3|, s10
; %bb.2922:
	s_or_b64 exec, exec, s[8:9]
                                        ; implicit-def: $vgpr5
.LBB70_2923:
	s_andn2_saveexec_b64 s[2:3], s[2:3]
; %bb.2924:
	s_mov_b32 s8, 0x7f800000
	v_mov_b32_e32 v4, 0x7e
	v_mov_b32_e32 v6, 0x7f
	v_cmp_lt_u32_e32 vcc, s8, v5
	v_cndmask_b32_e32 v4, v4, v6, vcc
; %bb.2925:
	s_or_b64 exec, exec, s[2:3]
	v_lshrrev_b32_e32 v3, 24, v3
	s_movk_i32 s2, 0x80
	v_and_or_b32 v3, v3, s2, v4
	global_store_byte v[0:1], v3, off
.LBB70_2926:
	s_mov_b64 s[2:3], 0
.LBB70_2927:
	s_andn2_b64 vcc, exec, s[2:3]
	s_cbranch_vccnz .LBB70_2937
; %bb.2928:
	v_cvt_f32_i32_e32 v3, v2
	s_mov_b32 s2, 0x47800000
                                        ; implicit-def: $vgpr4
	v_and_b32_e32 v5, 0x7fffffff, v3
	v_cmp_gt_u32_e32 vcc, s2, v5
	s_and_saveexec_b64 s[2:3], vcc
	s_xor_b64 s[2:3], exec, s[2:3]
	s_cbranch_execz .LBB70_2934
; %bb.2929:
	s_mov_b32 s8, 0x387fffff
	v_cmp_lt_u32_e32 vcc, s8, v5
                                        ; implicit-def: $vgpr4
	s_and_saveexec_b64 s[8:9], vcc
	s_xor_b64 s[8:9], exec, s[8:9]
; %bb.2930:
	v_bfe_u32 v4, v3, 21, 1
	s_mov_b32 s10, 0x80fffff
	v_add3_u32 v4, v3, v4, s10
	v_lshrrev_b32_e32 v4, 21, v4
; %bb.2931:
	s_andn2_saveexec_b64 s[8:9], s[8:9]
; %bb.2932:
	s_mov_b32 s10, 0x43000000
	v_add_f32_e64 v4, |v3|, s10
; %bb.2933:
	s_or_b64 exec, exec, s[8:9]
                                        ; implicit-def: $vgpr5
.LBB70_2934:
	s_andn2_saveexec_b64 s[2:3], s[2:3]
; %bb.2935:
	s_mov_b32 s8, 0x7f800000
	v_mov_b32_e32 v4, 0x7c
	v_mov_b32_e32 v6, 0x7f
	v_cmp_lt_u32_e32 vcc, s8, v5
	v_cndmask_b32_e32 v4, v4, v6, vcc
; %bb.2936:
	s_or_b64 exec, exec, s[2:3]
	v_lshrrev_b32_e32 v3, 24, v3
	s_movk_i32 s2, 0x80
	v_and_or_b32 v3, v3, s2, v4
	global_store_byte v[0:1], v3, off
.LBB70_2937:
	s_mov_b64 s[2:3], 0
.LBB70_2938:
	s_andn2_b64 vcc, exec, s[2:3]
	s_mov_b64 s[2:3], 0
	s_cbranch_vccnz .LBB70_2945
; %bb.2939:
	s_cmp_gt_i32 s14, 14
	s_mov_b64 s[8:9], -1
	s_cbranch_scc0 .LBB70_2943
; %bb.2940:
	s_cmp_eq_u32 s14, 15
	s_mov_b64 s[0:1], -1
	s_cbranch_scc0 .LBB70_2942
; %bb.2941:
	v_cvt_f32_i32_e32 v3, v2
	s_movk_i32 s0, 0x7fff
	v_bfe_u32 v4, v3, 16, 1
	v_add3_u32 v3, v3, v4, s0
	global_store_short_d16_hi v[0:1], v3, off
	s_mov_b64 s[0:1], 0
.LBB70_2942:
	s_mov_b64 s[8:9], 0
.LBB70_2943:
	s_and_b64 vcc, exec, s[8:9]
	s_cbranch_vccz .LBB70_2945
; %bb.2944:
	s_cmp_lg_u32 s14, 11
	s_mov_b64 s[2:3], -1
	s_cselect_b64 s[0:1], -1, 0
.LBB70_2945:
	s_and_b64 vcc, exec, s[0:1]
	s_cbranch_vccnz .LBB70_3011
.LBB70_2946:
	s_mov_b64 s[0:1], 0
	s_branch .LBB70_2948
.LBB70_2947:
	s_mov_b64 s[0:1], 0
	s_mov_b64 s[2:3], 0
                                        ; implicit-def: $sgpr20
                                        ; implicit-def: $vgpr0_vgpr1
                                        ; implicit-def: $vgpr2
.LBB70_2948:
	s_and_b64 s[16:17], s[2:3], exec
	s_andn2_b64 s[2:3], s[6:7], exec
	s_and_b64 s[6:7], s[18:19], exec
	s_and_b64 s[0:1], s[0:1], exec
	s_or_b64 s[6:7], s[2:3], s[6:7]
.LBB70_2949:
	s_or_b64 exec, exec, s[4:5]
	s_and_saveexec_b64 s[2:3], s[6:7]
	s_cbranch_execz .LBB70_2952
; %bb.2950:
	; divergent unreachable
	s_or_b64 exec, exec, s[2:3]
	s_and_saveexec_b64 s[2:3], s[16:17]
	s_xor_b64 s[2:3], exec, s[2:3]
	s_cbranch_execnz .LBB70_2953
.LBB70_2951:
	s_or_b64 exec, exec, s[2:3]
	s_and_saveexec_b64 s[2:3], s[0:1]
	s_cbranch_execnz .LBB70_2954
	s_branch .LBB70_2991
.LBB70_2952:
	s_or_b64 exec, exec, s[2:3]
	s_and_saveexec_b64 s[2:3], s[16:17]
	s_xor_b64 s[2:3], exec, s[2:3]
	s_cbranch_execz .LBB70_2951
.LBB70_2953:
	s_waitcnt vmcnt(0)
	v_cmp_ne_u32_e32 vcc, 0, v2
	v_cndmask_b32_e64 v3, 0, 1, vcc
	global_store_byte v[0:1], v3, off
	s_or_b64 exec, exec, s[2:3]
	s_and_saveexec_b64 s[2:3], s[0:1]
	s_cbranch_execz .LBB70_2991
.LBB70_2954:
	s_sext_i32_i16 s2, s20
	s_cmp_lt_i32 s2, 5
	s_mov_b64 s[0:1], -1
	s_cbranch_scc1 .LBB70_2975
; %bb.2955:
	s_cmp_lt_i32 s2, 8
	s_cbranch_scc1 .LBB70_2965
; %bb.2956:
	s_cmp_lt_i32 s2, 9
	s_cbranch_scc1 .LBB70_2962
; %bb.2957:
	s_cmp_gt_i32 s2, 9
	s_cbranch_scc0 .LBB70_2959
; %bb.2958:
	s_waitcnt vmcnt(0)
	v_cvt_f64_i32_e32 v[3:4], v2
	v_mov_b32_e32 v5, 0
	v_mov_b32_e32 v6, v5
	s_mov_b64 s[0:1], 0
	global_store_dwordx4 v[0:1], v[3:6], off
.LBB70_2959:
	s_andn2_b64 vcc, exec, s[0:1]
	s_cbranch_vccnz .LBB70_2961
; %bb.2960:
	s_waitcnt vmcnt(0)
	v_cvt_f32_i32_e32 v3, v2
	v_mov_b32_e32 v4, 0
	global_store_dwordx2 v[0:1], v[3:4], off
.LBB70_2961:
	s_mov_b64 s[0:1], 0
.LBB70_2962:
	s_andn2_b64 vcc, exec, s[0:1]
	s_cbranch_vccnz .LBB70_2964
; %bb.2963:
	s_waitcnt vmcnt(0)
	v_cvt_f32_i32_e32 v3, v2
	v_cvt_f16_f32_e32 v3, v3
	global_store_dword v[0:1], v3, off
.LBB70_2964:
	s_mov_b64 s[0:1], 0
.LBB70_2965:
	s_andn2_b64 vcc, exec, s[0:1]
	s_cbranch_vccnz .LBB70_2974
; %bb.2966:
	s_sext_i32_i16 s2, s20
	s_cmp_lt_i32 s2, 6
	s_mov_b64 s[0:1], -1
	s_cbranch_scc1 .LBB70_2972
; %bb.2967:
	s_cmp_gt_i32 s2, 6
	s_cbranch_scc0 .LBB70_2969
; %bb.2968:
	s_waitcnt vmcnt(0)
	v_cvt_f64_i32_e32 v[3:4], v2
	s_mov_b64 s[0:1], 0
	global_store_dwordx2 v[0:1], v[3:4], off
.LBB70_2969:
	s_andn2_b64 vcc, exec, s[0:1]
	s_cbranch_vccnz .LBB70_2971
; %bb.2970:
	s_waitcnt vmcnt(0)
	v_cvt_f32_i32_e32 v3, v2
	global_store_dword v[0:1], v3, off
.LBB70_2971:
	s_mov_b64 s[0:1], 0
.LBB70_2972:
	s_andn2_b64 vcc, exec, s[0:1]
	s_cbranch_vccnz .LBB70_2974
; %bb.2973:
	s_waitcnt vmcnt(0)
	v_cvt_f32_i32_e32 v3, v2
	v_cvt_f16_f32_e32 v3, v3
	global_store_short v[0:1], v3, off
.LBB70_2974:
	s_mov_b64 s[0:1], 0
.LBB70_2975:
	s_andn2_b64 vcc, exec, s[0:1]
	s_cbranch_vccnz .LBB70_2991
; %bb.2976:
	s_sext_i32_i16 s2, s20
	s_cmp_lt_i32 s2, 2
	s_mov_b64 s[0:1], -1
	s_cbranch_scc1 .LBB70_2986
; %bb.2977:
	s_cmp_lt_i32 s2, 3
	s_cbranch_scc1 .LBB70_2983
; %bb.2978:
	s_cmp_gt_i32 s2, 3
	s_cbranch_scc0 .LBB70_2980
; %bb.2979:
	s_waitcnt vmcnt(0)
	v_ashrrev_i32_e32 v3, 31, v2
	global_store_dwordx2 v[0:1], v[2:3], off
	s_mov_b64 s[0:1], 0
.LBB70_2980:
	s_andn2_b64 vcc, exec, s[0:1]
	s_cbranch_vccnz .LBB70_2982
; %bb.2981:
	s_waitcnt vmcnt(0)
	global_store_dword v[0:1], v2, off
.LBB70_2982:
	s_mov_b64 s[0:1], 0
.LBB70_2983:
	s_andn2_b64 vcc, exec, s[0:1]
	s_cbranch_vccnz .LBB70_2985
; %bb.2984:
	s_waitcnt vmcnt(0)
	global_store_short v[0:1], v2, off
.LBB70_2985:
	s_mov_b64 s[0:1], 0
.LBB70_2986:
	s_andn2_b64 vcc, exec, s[0:1]
	s_cbranch_vccnz .LBB70_2991
; %bb.2987:
	s_sext_i32_i16 s0, s20
	s_cmp_gt_i32 s0, 0
	s_mov_b64 s[0:1], -1
	s_cbranch_scc0 .LBB70_2989
; %bb.2988:
	s_waitcnt vmcnt(0)
	global_store_byte v[0:1], v2, off
	s_mov_b64 s[0:1], 0
.LBB70_2989:
	s_andn2_b64 vcc, exec, s[0:1]
	s_cbranch_vccnz .LBB70_2991
; %bb.2990:
	s_waitcnt vmcnt(0)
	global_store_byte v[0:1], v2, off
	s_endpgm
.LBB70_2991:
	s_endpgm
.LBB70_2992:
	s_mov_b64 s[2:3], 0
	s_mov_b64 s[0:1], -1
	s_branch .LBB70_2948
.LBB70_2993:
	s_trap 2
	s_or_b64 s[18:19], s[18:19], exec
	s_cbranch_execz .LBB70_2462
	s_branch .LBB70_2463
.LBB70_2994:
	s_andn2_saveexec_b64 s[16:17], s[16:17]
	s_cbranch_execz .LBB70_2542
.LBB70_2995:
	s_mov_b32 s21, 0x46000000
	v_add_f32_e64 v11, |v1|, s21
	v_and_b32_e32 v11, 0xff, v11
	v_cmp_ne_u32_e32 vcc, 0, v11
	s_andn2_b64 s[14:15], s[14:15], exec
	s_and_b64 s[22:23], vcc, exec
	s_or_b64 s[14:15], s[14:15], s[22:23]
	s_or_b64 exec, exec, s[16:17]
	v_mov_b32_e32 v12, 0
	s_and_saveexec_b64 s[16:17], s[14:15]
	s_cbranch_execnz .LBB70_2543
	s_branch .LBB70_2544
.LBB70_2996:
	s_trap 2
	s_or_b64 s[18:19], s[18:19], exec
	s_cbranch_execz .LBB70_2590
	s_branch .LBB70_2591
.LBB70_2997:
	s_andn2_saveexec_b64 s[14:15], s[14:15]
	s_cbranch_execz .LBB70_2555
.LBB70_2998:
	s_mov_b32 s16, 0x42800000
	v_add_f32_e64 v11, |v1|, s16
	v_and_b32_e32 v11, 0xff, v11
	v_cmp_ne_u32_e32 vcc, 0, v11
	s_andn2_b64 s[10:11], s[10:11], exec
	s_and_b64 s[16:17], vcc, exec
	s_or_b64 s[10:11], s[10:11], s[16:17]
	s_or_b64 exec, exec, s[14:15]
	v_mov_b32_e32 v12, 0
	s_and_saveexec_b64 s[14:15], s[10:11]
	s_cbranch_execnz .LBB70_2556
	s_branch .LBB70_2557
.LBB70_2999:
	s_andn2_saveexec_b64 s[14:15], s[14:15]
	s_cbranch_execz .LBB70_2661
.LBB70_3000:
	s_mov_b32 s21, 0x46000000
	v_add_f32_e64 v5, |v1|, s21
	v_and_b32_e32 v5, 0xff, v5
	v_cmp_ne_u32_e32 vcc, 0, v5
	s_andn2_b64 s[12:13], s[12:13], exec
	s_and_b64 s[22:23], vcc, exec
	s_or_b64 s[12:13], s[12:13], s[22:23]
	s_or_b64 exec, exec, s[14:15]
	v_mov_b32_e32 v7, 0
	s_and_saveexec_b64 s[14:15], s[12:13]
	s_cbranch_execnz .LBB70_2662
	s_branch .LBB70_2663
.LBB70_3001:
	s_trap 2
	s_or_b64 s[18:19], s[18:19], exec
	s_cbranch_execz .LBB70_2709
	s_branch .LBB70_2710
.LBB70_3002:
	s_andn2_saveexec_b64 s[12:13], s[12:13]
	s_cbranch_execz .LBB70_2674
.LBB70_3003:
	s_mov_b32 s14, 0x42800000
	v_add_f32_e64 v5, |v1|, s14
	v_and_b32_e32 v5, 0xff, v5
	v_cmp_ne_u32_e32 vcc, 0, v5
	s_andn2_b64 s[10:11], s[10:11], exec
	s_and_b64 s[14:15], vcc, exec
	s_or_b64 s[10:11], s[10:11], s[14:15]
	s_or_b64 exec, exec, s[12:13]
	v_mov_b32_e32 v7, 0
	s_and_saveexec_b64 s[12:13], s[10:11]
	s_cbranch_execnz .LBB70_2675
	s_branch .LBB70_2676
.LBB70_3004:
	s_andn2_saveexec_b64 s[14:15], s[14:15]
	s_cbranch_execz .LBB70_2780
.LBB70_3005:
	s_mov_b32 s21, 0x46000000
	v_add_f32_e64 v5, |v1|, s21
	v_and_b32_e32 v5, 0xff, v5
	v_cmp_ne_u32_e32 vcc, 0, v5
	s_andn2_b64 s[12:13], s[12:13], exec
	s_and_b64 s[22:23], vcc, exec
	s_or_b64 s[12:13], s[12:13], s[22:23]
	s_or_b64 exec, exec, s[14:15]
	v_mov_b32_e32 v6, 0
	s_and_saveexec_b64 s[14:15], s[12:13]
	s_cbranch_execnz .LBB70_2781
	s_branch .LBB70_2782
.LBB70_3006:
	s_trap 2
	s_or_b64 s[18:19], s[18:19], exec
	s_cbranch_execz .LBB70_2828
	s_branch .LBB70_2829
.LBB70_3007:
	s_andn2_saveexec_b64 s[12:13], s[12:13]
	s_cbranch_execz .LBB70_2793
.LBB70_3008:
	s_mov_b32 s14, 0x42800000
	v_add_f32_e64 v5, |v1|, s14
	v_and_b32_e32 v5, 0xff, v5
	v_cmp_ne_u32_e32 vcc, 0, v5
	s_andn2_b64 s[10:11], s[10:11], exec
	s_and_b64 s[14:15], vcc, exec
	s_or_b64 s[10:11], s[10:11], s[14:15]
	s_or_b64 exec, exec, s[12:13]
	v_mov_b32_e32 v6, 0
	s_and_saveexec_b64 s[12:13], s[10:11]
	s_cbranch_execnz .LBB70_2794
	s_branch .LBB70_2795
.LBB70_3009:
	s_andn2_saveexec_b64 s[12:13], s[12:13]
	s_cbranch_execz .LBB70_2900
.LBB70_3010:
	s_mov_b32 s15, 0x46000000
	v_add_f32_e64 v4, |v3|, s15
	v_and_b32_e32 v4, 0xff, v4
	v_cmp_ne_u32_e32 vcc, 0, v4
	s_andn2_b64 s[10:11], s[10:11], exec
	s_and_b64 s[16:17], vcc, exec
	s_or_b64 s[10:11], s[10:11], s[16:17]
	s_or_b64 exec, exec, s[12:13]
	v_mov_b32_e32 v5, 0
	s_and_saveexec_b64 s[12:13], s[10:11]
	s_cbranch_execnz .LBB70_2901
	s_branch .LBB70_2902
.LBB70_3011:
	s_mov_b64 s[2:3], 0
	s_or_b64 s[18:19], s[18:19], exec
	s_trap 2
	s_branch .LBB70_2946
.LBB70_3012:
	s_andn2_saveexec_b64 s[10:11], s[10:11]
	s_cbranch_execz .LBB70_2912
.LBB70_3013:
	s_mov_b32 s12, 0x42800000
	v_add_f32_e64 v4, |v3|, s12
	v_and_b32_e32 v4, 0xff, v4
	v_cmp_ne_u32_e32 vcc, 0, v4
	s_andn2_b64 s[8:9], s[8:9], exec
	s_and_b64 s[12:13], vcc, exec
	s_or_b64 s[8:9], s[8:9], s[12:13]
	s_or_b64 exec, exec, s[10:11]
	v_mov_b32_e32 v5, 0
	s_and_saveexec_b64 s[10:11], s[8:9]
	s_cbranch_execnz .LBB70_2913
	s_branch .LBB70_2914
	.section	.rodata,"a",@progbits
	.p2align	6, 0x0
	.amdhsa_kernel _ZN2at6native32elementwise_kernel_manual_unrollILi128ELi4EZNS0_15gpu_kernel_implINS0_13BinaryFunctorIiiiZZZNS0_18lshift_kernel_cudaERNS_18TensorIteratorBaseEENKUlvE_clEvENKUlvE1_clEvEUliiE_EEEEvS5_RKT_EUlibE_EEviT1_
		.amdhsa_group_segment_fixed_size 0
		.amdhsa_private_segment_fixed_size 0
		.amdhsa_kernarg_size 48
		.amdhsa_user_sgpr_count 6
		.amdhsa_user_sgpr_private_segment_buffer 1
		.amdhsa_user_sgpr_dispatch_ptr 0
		.amdhsa_user_sgpr_queue_ptr 0
		.amdhsa_user_sgpr_kernarg_segment_ptr 1
		.amdhsa_user_sgpr_dispatch_id 0
		.amdhsa_user_sgpr_flat_scratch_init 0
		.amdhsa_user_sgpr_private_segment_size 0
		.amdhsa_uses_dynamic_stack 0
		.amdhsa_system_sgpr_private_segment_wavefront_offset 0
		.amdhsa_system_sgpr_workgroup_id_x 1
		.amdhsa_system_sgpr_workgroup_id_y 0
		.amdhsa_system_sgpr_workgroup_id_z 0
		.amdhsa_system_sgpr_workgroup_info 0
		.amdhsa_system_vgpr_workitem_id 0
		.amdhsa_next_free_vgpr 16
		.amdhsa_next_free_sgpr 56
		.amdhsa_reserve_vcc 1
		.amdhsa_reserve_flat_scratch 0
		.amdhsa_float_round_mode_32 0
		.amdhsa_float_round_mode_16_64 0
		.amdhsa_float_denorm_mode_32 3
		.amdhsa_float_denorm_mode_16_64 3
		.amdhsa_dx10_clamp 1
		.amdhsa_ieee_mode 1
		.amdhsa_fp16_overflow 0
		.amdhsa_exception_fp_ieee_invalid_op 0
		.amdhsa_exception_fp_denorm_src 0
		.amdhsa_exception_fp_ieee_div_zero 0
		.amdhsa_exception_fp_ieee_overflow 0
		.amdhsa_exception_fp_ieee_underflow 0
		.amdhsa_exception_fp_ieee_inexact 0
		.amdhsa_exception_int_div_zero 0
	.end_amdhsa_kernel
	.section	.text._ZN2at6native32elementwise_kernel_manual_unrollILi128ELi4EZNS0_15gpu_kernel_implINS0_13BinaryFunctorIiiiZZZNS0_18lshift_kernel_cudaERNS_18TensorIteratorBaseEENKUlvE_clEvENKUlvE1_clEvEUliiE_EEEEvS5_RKT_EUlibE_EEviT1_,"axG",@progbits,_ZN2at6native32elementwise_kernel_manual_unrollILi128ELi4EZNS0_15gpu_kernel_implINS0_13BinaryFunctorIiiiZZZNS0_18lshift_kernel_cudaERNS_18TensorIteratorBaseEENKUlvE_clEvENKUlvE1_clEvEUliiE_EEEEvS5_RKT_EUlibE_EEviT1_,comdat
.Lfunc_end70:
	.size	_ZN2at6native32elementwise_kernel_manual_unrollILi128ELi4EZNS0_15gpu_kernel_implINS0_13BinaryFunctorIiiiZZZNS0_18lshift_kernel_cudaERNS_18TensorIteratorBaseEENKUlvE_clEvENKUlvE1_clEvEUliiE_EEEEvS5_RKT_EUlibE_EEviT1_, .Lfunc_end70-_ZN2at6native32elementwise_kernel_manual_unrollILi128ELi4EZNS0_15gpu_kernel_implINS0_13BinaryFunctorIiiiZZZNS0_18lshift_kernel_cudaERNS_18TensorIteratorBaseEENKUlvE_clEvENKUlvE1_clEvEUliiE_EEEEvS5_RKT_EUlibE_EEviT1_
                                        ; -- End function
	.set _ZN2at6native32elementwise_kernel_manual_unrollILi128ELi4EZNS0_15gpu_kernel_implINS0_13BinaryFunctorIiiiZZZNS0_18lshift_kernel_cudaERNS_18TensorIteratorBaseEENKUlvE_clEvENKUlvE1_clEvEUliiE_EEEEvS5_RKT_EUlibE_EEviT1_.num_vgpr, 16
	.set _ZN2at6native32elementwise_kernel_manual_unrollILi128ELi4EZNS0_15gpu_kernel_implINS0_13BinaryFunctorIiiiZZZNS0_18lshift_kernel_cudaERNS_18TensorIteratorBaseEENKUlvE_clEvENKUlvE1_clEvEUliiE_EEEEvS5_RKT_EUlibE_EEviT1_.num_agpr, 0
	.set _ZN2at6native32elementwise_kernel_manual_unrollILi128ELi4EZNS0_15gpu_kernel_implINS0_13BinaryFunctorIiiiZZZNS0_18lshift_kernel_cudaERNS_18TensorIteratorBaseEENKUlvE_clEvENKUlvE1_clEvEUliiE_EEEEvS5_RKT_EUlibE_EEviT1_.numbered_sgpr, 56
	.set _ZN2at6native32elementwise_kernel_manual_unrollILi128ELi4EZNS0_15gpu_kernel_implINS0_13BinaryFunctorIiiiZZZNS0_18lshift_kernel_cudaERNS_18TensorIteratorBaseEENKUlvE_clEvENKUlvE1_clEvEUliiE_EEEEvS5_RKT_EUlibE_EEviT1_.num_named_barrier, 0
	.set _ZN2at6native32elementwise_kernel_manual_unrollILi128ELi4EZNS0_15gpu_kernel_implINS0_13BinaryFunctorIiiiZZZNS0_18lshift_kernel_cudaERNS_18TensorIteratorBaseEENKUlvE_clEvENKUlvE1_clEvEUliiE_EEEEvS5_RKT_EUlibE_EEviT1_.private_seg_size, 0
	.set _ZN2at6native32elementwise_kernel_manual_unrollILi128ELi4EZNS0_15gpu_kernel_implINS0_13BinaryFunctorIiiiZZZNS0_18lshift_kernel_cudaERNS_18TensorIteratorBaseEENKUlvE_clEvENKUlvE1_clEvEUliiE_EEEEvS5_RKT_EUlibE_EEviT1_.uses_vcc, 1
	.set _ZN2at6native32elementwise_kernel_manual_unrollILi128ELi4EZNS0_15gpu_kernel_implINS0_13BinaryFunctorIiiiZZZNS0_18lshift_kernel_cudaERNS_18TensorIteratorBaseEENKUlvE_clEvENKUlvE1_clEvEUliiE_EEEEvS5_RKT_EUlibE_EEviT1_.uses_flat_scratch, 0
	.set _ZN2at6native32elementwise_kernel_manual_unrollILi128ELi4EZNS0_15gpu_kernel_implINS0_13BinaryFunctorIiiiZZZNS0_18lshift_kernel_cudaERNS_18TensorIteratorBaseEENKUlvE_clEvENKUlvE1_clEvEUliiE_EEEEvS5_RKT_EUlibE_EEviT1_.has_dyn_sized_stack, 0
	.set _ZN2at6native32elementwise_kernel_manual_unrollILi128ELi4EZNS0_15gpu_kernel_implINS0_13BinaryFunctorIiiiZZZNS0_18lshift_kernel_cudaERNS_18TensorIteratorBaseEENKUlvE_clEvENKUlvE1_clEvEUliiE_EEEEvS5_RKT_EUlibE_EEviT1_.has_recursion, 0
	.set _ZN2at6native32elementwise_kernel_manual_unrollILi128ELi4EZNS0_15gpu_kernel_implINS0_13BinaryFunctorIiiiZZZNS0_18lshift_kernel_cudaERNS_18TensorIteratorBaseEENKUlvE_clEvENKUlvE1_clEvEUliiE_EEEEvS5_RKT_EUlibE_EEviT1_.has_indirect_call, 0
	.section	.AMDGPU.csdata,"",@progbits
; Kernel info:
; codeLenInByte = 43608
; TotalNumSgprs: 60
; NumVgprs: 16
; ScratchSize: 0
; MemoryBound: 1
; FloatMode: 240
; IeeeMode: 1
; LDSByteSize: 0 bytes/workgroup (compile time only)
; SGPRBlocks: 7
; VGPRBlocks: 3
; NumSGPRsForWavesPerEU: 60
; NumVGPRsForWavesPerEU: 16
; Occupancy: 10
; WaveLimiterHint : 0
; COMPUTE_PGM_RSRC2:SCRATCH_EN: 0
; COMPUTE_PGM_RSRC2:USER_SGPR: 6
; COMPUTE_PGM_RSRC2:TRAP_HANDLER: 0
; COMPUTE_PGM_RSRC2:TGID_X_EN: 1
; COMPUTE_PGM_RSRC2:TGID_Y_EN: 0
; COMPUTE_PGM_RSRC2:TGID_Z_EN: 0
; COMPUTE_PGM_RSRC2:TIDIG_COMP_CNT: 0
	.section	.text._ZN2at6native32elementwise_kernel_manual_unrollILi128ELi4EZNS0_15gpu_kernel_implINS0_13BinaryFunctorIiiiZZZNS0_18lshift_kernel_cudaERNS_18TensorIteratorBaseEENKUlvE_clEvENKUlvE1_clEvEUliiE_EEEEvS5_RKT_EUlibE0_EEviT1_,"axG",@progbits,_ZN2at6native32elementwise_kernel_manual_unrollILi128ELi4EZNS0_15gpu_kernel_implINS0_13BinaryFunctorIiiiZZZNS0_18lshift_kernel_cudaERNS_18TensorIteratorBaseEENKUlvE_clEvENKUlvE1_clEvEUliiE_EEEEvS5_RKT_EUlibE0_EEviT1_,comdat
	.globl	_ZN2at6native32elementwise_kernel_manual_unrollILi128ELi4EZNS0_15gpu_kernel_implINS0_13BinaryFunctorIiiiZZZNS0_18lshift_kernel_cudaERNS_18TensorIteratorBaseEENKUlvE_clEvENKUlvE1_clEvEUliiE_EEEEvS5_RKT_EUlibE0_EEviT1_ ; -- Begin function _ZN2at6native32elementwise_kernel_manual_unrollILi128ELi4EZNS0_15gpu_kernel_implINS0_13BinaryFunctorIiiiZZZNS0_18lshift_kernel_cudaERNS_18TensorIteratorBaseEENKUlvE_clEvENKUlvE1_clEvEUliiE_EEEEvS5_RKT_EUlibE0_EEviT1_
	.p2align	8
	.type	_ZN2at6native32elementwise_kernel_manual_unrollILi128ELi4EZNS0_15gpu_kernel_implINS0_13BinaryFunctorIiiiZZZNS0_18lshift_kernel_cudaERNS_18TensorIteratorBaseEENKUlvE_clEvENKUlvE1_clEvEUliiE_EEEEvS5_RKT_EUlibE0_EEviT1_,@function
_ZN2at6native32elementwise_kernel_manual_unrollILi128ELi4EZNS0_15gpu_kernel_implINS0_13BinaryFunctorIiiiZZZNS0_18lshift_kernel_cudaERNS_18TensorIteratorBaseEENKUlvE_clEvENKUlvE1_clEvEUliiE_EEEEvS5_RKT_EUlibE0_EEviT1_: ; @_ZN2at6native32elementwise_kernel_manual_unrollILi128ELi4EZNS0_15gpu_kernel_implINS0_13BinaryFunctorIiiiZZZNS0_18lshift_kernel_cudaERNS_18TensorIteratorBaseEENKUlvE_clEvENKUlvE1_clEvEUliiE_EEEEvS5_RKT_EUlibE0_EEviT1_
; %bb.0:
	s_load_dword s66, s[4:5], 0x0
	s_load_dword s33, s[4:5], 0x8
	s_add_u32 s2, s4, 8
	s_addc_u32 s3, s5, 0
	v_lshl_or_b32 v8, s6, 9, v0
	v_or_b32_e32 v23, 0x180, v8
	s_waitcnt lgkmcnt(0)
	s_add_i32 s68, s33, -1
	s_cmp_gt_u32 s68, 1
	v_cmp_le_i32_e32 vcc, s66, v23
	s_cselect_b64 s[20:21], -1, 0
	s_mov_b64 s[6:7], 0
	s_mov_b64 s[12:13], 0
	s_and_saveexec_b64 s[0:1], vcc
	s_xor_b64 s[22:23], exec, s[0:1]
	s_cbranch_execz .LBB71_1557
; %bb.1:
	v_mov_b32_e32 v0, 0
	global_load_ushort v1, v0, s[2:3] offset:417
	global_load_sbyte v2, v0, s[2:3] offset:419
	s_load_dwordx4 s[16:19], s[2:3], 0x4
	s_load_dwordx2 s[28:29], s[2:3], 0x14
	s_load_dwordx4 s[12:15], s[2:3], 0xc4
	s_load_dwordx2 s[26:27], s[2:3], 0xd4
	s_load_dwordx2 s[24:25], s[2:3], 0x198
	s_load_dwordx4 s[8:11], s[2:3], 0x188
	s_cmp_lg_u32 s33, 0
	s_cselect_b64 s[34:35], -1, 0
	s_min_u32 s72, s68, 15
	s_cmp_gt_u32 s33, 1
	v_cmp_gt_i32_e32 vcc, s66, v8
	s_mov_b64 s[0:1], -1
	s_mov_b64 s[46:47], 0
	s_mov_b64 s[40:41], 0
	;; [unrolled: 1-line block ×3, first 2 shown]
	s_cselect_b64 s[30:31], -1, 0
	s_mov_b64 s[36:37], 0
	s_waitcnt vmcnt(1)
	v_readfirstlane_b32 s69, v1
	s_waitcnt vmcnt(0)
	v_readfirstlane_b32 s70, v2
	s_lshr_b32 s71, s69, 8
	s_and_saveexec_b64 s[42:43], vcc
	s_cbranch_execz .LBB71_386
; %bb.2:
	s_andn2_b64 vcc, exec, s[20:21]
	s_cbranch_vccnz .LBB71_8
; %bb.3:
	s_andn2_b64 vcc, exec, s[34:35]
	s_cbranch_vccnz .LBB71_9
; %bb.4:
	s_add_i32 s0, s72, 1
	s_and_b32 s36, s0, 30
	s_add_u32 s0, s2, 0xffffffe8
	s_addc_u32 s1, s3, -1
	v_mov_b32_e32 v2, 0
	v_mov_b32_e32 v4, 0
	;; [unrolled: 1-line block ×4, first 2 shown]
.LBB71_5:                               ; =>This Inner Loop Header: Depth=1
	s_load_dwordx4 s[48:51], s[0:1], 0x1c
	s_load_dwordx2 s[38:39], s[0:1], 0x2c
	s_load_dwordx2 s[40:41], s[0:1], 0xec
	s_load_dwordx4 s[52:55], s[0:1], 0xdc
	s_add_u32 s0, s0, 24
	s_waitcnt lgkmcnt(0)
	v_mul_hi_u32 v3, s49, v1
	s_addc_u32 s1, s1, 0
	s_add_i32 s36, s36, -2
	s_cmp_lg_u32 s36, 0
	v_add_u32_e32 v3, v1, v3
	v_lshrrev_b32_e32 v3, s50, v3
	v_mul_lo_u32 v5, v3, s48
	v_mul_hi_u32 v6, s38, v3
	v_sub_u32_e32 v5, v1, v5
	v_add_u32_e32 v1, v3, v6
	v_lshrrev_b32_e32 v1, s39, v1
	v_mul_lo_u32 v9, v1, s51
	v_mul_lo_u32 v6, v5, s52
	;; [unrolled: 1-line block ×4, first 2 shown]
	v_sub_u32_e32 v3, v3, v9
	v_mul_lo_u32 v9, v3, s55
	v_mul_lo_u32 v10, v3, s40
	;; [unrolled: 1-line block ×3, first 2 shown]
	v_add3_u32 v0, v6, v0, v9
	v_add3_u32 v4, v7, v4, v10
	;; [unrolled: 1-line block ×3, first 2 shown]
	s_cbranch_scc1 .LBB71_5
; %bb.6:
	s_bitcmp1_b32 s72, 0
	s_cselect_b64 s[36:37], -1, 0
	s_and_b64 vcc, exec, s[36:37]
	s_cbranch_vccnz .LBB71_10
; %bb.7:
	s_load_dwordx2 s[36:37], s[0:1], 0x1c
	s_load_dword s40, s[0:1], 0x24
	s_load_dwordx2 s[38:39], s[0:1], 0xdc
	s_waitcnt lgkmcnt(0)
	v_mul_hi_u32 v3, s37, v1
	v_add_u32_e32 v3, v1, v3
	v_lshrrev_b32_e32 v3, s40, v3
	v_mul_lo_u32 v3, v3, s36
	s_load_dword s36, s[0:1], 0xe4
	v_sub_u32_e32 v3, v1, v3
	v_mad_u64_u32 v[0:1], s[0:1], v3, s38, v[0:1]
	v_mad_u64_u32 v[4:5], s[0:1], v3, s39, v[4:5]
	s_waitcnt lgkmcnt(0)
	v_mad_u64_u32 v[2:3], s[0:1], v3, s36, v[2:3]
	s_cbranch_execz .LBB71_11
	s_branch .LBB71_13
.LBB71_8:
                                        ; implicit-def: $vgpr0
                                        ; implicit-def: $vgpr4
                                        ; implicit-def: $vgpr2
	s_andn2_b64 vcc, exec, s[0:1]
	s_cbranch_vccz .LBB71_11
	s_branch .LBB71_13
.LBB71_9:
	v_mov_b32_e32 v0, 0
	v_mov_b32_e32 v4, 0
	;; [unrolled: 1-line block ×3, first 2 shown]
.LBB71_10:
	s_cbranch_execnz .LBB71_13
.LBB71_11:
	s_waitcnt lgkmcnt(0)
	v_mul_hi_u32 v0, s17, v8
	s_andn2_b64 vcc, exec, s[30:31]
	v_add_u32_e32 v0, v8, v0
	v_lshrrev_b32_e32 v1, s18, v0
	v_mul_lo_u32 v0, v1, s16
	v_sub_u32_e32 v2, v8, v0
	v_mul_lo_u32 v0, v2, s12
	v_mul_lo_u32 v4, v2, s13
	;; [unrolled: 1-line block ×3, first 2 shown]
	s_cbranch_vccnz .LBB71_13
; %bb.12:
	v_mul_hi_u32 v3, s28, v1
	v_add_u32_e32 v3, v1, v3
	v_lshrrev_b32_e32 v3, s29, v3
	v_mul_lo_u32 v3, v3, s19
	v_sub_u32_e32 v3, v1, v3
	v_mad_u64_u32 v[0:1], s[0:1], v3, s15, v[0:1]
	v_mad_u64_u32 v[4:5], s[0:1], v3, s26, v[4:5]
	;; [unrolled: 1-line block ×3, first 2 shown]
.LBB71_13:
	s_waitcnt lgkmcnt(0)
	v_mov_b32_e32 v1, s11
	s_and_b32 s38, s71, 0xff
	v_add_co_u32_e32 v3, vcc, s10, v4
	s_cmp_lt_i32 s38, 11
	v_addc_co_u32_e32 v4, vcc, 0, v1, vcc
	s_cbranch_scc1 .LBB71_20
; %bb.14:
	s_and_b32 s39, 0xffff, s38
	s_cmp_gt_i32 s39, 25
	s_cbranch_scc0 .LBB71_29
; %bb.15:
	s_cmp_gt_i32 s39, 28
	s_cbranch_scc0 .LBB71_39
; %bb.16:
	;; [unrolled: 3-line block ×4, first 2 shown]
	s_cmp_eq_u32 s39, 46
	s_mov_b64 s[36:37], 0
	s_cbranch_scc0 .LBB71_48
; %bb.19:
	global_load_dword v1, v[3:4], off
	s_mov_b64 s[0:1], -1
	s_mov_b64 s[40:41], 0
	s_waitcnt vmcnt(0)
	v_lshlrev_b32_e32 v1, 16, v1
	v_cvt_i32_f32_e32 v5, v1
	s_branch .LBB71_50
.LBB71_20:
	s_mov_b64 s[40:41], 0
                                        ; implicit-def: $vgpr5
	s_mov_b64 s[0:1], 0
	s_cbranch_execnz .LBB71_112
.LBB71_21:
	s_andn2_b64 vcc, exec, s[0:1]
	s_cbranch_vccnz .LBB71_159
.LBB71_22:
	v_mov_b32_e32 v3, s25
	s_and_b32 s44, s70, 0xff
	v_add_co_u32_e32 v1, vcc, s24, v2
	s_cmp_lt_i32 s44, 11
	v_addc_co_u32_e32 v2, vcc, 0, v3, vcc
	s_cbranch_scc1 .LBB71_30
; %bb.23:
	s_and_b32 s45, 0xffff, s44
	s_cmp_gt_i32 s45, 25
	s_cbranch_scc0 .LBB71_40
; %bb.24:
	s_cmp_gt_i32 s45, 28
	s_cbranch_scc0 .LBB71_43
; %bb.25:
	;; [unrolled: 3-line block ×4, first 2 shown]
	s_cmp_eq_u32 s45, 46
	s_mov_b64 s[36:37], 0
	s_cbranch_scc0 .LBB71_160
; %bb.28:
	global_load_dword v3, v[1:2], off
	s_mov_b64 s[0:1], -1
	s_mov_b64 s[38:39], 0
	s_waitcnt vmcnt(0)
	v_lshlrev_b32_e32 v3, 16, v3
	v_cvt_i32_f32_e32 v3, v3
	s_branch .LBB71_162
.LBB71_29:
	s_mov_b64 s[40:41], 0
	s_mov_b64 s[0:1], 0
                                        ; implicit-def: $vgpr5
	s_cbranch_execnz .LBB71_79
	s_branch .LBB71_111
.LBB71_30:
	s_mov_b64 s[38:39], 0
                                        ; implicit-def: $vgpr3
	s_mov_b64 s[0:1], 0
	s_cbranch_execnz .LBB71_335
.LBB71_31:
	s_andn2_b64 vcc, exec, s[0:1]
	s_cbranch_vccnz .LBB71_383
.LBB71_32:
	s_waitcnt vmcnt(0)
	v_lshlrev_b32_e32 v1, v3, v5
	v_cmp_gt_u32_e32 vcc, 32, v3
	v_cndmask_b32_e32 v1, 0, v1, vcc
	v_mov_b32_e32 v2, s9
	s_and_b32 s50, s69, 0xff
	v_add_co_u32_e32 v3, vcc, s8, v0
	s_cmp_lt_i32 s50, 11
	v_addc_co_u32_e32 v4, vcc, 0, v2, vcc
	s_cbranch_scc1 .LBB71_41
; %bb.33:
	s_and_b32 s51, 0xffff, s50
	s_cmp_gt_i32 s51, 25
	s_cbranch_scc0 .LBB71_44
; %bb.34:
	s_cmp_gt_i32 s51, 28
	s_cbranch_scc0 .LBB71_47
; %bb.35:
	;; [unrolled: 3-line block ×4, first 2 shown]
	s_mov_b64 s[44:45], 0
	s_mov_b64 s[0:1], -1
	s_cmp_eq_u32 s51, 46
	s_mov_b64 s[36:37], 0
	s_cbranch_scc0 .LBB71_166
; %bb.38:
	v_cvt_f32_i32_e32 v0, v1
	s_movk_i32 s0, 0x7fff
	s_mov_b64 s[36:37], -1
	v_bfe_u32 v2, v0, 16, 1
	v_add3_u32 v0, v0, v2, s0
	v_lshrrev_b32_e32 v0, 16, v0
	global_store_dword v[3:4], v0, off
	s_mov_b64 s[0:1], 0
	s_branch .LBB71_166
.LBB71_39:
	s_mov_b64 s[36:37], -1
	s_mov_b64 s[40:41], 0
	s_mov_b64 s[0:1], 0
                                        ; implicit-def: $vgpr5
	s_branch .LBB71_62
.LBB71_40:
	s_mov_b64 s[36:37], -1
	s_mov_b64 s[38:39], 0
	s_mov_b64 s[0:1], 0
                                        ; implicit-def: $vgpr3
	s_branch .LBB71_301
.LBB71_41:
	s_mov_b64 s[44:45], -1
	s_mov_b64 s[0:1], 0
	s_mov_b64 s[36:37], 0
	s_branch .LBB71_235
.LBB71_42:
	s_mov_b64 s[36:37], -1
	s_mov_b64 s[40:41], 0
	s_mov_b64 s[0:1], 0
                                        ; implicit-def: $vgpr5
	s_branch .LBB71_57
.LBB71_43:
	s_mov_b64 s[36:37], -1
	s_mov_b64 s[38:39], 0
	s_mov_b64 s[0:1], 0
                                        ; implicit-def: $vgpr3
	s_branch .LBB71_284
.LBB71_44:
	s_mov_b64 s[44:45], -1
	s_mov_b64 s[0:1], 0
	s_mov_b64 s[36:37], 0
	s_branch .LBB71_193
.LBB71_45:
	s_mov_b64 s[36:37], -1
	s_mov_b64 s[40:41], 0
	s_branch .LBB71_49
.LBB71_46:
	s_mov_b64 s[36:37], -1
	s_mov_b64 s[38:39], 0
	s_mov_b64 s[0:1], 0
                                        ; implicit-def: $vgpr3
	s_branch .LBB71_279
.LBB71_47:
	s_mov_b64 s[44:45], -1
	s_mov_b64 s[0:1], 0
	s_mov_b64 s[36:37], 0
	s_branch .LBB71_176
.LBB71_48:
	s_mov_b64 s[40:41], -1
.LBB71_49:
	s_mov_b64 s[0:1], 0
                                        ; implicit-def: $vgpr5
.LBB71_50:
	s_and_b64 vcc, exec, s[36:37]
	s_cbranch_vccz .LBB71_56
; %bb.51:
	s_cmp_eq_u32 s39, 44
	s_cbranch_scc0 .LBB71_55
; %bb.52:
	global_load_ubyte v1, v[3:4], off
	s_mov_b64 s[0:1], -1
	s_mov_b64 s[40:41], 0
	s_waitcnt vmcnt(0)
	v_lshlrev_b32_e32 v5, 23, v1
	v_cvt_i32_f32_e32 v5, v5
	v_cmp_ne_u32_e32 vcc, 0, v1
	v_cndmask_b32_e32 v5, 0, v5, vcc
	s_branch .LBB71_56
.LBB71_53:
	s_mov_b64 s[36:37], -1
	s_mov_b64 s[38:39], 0
	s_branch .LBB71_161
.LBB71_54:
	s_mov_b64 s[44:45], -1
	s_mov_b64 s[0:1], 0
	s_mov_b64 s[36:37], 0
	s_branch .LBB71_172
.LBB71_55:
	s_mov_b64 s[40:41], -1
                                        ; implicit-def: $vgpr5
.LBB71_56:
	s_mov_b64 s[36:37], 0
.LBB71_57:
	s_and_b64 vcc, exec, s[36:37]
	s_cbranch_vccz .LBB71_61
; %bb.58:
	s_cmp_eq_u32 s39, 29
	s_cbranch_scc0 .LBB71_60
; %bb.59:
	global_load_dword v5, v[3:4], off
	s_mov_b64 s[0:1], -1
	s_mov_b64 s[40:41], 0
	s_branch .LBB71_61
.LBB71_60:
	s_mov_b64 s[40:41], -1
                                        ; implicit-def: $vgpr5
.LBB71_61:
	s_mov_b64 s[36:37], 0
.LBB71_62:
	s_and_b64 vcc, exec, s[36:37]
	s_cbranch_vccz .LBB71_78
; %bb.63:
	s_cmp_lt_i32 s39, 27
	s_cbranch_scc1 .LBB71_66
; %bb.64:
	s_cmp_gt_i32 s39, 27
	s_cbranch_scc0 .LBB71_67
; %bb.65:
	global_load_dword v5, v[3:4], off
	s_mov_b64 s[0:1], 0
	s_branch .LBB71_68
.LBB71_66:
	s_mov_b64 s[0:1], -1
                                        ; implicit-def: $vgpr5
	s_branch .LBB71_71
.LBB71_67:
	s_mov_b64 s[0:1], -1
                                        ; implicit-def: $vgpr5
.LBB71_68:
	s_andn2_b64 vcc, exec, s[0:1]
	s_cbranch_vccnz .LBB71_70
; %bb.69:
	global_load_ushort v5, v[3:4], off
.LBB71_70:
	s_mov_b64 s[0:1], 0
.LBB71_71:
	s_andn2_b64 vcc, exec, s[0:1]
	s_cbranch_vccnz .LBB71_77
; %bb.72:
	global_load_ubyte v1, v[3:4], off
	s_movk_i32 s0, 0x7f
	s_mov_b64 s[36:37], 0
	s_waitcnt vmcnt(0)
	v_cmp_lt_i16_e32 vcc, s0, v1
	s_and_saveexec_b64 s[0:1], vcc
	s_xor_b64 s[0:1], exec, s[0:1]
	s_cbranch_execz .LBB71_88
; %bb.73:
	s_movk_i32 s36, 0x80
	v_cmp_ne_u16_e32 vcc, s36, v1
	s_and_b64 s[36:37], vcc, exec
	s_andn2_saveexec_b64 s[0:1], s[0:1]
	s_cbranch_execnz .LBB71_89
.LBB71_74:
	s_or_b64 exec, exec, s[0:1]
	v_mov_b32_e32 v5, 0
	s_and_saveexec_b64 s[0:1], s[36:37]
	s_cbranch_execz .LBB71_76
.LBB71_75:
	v_lshlrev_b32_e32 v5, 24, v1
	v_and_b32_e32 v1, 0xffff, v1
	v_and_b32_e32 v6, 7, v1
	v_ffbh_u32_e32 v9, v6
	v_min_u32_e32 v9, 32, v9
	v_subrev_u32_e32 v10, 28, v9
	v_bfe_u32 v7, v1, 3, 4
	v_lshlrev_b32_e32 v1, v10, v1
	v_sub_u32_e32 v9, 29, v9
	v_and_b32_e32 v1, 7, v1
	v_cmp_eq_u32_e32 vcc, 0, v7
	v_cndmask_b32_e32 v7, v7, v9, vcc
	v_cndmask_b32_e32 v1, v6, v1, vcc
	v_mov_b32_e32 v6, 0x3b800000
	v_lshlrev_b32_e32 v1, 20, v1
	v_and_b32_e32 v5, 0x80000000, v5
	v_lshl_add_u32 v6, v7, 23, v6
	v_or3_b32 v1, v5, v6, v1
	v_cvt_i32_f32_e32 v5, v1
.LBB71_76:
	s_or_b64 exec, exec, s[0:1]
.LBB71_77:
	s_mov_b64 s[0:1], -1
.LBB71_78:
	s_branch .LBB71_111
.LBB71_79:
	s_cmp_gt_i32 s39, 22
	s_cbranch_scc0 .LBB71_87
; %bb.80:
	s_cmp_lt_i32 s39, 24
	s_cbranch_scc1 .LBB71_90
; %bb.81:
	s_cmp_gt_i32 s39, 24
	s_cbranch_scc0 .LBB71_91
; %bb.82:
	global_load_ubyte v1, v[3:4], off
	s_movk_i32 s0, 0x7f
	s_mov_b64 s[36:37], 0
	s_waitcnt vmcnt(0)
	v_cmp_lt_i16_e32 vcc, s0, v1
	s_and_saveexec_b64 s[0:1], vcc
	s_xor_b64 s[0:1], exec, s[0:1]
	s_cbranch_execz .LBB71_103
; %bb.83:
	s_movk_i32 s36, 0x80
	v_cmp_ne_u16_e32 vcc, s36, v1
	s_and_b64 s[36:37], vcc, exec
	s_andn2_saveexec_b64 s[0:1], s[0:1]
	s_cbranch_execnz .LBB71_104
.LBB71_84:
	s_or_b64 exec, exec, s[0:1]
	v_mov_b32_e32 v5, 0
	s_and_saveexec_b64 s[0:1], s[36:37]
	s_cbranch_execz .LBB71_86
.LBB71_85:
	v_lshlrev_b32_e32 v5, 24, v1
	v_and_b32_e32 v1, 0xffff, v1
	v_and_b32_e32 v6, 3, v1
	v_ffbh_u32_e32 v9, v6
	v_min_u32_e32 v9, 32, v9
	v_subrev_u32_e32 v10, 29, v9
	v_bfe_u32 v7, v1, 2, 5
	v_lshlrev_b32_e32 v1, v10, v1
	v_sub_u32_e32 v9, 30, v9
	v_and_b32_e32 v1, 3, v1
	v_cmp_eq_u32_e32 vcc, 0, v7
	v_cndmask_b32_e32 v7, v7, v9, vcc
	v_cndmask_b32_e32 v1, v6, v1, vcc
	v_mov_b32_e32 v6, 0x37800000
	v_lshlrev_b32_e32 v1, 21, v1
	v_and_b32_e32 v5, 0x80000000, v5
	v_lshl_add_u32 v6, v7, 23, v6
	v_or3_b32 v1, v5, v6, v1
	v_cvt_i32_f32_e32 v5, v1
.LBB71_86:
	s_or_b64 exec, exec, s[0:1]
	s_mov_b64 s[0:1], 0
	s_branch .LBB71_92
.LBB71_87:
	s_mov_b64 s[36:37], -1
                                        ; implicit-def: $vgpr5
	s_branch .LBB71_98
.LBB71_88:
	s_andn2_saveexec_b64 s[0:1], s[0:1]
	s_cbranch_execz .LBB71_74
.LBB71_89:
	v_cmp_ne_u16_e32 vcc, 0, v1
	s_andn2_b64 s[36:37], s[36:37], exec
	s_and_b64 s[44:45], vcc, exec
	s_or_b64 s[36:37], s[36:37], s[44:45]
	s_or_b64 exec, exec, s[0:1]
	v_mov_b32_e32 v5, 0
	s_and_saveexec_b64 s[0:1], s[36:37]
	s_cbranch_execnz .LBB71_75
	s_branch .LBB71_76
.LBB71_90:
	s_mov_b64 s[0:1], -1
                                        ; implicit-def: $vgpr5
	s_branch .LBB71_95
.LBB71_91:
	s_mov_b64 s[0:1], -1
                                        ; implicit-def: $vgpr5
.LBB71_92:
	s_and_b64 vcc, exec, s[0:1]
	s_cbranch_vccz .LBB71_94
; %bb.93:
	global_load_ubyte v1, v[3:4], off
	s_mov_b32 s0, 0x7f800000
	s_waitcnt vmcnt(0)
	v_lshlrev_b32_e32 v1, 24, v1
	v_and_b32_e32 v5, 0x7f000000, v1
	v_ffbh_u32_e32 v6, v5
	v_min_u32_e32 v6, 32, v6
	v_sub_u32_e64 v6, v6, 4 clamp
	v_lshlrev_b32_e32 v9, v6, v5
	v_lshlrev_b32_e32 v6, 23, v6
	v_lshrrev_b32_e32 v9, 4, v9
	v_add_u32_e32 v7, 0x1000000, v5
	v_sub_u32_e32 v6, v9, v6
	v_ashrrev_i32_e32 v7, 8, v7
	v_add_u32_e32 v6, 0x3c000000, v6
	v_and_or_b32 v6, v7, s0, v6
	v_cmp_ne_u32_e32 vcc, 0, v5
	v_cndmask_b32_e32 v5, 0, v6, vcc
	s_brev_b32 s0, 1
	v_and_or_b32 v1, v1, s0, v5
	v_cvt_i32_f32_e32 v5, v1
.LBB71_94:
	s_mov_b64 s[0:1], 0
.LBB71_95:
	s_andn2_b64 vcc, exec, s[0:1]
	s_cbranch_vccnz .LBB71_97
; %bb.96:
	global_load_ubyte v1, v[3:4], off
	s_movk_i32 s0, 0x7f00
	s_brev_b32 s1, 16
	s_waitcnt vmcnt(0)
	v_lshlrev_b16_e32 v5, 8, v1
	v_lshlrev_b32_e32 v1, 25, v1
	v_lshrrev_b32_e32 v6, 4, v1
	v_and_or_b32 v7, v5, s0, 0.5
	v_or_b32_e32 v6, 0x70000000, v6
	v_add_f32_e32 v7, -0.5, v7
	v_mul_f32_e32 v6, 0x7800000, v6
	v_cmp_gt_u32_e32 vcc, s1, v1
	v_bfe_i32 v5, v5, 0, 16
	v_cndmask_b32_e32 v1, v6, v7, vcc
	s_brev_b32 s0, 1
	v_and_or_b32 v1, v5, s0, v1
	v_cvt_i32_f32_e32 v5, v1
.LBB71_97:
	s_mov_b64 s[36:37], 0
	s_mov_b64 s[0:1], -1
.LBB71_98:
	s_andn2_b64 vcc, exec, s[36:37]
	s_cbranch_vccnz .LBB71_111
; %bb.99:
	s_cmp_gt_i32 s39, 14
	s_cbranch_scc0 .LBB71_102
; %bb.100:
	s_cmp_eq_u32 s39, 15
	s_cbranch_scc0 .LBB71_105
; %bb.101:
	global_load_ushort v1, v[3:4], off
	s_mov_b64 s[0:1], -1
	s_mov_b64 s[40:41], 0
	s_waitcnt vmcnt(0)
	v_lshlrev_b32_e32 v1, 16, v1
	v_cvt_i32_f32_e32 v5, v1
	s_branch .LBB71_106
.LBB71_102:
	s_mov_b64 s[36:37], -1
                                        ; implicit-def: $vgpr5
	s_branch .LBB71_107
.LBB71_103:
	s_andn2_saveexec_b64 s[0:1], s[0:1]
	s_cbranch_execz .LBB71_84
.LBB71_104:
	v_cmp_ne_u16_e32 vcc, 0, v1
	s_andn2_b64 s[36:37], s[36:37], exec
	s_and_b64 s[44:45], vcc, exec
	s_or_b64 s[36:37], s[36:37], s[44:45]
	s_or_b64 exec, exec, s[0:1]
	v_mov_b32_e32 v5, 0
	s_and_saveexec_b64 s[0:1], s[36:37]
	s_cbranch_execnz .LBB71_85
	s_branch .LBB71_86
.LBB71_105:
	s_mov_b64 s[40:41], -1
                                        ; implicit-def: $vgpr5
.LBB71_106:
	s_mov_b64 s[36:37], 0
.LBB71_107:
	s_and_b64 vcc, exec, s[36:37]
	s_cbranch_vccz .LBB71_111
; %bb.108:
	s_cmp_eq_u32 s39, 11
	s_cbranch_scc0 .LBB71_110
; %bb.109:
	global_load_ubyte v1, v[3:4], off
	s_mov_b64 s[0:1], -1
	s_mov_b64 s[40:41], 0
	s_waitcnt vmcnt(0)
	v_cmp_ne_u16_e32 vcc, 0, v1
	v_cndmask_b32_e64 v5, 0, 1, vcc
	s_branch .LBB71_111
.LBB71_110:
	s_mov_b64 s[40:41], -1
                                        ; implicit-def: $vgpr5
.LBB71_111:
	s_branch .LBB71_21
.LBB71_112:
	s_and_b32 s36, 0xffff, s38
	s_cmp_lt_i32 s36, 5
	s_cbranch_scc1 .LBB71_117
; %bb.113:
	s_cmp_lt_i32 s36, 8
	s_cbranch_scc1 .LBB71_118
; %bb.114:
	;; [unrolled: 3-line block ×3, first 2 shown]
	s_cmp_gt_i32 s36, 9
	s_cbranch_scc0 .LBB71_120
; %bb.116:
	global_load_dwordx2 v[5:6], v[3:4], off
	s_mov_b64 s[0:1], 0
	s_waitcnt vmcnt(0)
	v_cvt_i32_f64_e32 v5, v[5:6]
	s_branch .LBB71_121
.LBB71_117:
                                        ; implicit-def: $vgpr5
	s_branch .LBB71_139
.LBB71_118:
	s_mov_b64 s[0:1], -1
                                        ; implicit-def: $vgpr5
	s_branch .LBB71_127
.LBB71_119:
	s_mov_b64 s[0:1], -1
                                        ; implicit-def: $vgpr5
	s_branch .LBB71_124
.LBB71_120:
	s_mov_b64 s[0:1], -1
                                        ; implicit-def: $vgpr5
.LBB71_121:
	s_andn2_b64 vcc, exec, s[0:1]
	s_cbranch_vccnz .LBB71_123
; %bb.122:
	global_load_dword v1, v[3:4], off
	s_waitcnt vmcnt(0)
	v_cvt_i32_f32_e32 v5, v1
.LBB71_123:
	s_mov_b64 s[0:1], 0
.LBB71_124:
	s_andn2_b64 vcc, exec, s[0:1]
	s_cbranch_vccnz .LBB71_126
; %bb.125:
	global_load_dword v1, v[3:4], off
	s_waitcnt vmcnt(0)
	v_cvt_f32_f16_e32 v1, v1
	v_cvt_i32_f32_e32 v5, v1
.LBB71_126:
	s_mov_b64 s[0:1], 0
.LBB71_127:
	s_andn2_b64 vcc, exec, s[0:1]
	s_cbranch_vccnz .LBB71_138
; %bb.128:
	s_cmp_lt_i32 s36, 6
	s_cbranch_scc1 .LBB71_131
; %bb.129:
	s_cmp_gt_i32 s36, 6
	s_cbranch_scc0 .LBB71_132
; %bb.130:
	global_load_dwordx2 v[5:6], v[3:4], off
	s_mov_b64 s[0:1], 0
	s_waitcnt vmcnt(0)
	v_cvt_i32_f64_e32 v5, v[5:6]
	s_branch .LBB71_133
.LBB71_131:
	s_mov_b64 s[0:1], -1
                                        ; implicit-def: $vgpr5
	s_branch .LBB71_136
.LBB71_132:
	s_mov_b64 s[0:1], -1
                                        ; implicit-def: $vgpr5
.LBB71_133:
	s_andn2_b64 vcc, exec, s[0:1]
	s_cbranch_vccnz .LBB71_135
; %bb.134:
	global_load_dword v1, v[3:4], off
	s_waitcnt vmcnt(0)
	v_cvt_i32_f32_e32 v5, v1
.LBB71_135:
	s_mov_b64 s[0:1], 0
.LBB71_136:
	s_andn2_b64 vcc, exec, s[0:1]
	s_cbranch_vccnz .LBB71_138
; %bb.137:
	global_load_ushort v1, v[3:4], off
	s_waitcnt vmcnt(0)
	v_cvt_f32_f16_e32 v1, v1
	v_cvt_i32_f32_e32 v5, v1
.LBB71_138:
	s_cbranch_execnz .LBB71_158
.LBB71_139:
	s_cmp_lt_i32 s36, 2
	s_cbranch_scc1 .LBB71_143
; %bb.140:
	s_cmp_lt_i32 s36, 3
	s_cbranch_scc1 .LBB71_144
; %bb.141:
	s_cmp_gt_i32 s36, 3
	s_cbranch_scc0 .LBB71_145
; %bb.142:
	global_load_dword v5, v[3:4], off
	s_mov_b64 s[0:1], 0
	s_branch .LBB71_146
.LBB71_143:
	s_mov_b64 s[0:1], -1
                                        ; implicit-def: $vgpr5
	s_branch .LBB71_152
.LBB71_144:
	s_mov_b64 s[0:1], -1
                                        ; implicit-def: $vgpr5
	s_branch .LBB71_149
.LBB71_145:
	s_mov_b64 s[0:1], -1
                                        ; implicit-def: $vgpr5
.LBB71_146:
	s_andn2_b64 vcc, exec, s[0:1]
	s_cbranch_vccnz .LBB71_148
; %bb.147:
	global_load_dword v5, v[3:4], off
.LBB71_148:
	s_mov_b64 s[0:1], 0
.LBB71_149:
	s_andn2_b64 vcc, exec, s[0:1]
	s_cbranch_vccnz .LBB71_151
; %bb.150:
	global_load_sshort v5, v[3:4], off
.LBB71_151:
	s_mov_b64 s[0:1], 0
.LBB71_152:
	s_andn2_b64 vcc, exec, s[0:1]
	s_cbranch_vccnz .LBB71_158
; %bb.153:
	s_cmp_gt_i32 s36, 0
	s_cbranch_scc0 .LBB71_155
; %bb.154:
	global_load_sbyte v5, v[3:4], off
	s_mov_b64 s[0:1], 0
	s_branch .LBB71_156
.LBB71_155:
	s_mov_b64 s[0:1], -1
                                        ; implicit-def: $vgpr5
.LBB71_156:
	s_andn2_b64 vcc, exec, s[0:1]
	s_cbranch_vccnz .LBB71_158
; %bb.157:
	global_load_ubyte v5, v[3:4], off
.LBB71_158:
	s_branch .LBB71_22
.LBB71_159:
	s_mov_b64 s[0:1], 0
	s_mov_b64 s[38:39], 0
	s_branch .LBB71_384
.LBB71_160:
	s_mov_b64 s[38:39], -1
.LBB71_161:
	s_mov_b64 s[0:1], 0
                                        ; implicit-def: $vgpr3
.LBB71_162:
	s_and_b64 vcc, exec, s[36:37]
	s_cbranch_vccz .LBB71_278
; %bb.163:
	s_cmp_eq_u32 s45, 44
	s_cbranch_scc0 .LBB71_277
; %bb.164:
	global_load_ubyte v3, v[1:2], off
	s_mov_b64 s[0:1], -1
	s_mov_b64 s[38:39], 0
	s_waitcnt vmcnt(0)
	v_lshlrev_b32_e32 v4, 23, v3
	v_cvt_i32_f32_e32 v4, v4
	v_cmp_ne_u32_e32 vcc, 0, v3
	v_cndmask_b32_e32 v3, 0, v4, vcc
	s_branch .LBB71_278
.LBB71_165:
	s_mov_b64 s[44:45], -1
	s_mov_b64 s[0:1], 0
	s_mov_b64 s[36:37], 0
.LBB71_166:
	s_and_b64 vcc, exec, s[44:45]
	s_cbranch_vccz .LBB71_171
; %bb.167:
	s_cmp_eq_u32 s51, 44
	s_mov_b64 s[0:1], -1
	s_cbranch_scc0 .LBB71_171
; %bb.168:
	v_cvt_f32_i32_e32 v0, v1
	s_movk_i32 s0, 0xff
	v_mov_b32_e32 v5, 0xff
	v_bfe_u32 v2, v0, 23, 8
	v_cmp_ne_u32_e32 vcc, s0, v2
	s_and_saveexec_b64 s[36:37], vcc
; %bb.169:
	s_mov_b32 s0, 0x3fffff
	v_lshrrev_b32_e32 v5, 23, v0
	v_and_b32_e32 v6, 0x400000, v0
	v_and_or_b32 v0, v0, s0, v2
	v_cmp_ne_u32_e32 vcc, 0, v6
	v_cmp_ne_u32_e64 s[0:1], 0, v0
	s_and_b64 s[0:1], vcc, s[0:1]
	v_cndmask_b32_e64 v0, 0, 1, s[0:1]
	v_add_u32_e32 v5, v5, v0
; %bb.170:
	s_or_b64 exec, exec, s[36:37]
	s_mov_b64 s[36:37], -1
	s_mov_b64 s[0:1], 0
	global_store_byte v[3:4], v5, off
.LBB71_171:
	s_mov_b64 s[44:45], 0
.LBB71_172:
	s_and_b64 vcc, exec, s[44:45]
	s_cbranch_vccz .LBB71_175
; %bb.173:
	s_cmp_eq_u32 s51, 29
	s_mov_b64 s[0:1], -1
	s_cbranch_scc0 .LBB71_175
; %bb.174:
	v_ashrrev_i32_e32 v2, 31, v1
	global_store_dwordx2 v[3:4], v[1:2], off
	s_mov_b64 s[36:37], -1
	s_mov_b64 s[0:1], 0
.LBB71_175:
	s_mov_b64 s[44:45], 0
.LBB71_176:
	s_and_b64 vcc, exec, s[44:45]
	s_cbranch_vccz .LBB71_192
; %bb.177:
	s_cmp_lt_i32 s51, 27
	s_mov_b64 s[36:37], -1
	s_cbranch_scc1 .LBB71_183
; %bb.178:
	s_cmp_gt_i32 s51, 27
	s_cbranch_scc0 .LBB71_180
; %bb.179:
	s_mov_b64 s[36:37], 0
	global_store_dword v[3:4], v1, off
.LBB71_180:
	s_andn2_b64 vcc, exec, s[36:37]
	s_cbranch_vccnz .LBB71_182
; %bb.181:
	global_store_short v[3:4], v1, off
.LBB71_182:
	s_mov_b64 s[36:37], 0
.LBB71_183:
	s_andn2_b64 vcc, exec, s[36:37]
	s_cbranch_vccnz .LBB71_191
; %bb.184:
	v_cvt_f32_i32_e32 v0, v1
	s_mov_b32 s36, 0x43800000
	v_mov_b32_e32 v5, 0x80
	v_and_b32_e32 v2, 0x7fffffff, v0
	v_cmp_gt_u32_e32 vcc, s36, v2
	s_and_saveexec_b64 s[36:37], vcc
	s_cbranch_execz .LBB71_190
; %bb.185:
	s_mov_b32 s44, 0x3bffffff
	v_cmp_lt_u32_e32 vcc, s44, v2
	s_mov_b64 s[44:45], 0
                                        ; implicit-def: $vgpr2
	s_and_saveexec_b64 s[48:49], vcc
	s_xor_b64 s[48:49], exec, s[48:49]
	s_cbranch_execz .LBB71_426
; %bb.186:
	v_bfe_u32 v2, v0, 20, 1
	s_mov_b32 s52, 0x487ffff
	v_add3_u32 v2, v0, v2, s52
	s_mov_b64 s[44:45], exec
	v_lshrrev_b32_e32 v2, 20, v2
	s_andn2_saveexec_b64 s[48:49], s[48:49]
	s_cbranch_execnz .LBB71_427
.LBB71_187:
	s_or_b64 exec, exec, s[48:49]
	v_mov_b32_e32 v5, 0
	s_and_saveexec_b64 s[48:49], s[44:45]
.LBB71_188:
	v_lshrrev_b32_e32 v0, 24, v0
	s_movk_i32 s44, 0x80
	v_and_or_b32 v5, v0, s44, v2
.LBB71_189:
	s_or_b64 exec, exec, s[48:49]
.LBB71_190:
	s_or_b64 exec, exec, s[36:37]
	global_store_byte v[3:4], v5, off
.LBB71_191:
	s_mov_b64 s[36:37], -1
.LBB71_192:
	s_mov_b64 s[44:45], 0
.LBB71_193:
	s_and_b64 vcc, exec, s[44:45]
	s_cbranch_vccz .LBB71_234
; %bb.194:
	s_cmp_gt_i32 s51, 22
	s_mov_b64 s[44:45], -1
	s_cbranch_scc0 .LBB71_226
; %bb.195:
	s_cmp_lt_i32 s51, 24
	s_mov_b64 s[36:37], -1
	s_cbranch_scc1 .LBB71_215
; %bb.196:
	s_cmp_gt_i32 s51, 24
	s_cbranch_scc0 .LBB71_204
; %bb.197:
	v_cvt_f32_i32_e32 v0, v1
	s_mov_b32 s36, 0x47800000
	v_mov_b32_e32 v5, 0x80
	v_and_b32_e32 v2, 0x7fffffff, v0
	v_cmp_gt_u32_e32 vcc, s36, v2
	s_and_saveexec_b64 s[36:37], vcc
	s_cbranch_execz .LBB71_203
; %bb.198:
	s_mov_b32 s44, 0x37ffffff
	v_cmp_lt_u32_e32 vcc, s44, v2
	s_mov_b64 s[44:45], 0
                                        ; implicit-def: $vgpr2
	s_and_saveexec_b64 s[48:49], vcc
	s_xor_b64 s[48:49], exec, s[48:49]
	s_cbranch_execz .LBB71_541
; %bb.199:
	v_bfe_u32 v2, v0, 21, 1
	s_mov_b32 s52, 0x88fffff
	v_add3_u32 v2, v0, v2, s52
	s_mov_b64 s[44:45], exec
	v_lshrrev_b32_e32 v2, 21, v2
	s_andn2_saveexec_b64 s[48:49], s[48:49]
	s_cbranch_execnz .LBB71_542
.LBB71_200:
	s_or_b64 exec, exec, s[48:49]
	v_mov_b32_e32 v5, 0
	s_and_saveexec_b64 s[48:49], s[44:45]
.LBB71_201:
	v_lshrrev_b32_e32 v0, 24, v0
	s_movk_i32 s44, 0x80
	v_and_or_b32 v5, v0, s44, v2
.LBB71_202:
	s_or_b64 exec, exec, s[48:49]
.LBB71_203:
	s_or_b64 exec, exec, s[36:37]
	s_mov_b64 s[36:37], 0
	global_store_byte v[3:4], v5, off
.LBB71_204:
	s_and_b64 vcc, exec, s[36:37]
	s_cbranch_vccz .LBB71_214
; %bb.205:
	v_cvt_f32_i32_e32 v0, v1
	s_mov_b32 s36, 0x43f00000
                                        ; implicit-def: $vgpr2
	v_and_b32_e32 v5, 0x7fffffff, v0
	v_cmp_gt_u32_e32 vcc, s36, v5
	s_and_saveexec_b64 s[36:37], vcc
	s_xor_b64 s[36:37], exec, s[36:37]
	s_cbranch_execz .LBB71_211
; %bb.206:
	s_mov_b32 s44, 0x3c7fffff
	v_cmp_lt_u32_e32 vcc, s44, v5
                                        ; implicit-def: $vgpr2
	s_and_saveexec_b64 s[44:45], vcc
	s_xor_b64 s[44:45], exec, s[44:45]
; %bb.207:
	v_bfe_u32 v2, v0, 20, 1
	s_mov_b32 s48, 0x407ffff
	v_add3_u32 v2, v0, v2, s48
	v_lshrrev_b32_e32 v5, 20, v2
	v_and_b32_e32 v2, 0xff00000, v2
	s_mov_b32 s48, 0x7f00000
	v_mov_b32_e32 v6, 0x7e
	v_cmp_ne_u32_e32 vcc, s48, v2
	v_cndmask_b32_e32 v2, v6, v5, vcc
; %bb.208:
	s_andn2_saveexec_b64 s[44:45], s[44:45]
; %bb.209:
	s_mov_b32 s48, 0x46800000
	v_add_f32_e64 v2, |v0|, s48
; %bb.210:
	s_or_b64 exec, exec, s[44:45]
                                        ; implicit-def: $vgpr5
.LBB71_211:
	s_andn2_saveexec_b64 s[36:37], s[36:37]
; %bb.212:
	s_mov_b32 s44, 0x7f800000
	v_mov_b32_e32 v2, 0x7e
	v_mov_b32_e32 v6, 0x7f
	v_cmp_lt_u32_e32 vcc, s44, v5
	v_cndmask_b32_e32 v2, v2, v6, vcc
; %bb.213:
	s_or_b64 exec, exec, s[36:37]
	v_lshrrev_b32_e32 v0, 24, v0
	s_movk_i32 s36, 0x80
	v_and_or_b32 v0, v0, s36, v2
	global_store_byte v[3:4], v0, off
.LBB71_214:
	s_mov_b64 s[36:37], 0
.LBB71_215:
	s_andn2_b64 vcc, exec, s[36:37]
	s_cbranch_vccnz .LBB71_225
; %bb.216:
	v_cvt_f32_i32_e32 v0, v1
	s_mov_b32 s36, 0x47800000
                                        ; implicit-def: $vgpr2
	v_and_b32_e32 v5, 0x7fffffff, v0
	v_cmp_gt_u32_e32 vcc, s36, v5
	s_and_saveexec_b64 s[36:37], vcc
	s_xor_b64 s[36:37], exec, s[36:37]
	s_cbranch_execz .LBB71_222
; %bb.217:
	s_mov_b32 s44, 0x387fffff
	v_cmp_lt_u32_e32 vcc, s44, v5
                                        ; implicit-def: $vgpr2
	s_and_saveexec_b64 s[44:45], vcc
	s_xor_b64 s[44:45], exec, s[44:45]
; %bb.218:
	v_bfe_u32 v2, v0, 21, 1
	s_mov_b32 s48, 0x80fffff
	v_add3_u32 v2, v0, v2, s48
	v_lshrrev_b32_e32 v2, 21, v2
; %bb.219:
	s_andn2_saveexec_b64 s[44:45], s[44:45]
; %bb.220:
	s_mov_b32 s48, 0x43000000
	v_add_f32_e64 v2, |v0|, s48
; %bb.221:
	s_or_b64 exec, exec, s[44:45]
                                        ; implicit-def: $vgpr5
.LBB71_222:
	s_andn2_saveexec_b64 s[36:37], s[36:37]
; %bb.223:
	s_mov_b32 s44, 0x7f800000
	v_mov_b32_e32 v2, 0x7c
	v_mov_b32_e32 v6, 0x7f
	v_cmp_lt_u32_e32 vcc, s44, v5
	v_cndmask_b32_e32 v2, v2, v6, vcc
; %bb.224:
	s_or_b64 exec, exec, s[36:37]
	v_lshrrev_b32_e32 v0, 24, v0
	s_movk_i32 s36, 0x80
	v_and_or_b32 v0, v0, s36, v2
	global_store_byte v[3:4], v0, off
.LBB71_225:
	s_mov_b64 s[44:45], 0
	s_mov_b64 s[36:37], -1
.LBB71_226:
	s_andn2_b64 vcc, exec, s[44:45]
	s_cbranch_vccnz .LBB71_234
; %bb.227:
	s_cmp_gt_i32 s51, 14
	s_mov_b64 s[44:45], -1
	s_cbranch_scc0 .LBB71_231
; %bb.228:
	s_cmp_eq_u32 s51, 15
	s_mov_b64 s[0:1], -1
	s_cbranch_scc0 .LBB71_230
; %bb.229:
	v_cvt_f32_i32_e32 v0, v1
	s_movk_i32 s0, 0x7fff
	s_mov_b64 s[36:37], -1
	v_bfe_u32 v2, v0, 16, 1
	v_add3_u32 v0, v0, v2, s0
	global_store_short_d16_hi v[3:4], v0, off
	s_mov_b64 s[0:1], 0
.LBB71_230:
	s_mov_b64 s[44:45], 0
.LBB71_231:
	s_and_b64 vcc, exec, s[44:45]
	s_cbranch_vccz .LBB71_234
; %bb.232:
	s_cmp_eq_u32 s51, 11
	s_mov_b64 s[0:1], -1
	s_cbranch_scc0 .LBB71_234
; %bb.233:
	v_cmp_ne_u32_e32 vcc, 0, v1
	v_cndmask_b32_e64 v0, 0, 1, vcc
	s_mov_b64 s[36:37], -1
	s_mov_b64 s[0:1], 0
	global_store_byte v[3:4], v0, off
.LBB71_234:
	s_mov_b64 s[44:45], 0
.LBB71_235:
	s_and_b64 vcc, exec, s[44:45]
	s_cbranch_vccz .LBB71_274
; %bb.236:
	s_and_b32 s44, 0xffff, s50
	s_cmp_lt_i32 s44, 5
	s_mov_b64 s[36:37], -1
	s_cbranch_scc1 .LBB71_257
; %bb.237:
	s_cmp_lt_i32 s44, 8
	s_cbranch_scc1 .LBB71_247
; %bb.238:
	s_cmp_lt_i32 s44, 9
	s_cbranch_scc1 .LBB71_244
; %bb.239:
	s_cmp_gt_i32 s44, 9
	s_cbranch_scc0 .LBB71_241
; %bb.240:
	v_cvt_f64_i32_e32 v[9:10], v1
	v_mov_b32_e32 v11, 0
	v_mov_b32_e32 v12, v11
	s_mov_b64 s[36:37], 0
	global_store_dwordx4 v[3:4], v[9:12], off
.LBB71_241:
	s_andn2_b64 vcc, exec, s[36:37]
	s_cbranch_vccnz .LBB71_243
; %bb.242:
	v_cvt_f32_i32_e32 v5, v1
	v_mov_b32_e32 v6, 0
	global_store_dwordx2 v[3:4], v[5:6], off
.LBB71_243:
	s_mov_b64 s[36:37], 0
.LBB71_244:
	s_andn2_b64 vcc, exec, s[36:37]
	s_cbranch_vccnz .LBB71_246
; %bb.245:
	v_cvt_f32_i32_e32 v0, v1
	v_cvt_f16_f32_e32 v0, v0
	global_store_dword v[3:4], v0, off
.LBB71_246:
	s_mov_b64 s[36:37], 0
.LBB71_247:
	s_andn2_b64 vcc, exec, s[36:37]
	s_cbranch_vccnz .LBB71_256
; %bb.248:
	s_cmp_lt_i32 s44, 6
	s_mov_b64 s[36:37], -1
	s_cbranch_scc1 .LBB71_254
; %bb.249:
	s_cmp_gt_i32 s44, 6
	s_cbranch_scc0 .LBB71_251
; %bb.250:
	v_cvt_f64_i32_e32 v[5:6], v1
	s_mov_b64 s[36:37], 0
	global_store_dwordx2 v[3:4], v[5:6], off
.LBB71_251:
	s_andn2_b64 vcc, exec, s[36:37]
	s_cbranch_vccnz .LBB71_253
; %bb.252:
	v_cvt_f32_i32_e32 v0, v1
	global_store_dword v[3:4], v0, off
.LBB71_253:
	s_mov_b64 s[36:37], 0
.LBB71_254:
	s_andn2_b64 vcc, exec, s[36:37]
	s_cbranch_vccnz .LBB71_256
; %bb.255:
	v_cvt_f32_i32_e32 v0, v1
	v_cvt_f16_f32_e32 v0, v0
	global_store_short v[3:4], v0, off
.LBB71_256:
	s_mov_b64 s[36:37], 0
.LBB71_257:
	s_andn2_b64 vcc, exec, s[36:37]
	s_cbranch_vccnz .LBB71_273
; %bb.258:
	s_cmp_lt_i32 s44, 2
	s_mov_b64 s[36:37], -1
	s_cbranch_scc1 .LBB71_268
; %bb.259:
	s_cmp_lt_i32 s44, 3
	s_cbranch_scc1 .LBB71_265
; %bb.260:
	s_cmp_gt_i32 s44, 3
	s_cbranch_scc0 .LBB71_262
; %bb.261:
	v_ashrrev_i32_e32 v2, 31, v1
	global_store_dwordx2 v[3:4], v[1:2], off
	s_mov_b64 s[36:37], 0
.LBB71_262:
	s_andn2_b64 vcc, exec, s[36:37]
	s_cbranch_vccnz .LBB71_264
; %bb.263:
	global_store_dword v[3:4], v1, off
.LBB71_264:
	s_mov_b64 s[36:37], 0
.LBB71_265:
	s_andn2_b64 vcc, exec, s[36:37]
	s_cbranch_vccnz .LBB71_267
; %bb.266:
	global_store_short v[3:4], v1, off
.LBB71_267:
	s_mov_b64 s[36:37], 0
.LBB71_268:
	s_andn2_b64 vcc, exec, s[36:37]
	s_cbranch_vccnz .LBB71_273
; %bb.269:
	s_cmp_gt_i32 s44, 0
	s_mov_b64 s[36:37], -1
	s_cbranch_scc0 .LBB71_271
; %bb.270:
	global_store_byte v[3:4], v1, off
	s_mov_b64 s[36:37], 0
.LBB71_271:
	s_andn2_b64 vcc, exec, s[36:37]
	s_cbranch_vccnz .LBB71_273
; %bb.272:
	global_store_byte v[3:4], v1, off
.LBB71_273:
	s_mov_b64 s[36:37], -1
.LBB71_274:
	s_andn2_b64 vcc, exec, s[36:37]
	s_cbranch_vccnz .LBB71_276
; %bb.275:
	v_add_u32_e32 v8, 0x80, v8
	s_mov_b64 s[44:45], -1
	s_branch .LBB71_385
.LBB71_276:
	s_mov_b64 s[44:45], 0
                                        ; implicit-def: $vgpr8
	s_branch .LBB71_385
.LBB71_277:
	s_mov_b64 s[38:39], -1
                                        ; implicit-def: $vgpr3
.LBB71_278:
	s_mov_b64 s[36:37], 0
.LBB71_279:
	s_and_b64 vcc, exec, s[36:37]
	s_cbranch_vccz .LBB71_283
; %bb.280:
	s_cmp_eq_u32 s45, 29
	s_cbranch_scc0 .LBB71_282
; %bb.281:
	global_load_dword v3, v[1:2], off
	s_mov_b64 s[0:1], -1
	s_mov_b64 s[38:39], 0
	s_branch .LBB71_283
.LBB71_282:
	s_mov_b64 s[38:39], -1
                                        ; implicit-def: $vgpr3
.LBB71_283:
	s_mov_b64 s[36:37], 0
.LBB71_284:
	s_and_b64 vcc, exec, s[36:37]
	s_cbranch_vccz .LBB71_300
; %bb.285:
	s_cmp_lt_i32 s45, 27
	s_cbranch_scc1 .LBB71_288
; %bb.286:
	s_cmp_gt_i32 s45, 27
	s_cbranch_scc0 .LBB71_289
; %bb.287:
	global_load_dword v3, v[1:2], off
	s_mov_b64 s[0:1], 0
	s_branch .LBB71_290
.LBB71_288:
	s_mov_b64 s[0:1], -1
                                        ; implicit-def: $vgpr3
	s_branch .LBB71_293
.LBB71_289:
	s_mov_b64 s[0:1], -1
                                        ; implicit-def: $vgpr3
.LBB71_290:
	s_andn2_b64 vcc, exec, s[0:1]
	s_cbranch_vccnz .LBB71_292
; %bb.291:
	global_load_ushort v3, v[1:2], off
.LBB71_292:
	s_mov_b64 s[0:1], 0
.LBB71_293:
	s_andn2_b64 vcc, exec, s[0:1]
	s_cbranch_vccnz .LBB71_299
; %bb.294:
	global_load_ubyte v4, v[1:2], off
	s_movk_i32 s0, 0x7f
	s_mov_b64 s[36:37], 0
	s_waitcnt vmcnt(0)
	v_cmp_lt_i16_e32 vcc, s0, v4
	s_and_saveexec_b64 s[0:1], vcc
	s_xor_b64 s[0:1], exec, s[0:1]
	s_cbranch_execz .LBB71_311
; %bb.295:
	s_movk_i32 s36, 0x80
	v_cmp_ne_u16_e32 vcc, s36, v4
	s_and_b64 s[36:37], vcc, exec
	s_andn2_saveexec_b64 s[0:1], s[0:1]
	s_cbranch_execnz .LBB71_312
.LBB71_296:
	s_or_b64 exec, exec, s[0:1]
	v_mov_b32_e32 v3, 0
	s_and_saveexec_b64 s[0:1], s[36:37]
	s_cbranch_execz .LBB71_298
.LBB71_297:
	v_lshlrev_b32_e32 v3, 24, v4
	v_and_b32_e32 v4, 0xffff, v4
	v_and_b32_e32 v6, 7, v4
	v_ffbh_u32_e32 v9, v6
	v_min_u32_e32 v9, 32, v9
	v_subrev_u32_e32 v10, 28, v9
	v_bfe_u32 v7, v4, 3, 4
	v_lshlrev_b32_e32 v4, v10, v4
	v_sub_u32_e32 v9, 29, v9
	v_and_b32_e32 v4, 7, v4
	v_cmp_eq_u32_e32 vcc, 0, v7
	v_cndmask_b32_e32 v7, v7, v9, vcc
	v_cndmask_b32_e32 v4, v6, v4, vcc
	v_mov_b32_e32 v6, 0x3b800000
	v_lshlrev_b32_e32 v4, 20, v4
	v_and_b32_e32 v3, 0x80000000, v3
	v_lshl_add_u32 v6, v7, 23, v6
	v_or3_b32 v3, v3, v6, v4
	v_cvt_i32_f32_e32 v3, v3
.LBB71_298:
	s_or_b64 exec, exec, s[0:1]
.LBB71_299:
	s_mov_b64 s[0:1], -1
.LBB71_300:
	s_mov_b64 s[36:37], 0
.LBB71_301:
	s_and_b64 vcc, exec, s[36:37]
	s_cbranch_vccz .LBB71_334
; %bb.302:
	s_cmp_gt_i32 s45, 22
	s_cbranch_scc0 .LBB71_310
; %bb.303:
	s_cmp_lt_i32 s45, 24
	s_cbranch_scc1 .LBB71_313
; %bb.304:
	s_cmp_gt_i32 s45, 24
	s_cbranch_scc0 .LBB71_314
; %bb.305:
	global_load_ubyte v4, v[1:2], off
	s_movk_i32 s0, 0x7f
	s_mov_b64 s[36:37], 0
	s_waitcnt vmcnt(0)
	v_cmp_lt_i16_e32 vcc, s0, v4
	s_and_saveexec_b64 s[0:1], vcc
	s_xor_b64 s[0:1], exec, s[0:1]
	s_cbranch_execz .LBB71_326
; %bb.306:
	s_movk_i32 s36, 0x80
	v_cmp_ne_u16_e32 vcc, s36, v4
	s_and_b64 s[36:37], vcc, exec
	s_andn2_saveexec_b64 s[0:1], s[0:1]
	s_cbranch_execnz .LBB71_327
.LBB71_307:
	s_or_b64 exec, exec, s[0:1]
	v_mov_b32_e32 v3, 0
	s_and_saveexec_b64 s[0:1], s[36:37]
	s_cbranch_execz .LBB71_309
.LBB71_308:
	v_lshlrev_b32_e32 v3, 24, v4
	v_and_b32_e32 v4, 0xffff, v4
	v_and_b32_e32 v6, 3, v4
	v_ffbh_u32_e32 v9, v6
	v_min_u32_e32 v9, 32, v9
	v_subrev_u32_e32 v10, 29, v9
	v_bfe_u32 v7, v4, 2, 5
	v_lshlrev_b32_e32 v4, v10, v4
	v_sub_u32_e32 v9, 30, v9
	v_and_b32_e32 v4, 3, v4
	v_cmp_eq_u32_e32 vcc, 0, v7
	v_cndmask_b32_e32 v7, v7, v9, vcc
	v_cndmask_b32_e32 v4, v6, v4, vcc
	v_mov_b32_e32 v6, 0x37800000
	v_lshlrev_b32_e32 v4, 21, v4
	v_and_b32_e32 v3, 0x80000000, v3
	v_lshl_add_u32 v6, v7, 23, v6
	v_or3_b32 v3, v3, v6, v4
	v_cvt_i32_f32_e32 v3, v3
.LBB71_309:
	s_or_b64 exec, exec, s[0:1]
	s_mov_b64 s[0:1], 0
	s_branch .LBB71_315
.LBB71_310:
	s_mov_b64 s[36:37], -1
                                        ; implicit-def: $vgpr3
	s_branch .LBB71_321
.LBB71_311:
	s_andn2_saveexec_b64 s[0:1], s[0:1]
	s_cbranch_execz .LBB71_296
.LBB71_312:
	v_cmp_ne_u16_e32 vcc, 0, v4
	s_andn2_b64 s[36:37], s[36:37], exec
	s_and_b64 s[48:49], vcc, exec
	s_or_b64 s[36:37], s[36:37], s[48:49]
	s_or_b64 exec, exec, s[0:1]
	v_mov_b32_e32 v3, 0
	s_and_saveexec_b64 s[0:1], s[36:37]
	s_cbranch_execnz .LBB71_297
	s_branch .LBB71_298
.LBB71_313:
	s_mov_b64 s[0:1], -1
                                        ; implicit-def: $vgpr3
	s_branch .LBB71_318
.LBB71_314:
	s_mov_b64 s[0:1], -1
                                        ; implicit-def: $vgpr3
.LBB71_315:
	s_and_b64 vcc, exec, s[0:1]
	s_cbranch_vccz .LBB71_317
; %bb.316:
	global_load_ubyte v3, v[1:2], off
	s_mov_b32 s0, 0x7f800000
	s_waitcnt vmcnt(0)
	v_lshlrev_b32_e32 v3, 24, v3
	v_and_b32_e32 v4, 0x7f000000, v3
	v_ffbh_u32_e32 v6, v4
	v_min_u32_e32 v6, 32, v6
	v_sub_u32_e64 v6, v6, 4 clamp
	v_lshlrev_b32_e32 v9, v6, v4
	v_lshlrev_b32_e32 v6, 23, v6
	v_lshrrev_b32_e32 v9, 4, v9
	v_add_u32_e32 v7, 0x1000000, v4
	v_sub_u32_e32 v6, v9, v6
	v_ashrrev_i32_e32 v7, 8, v7
	v_add_u32_e32 v6, 0x3c000000, v6
	v_and_or_b32 v6, v7, s0, v6
	v_cmp_ne_u32_e32 vcc, 0, v4
	v_cndmask_b32_e32 v4, 0, v6, vcc
	s_brev_b32 s0, 1
	v_and_or_b32 v3, v3, s0, v4
	v_cvt_i32_f32_e32 v3, v3
.LBB71_317:
	s_mov_b64 s[0:1], 0
.LBB71_318:
	s_andn2_b64 vcc, exec, s[0:1]
	s_cbranch_vccnz .LBB71_320
; %bb.319:
	global_load_ubyte v3, v[1:2], off
	s_movk_i32 s0, 0x7f00
	s_brev_b32 s1, 16
	s_waitcnt vmcnt(0)
	v_lshlrev_b16_e32 v4, 8, v3
	v_lshlrev_b32_e32 v3, 25, v3
	v_lshrrev_b32_e32 v6, 4, v3
	v_and_or_b32 v7, v4, s0, 0.5
	v_or_b32_e32 v6, 0x70000000, v6
	v_add_f32_e32 v7, -0.5, v7
	v_mul_f32_e32 v6, 0x7800000, v6
	v_cmp_gt_u32_e32 vcc, s1, v3
	v_bfe_i32 v4, v4, 0, 16
	v_cndmask_b32_e32 v3, v6, v7, vcc
	s_brev_b32 s0, 1
	v_and_or_b32 v3, v4, s0, v3
	v_cvt_i32_f32_e32 v3, v3
.LBB71_320:
	s_mov_b64 s[36:37], 0
	s_mov_b64 s[0:1], -1
.LBB71_321:
	s_andn2_b64 vcc, exec, s[36:37]
	s_cbranch_vccnz .LBB71_334
; %bb.322:
	s_cmp_gt_i32 s45, 14
	s_cbranch_scc0 .LBB71_325
; %bb.323:
	s_cmp_eq_u32 s45, 15
	s_cbranch_scc0 .LBB71_328
; %bb.324:
	global_load_ushort v3, v[1:2], off
	s_mov_b64 s[0:1], -1
	s_mov_b64 s[38:39], 0
	s_waitcnt vmcnt(0)
	v_lshlrev_b32_e32 v3, 16, v3
	v_cvt_i32_f32_e32 v3, v3
	s_branch .LBB71_329
.LBB71_325:
	s_mov_b64 s[36:37], -1
                                        ; implicit-def: $vgpr3
	s_branch .LBB71_330
.LBB71_326:
	s_andn2_saveexec_b64 s[0:1], s[0:1]
	s_cbranch_execz .LBB71_307
.LBB71_327:
	v_cmp_ne_u16_e32 vcc, 0, v4
	s_andn2_b64 s[36:37], s[36:37], exec
	s_and_b64 s[48:49], vcc, exec
	s_or_b64 s[36:37], s[36:37], s[48:49]
	s_or_b64 exec, exec, s[0:1]
	v_mov_b32_e32 v3, 0
	s_and_saveexec_b64 s[0:1], s[36:37]
	s_cbranch_execnz .LBB71_308
	s_branch .LBB71_309
.LBB71_328:
	s_mov_b64 s[38:39], -1
                                        ; implicit-def: $vgpr3
.LBB71_329:
	s_mov_b64 s[36:37], 0
.LBB71_330:
	s_and_b64 vcc, exec, s[36:37]
	s_cbranch_vccz .LBB71_334
; %bb.331:
	s_cmp_eq_u32 s45, 11
	s_cbranch_scc0 .LBB71_333
; %bb.332:
	global_load_ubyte v3, v[1:2], off
	s_mov_b64 s[0:1], -1
	s_mov_b64 s[38:39], 0
	s_waitcnt vmcnt(0)
	v_cmp_ne_u16_e32 vcc, 0, v3
	v_cndmask_b32_e64 v3, 0, 1, vcc
	s_branch .LBB71_334
.LBB71_333:
	s_mov_b64 s[38:39], -1
                                        ; implicit-def: $vgpr3
.LBB71_334:
	s_branch .LBB71_31
.LBB71_335:
	s_and_b32 s36, 0xffff, s44
	s_cmp_lt_i32 s36, 5
	s_cbranch_scc1 .LBB71_340
; %bb.336:
	s_cmp_lt_i32 s36, 8
	s_cbranch_scc1 .LBB71_341
; %bb.337:
	;; [unrolled: 3-line block ×3, first 2 shown]
	s_cmp_gt_i32 s36, 9
	s_cbranch_scc0 .LBB71_343
; %bb.339:
	global_load_dwordx2 v[3:4], v[1:2], off
	s_mov_b64 s[0:1], 0
	s_waitcnt vmcnt(0)
	v_cvt_i32_f64_e32 v3, v[3:4]
	s_branch .LBB71_344
.LBB71_340:
	s_mov_b64 s[0:1], -1
                                        ; implicit-def: $vgpr3
	s_branch .LBB71_362
.LBB71_341:
	s_mov_b64 s[0:1], -1
                                        ; implicit-def: $vgpr3
	s_branch .LBB71_350
.LBB71_342:
	s_mov_b64 s[0:1], -1
                                        ; implicit-def: $vgpr3
	s_branch .LBB71_347
.LBB71_343:
	s_mov_b64 s[0:1], -1
                                        ; implicit-def: $vgpr3
.LBB71_344:
	s_andn2_b64 vcc, exec, s[0:1]
	s_cbranch_vccnz .LBB71_346
; %bb.345:
	global_load_dword v3, v[1:2], off
	s_waitcnt vmcnt(0)
	v_cvt_i32_f32_e32 v3, v3
.LBB71_346:
	s_mov_b64 s[0:1], 0
.LBB71_347:
	s_andn2_b64 vcc, exec, s[0:1]
	s_cbranch_vccnz .LBB71_349
; %bb.348:
	global_load_dword v3, v[1:2], off
	s_waitcnt vmcnt(0)
	v_cvt_f32_f16_e32 v3, v3
	v_cvt_i32_f32_e32 v3, v3
.LBB71_349:
	s_mov_b64 s[0:1], 0
.LBB71_350:
	s_andn2_b64 vcc, exec, s[0:1]
	s_cbranch_vccnz .LBB71_361
; %bb.351:
	s_cmp_lt_i32 s36, 6
	s_cbranch_scc1 .LBB71_354
; %bb.352:
	s_cmp_gt_i32 s36, 6
	s_cbranch_scc0 .LBB71_355
; %bb.353:
	global_load_dwordx2 v[3:4], v[1:2], off
	s_mov_b64 s[0:1], 0
	s_waitcnt vmcnt(0)
	v_cvt_i32_f64_e32 v3, v[3:4]
	s_branch .LBB71_356
.LBB71_354:
	s_mov_b64 s[0:1], -1
                                        ; implicit-def: $vgpr3
	s_branch .LBB71_359
.LBB71_355:
	s_mov_b64 s[0:1], -1
                                        ; implicit-def: $vgpr3
.LBB71_356:
	s_andn2_b64 vcc, exec, s[0:1]
	s_cbranch_vccnz .LBB71_358
; %bb.357:
	global_load_dword v3, v[1:2], off
	s_waitcnt vmcnt(0)
	v_cvt_i32_f32_e32 v3, v3
.LBB71_358:
	s_mov_b64 s[0:1], 0
.LBB71_359:
	s_andn2_b64 vcc, exec, s[0:1]
	s_cbranch_vccnz .LBB71_361
; %bb.360:
	global_load_ushort v3, v[1:2], off
	s_waitcnt vmcnt(0)
	v_cvt_f32_f16_e32 v3, v3
	v_cvt_i32_f32_e32 v3, v3
.LBB71_361:
	s_mov_b64 s[0:1], 0
.LBB71_362:
	s_andn2_b64 vcc, exec, s[0:1]
	s_cbranch_vccnz .LBB71_382
; %bb.363:
	s_cmp_lt_i32 s36, 2
	s_cbranch_scc1 .LBB71_367
; %bb.364:
	s_cmp_lt_i32 s36, 3
	s_cbranch_scc1 .LBB71_368
; %bb.365:
	s_cmp_gt_i32 s36, 3
	s_cbranch_scc0 .LBB71_369
; %bb.366:
	global_load_dword v3, v[1:2], off
	s_mov_b64 s[0:1], 0
	s_branch .LBB71_370
.LBB71_367:
	s_mov_b64 s[0:1], -1
                                        ; implicit-def: $vgpr3
	s_branch .LBB71_376
.LBB71_368:
	s_mov_b64 s[0:1], -1
                                        ; implicit-def: $vgpr3
	s_branch .LBB71_373
.LBB71_369:
	s_mov_b64 s[0:1], -1
                                        ; implicit-def: $vgpr3
.LBB71_370:
	s_andn2_b64 vcc, exec, s[0:1]
	s_cbranch_vccnz .LBB71_372
; %bb.371:
	global_load_dword v3, v[1:2], off
.LBB71_372:
	s_mov_b64 s[0:1], 0
.LBB71_373:
	s_andn2_b64 vcc, exec, s[0:1]
	s_cbranch_vccnz .LBB71_375
; %bb.374:
	global_load_sshort v3, v[1:2], off
.LBB71_375:
	s_mov_b64 s[0:1], 0
.LBB71_376:
	s_andn2_b64 vcc, exec, s[0:1]
	s_cbranch_vccnz .LBB71_382
; %bb.377:
	s_cmp_gt_i32 s36, 0
	s_cbranch_scc0 .LBB71_379
; %bb.378:
	global_load_sbyte v3, v[1:2], off
	s_mov_b64 s[0:1], 0
	s_branch .LBB71_380
.LBB71_379:
	s_mov_b64 s[0:1], -1
                                        ; implicit-def: $vgpr3
.LBB71_380:
	s_andn2_b64 vcc, exec, s[0:1]
	s_cbranch_vccnz .LBB71_382
; %bb.381:
	global_load_ubyte v3, v[1:2], off
.LBB71_382:
	s_branch .LBB71_32
.LBB71_383:
	s_mov_b64 s[0:1], 0
.LBB71_384:
                                        ; implicit-def: $vgpr8
	s_mov_b64 s[44:45], 0
.LBB71_385:
	s_and_b64 s[36:37], s[0:1], exec
	s_and_b64 s[38:39], s[38:39], exec
	;; [unrolled: 1-line block ×3, first 2 shown]
	s_orn2_b64 s[0:1], s[44:45], exec
.LBB71_386:
	s_or_b64 exec, exec, s[42:43]
	s_mov_b64 s[50:51], 0
	s_mov_b64 s[48:49], 0
                                        ; implicit-def: $sgpr73
                                        ; implicit-def: $vgpr3_vgpr4
                                        ; implicit-def: $vgpr0
                                        ; implicit-def: $vgpr2
                                        ; implicit-def: $vgpr5
	s_and_saveexec_b64 s[42:43], s[0:1]
	s_cbranch_execz .LBB71_394
; %bb.387:
	v_cmp_gt_i32_e32 vcc, s66, v8
	s_mov_b64 s[0:1], -1
	s_mov_b64 s[44:45], s[40:41]
	s_mov_b64 s[46:47], s[38:39]
	;; [unrolled: 1-line block ×3, first 2 shown]
	s_and_saveexec_b64 s[50:51], vcc
	s_cbranch_execz .LBB71_779
; %bb.388:
	s_andn2_b64 vcc, exec, s[20:21]
	s_cbranch_vccnz .LBB71_397
; %bb.389:
	s_andn2_b64 vcc, exec, s[34:35]
	s_cbranch_vccnz .LBB71_398
; %bb.390:
	s_add_i32 s0, s72, 1
	s_and_b32 s44, s0, 30
	s_add_u32 s0, s2, 0xffffffe8
	s_addc_u32 s1, s3, -1
	v_mov_b32_e32 v2, 0
	v_mov_b32_e32 v4, 0
	;; [unrolled: 1-line block ×4, first 2 shown]
.LBB71_391:                             ; =>This Inner Loop Header: Depth=1
	s_load_dwordx4 s[52:55], s[0:1], 0x1c
	s_load_dwordx2 s[46:47], s[0:1], 0x2c
	s_load_dwordx2 s[48:49], s[0:1], 0xec
	s_load_dwordx4 s[56:59], s[0:1], 0xdc
	s_add_u32 s0, s0, 24
	s_waitcnt vmcnt(0) lgkmcnt(0)
	v_mul_hi_u32 v3, s53, v1
	s_addc_u32 s1, s1, 0
	s_add_i32 s44, s44, -2
	s_cmp_eq_u32 s44, 0
	v_add_u32_e32 v3, v1, v3
	v_lshrrev_b32_e32 v3, s54, v3
	v_mul_lo_u32 v5, v3, s52
	v_mul_hi_u32 v6, s46, v3
	v_sub_u32_e32 v5, v1, v5
	v_add_u32_e32 v1, v3, v6
	v_lshrrev_b32_e32 v1, s47, v1
	v_mul_lo_u32 v9, v1, s55
	v_mul_lo_u32 v6, v5, s56
	;; [unrolled: 1-line block ×4, first 2 shown]
	v_sub_u32_e32 v3, v3, v9
	v_mul_lo_u32 v9, v3, s59
	v_mul_lo_u32 v10, v3, s48
	;; [unrolled: 1-line block ×3, first 2 shown]
	v_add3_u32 v0, v6, v0, v9
	v_add3_u32 v4, v7, v4, v10
	;; [unrolled: 1-line block ×3, first 2 shown]
	s_cbranch_scc0 .LBB71_391
; %bb.392:
	s_bitcmp1_b32 s72, 0
	s_cselect_b64 s[44:45], -1, 0
	s_and_b64 vcc, exec, s[44:45]
	s_cbranch_vccnz .LBB71_399
; %bb.393:
	s_load_dwordx2 s[44:45], s[0:1], 0x1c
	s_load_dword s48, s[0:1], 0x24
	s_load_dwordx2 s[46:47], s[0:1], 0xdc
	s_waitcnt lgkmcnt(0)
	v_mul_hi_u32 v3, s45, v1
	v_add_u32_e32 v3, v1, v3
	v_lshrrev_b32_e32 v3, s48, v3
	v_mul_lo_u32 v3, v3, s44
	s_load_dword s44, s[0:1], 0xe4
	v_sub_u32_e32 v3, v1, v3
	v_mad_u64_u32 v[0:1], s[0:1], v3, s46, v[0:1]
	v_mad_u64_u32 v[4:5], s[0:1], v3, s47, v[4:5]
	s_waitcnt lgkmcnt(0)
	v_mad_u64_u32 v[2:3], s[0:1], v3, s44, v[2:3]
	s_branch .LBB71_399
.LBB71_394:
	s_or_b64 exec, exec, s[42:43]
	s_waitcnt lgkmcnt(0)
	s_mov_b64 s[10:11], 0
	s_and_saveexec_b64 s[0:1], s[40:41]
	s_cbranch_execnz .LBB71_1265
.LBB71_395:
	s_or_b64 exec, exec, s[0:1]
	s_and_saveexec_b64 s[0:1], s[46:47]
	s_xor_b64 s[0:1], exec, s[0:1]
	s_cbranch_execz .LBB71_1266
.LBB71_396:
	s_waitcnt vmcnt(0)
	global_load_ubyte v1, v[3:4], off
	s_or_b64 s[48:49], s[48:49], exec
	s_waitcnt vmcnt(0)
	v_cmp_ne_u16_e32 vcc, 0, v1
	v_cndmask_b32_e64 v5, 0, 1, vcc
	s_or_b64 exec, exec, s[0:1]
	s_and_saveexec_b64 s[0:1], s[50:51]
	s_cbranch_execz .LBB71_1312
	s_branch .LBB71_1267
.LBB71_397:
                                        ; implicit-def: $vgpr0
                                        ; implicit-def: $vgpr4
                                        ; implicit-def: $vgpr2
	s_andn2_b64 vcc, exec, s[0:1]
	s_cbranch_vccz .LBB71_400
	s_branch .LBB71_402
.LBB71_398:
	v_mov_b32_e32 v0, 0
	v_mov_b32_e32 v4, 0
	;; [unrolled: 1-line block ×3, first 2 shown]
.LBB71_399:
	s_cbranch_execnz .LBB71_402
.LBB71_400:
	s_waitcnt lgkmcnt(0)
	v_mul_hi_u32 v0, s17, v8
	s_andn2_b64 vcc, exec, s[30:31]
	v_add_u32_e32 v0, v8, v0
	v_lshrrev_b32_e32 v1, s18, v0
	v_mul_lo_u32 v0, v1, s16
	v_sub_u32_e32 v2, v8, v0
	v_mul_lo_u32 v0, v2, s12
	v_mul_lo_u32 v4, v2, s13
	;; [unrolled: 1-line block ×3, first 2 shown]
	s_cbranch_vccnz .LBB71_402
; %bb.401:
	s_waitcnt vmcnt(0)
	v_mul_hi_u32 v3, s28, v1
	v_add_u32_e32 v3, v1, v3
	v_lshrrev_b32_e32 v3, s29, v3
	v_mul_lo_u32 v3, v3, s19
	v_sub_u32_e32 v3, v1, v3
	v_mad_u64_u32 v[0:1], s[0:1], v3, s15, v[0:1]
	v_mad_u64_u32 v[4:5], s[0:1], v3, s26, v[4:5]
	v_mad_u64_u32 v[2:3], s[0:1], v3, s27, v[2:3]
.LBB71_402:
	s_waitcnt lgkmcnt(0)
	v_mov_b32_e32 v1, s11
	s_and_b32 s48, s71, 0xff
	s_waitcnt vmcnt(0)
	v_add_co_u32_e32 v3, vcc, s10, v4
	s_cmp_lt_i32 s48, 11
	v_addc_co_u32_e32 v4, vcc, 0, v1, vcc
	s_cbranch_scc1 .LBB71_409
; %bb.403:
	s_and_b32 s49, 0xffff, s48
	s_cmp_gt_i32 s49, 25
	s_cbranch_scc0 .LBB71_418
; %bb.404:
	s_cmp_gt_i32 s49, 28
	s_cbranch_scc0 .LBB71_420
; %bb.405:
	;; [unrolled: 3-line block ×4, first 2 shown]
	s_cmp_eq_u32 s49, 46
	s_mov_b64 s[46:47], 0
	s_cbranch_scc0 .LBB71_428
; %bb.408:
	global_load_dword v1, v[3:4], off
	s_mov_b64 s[0:1], -1
	s_mov_b64 s[44:45], 0
	s_waitcnt vmcnt(0)
	v_lshlrev_b32_e32 v1, 16, v1
	v_cvt_i32_f32_e32 v5, v1
	s_branch .LBB71_429
.LBB71_409:
	s_mov_b64 s[0:1], 0
                                        ; implicit-def: $vgpr5
	s_mov_b64 s[44:45], s[40:41]
	s_cbranch_execnz .LBB71_491
.LBB71_410:
	s_andn2_b64 vcc, exec, s[0:1]
	s_cbranch_vccnz .LBB71_539
.LBB71_411:
	v_mov_b32_e32 v3, s25
	s_and_b32 s52, s70, 0xff
	v_add_co_u32_e32 v1, vcc, s24, v2
	s_cmp_lt_i32 s52, 11
	v_addc_co_u32_e32 v2, vcc, 0, v3, vcc
	s_cbranch_scc1 .LBB71_419
; %bb.412:
	s_and_b32 s53, 0xffff, s52
	s_cmp_gt_i32 s53, 25
	s_cbranch_scc0 .LBB71_421
; %bb.413:
	s_cmp_gt_i32 s53, 28
	s_cbranch_scc0 .LBB71_423
; %bb.414:
	;; [unrolled: 3-line block ×4, first 2 shown]
	s_cmp_eq_u32 s53, 46
	s_mov_b64 s[48:49], 0
	s_cbranch_scc0 .LBB71_543
; %bb.417:
	global_load_dword v3, v[1:2], off
	s_mov_b64 s[0:1], -1
	s_mov_b64 s[46:47], 0
	s_waitcnt vmcnt(0)
	v_lshlrev_b32_e32 v3, 16, v3
	v_cvt_i32_f32_e32 v3, v3
	s_branch .LBB71_544
.LBB71_418:
	s_mov_b64 s[46:47], -1
	s_mov_b64 s[0:1], 0
	s_mov_b64 s[44:45], s[40:41]
                                        ; implicit-def: $vgpr5
	s_branch .LBB71_457
.LBB71_419:
	s_mov_b64 s[48:49], -1
	s_mov_b64 s[0:1], 0
                                        ; implicit-def: $vgpr3
	s_mov_b64 s[46:47], s[38:39]
	s_branch .LBB71_605
.LBB71_420:
	s_mov_b64 s[46:47], -1
	s_mov_b64 s[0:1], 0
	s_mov_b64 s[44:45], s[40:41]
                                        ; implicit-def: $vgpr5
	s_branch .LBB71_440
.LBB71_421:
	s_mov_b64 s[48:49], -1
	s_mov_b64 s[0:1], 0
	s_mov_b64 s[46:47], s[38:39]
                                        ; implicit-def: $vgpr3
	s_branch .LBB71_571
.LBB71_422:
	s_mov_b64 s[46:47], -1
	s_mov_b64 s[0:1], 0
	s_mov_b64 s[44:45], s[40:41]
                                        ; implicit-def: $vgpr5
	s_branch .LBB71_435
.LBB71_423:
	s_mov_b64 s[48:49], -1
	s_mov_b64 s[0:1], 0
	s_mov_b64 s[46:47], s[38:39]
                                        ; implicit-def: $vgpr3
	s_branch .LBB71_554
.LBB71_424:
	s_mov_b64 s[46:47], -1
	s_mov_b64 s[0:1], 0
	s_mov_b64 s[44:45], s[40:41]
                                        ; implicit-def: $vgpr5
	s_branch .LBB71_429
.LBB71_425:
	s_mov_b64 s[48:49], -1
	s_mov_b64 s[0:1], 0
	s_mov_b64 s[46:47], s[38:39]
                                        ; implicit-def: $vgpr3
	s_branch .LBB71_549
.LBB71_426:
	s_andn2_saveexec_b64 s[48:49], s[48:49]
	s_cbranch_execz .LBB71_187
.LBB71_427:
	s_mov_b32 s52, 0x46000000
	v_add_f32_e64 v2, |v0|, s52
	v_and_b32_e32 v2, 0xff, v2
	v_cmp_ne_u32_e32 vcc, 0, v2
	s_andn2_b64 s[44:45], s[44:45], exec
	s_and_b64 s[52:53], vcc, exec
	s_or_b64 s[44:45], s[44:45], s[52:53]
	s_or_b64 exec, exec, s[48:49]
	v_mov_b32_e32 v5, 0
	s_and_saveexec_b64 s[48:49], s[44:45]
	s_cbranch_execnz .LBB71_188
	s_branch .LBB71_189
.LBB71_428:
	s_mov_b64 s[44:45], -1
                                        ; implicit-def: $vgpr5
	s_mov_b64 s[0:1], 0
.LBB71_429:
	s_and_b64 vcc, exec, s[46:47]
	s_cbranch_vccz .LBB71_434
; %bb.430:
	s_cmp_eq_u32 s49, 44
	s_cbranch_scc0 .LBB71_433
; %bb.431:
	global_load_ubyte v1, v[3:4], off
	s_mov_b64 s[0:1], -1
	s_mov_b64 s[44:45], 0
	s_waitcnt vmcnt(0)
	v_lshlrev_b32_e32 v5, 23, v1
	v_cvt_i32_f32_e32 v5, v5
	v_cmp_ne_u32_e32 vcc, 0, v1
	v_cndmask_b32_e32 v5, 0, v5, vcc
	s_branch .LBB71_434
.LBB71_432:
	s_mov_b64 s[48:49], -1
	s_mov_b64 s[0:1], 0
	s_mov_b64 s[46:47], s[38:39]
                                        ; implicit-def: $vgpr3
	s_branch .LBB71_544
.LBB71_433:
	s_mov_b64 s[44:45], -1
                                        ; implicit-def: $vgpr5
.LBB71_434:
	s_mov_b64 s[46:47], 0
.LBB71_435:
	s_and_b64 vcc, exec, s[46:47]
	s_cbranch_vccz .LBB71_439
; %bb.436:
	s_cmp_eq_u32 s49, 29
	s_cbranch_scc0 .LBB71_438
; %bb.437:
	global_load_dword v5, v[3:4], off
	s_mov_b64 s[0:1], -1
	s_mov_b64 s[44:45], 0
	s_branch .LBB71_439
.LBB71_438:
	s_mov_b64 s[44:45], -1
                                        ; implicit-def: $vgpr5
.LBB71_439:
	s_mov_b64 s[46:47], 0
.LBB71_440:
	s_and_b64 vcc, exec, s[46:47]
	s_cbranch_vccz .LBB71_456
; %bb.441:
	s_cmp_lt_i32 s49, 27
	s_cbranch_scc1 .LBB71_444
; %bb.442:
	s_cmp_gt_i32 s49, 27
	s_cbranch_scc0 .LBB71_445
; %bb.443:
	global_load_dword v5, v[3:4], off
	s_mov_b64 s[0:1], 0
	s_branch .LBB71_446
.LBB71_444:
	s_mov_b64 s[0:1], -1
                                        ; implicit-def: $vgpr5
	s_branch .LBB71_449
.LBB71_445:
	s_mov_b64 s[0:1], -1
                                        ; implicit-def: $vgpr5
.LBB71_446:
	s_andn2_b64 vcc, exec, s[0:1]
	s_cbranch_vccnz .LBB71_448
; %bb.447:
	global_load_ushort v5, v[3:4], off
.LBB71_448:
	s_mov_b64 s[0:1], 0
.LBB71_449:
	s_andn2_b64 vcc, exec, s[0:1]
	s_cbranch_vccnz .LBB71_455
; %bb.450:
	global_load_ubyte v1, v[3:4], off
	s_movk_i32 s0, 0x7f
	s_mov_b64 s[46:47], 0
	s_waitcnt vmcnt(0)
	v_cmp_lt_i16_e32 vcc, s0, v1
	s_and_saveexec_b64 s[0:1], vcc
	s_xor_b64 s[0:1], exec, s[0:1]
	s_cbranch_execz .LBB71_467
; %bb.451:
	s_movk_i32 s46, 0x80
	v_cmp_ne_u16_e32 vcc, s46, v1
	s_and_b64 s[46:47], vcc, exec
	s_andn2_saveexec_b64 s[0:1], s[0:1]
	s_cbranch_execnz .LBB71_468
.LBB71_452:
	s_or_b64 exec, exec, s[0:1]
	v_mov_b32_e32 v5, 0
	s_and_saveexec_b64 s[0:1], s[46:47]
	s_cbranch_execz .LBB71_454
.LBB71_453:
	v_lshlrev_b32_e32 v5, 24, v1
	v_and_b32_e32 v1, 0xffff, v1
	v_and_b32_e32 v6, 7, v1
	v_ffbh_u32_e32 v9, v6
	v_min_u32_e32 v9, 32, v9
	v_subrev_u32_e32 v10, 28, v9
	v_bfe_u32 v7, v1, 3, 4
	v_lshlrev_b32_e32 v1, v10, v1
	v_sub_u32_e32 v9, 29, v9
	v_and_b32_e32 v1, 7, v1
	v_cmp_eq_u32_e32 vcc, 0, v7
	v_cndmask_b32_e32 v7, v7, v9, vcc
	v_cndmask_b32_e32 v1, v6, v1, vcc
	v_mov_b32_e32 v6, 0x3b800000
	v_lshlrev_b32_e32 v1, 20, v1
	v_and_b32_e32 v5, 0x80000000, v5
	v_lshl_add_u32 v6, v7, 23, v6
	v_or3_b32 v1, v5, v6, v1
	v_cvt_i32_f32_e32 v5, v1
.LBB71_454:
	s_or_b64 exec, exec, s[0:1]
.LBB71_455:
	s_mov_b64 s[0:1], -1
.LBB71_456:
	s_mov_b64 s[46:47], 0
.LBB71_457:
	s_and_b64 vcc, exec, s[46:47]
	s_cbranch_vccz .LBB71_490
; %bb.458:
	s_cmp_gt_i32 s49, 22
	s_cbranch_scc0 .LBB71_466
; %bb.459:
	s_cmp_lt_i32 s49, 24
	s_cbranch_scc1 .LBB71_469
; %bb.460:
	s_cmp_gt_i32 s49, 24
	s_cbranch_scc0 .LBB71_470
; %bb.461:
	global_load_ubyte v1, v[3:4], off
	s_movk_i32 s0, 0x7f
	s_mov_b64 s[46:47], 0
	s_waitcnt vmcnt(0)
	v_cmp_lt_i16_e32 vcc, s0, v1
	s_and_saveexec_b64 s[0:1], vcc
	s_xor_b64 s[0:1], exec, s[0:1]
	s_cbranch_execz .LBB71_482
; %bb.462:
	s_movk_i32 s46, 0x80
	v_cmp_ne_u16_e32 vcc, s46, v1
	s_and_b64 s[46:47], vcc, exec
	s_andn2_saveexec_b64 s[0:1], s[0:1]
	s_cbranch_execnz .LBB71_483
.LBB71_463:
	s_or_b64 exec, exec, s[0:1]
	v_mov_b32_e32 v5, 0
	s_and_saveexec_b64 s[0:1], s[46:47]
	s_cbranch_execz .LBB71_465
.LBB71_464:
	v_lshlrev_b32_e32 v5, 24, v1
	v_and_b32_e32 v1, 0xffff, v1
	v_and_b32_e32 v6, 3, v1
	v_ffbh_u32_e32 v9, v6
	v_min_u32_e32 v9, 32, v9
	v_subrev_u32_e32 v10, 29, v9
	v_bfe_u32 v7, v1, 2, 5
	v_lshlrev_b32_e32 v1, v10, v1
	v_sub_u32_e32 v9, 30, v9
	v_and_b32_e32 v1, 3, v1
	v_cmp_eq_u32_e32 vcc, 0, v7
	v_cndmask_b32_e32 v7, v7, v9, vcc
	v_cndmask_b32_e32 v1, v6, v1, vcc
	v_mov_b32_e32 v6, 0x37800000
	v_lshlrev_b32_e32 v1, 21, v1
	v_and_b32_e32 v5, 0x80000000, v5
	v_lshl_add_u32 v6, v7, 23, v6
	v_or3_b32 v1, v5, v6, v1
	v_cvt_i32_f32_e32 v5, v1
.LBB71_465:
	s_or_b64 exec, exec, s[0:1]
	s_mov_b64 s[0:1], 0
	s_branch .LBB71_471
.LBB71_466:
	s_mov_b64 s[46:47], -1
                                        ; implicit-def: $vgpr5
	s_branch .LBB71_477
.LBB71_467:
	s_andn2_saveexec_b64 s[0:1], s[0:1]
	s_cbranch_execz .LBB71_452
.LBB71_468:
	v_cmp_ne_u16_e32 vcc, 0, v1
	s_andn2_b64 s[46:47], s[46:47], exec
	s_and_b64 s[52:53], vcc, exec
	s_or_b64 s[46:47], s[46:47], s[52:53]
	s_or_b64 exec, exec, s[0:1]
	v_mov_b32_e32 v5, 0
	s_and_saveexec_b64 s[0:1], s[46:47]
	s_cbranch_execnz .LBB71_453
	s_branch .LBB71_454
.LBB71_469:
	s_mov_b64 s[0:1], -1
                                        ; implicit-def: $vgpr5
	s_branch .LBB71_474
.LBB71_470:
	s_mov_b64 s[0:1], -1
                                        ; implicit-def: $vgpr5
.LBB71_471:
	s_and_b64 vcc, exec, s[0:1]
	s_cbranch_vccz .LBB71_473
; %bb.472:
	global_load_ubyte v1, v[3:4], off
	s_mov_b32 s0, 0x7f800000
	s_waitcnt vmcnt(0)
	v_lshlrev_b32_e32 v1, 24, v1
	v_and_b32_e32 v5, 0x7f000000, v1
	v_ffbh_u32_e32 v6, v5
	v_min_u32_e32 v6, 32, v6
	v_sub_u32_e64 v6, v6, 4 clamp
	v_lshlrev_b32_e32 v9, v6, v5
	v_lshlrev_b32_e32 v6, 23, v6
	v_lshrrev_b32_e32 v9, 4, v9
	v_add_u32_e32 v7, 0x1000000, v5
	v_sub_u32_e32 v6, v9, v6
	v_ashrrev_i32_e32 v7, 8, v7
	v_add_u32_e32 v6, 0x3c000000, v6
	v_and_or_b32 v6, v7, s0, v6
	v_cmp_ne_u32_e32 vcc, 0, v5
	v_cndmask_b32_e32 v5, 0, v6, vcc
	s_brev_b32 s0, 1
	v_and_or_b32 v1, v1, s0, v5
	v_cvt_i32_f32_e32 v5, v1
.LBB71_473:
	s_mov_b64 s[0:1], 0
.LBB71_474:
	s_andn2_b64 vcc, exec, s[0:1]
	s_cbranch_vccnz .LBB71_476
; %bb.475:
	global_load_ubyte v1, v[3:4], off
	s_movk_i32 s0, 0x7f00
	s_brev_b32 s1, 16
	s_waitcnt vmcnt(0)
	v_lshlrev_b16_e32 v5, 8, v1
	v_lshlrev_b32_e32 v1, 25, v1
	v_lshrrev_b32_e32 v6, 4, v1
	v_and_or_b32 v7, v5, s0, 0.5
	v_or_b32_e32 v6, 0x70000000, v6
	v_add_f32_e32 v7, -0.5, v7
	v_mul_f32_e32 v6, 0x7800000, v6
	v_cmp_gt_u32_e32 vcc, s1, v1
	v_bfe_i32 v5, v5, 0, 16
	v_cndmask_b32_e32 v1, v6, v7, vcc
	s_brev_b32 s0, 1
	v_and_or_b32 v1, v5, s0, v1
	v_cvt_i32_f32_e32 v5, v1
.LBB71_476:
	s_mov_b64 s[46:47], 0
	s_mov_b64 s[0:1], -1
.LBB71_477:
	s_andn2_b64 vcc, exec, s[46:47]
	s_cbranch_vccnz .LBB71_490
; %bb.478:
	s_cmp_gt_i32 s49, 14
	s_cbranch_scc0 .LBB71_481
; %bb.479:
	s_cmp_eq_u32 s49, 15
	s_cbranch_scc0 .LBB71_484
; %bb.480:
	global_load_ushort v1, v[3:4], off
	s_mov_b64 s[0:1], -1
	s_mov_b64 s[44:45], 0
	s_waitcnt vmcnt(0)
	v_lshlrev_b32_e32 v1, 16, v1
	v_cvt_i32_f32_e32 v5, v1
	s_branch .LBB71_485
.LBB71_481:
	s_mov_b64 s[46:47], -1
                                        ; implicit-def: $vgpr5
	s_branch .LBB71_486
.LBB71_482:
	s_andn2_saveexec_b64 s[0:1], s[0:1]
	s_cbranch_execz .LBB71_463
.LBB71_483:
	v_cmp_ne_u16_e32 vcc, 0, v1
	s_andn2_b64 s[46:47], s[46:47], exec
	s_and_b64 s[52:53], vcc, exec
	s_or_b64 s[46:47], s[46:47], s[52:53]
	s_or_b64 exec, exec, s[0:1]
	v_mov_b32_e32 v5, 0
	s_and_saveexec_b64 s[0:1], s[46:47]
	s_cbranch_execnz .LBB71_464
	s_branch .LBB71_465
.LBB71_484:
	s_mov_b64 s[44:45], -1
                                        ; implicit-def: $vgpr5
.LBB71_485:
	s_mov_b64 s[46:47], 0
.LBB71_486:
	s_and_b64 vcc, exec, s[46:47]
	s_cbranch_vccz .LBB71_490
; %bb.487:
	s_cmp_eq_u32 s49, 11
	s_cbranch_scc0 .LBB71_489
; %bb.488:
	global_load_ubyte v1, v[3:4], off
	s_mov_b64 s[0:1], -1
	s_mov_b64 s[44:45], 0
	s_waitcnt vmcnt(0)
	v_cmp_ne_u16_e32 vcc, 0, v1
	v_cndmask_b32_e64 v5, 0, 1, vcc
	s_branch .LBB71_490
.LBB71_489:
	s_mov_b64 s[44:45], -1
                                        ; implicit-def: $vgpr5
.LBB71_490:
	s_branch .LBB71_410
.LBB71_491:
	s_and_b32 s46, 0xffff, s48
	s_cmp_lt_i32 s46, 5
	s_cbranch_scc1 .LBB71_496
; %bb.492:
	s_cmp_lt_i32 s46, 8
	s_cbranch_scc1 .LBB71_497
; %bb.493:
	;; [unrolled: 3-line block ×3, first 2 shown]
	s_cmp_gt_i32 s46, 9
	s_cbranch_scc0 .LBB71_499
; %bb.495:
	global_load_dwordx2 v[5:6], v[3:4], off
	s_mov_b64 s[0:1], 0
	s_waitcnt vmcnt(0)
	v_cvt_i32_f64_e32 v5, v[5:6]
	s_branch .LBB71_500
.LBB71_496:
	s_mov_b64 s[0:1], -1
                                        ; implicit-def: $vgpr5
	s_branch .LBB71_518
.LBB71_497:
	s_mov_b64 s[0:1], -1
                                        ; implicit-def: $vgpr5
	s_branch .LBB71_506
.LBB71_498:
	s_mov_b64 s[0:1], -1
                                        ; implicit-def: $vgpr5
	s_branch .LBB71_503
.LBB71_499:
	s_mov_b64 s[0:1], -1
                                        ; implicit-def: $vgpr5
.LBB71_500:
	s_andn2_b64 vcc, exec, s[0:1]
	s_cbranch_vccnz .LBB71_502
; %bb.501:
	global_load_dword v1, v[3:4], off
	s_waitcnt vmcnt(0)
	v_cvt_i32_f32_e32 v5, v1
.LBB71_502:
	s_mov_b64 s[0:1], 0
.LBB71_503:
	s_andn2_b64 vcc, exec, s[0:1]
	s_cbranch_vccnz .LBB71_505
; %bb.504:
	global_load_dword v1, v[3:4], off
	s_waitcnt vmcnt(0)
	v_cvt_f32_f16_e32 v1, v1
	v_cvt_i32_f32_e32 v5, v1
.LBB71_505:
	s_mov_b64 s[0:1], 0
.LBB71_506:
	s_andn2_b64 vcc, exec, s[0:1]
	s_cbranch_vccnz .LBB71_517
; %bb.507:
	s_cmp_lt_i32 s46, 6
	s_cbranch_scc1 .LBB71_510
; %bb.508:
	s_cmp_gt_i32 s46, 6
	s_cbranch_scc0 .LBB71_511
; %bb.509:
	global_load_dwordx2 v[5:6], v[3:4], off
	s_mov_b64 s[0:1], 0
	s_waitcnt vmcnt(0)
	v_cvt_i32_f64_e32 v5, v[5:6]
	s_branch .LBB71_512
.LBB71_510:
	s_mov_b64 s[0:1], -1
                                        ; implicit-def: $vgpr5
	s_branch .LBB71_515
.LBB71_511:
	s_mov_b64 s[0:1], -1
                                        ; implicit-def: $vgpr5
.LBB71_512:
	s_andn2_b64 vcc, exec, s[0:1]
	s_cbranch_vccnz .LBB71_514
; %bb.513:
	global_load_dword v1, v[3:4], off
	s_waitcnt vmcnt(0)
	v_cvt_i32_f32_e32 v5, v1
.LBB71_514:
	s_mov_b64 s[0:1], 0
.LBB71_515:
	s_andn2_b64 vcc, exec, s[0:1]
	s_cbranch_vccnz .LBB71_517
; %bb.516:
	global_load_ushort v1, v[3:4], off
	s_waitcnt vmcnt(0)
	v_cvt_f32_f16_e32 v1, v1
	v_cvt_i32_f32_e32 v5, v1
.LBB71_517:
	s_mov_b64 s[0:1], 0
.LBB71_518:
	s_andn2_b64 vcc, exec, s[0:1]
	s_cbranch_vccnz .LBB71_538
; %bb.519:
	s_cmp_lt_i32 s46, 2
	s_cbranch_scc1 .LBB71_523
; %bb.520:
	s_cmp_lt_i32 s46, 3
	s_cbranch_scc1 .LBB71_524
; %bb.521:
	s_cmp_gt_i32 s46, 3
	s_cbranch_scc0 .LBB71_525
; %bb.522:
	global_load_dword v5, v[3:4], off
	s_mov_b64 s[0:1], 0
	s_branch .LBB71_526
.LBB71_523:
	s_mov_b64 s[0:1], -1
                                        ; implicit-def: $vgpr5
	s_branch .LBB71_532
.LBB71_524:
	s_mov_b64 s[0:1], -1
                                        ; implicit-def: $vgpr5
	s_branch .LBB71_529
.LBB71_525:
	s_mov_b64 s[0:1], -1
                                        ; implicit-def: $vgpr5
.LBB71_526:
	s_andn2_b64 vcc, exec, s[0:1]
	s_cbranch_vccnz .LBB71_528
; %bb.527:
	global_load_dword v5, v[3:4], off
.LBB71_528:
	s_mov_b64 s[0:1], 0
.LBB71_529:
	s_andn2_b64 vcc, exec, s[0:1]
	s_cbranch_vccnz .LBB71_531
; %bb.530:
	global_load_sshort v5, v[3:4], off
.LBB71_531:
	s_mov_b64 s[0:1], 0
.LBB71_532:
	s_andn2_b64 vcc, exec, s[0:1]
	s_cbranch_vccnz .LBB71_538
; %bb.533:
	s_cmp_gt_i32 s46, 0
	s_cbranch_scc0 .LBB71_535
; %bb.534:
	global_load_sbyte v5, v[3:4], off
	s_mov_b64 s[0:1], 0
	s_branch .LBB71_536
.LBB71_535:
	s_mov_b64 s[0:1], -1
                                        ; implicit-def: $vgpr5
.LBB71_536:
	s_andn2_b64 vcc, exec, s[0:1]
	s_cbranch_vccnz .LBB71_538
; %bb.537:
	global_load_ubyte v5, v[3:4], off
.LBB71_538:
	s_branch .LBB71_411
.LBB71_539:
	s_mov_b64 s[52:53], 0
	s_mov_b64 s[0:1], s[36:37]
	;; [unrolled: 1-line block ×3, first 2 shown]
.LBB71_540:
                                        ; implicit-def: $vgpr8
	s_branch .LBB71_778
.LBB71_541:
	s_andn2_saveexec_b64 s[48:49], s[48:49]
	s_cbranch_execz .LBB71_200
.LBB71_542:
	s_mov_b32 s52, 0x42800000
	v_add_f32_e64 v2, |v0|, s52
	v_and_b32_e32 v2, 0xff, v2
	v_cmp_ne_u32_e32 vcc, 0, v2
	s_andn2_b64 s[44:45], s[44:45], exec
	s_and_b64 s[52:53], vcc, exec
	s_or_b64 s[44:45], s[44:45], s[52:53]
	s_or_b64 exec, exec, s[48:49]
	v_mov_b32_e32 v5, 0
	s_and_saveexec_b64 s[48:49], s[44:45]
	s_cbranch_execnz .LBB71_201
	s_branch .LBB71_202
.LBB71_543:
	s_mov_b64 s[46:47], -1
                                        ; implicit-def: $vgpr3
	s_mov_b64 s[0:1], 0
.LBB71_544:
	s_and_b64 vcc, exec, s[48:49]
	s_cbranch_vccz .LBB71_548
; %bb.545:
	s_cmp_eq_u32 s53, 44
	s_cbranch_scc0 .LBB71_547
; %bb.546:
	global_load_ubyte v3, v[1:2], off
	s_mov_b64 s[0:1], -1
	s_mov_b64 s[46:47], 0
	s_waitcnt vmcnt(0)
	v_lshlrev_b32_e32 v4, 23, v3
	v_cvt_i32_f32_e32 v4, v4
	v_cmp_ne_u32_e32 vcc, 0, v3
	v_cndmask_b32_e32 v3, 0, v4, vcc
	s_branch .LBB71_548
.LBB71_547:
	s_mov_b64 s[46:47], -1
                                        ; implicit-def: $vgpr3
.LBB71_548:
	s_mov_b64 s[48:49], 0
.LBB71_549:
	s_and_b64 vcc, exec, s[48:49]
	s_cbranch_vccz .LBB71_553
; %bb.550:
	s_cmp_eq_u32 s53, 29
	s_cbranch_scc0 .LBB71_552
; %bb.551:
	global_load_dword v3, v[1:2], off
	s_mov_b64 s[0:1], -1
	s_mov_b64 s[46:47], 0
	s_branch .LBB71_553
.LBB71_552:
	s_mov_b64 s[46:47], -1
                                        ; implicit-def: $vgpr3
.LBB71_553:
	s_mov_b64 s[48:49], 0
.LBB71_554:
	s_and_b64 vcc, exec, s[48:49]
	s_cbranch_vccz .LBB71_570
; %bb.555:
	s_cmp_lt_i32 s53, 27
	s_cbranch_scc1 .LBB71_558
; %bb.556:
	s_cmp_gt_i32 s53, 27
	s_cbranch_scc0 .LBB71_559
; %bb.557:
	global_load_dword v3, v[1:2], off
	s_mov_b64 s[0:1], 0
	s_branch .LBB71_560
.LBB71_558:
	s_mov_b64 s[0:1], -1
                                        ; implicit-def: $vgpr3
	s_branch .LBB71_563
.LBB71_559:
	s_mov_b64 s[0:1], -1
                                        ; implicit-def: $vgpr3
.LBB71_560:
	s_andn2_b64 vcc, exec, s[0:1]
	s_cbranch_vccnz .LBB71_562
; %bb.561:
	global_load_ushort v3, v[1:2], off
.LBB71_562:
	s_mov_b64 s[0:1], 0
.LBB71_563:
	s_andn2_b64 vcc, exec, s[0:1]
	s_cbranch_vccnz .LBB71_569
; %bb.564:
	global_load_ubyte v4, v[1:2], off
	s_movk_i32 s0, 0x7f
	s_mov_b64 s[48:49], 0
	s_waitcnt vmcnt(0)
	v_cmp_lt_i16_e32 vcc, s0, v4
	s_and_saveexec_b64 s[0:1], vcc
	s_xor_b64 s[0:1], exec, s[0:1]
	s_cbranch_execz .LBB71_581
; %bb.565:
	s_movk_i32 s48, 0x80
	v_cmp_ne_u16_e32 vcc, s48, v4
	s_and_b64 s[48:49], vcc, exec
	s_andn2_saveexec_b64 s[0:1], s[0:1]
	s_cbranch_execnz .LBB71_582
.LBB71_566:
	s_or_b64 exec, exec, s[0:1]
	v_mov_b32_e32 v3, 0
	s_and_saveexec_b64 s[0:1], s[48:49]
	s_cbranch_execz .LBB71_568
.LBB71_567:
	v_lshlrev_b32_e32 v3, 24, v4
	v_and_b32_e32 v4, 0xffff, v4
	v_and_b32_e32 v6, 7, v4
	v_ffbh_u32_e32 v9, v6
	v_min_u32_e32 v9, 32, v9
	v_subrev_u32_e32 v10, 28, v9
	v_bfe_u32 v7, v4, 3, 4
	v_lshlrev_b32_e32 v4, v10, v4
	v_sub_u32_e32 v9, 29, v9
	v_and_b32_e32 v4, 7, v4
	v_cmp_eq_u32_e32 vcc, 0, v7
	v_cndmask_b32_e32 v7, v7, v9, vcc
	v_cndmask_b32_e32 v4, v6, v4, vcc
	v_mov_b32_e32 v6, 0x3b800000
	v_lshlrev_b32_e32 v4, 20, v4
	v_and_b32_e32 v3, 0x80000000, v3
	v_lshl_add_u32 v6, v7, 23, v6
	v_or3_b32 v3, v3, v6, v4
	v_cvt_i32_f32_e32 v3, v3
.LBB71_568:
	s_or_b64 exec, exec, s[0:1]
.LBB71_569:
	s_mov_b64 s[0:1], -1
.LBB71_570:
	s_mov_b64 s[48:49], 0
.LBB71_571:
	s_and_b64 vcc, exec, s[48:49]
	s_cbranch_vccz .LBB71_604
; %bb.572:
	s_cmp_gt_i32 s53, 22
	s_cbranch_scc0 .LBB71_580
; %bb.573:
	s_cmp_lt_i32 s53, 24
	s_cbranch_scc1 .LBB71_583
; %bb.574:
	s_cmp_gt_i32 s53, 24
	s_cbranch_scc0 .LBB71_584
; %bb.575:
	global_load_ubyte v4, v[1:2], off
	s_movk_i32 s0, 0x7f
	s_mov_b64 s[48:49], 0
	s_waitcnt vmcnt(0)
	v_cmp_lt_i16_e32 vcc, s0, v4
	s_and_saveexec_b64 s[0:1], vcc
	s_xor_b64 s[0:1], exec, s[0:1]
	s_cbranch_execz .LBB71_596
; %bb.576:
	s_movk_i32 s48, 0x80
	v_cmp_ne_u16_e32 vcc, s48, v4
	s_and_b64 s[48:49], vcc, exec
	s_andn2_saveexec_b64 s[0:1], s[0:1]
	s_cbranch_execnz .LBB71_597
.LBB71_577:
	s_or_b64 exec, exec, s[0:1]
	v_mov_b32_e32 v3, 0
	s_and_saveexec_b64 s[0:1], s[48:49]
	s_cbranch_execz .LBB71_579
.LBB71_578:
	v_lshlrev_b32_e32 v3, 24, v4
	v_and_b32_e32 v4, 0xffff, v4
	v_and_b32_e32 v6, 3, v4
	v_ffbh_u32_e32 v9, v6
	v_min_u32_e32 v9, 32, v9
	v_subrev_u32_e32 v10, 29, v9
	v_bfe_u32 v7, v4, 2, 5
	v_lshlrev_b32_e32 v4, v10, v4
	v_sub_u32_e32 v9, 30, v9
	v_and_b32_e32 v4, 3, v4
	v_cmp_eq_u32_e32 vcc, 0, v7
	v_cndmask_b32_e32 v7, v7, v9, vcc
	v_cndmask_b32_e32 v4, v6, v4, vcc
	v_mov_b32_e32 v6, 0x37800000
	v_lshlrev_b32_e32 v4, 21, v4
	v_and_b32_e32 v3, 0x80000000, v3
	v_lshl_add_u32 v6, v7, 23, v6
	v_or3_b32 v3, v3, v6, v4
	v_cvt_i32_f32_e32 v3, v3
.LBB71_579:
	s_or_b64 exec, exec, s[0:1]
	s_mov_b64 s[0:1], 0
	s_branch .LBB71_585
.LBB71_580:
	s_mov_b64 s[48:49], -1
                                        ; implicit-def: $vgpr3
	s_branch .LBB71_591
.LBB71_581:
	s_andn2_saveexec_b64 s[0:1], s[0:1]
	s_cbranch_execz .LBB71_566
.LBB71_582:
	v_cmp_ne_u16_e32 vcc, 0, v4
	s_andn2_b64 s[48:49], s[48:49], exec
	s_and_b64 s[54:55], vcc, exec
	s_or_b64 s[48:49], s[48:49], s[54:55]
	s_or_b64 exec, exec, s[0:1]
	v_mov_b32_e32 v3, 0
	s_and_saveexec_b64 s[0:1], s[48:49]
	s_cbranch_execnz .LBB71_567
	s_branch .LBB71_568
.LBB71_583:
	s_mov_b64 s[0:1], -1
                                        ; implicit-def: $vgpr3
	s_branch .LBB71_588
.LBB71_584:
	s_mov_b64 s[0:1], -1
                                        ; implicit-def: $vgpr3
.LBB71_585:
	s_and_b64 vcc, exec, s[0:1]
	s_cbranch_vccz .LBB71_587
; %bb.586:
	global_load_ubyte v3, v[1:2], off
	s_mov_b32 s0, 0x7f800000
	s_waitcnt vmcnt(0)
	v_lshlrev_b32_e32 v3, 24, v3
	v_and_b32_e32 v4, 0x7f000000, v3
	v_ffbh_u32_e32 v6, v4
	v_min_u32_e32 v6, 32, v6
	v_sub_u32_e64 v6, v6, 4 clamp
	v_lshlrev_b32_e32 v9, v6, v4
	v_lshlrev_b32_e32 v6, 23, v6
	v_lshrrev_b32_e32 v9, 4, v9
	v_add_u32_e32 v7, 0x1000000, v4
	v_sub_u32_e32 v6, v9, v6
	v_ashrrev_i32_e32 v7, 8, v7
	v_add_u32_e32 v6, 0x3c000000, v6
	v_and_or_b32 v6, v7, s0, v6
	v_cmp_ne_u32_e32 vcc, 0, v4
	v_cndmask_b32_e32 v4, 0, v6, vcc
	s_brev_b32 s0, 1
	v_and_or_b32 v3, v3, s0, v4
	v_cvt_i32_f32_e32 v3, v3
.LBB71_587:
	s_mov_b64 s[0:1], 0
.LBB71_588:
	s_andn2_b64 vcc, exec, s[0:1]
	s_cbranch_vccnz .LBB71_590
; %bb.589:
	global_load_ubyte v3, v[1:2], off
	s_movk_i32 s0, 0x7f00
	s_brev_b32 s1, 16
	s_waitcnt vmcnt(0)
	v_lshlrev_b16_e32 v4, 8, v3
	v_lshlrev_b32_e32 v3, 25, v3
	v_lshrrev_b32_e32 v6, 4, v3
	v_and_or_b32 v7, v4, s0, 0.5
	v_or_b32_e32 v6, 0x70000000, v6
	v_add_f32_e32 v7, -0.5, v7
	v_mul_f32_e32 v6, 0x7800000, v6
	v_cmp_gt_u32_e32 vcc, s1, v3
	v_bfe_i32 v4, v4, 0, 16
	v_cndmask_b32_e32 v3, v6, v7, vcc
	s_brev_b32 s0, 1
	v_and_or_b32 v3, v4, s0, v3
	v_cvt_i32_f32_e32 v3, v3
.LBB71_590:
	s_mov_b64 s[48:49], 0
	s_mov_b64 s[0:1], -1
.LBB71_591:
	s_andn2_b64 vcc, exec, s[48:49]
	s_cbranch_vccnz .LBB71_604
; %bb.592:
	s_cmp_gt_i32 s53, 14
	s_cbranch_scc0 .LBB71_595
; %bb.593:
	s_cmp_eq_u32 s53, 15
	s_cbranch_scc0 .LBB71_598
; %bb.594:
	global_load_ushort v3, v[1:2], off
	s_mov_b64 s[0:1], -1
	s_mov_b64 s[46:47], 0
	s_waitcnt vmcnt(0)
	v_lshlrev_b32_e32 v3, 16, v3
	v_cvt_i32_f32_e32 v3, v3
	s_branch .LBB71_599
.LBB71_595:
	s_mov_b64 s[48:49], -1
                                        ; implicit-def: $vgpr3
	s_branch .LBB71_600
.LBB71_596:
	s_andn2_saveexec_b64 s[0:1], s[0:1]
	s_cbranch_execz .LBB71_577
.LBB71_597:
	v_cmp_ne_u16_e32 vcc, 0, v4
	s_andn2_b64 s[48:49], s[48:49], exec
	s_and_b64 s[54:55], vcc, exec
	s_or_b64 s[48:49], s[48:49], s[54:55]
	s_or_b64 exec, exec, s[0:1]
	v_mov_b32_e32 v3, 0
	s_and_saveexec_b64 s[0:1], s[48:49]
	s_cbranch_execnz .LBB71_578
	s_branch .LBB71_579
.LBB71_598:
	s_mov_b64 s[46:47], -1
                                        ; implicit-def: $vgpr3
.LBB71_599:
	s_mov_b64 s[48:49], 0
.LBB71_600:
	s_and_b64 vcc, exec, s[48:49]
	s_cbranch_vccz .LBB71_604
; %bb.601:
	s_cmp_eq_u32 s53, 11
	s_cbranch_scc0 .LBB71_603
; %bb.602:
	global_load_ubyte v3, v[1:2], off
	s_mov_b64 s[0:1], -1
	s_mov_b64 s[46:47], 0
	s_waitcnt vmcnt(0)
	v_cmp_ne_u16_e32 vcc, 0, v3
	v_cndmask_b32_e64 v3, 0, 1, vcc
	s_branch .LBB71_604
.LBB71_603:
	s_mov_b64 s[46:47], -1
                                        ; implicit-def: $vgpr3
.LBB71_604:
	s_mov_b64 s[48:49], 0
.LBB71_605:
	s_and_b64 vcc, exec, s[48:49]
	s_cbranch_vccz .LBB71_654
; %bb.606:
	s_and_b32 s48, 0xffff, s52
	s_cmp_lt_i32 s48, 5
	s_cbranch_scc1 .LBB71_611
; %bb.607:
	s_cmp_lt_i32 s48, 8
	s_cbranch_scc1 .LBB71_612
; %bb.608:
	;; [unrolled: 3-line block ×3, first 2 shown]
	s_cmp_gt_i32 s48, 9
	s_cbranch_scc0 .LBB71_614
; %bb.610:
	global_load_dwordx2 v[3:4], v[1:2], off
	s_mov_b64 s[0:1], 0
	s_waitcnt vmcnt(0)
	v_cvt_i32_f64_e32 v3, v[3:4]
	s_branch .LBB71_615
.LBB71_611:
	s_mov_b64 s[0:1], -1
                                        ; implicit-def: $vgpr3
	s_branch .LBB71_633
.LBB71_612:
	s_mov_b64 s[0:1], -1
                                        ; implicit-def: $vgpr3
	s_branch .LBB71_621
.LBB71_613:
	s_mov_b64 s[0:1], -1
                                        ; implicit-def: $vgpr3
	s_branch .LBB71_618
.LBB71_614:
	s_mov_b64 s[0:1], -1
                                        ; implicit-def: $vgpr3
.LBB71_615:
	s_andn2_b64 vcc, exec, s[0:1]
	s_cbranch_vccnz .LBB71_617
; %bb.616:
	global_load_dword v3, v[1:2], off
	s_waitcnt vmcnt(0)
	v_cvt_i32_f32_e32 v3, v3
.LBB71_617:
	s_mov_b64 s[0:1], 0
.LBB71_618:
	s_andn2_b64 vcc, exec, s[0:1]
	s_cbranch_vccnz .LBB71_620
; %bb.619:
	global_load_dword v3, v[1:2], off
	s_waitcnt vmcnt(0)
	v_cvt_f32_f16_e32 v3, v3
	v_cvt_i32_f32_e32 v3, v3
.LBB71_620:
	s_mov_b64 s[0:1], 0
.LBB71_621:
	s_andn2_b64 vcc, exec, s[0:1]
	s_cbranch_vccnz .LBB71_632
; %bb.622:
	s_cmp_lt_i32 s48, 6
	s_cbranch_scc1 .LBB71_625
; %bb.623:
	s_cmp_gt_i32 s48, 6
	s_cbranch_scc0 .LBB71_626
; %bb.624:
	global_load_dwordx2 v[3:4], v[1:2], off
	s_mov_b64 s[0:1], 0
	s_waitcnt vmcnt(0)
	v_cvt_i32_f64_e32 v3, v[3:4]
	s_branch .LBB71_627
.LBB71_625:
	s_mov_b64 s[0:1], -1
                                        ; implicit-def: $vgpr3
	s_branch .LBB71_630
.LBB71_626:
	s_mov_b64 s[0:1], -1
                                        ; implicit-def: $vgpr3
.LBB71_627:
	s_andn2_b64 vcc, exec, s[0:1]
	s_cbranch_vccnz .LBB71_629
; %bb.628:
	global_load_dword v3, v[1:2], off
	s_waitcnt vmcnt(0)
	v_cvt_i32_f32_e32 v3, v3
.LBB71_629:
	s_mov_b64 s[0:1], 0
.LBB71_630:
	s_andn2_b64 vcc, exec, s[0:1]
	s_cbranch_vccnz .LBB71_632
; %bb.631:
	global_load_ushort v3, v[1:2], off
	s_waitcnt vmcnt(0)
	v_cvt_f32_f16_e32 v3, v3
	v_cvt_i32_f32_e32 v3, v3
.LBB71_632:
	s_mov_b64 s[0:1], 0
.LBB71_633:
	s_andn2_b64 vcc, exec, s[0:1]
	s_cbranch_vccnz .LBB71_653
; %bb.634:
	s_cmp_lt_i32 s48, 2
	s_cbranch_scc1 .LBB71_638
; %bb.635:
	s_cmp_lt_i32 s48, 3
	s_cbranch_scc1 .LBB71_639
; %bb.636:
	s_cmp_gt_i32 s48, 3
	s_cbranch_scc0 .LBB71_640
; %bb.637:
	global_load_dword v3, v[1:2], off
	s_mov_b64 s[0:1], 0
	s_branch .LBB71_641
.LBB71_638:
	s_mov_b64 s[0:1], -1
                                        ; implicit-def: $vgpr3
	s_branch .LBB71_647
.LBB71_639:
	s_mov_b64 s[0:1], -1
                                        ; implicit-def: $vgpr3
	s_branch .LBB71_644
.LBB71_640:
	s_mov_b64 s[0:1], -1
                                        ; implicit-def: $vgpr3
.LBB71_641:
	s_andn2_b64 vcc, exec, s[0:1]
	s_cbranch_vccnz .LBB71_643
; %bb.642:
	global_load_dword v3, v[1:2], off
.LBB71_643:
	s_mov_b64 s[0:1], 0
.LBB71_644:
	s_andn2_b64 vcc, exec, s[0:1]
	s_cbranch_vccnz .LBB71_646
; %bb.645:
	global_load_sshort v3, v[1:2], off
.LBB71_646:
	s_mov_b64 s[0:1], 0
.LBB71_647:
	s_andn2_b64 vcc, exec, s[0:1]
	s_cbranch_vccnz .LBB71_653
; %bb.648:
	s_cmp_gt_i32 s48, 0
	s_cbranch_scc0 .LBB71_650
; %bb.649:
	global_load_sbyte v3, v[1:2], off
	s_mov_b64 s[0:1], 0
	s_branch .LBB71_651
.LBB71_650:
	s_mov_b64 s[0:1], -1
                                        ; implicit-def: $vgpr3
.LBB71_651:
	s_andn2_b64 vcc, exec, s[0:1]
	s_cbranch_vccnz .LBB71_653
; %bb.652:
	global_load_ubyte v3, v[1:2], off
.LBB71_653:
	s_mov_b64 s[0:1], -1
.LBB71_654:
	s_andn2_b64 vcc, exec, s[0:1]
	s_cbranch_vccnz .LBB71_662
; %bb.655:
	s_waitcnt vmcnt(0)
	v_lshlrev_b32_e32 v1, v3, v5
	v_cmp_gt_u32_e32 vcc, 32, v3
	v_cndmask_b32_e32 v1, 0, v1, vcc
	v_mov_b32_e32 v2, s9
	s_and_b32 s56, s69, 0xff
	v_add_co_u32_e32 v3, vcc, s8, v0
	s_cmp_lt_i32 s56, 11
	v_addc_co_u32_e32 v4, vcc, 0, v2, vcc
	s_cbranch_scc1 .LBB71_663
; %bb.656:
	s_and_b32 s57, 0xffff, s56
	s_cmp_gt_i32 s57, 25
	s_cbranch_scc0 .LBB71_664
; %bb.657:
	s_cmp_gt_i32 s57, 28
	s_cbranch_scc0 .LBB71_665
; %bb.658:
	;; [unrolled: 3-line block ×4, first 2 shown]
	s_mov_b64 s[52:53], 0
	s_mov_b64 s[0:1], -1
	s_cmp_eq_u32 s57, 46
	s_mov_b64 s[48:49], 0
	s_cbranch_scc0 .LBB71_668
; %bb.661:
	v_cvt_f32_i32_e32 v0, v1
	s_movk_i32 s0, 0x7fff
	s_mov_b64 s[48:49], -1
	v_bfe_u32 v2, v0, 16, 1
	v_add3_u32 v0, v0, v2, s0
	v_lshrrev_b32_e32 v0, 16, v0
	global_store_dword v[3:4], v0, off
	s_mov_b64 s[0:1], 0
	s_branch .LBB71_668
.LBB71_662:
	s_mov_b64 s[52:53], 0
                                        ; implicit-def: $vgpr8
	s_mov_b64 s[0:1], s[36:37]
	s_branch .LBB71_778
.LBB71_663:
	s_mov_b64 s[52:53], -1
	s_mov_b64 s[48:49], 0
	s_mov_b64 s[0:1], s[36:37]
	s_branch .LBB71_737
.LBB71_664:
	s_mov_b64 s[52:53], -1
	s_mov_b64 s[48:49], 0
	s_mov_b64 s[0:1], s[36:37]
	s_branch .LBB71_695
.LBB71_665:
	s_mov_b64 s[52:53], -1
	s_mov_b64 s[48:49], 0
	s_mov_b64 s[0:1], s[36:37]
	s_branch .LBB71_678
.LBB71_666:
	s_mov_b64 s[52:53], -1
	s_mov_b64 s[48:49], 0
	s_mov_b64 s[0:1], s[36:37]
	s_branch .LBB71_674
.LBB71_667:
	s_mov_b64 s[52:53], -1
	s_mov_b64 s[48:49], 0
	s_mov_b64 s[0:1], s[36:37]
.LBB71_668:
	s_and_b64 vcc, exec, s[52:53]
	s_cbranch_vccz .LBB71_673
; %bb.669:
	s_cmp_eq_u32 s57, 44
	s_mov_b64 s[0:1], -1
	s_cbranch_scc0 .LBB71_673
; %bb.670:
	v_cvt_f32_i32_e32 v0, v1
	s_movk_i32 s0, 0xff
	v_mov_b32_e32 v5, 0xff
	v_bfe_u32 v2, v0, 23, 8
	v_cmp_ne_u32_e32 vcc, s0, v2
	s_and_saveexec_b64 s[48:49], vcc
; %bb.671:
	s_mov_b32 s0, 0x3fffff
	v_lshrrev_b32_e32 v5, 23, v0
	v_and_b32_e32 v6, 0x400000, v0
	v_and_or_b32 v0, v0, s0, v2
	v_cmp_ne_u32_e32 vcc, 0, v6
	v_cmp_ne_u32_e64 s[0:1], 0, v0
	s_and_b64 s[0:1], vcc, s[0:1]
	v_cndmask_b32_e64 v0, 0, 1, s[0:1]
	v_add_u32_e32 v5, v5, v0
; %bb.672:
	s_or_b64 exec, exec, s[48:49]
	s_mov_b64 s[48:49], -1
	s_mov_b64 s[0:1], 0
	global_store_byte v[3:4], v5, off
.LBB71_673:
	s_mov_b64 s[52:53], 0
.LBB71_674:
	s_and_b64 vcc, exec, s[52:53]
	s_cbranch_vccz .LBB71_677
; %bb.675:
	s_cmp_eq_u32 s57, 29
	s_mov_b64 s[0:1], -1
	s_cbranch_scc0 .LBB71_677
; %bb.676:
	v_ashrrev_i32_e32 v2, 31, v1
	global_store_dwordx2 v[3:4], v[1:2], off
	s_mov_b64 s[48:49], -1
	s_mov_b64 s[0:1], 0
.LBB71_677:
	s_mov_b64 s[52:53], 0
.LBB71_678:
	s_and_b64 vcc, exec, s[52:53]
	s_cbranch_vccz .LBB71_694
; %bb.679:
	s_cmp_lt_i32 s57, 27
	s_mov_b64 s[48:49], -1
	s_cbranch_scc1 .LBB71_685
; %bb.680:
	s_cmp_gt_i32 s57, 27
	s_cbranch_scc0 .LBB71_682
; %bb.681:
	s_mov_b64 s[48:49], 0
	global_store_dword v[3:4], v1, off
.LBB71_682:
	s_andn2_b64 vcc, exec, s[48:49]
	s_cbranch_vccnz .LBB71_684
; %bb.683:
	global_store_short v[3:4], v1, off
.LBB71_684:
	s_mov_b64 s[48:49], 0
.LBB71_685:
	s_andn2_b64 vcc, exec, s[48:49]
	s_cbranch_vccnz .LBB71_693
; %bb.686:
	v_cvt_f32_i32_e32 v0, v1
	s_mov_b32 s48, 0x43800000
	v_mov_b32_e32 v5, 0x80
	v_and_b32_e32 v2, 0x7fffffff, v0
	v_cmp_gt_u32_e32 vcc, s48, v2
	s_and_saveexec_b64 s[48:49], vcc
	s_cbranch_execz .LBB71_692
; %bb.687:
	s_mov_b32 s52, 0x3bffffff
	v_cmp_lt_u32_e32 vcc, s52, v2
	s_mov_b64 s[52:53], 0
                                        ; implicit-def: $vgpr2
	s_and_saveexec_b64 s[54:55], vcc
	s_xor_b64 s[54:55], exec, s[54:55]
	s_cbranch_execz .LBB71_806
; %bb.688:
	v_bfe_u32 v2, v0, 20, 1
	s_mov_b32 s58, 0x487ffff
	v_add3_u32 v2, v0, v2, s58
	s_mov_b64 s[52:53], exec
	v_lshrrev_b32_e32 v2, 20, v2
	s_andn2_saveexec_b64 s[54:55], s[54:55]
	s_cbranch_execnz .LBB71_807
.LBB71_689:
	s_or_b64 exec, exec, s[54:55]
	v_mov_b32_e32 v5, 0
	s_and_saveexec_b64 s[54:55], s[52:53]
.LBB71_690:
	v_lshrrev_b32_e32 v0, 24, v0
	s_movk_i32 s52, 0x80
	v_and_or_b32 v5, v0, s52, v2
.LBB71_691:
	s_or_b64 exec, exec, s[54:55]
.LBB71_692:
	s_or_b64 exec, exec, s[48:49]
	global_store_byte v[3:4], v5, off
.LBB71_693:
	s_mov_b64 s[48:49], -1
.LBB71_694:
	s_mov_b64 s[52:53], 0
.LBB71_695:
	s_and_b64 vcc, exec, s[52:53]
	s_cbranch_vccz .LBB71_736
; %bb.696:
	s_cmp_gt_i32 s57, 22
	s_mov_b64 s[52:53], -1
	s_cbranch_scc0 .LBB71_728
; %bb.697:
	s_cmp_lt_i32 s57, 24
	s_mov_b64 s[48:49], -1
	s_cbranch_scc1 .LBB71_717
; %bb.698:
	s_cmp_gt_i32 s57, 24
	s_cbranch_scc0 .LBB71_706
; %bb.699:
	v_cvt_f32_i32_e32 v0, v1
	s_mov_b32 s48, 0x47800000
	v_mov_b32_e32 v5, 0x80
	v_and_b32_e32 v2, 0x7fffffff, v0
	v_cmp_gt_u32_e32 vcc, s48, v2
	s_and_saveexec_b64 s[48:49], vcc
	s_cbranch_execz .LBB71_705
; %bb.700:
	s_mov_b32 s52, 0x37ffffff
	v_cmp_lt_u32_e32 vcc, s52, v2
	s_mov_b64 s[52:53], 0
                                        ; implicit-def: $vgpr2
	s_and_saveexec_b64 s[54:55], vcc
	s_xor_b64 s[54:55], exec, s[54:55]
	s_cbranch_execz .LBB71_934
; %bb.701:
	v_bfe_u32 v2, v0, 21, 1
	s_mov_b32 s58, 0x88fffff
	v_add3_u32 v2, v0, v2, s58
	s_mov_b64 s[52:53], exec
	v_lshrrev_b32_e32 v2, 21, v2
	s_andn2_saveexec_b64 s[54:55], s[54:55]
	s_cbranch_execnz .LBB71_935
.LBB71_702:
	s_or_b64 exec, exec, s[54:55]
	v_mov_b32_e32 v5, 0
	s_and_saveexec_b64 s[54:55], s[52:53]
.LBB71_703:
	v_lshrrev_b32_e32 v0, 24, v0
	s_movk_i32 s52, 0x80
	v_and_or_b32 v5, v0, s52, v2
.LBB71_704:
	s_or_b64 exec, exec, s[54:55]
.LBB71_705:
	s_or_b64 exec, exec, s[48:49]
	s_mov_b64 s[48:49], 0
	global_store_byte v[3:4], v5, off
.LBB71_706:
	s_and_b64 vcc, exec, s[48:49]
	s_cbranch_vccz .LBB71_716
; %bb.707:
	v_cvt_f32_i32_e32 v0, v1
	s_mov_b32 s48, 0x43f00000
                                        ; implicit-def: $vgpr2
	v_and_b32_e32 v5, 0x7fffffff, v0
	v_cmp_gt_u32_e32 vcc, s48, v5
	s_and_saveexec_b64 s[48:49], vcc
	s_xor_b64 s[48:49], exec, s[48:49]
	s_cbranch_execz .LBB71_713
; %bb.708:
	s_mov_b32 s52, 0x3c7fffff
	v_cmp_lt_u32_e32 vcc, s52, v5
                                        ; implicit-def: $vgpr2
	s_and_saveexec_b64 s[52:53], vcc
	s_xor_b64 s[52:53], exec, s[52:53]
; %bb.709:
	v_bfe_u32 v2, v0, 20, 1
	s_mov_b32 s54, 0x407ffff
	v_add3_u32 v2, v0, v2, s54
	v_lshrrev_b32_e32 v5, 20, v2
	v_and_b32_e32 v2, 0xff00000, v2
	s_mov_b32 s54, 0x7f00000
	v_mov_b32_e32 v6, 0x7e
	v_cmp_ne_u32_e32 vcc, s54, v2
	v_cndmask_b32_e32 v2, v6, v5, vcc
; %bb.710:
	s_andn2_saveexec_b64 s[52:53], s[52:53]
; %bb.711:
	s_mov_b32 s54, 0x46800000
	v_add_f32_e64 v2, |v0|, s54
; %bb.712:
	s_or_b64 exec, exec, s[52:53]
                                        ; implicit-def: $vgpr5
.LBB71_713:
	s_andn2_saveexec_b64 s[48:49], s[48:49]
; %bb.714:
	s_mov_b32 s52, 0x7f800000
	v_mov_b32_e32 v2, 0x7e
	v_mov_b32_e32 v6, 0x7f
	v_cmp_lt_u32_e32 vcc, s52, v5
	v_cndmask_b32_e32 v2, v2, v6, vcc
; %bb.715:
	s_or_b64 exec, exec, s[48:49]
	v_lshrrev_b32_e32 v0, 24, v0
	s_movk_i32 s48, 0x80
	v_and_or_b32 v0, v0, s48, v2
	global_store_byte v[3:4], v0, off
.LBB71_716:
	s_mov_b64 s[48:49], 0
.LBB71_717:
	s_andn2_b64 vcc, exec, s[48:49]
	s_cbranch_vccnz .LBB71_727
; %bb.718:
	v_cvt_f32_i32_e32 v0, v1
	s_mov_b32 s48, 0x47800000
                                        ; implicit-def: $vgpr2
	v_and_b32_e32 v5, 0x7fffffff, v0
	v_cmp_gt_u32_e32 vcc, s48, v5
	s_and_saveexec_b64 s[48:49], vcc
	s_xor_b64 s[48:49], exec, s[48:49]
	s_cbranch_execz .LBB71_724
; %bb.719:
	s_mov_b32 s52, 0x387fffff
	v_cmp_lt_u32_e32 vcc, s52, v5
                                        ; implicit-def: $vgpr2
	s_and_saveexec_b64 s[52:53], vcc
	s_xor_b64 s[52:53], exec, s[52:53]
; %bb.720:
	v_bfe_u32 v2, v0, 21, 1
	s_mov_b32 s54, 0x80fffff
	v_add3_u32 v2, v0, v2, s54
	v_lshrrev_b32_e32 v2, 21, v2
; %bb.721:
	s_andn2_saveexec_b64 s[52:53], s[52:53]
; %bb.722:
	s_mov_b32 s54, 0x43000000
	v_add_f32_e64 v2, |v0|, s54
; %bb.723:
	s_or_b64 exec, exec, s[52:53]
                                        ; implicit-def: $vgpr5
.LBB71_724:
	s_andn2_saveexec_b64 s[48:49], s[48:49]
; %bb.725:
	s_mov_b32 s52, 0x7f800000
	v_mov_b32_e32 v2, 0x7c
	v_mov_b32_e32 v6, 0x7f
	v_cmp_lt_u32_e32 vcc, s52, v5
	v_cndmask_b32_e32 v2, v2, v6, vcc
; %bb.726:
	s_or_b64 exec, exec, s[48:49]
	v_lshrrev_b32_e32 v0, 24, v0
	s_movk_i32 s48, 0x80
	v_and_or_b32 v0, v0, s48, v2
	global_store_byte v[3:4], v0, off
.LBB71_727:
	s_mov_b64 s[52:53], 0
	s_mov_b64 s[48:49], -1
.LBB71_728:
	s_andn2_b64 vcc, exec, s[52:53]
	s_cbranch_vccnz .LBB71_736
; %bb.729:
	s_cmp_gt_i32 s57, 14
	s_mov_b64 s[52:53], -1
	s_cbranch_scc0 .LBB71_733
; %bb.730:
	s_cmp_eq_u32 s57, 15
	s_mov_b64 s[0:1], -1
	s_cbranch_scc0 .LBB71_732
; %bb.731:
	v_cvt_f32_i32_e32 v0, v1
	s_movk_i32 s0, 0x7fff
	s_mov_b64 s[48:49], -1
	v_bfe_u32 v2, v0, 16, 1
	v_add3_u32 v0, v0, v2, s0
	global_store_short_d16_hi v[3:4], v0, off
	s_mov_b64 s[0:1], 0
.LBB71_732:
	s_mov_b64 s[52:53], 0
.LBB71_733:
	s_and_b64 vcc, exec, s[52:53]
	s_cbranch_vccz .LBB71_736
; %bb.734:
	s_cmp_eq_u32 s57, 11
	s_mov_b64 s[0:1], -1
	s_cbranch_scc0 .LBB71_736
; %bb.735:
	v_cmp_ne_u32_e32 vcc, 0, v1
	v_cndmask_b32_e64 v0, 0, 1, vcc
	s_mov_b64 s[48:49], -1
	s_mov_b64 s[0:1], 0
	global_store_byte v[3:4], v0, off
.LBB71_736:
	s_mov_b64 s[52:53], 0
.LBB71_737:
	s_and_b64 vcc, exec, s[52:53]
	s_cbranch_vccz .LBB71_776
; %bb.738:
	s_and_b32 s52, 0xffff, s56
	s_cmp_lt_i32 s52, 5
	s_mov_b64 s[48:49], -1
	s_cbranch_scc1 .LBB71_759
; %bb.739:
	s_cmp_lt_i32 s52, 8
	s_cbranch_scc1 .LBB71_749
; %bb.740:
	s_cmp_lt_i32 s52, 9
	s_cbranch_scc1 .LBB71_746
; %bb.741:
	s_cmp_gt_i32 s52, 9
	s_cbranch_scc0 .LBB71_743
; %bb.742:
	v_cvt_f64_i32_e32 v[9:10], v1
	v_mov_b32_e32 v11, 0
	v_mov_b32_e32 v12, v11
	s_mov_b64 s[48:49], 0
	global_store_dwordx4 v[3:4], v[9:12], off
.LBB71_743:
	s_andn2_b64 vcc, exec, s[48:49]
	s_cbranch_vccnz .LBB71_745
; %bb.744:
	v_cvt_f32_i32_e32 v5, v1
	v_mov_b32_e32 v6, 0
	global_store_dwordx2 v[3:4], v[5:6], off
.LBB71_745:
	s_mov_b64 s[48:49], 0
.LBB71_746:
	s_andn2_b64 vcc, exec, s[48:49]
	s_cbranch_vccnz .LBB71_748
; %bb.747:
	v_cvt_f32_i32_e32 v0, v1
	v_cvt_f16_f32_e32 v0, v0
	global_store_dword v[3:4], v0, off
.LBB71_748:
	s_mov_b64 s[48:49], 0
.LBB71_749:
	s_andn2_b64 vcc, exec, s[48:49]
	s_cbranch_vccnz .LBB71_758
; %bb.750:
	s_cmp_lt_i32 s52, 6
	s_mov_b64 s[48:49], -1
	s_cbranch_scc1 .LBB71_756
; %bb.751:
	s_cmp_gt_i32 s52, 6
	s_cbranch_scc0 .LBB71_753
; %bb.752:
	v_cvt_f64_i32_e32 v[5:6], v1
	s_mov_b64 s[48:49], 0
	global_store_dwordx2 v[3:4], v[5:6], off
.LBB71_753:
	s_andn2_b64 vcc, exec, s[48:49]
	s_cbranch_vccnz .LBB71_755
; %bb.754:
	v_cvt_f32_i32_e32 v0, v1
	global_store_dword v[3:4], v0, off
.LBB71_755:
	s_mov_b64 s[48:49], 0
.LBB71_756:
	s_andn2_b64 vcc, exec, s[48:49]
	s_cbranch_vccnz .LBB71_758
; %bb.757:
	v_cvt_f32_i32_e32 v0, v1
	v_cvt_f16_f32_e32 v0, v0
	global_store_short v[3:4], v0, off
.LBB71_758:
	s_mov_b64 s[48:49], 0
.LBB71_759:
	s_andn2_b64 vcc, exec, s[48:49]
	s_cbranch_vccnz .LBB71_775
; %bb.760:
	s_cmp_lt_i32 s52, 2
	s_mov_b64 s[48:49], -1
	s_cbranch_scc1 .LBB71_770
; %bb.761:
	s_cmp_lt_i32 s52, 3
	s_cbranch_scc1 .LBB71_767
; %bb.762:
	s_cmp_gt_i32 s52, 3
	s_cbranch_scc0 .LBB71_764
; %bb.763:
	v_ashrrev_i32_e32 v2, 31, v1
	s_mov_b64 s[48:49], 0
	global_store_dwordx2 v[3:4], v[1:2], off
.LBB71_764:
	s_andn2_b64 vcc, exec, s[48:49]
	s_cbranch_vccnz .LBB71_766
; %bb.765:
	global_store_dword v[3:4], v1, off
.LBB71_766:
	s_mov_b64 s[48:49], 0
.LBB71_767:
	s_andn2_b64 vcc, exec, s[48:49]
	s_cbranch_vccnz .LBB71_769
; %bb.768:
	global_store_short v[3:4], v1, off
.LBB71_769:
	s_mov_b64 s[48:49], 0
.LBB71_770:
	s_andn2_b64 vcc, exec, s[48:49]
	s_cbranch_vccnz .LBB71_775
; %bb.771:
	s_cmp_gt_i32 s52, 0
	s_mov_b64 s[48:49], -1
	s_cbranch_scc0 .LBB71_773
; %bb.772:
	s_mov_b64 s[48:49], 0
	global_store_byte v[3:4], v1, off
.LBB71_773:
	s_andn2_b64 vcc, exec, s[48:49]
	s_cbranch_vccnz .LBB71_775
; %bb.774:
	global_store_byte v[3:4], v1, off
.LBB71_775:
	s_mov_b64 s[48:49], -1
.LBB71_776:
	s_andn2_b64 vcc, exec, s[48:49]
	s_cbranch_vccnz .LBB71_788
; %bb.777:
	v_add_u32_e32 v8, 0x80, v8
	s_mov_b64 s[52:53], -1
.LBB71_778:
	s_andn2_b64 s[48:49], s[36:37], exec
	s_and_b64 s[0:1], s[0:1], exec
	s_or_b64 s[48:49], s[48:49], s[0:1]
	s_andn2_b64 s[0:1], s[38:39], exec
	s_and_b64 s[46:47], s[46:47], exec
	s_or_b64 s[46:47], s[0:1], s[46:47]
	;; [unrolled: 3-line block ×3, first 2 shown]
	s_orn2_b64 s[0:1], s[52:53], exec
.LBB71_779:
	s_or_b64 exec, exec, s[50:51]
	s_mov_b64 s[52:53], 0
	s_mov_b64 s[54:55], 0
	;; [unrolled: 1-line block ×3, first 2 shown]
                                        ; implicit-def: $sgpr73
                                        ; implicit-def: $vgpr3_vgpr4
                                        ; implicit-def: $vgpr0
                                        ; implicit-def: $vgpr2
                                        ; implicit-def: $vgpr5
	s_and_saveexec_b64 s[50:51], s[0:1]
	s_cbranch_execz .LBB71_1264
; %bb.780:
	v_cmp_gt_i32_e32 vcc, s66, v8
	s_mov_b64 s[64:65], -1
	s_mov_b64 s[0:1], s[44:45]
	s_mov_b64 s[56:57], s[46:47]
	s_mov_b64 s[58:59], s[48:49]
	s_and_saveexec_b64 s[52:53], vcc
	s_cbranch_execz .LBB71_1172
; %bb.781:
	s_andn2_b64 vcc, exec, s[20:21]
	s_cbranch_vccnz .LBB71_787
; %bb.782:
	s_andn2_b64 vcc, exec, s[34:35]
	s_cbranch_vccnz .LBB71_789
; %bb.783:
	s_add_i32 s0, s72, 1
	s_and_b32 s54, s0, 30
	s_add_u32 s0, s2, 0xffffffe8
	s_addc_u32 s1, s3, -1
	v_mov_b32_e32 v2, 0
	v_mov_b32_e32 v4, 0
	;; [unrolled: 1-line block ×4, first 2 shown]
.LBB71_784:                             ; =>This Inner Loop Header: Depth=1
	s_load_dwordx4 s[56:59], s[0:1], 0x1c
	s_load_dwordx2 s[64:65], s[0:1], 0x2c
	s_load_dwordx2 s[74:75], s[0:1], 0xec
	s_load_dwordx4 s[60:63], s[0:1], 0xdc
	s_add_u32 s0, s0, 24
	s_waitcnt vmcnt(0) lgkmcnt(0)
	v_mul_hi_u32 v3, s57, v1
	s_addc_u32 s1, s1, 0
	s_add_i32 s54, s54, -2
	s_cmp_eq_u32 s54, 0
	v_add_u32_e32 v3, v1, v3
	v_lshrrev_b32_e32 v3, s58, v3
	v_mul_lo_u32 v5, v3, s56
	v_mul_hi_u32 v6, s64, v3
	v_sub_u32_e32 v5, v1, v5
	v_add_u32_e32 v1, v3, v6
	v_lshrrev_b32_e32 v1, s65, v1
	v_mul_lo_u32 v9, v1, s59
	v_mul_lo_u32 v6, v5, s60
	v_mul_lo_u32 v7, v5, s61
	v_mul_lo_u32 v5, v5, s62
	v_sub_u32_e32 v3, v3, v9
	v_mul_lo_u32 v9, v3, s63
	v_mul_lo_u32 v10, v3, s74
	;; [unrolled: 1-line block ×3, first 2 shown]
	v_add3_u32 v0, v6, v0, v9
	v_add3_u32 v4, v7, v4, v10
	;; [unrolled: 1-line block ×3, first 2 shown]
	s_cbranch_scc0 .LBB71_784
; %bb.785:
	s_bitcmp1_b32 s72, 0
	s_cselect_b64 s[54:55], -1, 0
	s_and_b64 vcc, exec, s[54:55]
	s_cbranch_vccnz .LBB71_790
; %bb.786:
	s_load_dwordx2 s[54:55], s[0:1], 0x1c
	s_load_dword s58, s[0:1], 0x24
	s_load_dwordx2 s[56:57], s[0:1], 0xdc
	s_waitcnt lgkmcnt(0)
	v_mul_hi_u32 v3, s55, v1
	v_add_u32_e32 v3, v1, v3
	v_lshrrev_b32_e32 v3, s58, v3
	v_mul_lo_u32 v3, v3, s54
	s_load_dword s54, s[0:1], 0xe4
	v_sub_u32_e32 v3, v1, v3
	v_mad_u64_u32 v[0:1], s[0:1], v3, s56, v[0:1]
	v_mad_u64_u32 v[4:5], s[0:1], v3, s57, v[4:5]
	s_waitcnt lgkmcnt(0)
	v_mad_u64_u32 v[2:3], s[0:1], v3, s54, v[2:3]
	s_branch .LBB71_790
.LBB71_787:
	s_mov_b64 s[0:1], -1
                                        ; implicit-def: $vgpr0
                                        ; implicit-def: $vgpr4
                                        ; implicit-def: $vgpr2
	s_branch .LBB71_791
.LBB71_788:
	s_mov_b64 s[52:53], 0
	s_branch .LBB71_540
.LBB71_789:
	v_mov_b32_e32 v0, 0
	v_mov_b32_e32 v4, 0
	;; [unrolled: 1-line block ×3, first 2 shown]
.LBB71_790:
	s_mov_b64 s[0:1], 0
.LBB71_791:
	s_andn2_b64 vcc, exec, s[0:1]
	s_cbranch_vccnz .LBB71_794
; %bb.792:
	s_waitcnt lgkmcnt(0)
	v_mul_hi_u32 v0, s17, v8
	s_andn2_b64 vcc, exec, s[30:31]
	v_add_u32_e32 v0, v8, v0
	v_lshrrev_b32_e32 v1, s18, v0
	v_mul_lo_u32 v0, v1, s16
	v_sub_u32_e32 v2, v8, v0
	v_mul_lo_u32 v0, v2, s12
	v_mul_lo_u32 v4, v2, s13
	v_mul_lo_u32 v2, v2, s14
	s_cbranch_vccnz .LBB71_794
; %bb.793:
	s_waitcnt vmcnt(0)
	v_mul_hi_u32 v3, s28, v1
	v_add_u32_e32 v3, v1, v3
	v_lshrrev_b32_e32 v3, s29, v3
	v_mul_lo_u32 v3, v3, s19
	v_sub_u32_e32 v3, v1, v3
	v_mad_u64_u32 v[0:1], s[0:1], v3, s15, v[0:1]
	v_mad_u64_u32 v[4:5], s[0:1], v3, s26, v[4:5]
	v_mad_u64_u32 v[2:3], s[0:1], v3, s27, v[2:3]
.LBB71_794:
	s_waitcnt lgkmcnt(0)
	v_mov_b32_e32 v1, s11
	s_and_b32 s58, s71, 0xff
	s_waitcnt vmcnt(0)
	v_add_co_u32_e32 v3, vcc, s10, v4
	s_cmp_lt_i32 s58, 11
	v_addc_co_u32_e32 v4, vcc, 0, v1, vcc
	s_cbranch_scc1 .LBB71_801
; %bb.795:
	s_and_b32 s59, 0xffff, s58
	s_cmp_gt_i32 s59, 25
	s_cbranch_scc0 .LBB71_802
; %bb.796:
	s_cmp_gt_i32 s59, 28
	s_cbranch_scc0 .LBB71_803
; %bb.797:
	s_cmp_gt_i32 s59, 43
	s_cbranch_scc0 .LBB71_804
; %bb.798:
	s_cmp_gt_i32 s59, 45
	s_cbranch_scc0 .LBB71_805
; %bb.799:
	s_cmp_eq_u32 s59, 46
	s_mov_b64 s[56:57], 0
	s_cbranch_scc0 .LBB71_808
; %bb.800:
	global_load_dword v1, v[3:4], off
	s_mov_b64 s[0:1], -1
	s_mov_b64 s[54:55], 0
	s_waitcnt vmcnt(0)
	v_lshlrev_b32_e32 v1, 16, v1
	v_cvt_i32_f32_e32 v5, v1
	s_branch .LBB71_809
.LBB71_801:
	s_mov_b64 s[56:57], -1
	s_mov_b64 s[0:1], 0
                                        ; implicit-def: $vgpr5
	s_mov_b64 s[54:55], s[44:45]
	s_branch .LBB71_870
.LBB71_802:
	s_mov_b64 s[56:57], -1
	s_mov_b64 s[0:1], 0
	s_mov_b64 s[54:55], s[44:45]
                                        ; implicit-def: $vgpr5
	s_branch .LBB71_836
.LBB71_803:
	s_mov_b64 s[56:57], -1
	s_mov_b64 s[0:1], 0
	s_mov_b64 s[54:55], s[44:45]
                                        ; implicit-def: $vgpr5
	s_branch .LBB71_819
.LBB71_804:
	s_mov_b64 s[56:57], -1
	s_mov_b64 s[0:1], 0
	s_mov_b64 s[54:55], s[44:45]
                                        ; implicit-def: $vgpr5
	s_branch .LBB71_814
.LBB71_805:
	s_mov_b64 s[56:57], -1
	s_mov_b64 s[0:1], 0
	s_mov_b64 s[54:55], s[44:45]
                                        ; implicit-def: $vgpr5
	s_branch .LBB71_809
.LBB71_806:
	s_andn2_saveexec_b64 s[54:55], s[54:55]
	s_cbranch_execz .LBB71_689
.LBB71_807:
	s_mov_b32 s58, 0x46000000
	v_add_f32_e64 v2, |v0|, s58
	v_and_b32_e32 v2, 0xff, v2
	v_cmp_ne_u32_e32 vcc, 0, v2
	s_andn2_b64 s[52:53], s[52:53], exec
	s_and_b64 s[58:59], vcc, exec
	s_or_b64 s[52:53], s[52:53], s[58:59]
	s_or_b64 exec, exec, s[54:55]
	v_mov_b32_e32 v5, 0
	s_and_saveexec_b64 s[54:55], s[52:53]
	s_cbranch_execnz .LBB71_690
	s_branch .LBB71_691
.LBB71_808:
	s_mov_b64 s[54:55], -1
                                        ; implicit-def: $vgpr5
	s_mov_b64 s[0:1], 0
.LBB71_809:
	s_and_b64 vcc, exec, s[56:57]
	s_cbranch_vccz .LBB71_813
; %bb.810:
	s_cmp_eq_u32 s59, 44
	s_cbranch_scc0 .LBB71_812
; %bb.811:
	global_load_ubyte v1, v[3:4], off
	s_mov_b64 s[0:1], -1
	s_mov_b64 s[54:55], 0
	s_waitcnt vmcnt(0)
	v_lshlrev_b32_e32 v5, 23, v1
	v_cvt_i32_f32_e32 v5, v5
	v_cmp_ne_u32_e32 vcc, 0, v1
	v_cndmask_b32_e32 v5, 0, v5, vcc
	s_branch .LBB71_813
.LBB71_812:
	s_mov_b64 s[54:55], -1
                                        ; implicit-def: $vgpr5
.LBB71_813:
	s_mov_b64 s[56:57], 0
.LBB71_814:
	s_and_b64 vcc, exec, s[56:57]
	s_cbranch_vccz .LBB71_818
; %bb.815:
	s_cmp_eq_u32 s59, 29
	s_cbranch_scc0 .LBB71_817
; %bb.816:
	global_load_dword v5, v[3:4], off
	s_mov_b64 s[0:1], -1
	s_mov_b64 s[54:55], 0
	s_branch .LBB71_818
.LBB71_817:
	s_mov_b64 s[54:55], -1
                                        ; implicit-def: $vgpr5
.LBB71_818:
	s_mov_b64 s[56:57], 0
.LBB71_819:
	s_and_b64 vcc, exec, s[56:57]
	s_cbranch_vccz .LBB71_835
; %bb.820:
	s_cmp_lt_i32 s59, 27
	s_cbranch_scc1 .LBB71_823
; %bb.821:
	s_cmp_gt_i32 s59, 27
	s_cbranch_scc0 .LBB71_824
; %bb.822:
	global_load_dword v5, v[3:4], off
	s_mov_b64 s[0:1], 0
	s_branch .LBB71_825
.LBB71_823:
	s_mov_b64 s[0:1], -1
                                        ; implicit-def: $vgpr5
	s_branch .LBB71_828
.LBB71_824:
	s_mov_b64 s[0:1], -1
                                        ; implicit-def: $vgpr5
.LBB71_825:
	s_andn2_b64 vcc, exec, s[0:1]
	s_cbranch_vccnz .LBB71_827
; %bb.826:
	global_load_ushort v5, v[3:4], off
.LBB71_827:
	s_mov_b64 s[0:1], 0
.LBB71_828:
	s_andn2_b64 vcc, exec, s[0:1]
	s_cbranch_vccnz .LBB71_834
; %bb.829:
	global_load_ubyte v1, v[3:4], off
	s_movk_i32 s0, 0x7f
	s_mov_b64 s[56:57], 0
	s_waitcnt vmcnt(0)
	v_cmp_lt_i16_e32 vcc, s0, v1
	s_and_saveexec_b64 s[0:1], vcc
	s_xor_b64 s[0:1], exec, s[0:1]
	s_cbranch_execz .LBB71_846
; %bb.830:
	s_movk_i32 s56, 0x80
	v_cmp_ne_u16_e32 vcc, s56, v1
	s_and_b64 s[56:57], vcc, exec
	s_andn2_saveexec_b64 s[0:1], s[0:1]
	s_cbranch_execnz .LBB71_847
.LBB71_831:
	s_or_b64 exec, exec, s[0:1]
	v_mov_b32_e32 v5, 0
	s_and_saveexec_b64 s[0:1], s[56:57]
	s_cbranch_execz .LBB71_833
.LBB71_832:
	v_lshlrev_b32_e32 v5, 24, v1
	v_and_b32_e32 v1, 0xffff, v1
	v_and_b32_e32 v6, 7, v1
	v_ffbh_u32_e32 v9, v6
	v_min_u32_e32 v9, 32, v9
	v_subrev_u32_e32 v10, 28, v9
	v_bfe_u32 v7, v1, 3, 4
	v_lshlrev_b32_e32 v1, v10, v1
	v_sub_u32_e32 v9, 29, v9
	v_and_b32_e32 v1, 7, v1
	v_cmp_eq_u32_e32 vcc, 0, v7
	v_cndmask_b32_e32 v7, v7, v9, vcc
	v_cndmask_b32_e32 v1, v6, v1, vcc
	v_mov_b32_e32 v6, 0x3b800000
	v_lshlrev_b32_e32 v1, 20, v1
	v_and_b32_e32 v5, 0x80000000, v5
	v_lshl_add_u32 v6, v7, 23, v6
	v_or3_b32 v1, v5, v6, v1
	v_cvt_i32_f32_e32 v5, v1
.LBB71_833:
	s_or_b64 exec, exec, s[0:1]
.LBB71_834:
	s_mov_b64 s[0:1], -1
.LBB71_835:
	s_mov_b64 s[56:57], 0
.LBB71_836:
	s_and_b64 vcc, exec, s[56:57]
	s_cbranch_vccz .LBB71_869
; %bb.837:
	s_cmp_gt_i32 s59, 22
	s_cbranch_scc0 .LBB71_845
; %bb.838:
	s_cmp_lt_i32 s59, 24
	s_cbranch_scc1 .LBB71_848
; %bb.839:
	s_cmp_gt_i32 s59, 24
	s_cbranch_scc0 .LBB71_849
; %bb.840:
	global_load_ubyte v1, v[3:4], off
	s_movk_i32 s0, 0x7f
	s_mov_b64 s[56:57], 0
	s_waitcnt vmcnt(0)
	v_cmp_lt_i16_e32 vcc, s0, v1
	s_and_saveexec_b64 s[0:1], vcc
	s_xor_b64 s[0:1], exec, s[0:1]
	s_cbranch_execz .LBB71_861
; %bb.841:
	s_movk_i32 s56, 0x80
	v_cmp_ne_u16_e32 vcc, s56, v1
	s_and_b64 s[56:57], vcc, exec
	s_andn2_saveexec_b64 s[0:1], s[0:1]
	s_cbranch_execnz .LBB71_862
.LBB71_842:
	s_or_b64 exec, exec, s[0:1]
	v_mov_b32_e32 v5, 0
	s_and_saveexec_b64 s[0:1], s[56:57]
	s_cbranch_execz .LBB71_844
.LBB71_843:
	v_lshlrev_b32_e32 v5, 24, v1
	v_and_b32_e32 v1, 0xffff, v1
	v_and_b32_e32 v6, 3, v1
	v_ffbh_u32_e32 v9, v6
	v_min_u32_e32 v9, 32, v9
	v_subrev_u32_e32 v10, 29, v9
	v_bfe_u32 v7, v1, 2, 5
	v_lshlrev_b32_e32 v1, v10, v1
	v_sub_u32_e32 v9, 30, v9
	v_and_b32_e32 v1, 3, v1
	v_cmp_eq_u32_e32 vcc, 0, v7
	v_cndmask_b32_e32 v7, v7, v9, vcc
	v_cndmask_b32_e32 v1, v6, v1, vcc
	v_mov_b32_e32 v6, 0x37800000
	v_lshlrev_b32_e32 v1, 21, v1
	v_and_b32_e32 v5, 0x80000000, v5
	v_lshl_add_u32 v6, v7, 23, v6
	v_or3_b32 v1, v5, v6, v1
	v_cvt_i32_f32_e32 v5, v1
.LBB71_844:
	s_or_b64 exec, exec, s[0:1]
	s_mov_b64 s[0:1], 0
	s_branch .LBB71_850
.LBB71_845:
	s_mov_b64 s[56:57], -1
                                        ; implicit-def: $vgpr5
	s_branch .LBB71_856
.LBB71_846:
	s_andn2_saveexec_b64 s[0:1], s[0:1]
	s_cbranch_execz .LBB71_831
.LBB71_847:
	v_cmp_ne_u16_e32 vcc, 0, v1
	s_andn2_b64 s[56:57], s[56:57], exec
	s_and_b64 s[60:61], vcc, exec
	s_or_b64 s[56:57], s[56:57], s[60:61]
	s_or_b64 exec, exec, s[0:1]
	v_mov_b32_e32 v5, 0
	s_and_saveexec_b64 s[0:1], s[56:57]
	s_cbranch_execnz .LBB71_832
	s_branch .LBB71_833
.LBB71_848:
	s_mov_b64 s[0:1], -1
                                        ; implicit-def: $vgpr5
	s_branch .LBB71_853
.LBB71_849:
	s_mov_b64 s[0:1], -1
                                        ; implicit-def: $vgpr5
.LBB71_850:
	s_and_b64 vcc, exec, s[0:1]
	s_cbranch_vccz .LBB71_852
; %bb.851:
	global_load_ubyte v1, v[3:4], off
	s_mov_b32 s0, 0x7f800000
	s_waitcnt vmcnt(0)
	v_lshlrev_b32_e32 v1, 24, v1
	v_and_b32_e32 v5, 0x7f000000, v1
	v_ffbh_u32_e32 v6, v5
	v_min_u32_e32 v6, 32, v6
	v_sub_u32_e64 v6, v6, 4 clamp
	v_lshlrev_b32_e32 v9, v6, v5
	v_lshlrev_b32_e32 v6, 23, v6
	v_lshrrev_b32_e32 v9, 4, v9
	v_add_u32_e32 v7, 0x1000000, v5
	v_sub_u32_e32 v6, v9, v6
	v_ashrrev_i32_e32 v7, 8, v7
	v_add_u32_e32 v6, 0x3c000000, v6
	v_and_or_b32 v6, v7, s0, v6
	v_cmp_ne_u32_e32 vcc, 0, v5
	v_cndmask_b32_e32 v5, 0, v6, vcc
	s_brev_b32 s0, 1
	v_and_or_b32 v1, v1, s0, v5
	v_cvt_i32_f32_e32 v5, v1
.LBB71_852:
	s_mov_b64 s[0:1], 0
.LBB71_853:
	s_andn2_b64 vcc, exec, s[0:1]
	s_cbranch_vccnz .LBB71_855
; %bb.854:
	global_load_ubyte v1, v[3:4], off
	s_movk_i32 s0, 0x7f00
	s_brev_b32 s1, 16
	s_waitcnt vmcnt(0)
	v_lshlrev_b16_e32 v5, 8, v1
	v_lshlrev_b32_e32 v1, 25, v1
	v_lshrrev_b32_e32 v6, 4, v1
	v_and_or_b32 v7, v5, s0, 0.5
	v_or_b32_e32 v6, 0x70000000, v6
	v_add_f32_e32 v7, -0.5, v7
	v_mul_f32_e32 v6, 0x7800000, v6
	v_cmp_gt_u32_e32 vcc, s1, v1
	v_bfe_i32 v5, v5, 0, 16
	v_cndmask_b32_e32 v1, v6, v7, vcc
	s_brev_b32 s0, 1
	v_and_or_b32 v1, v5, s0, v1
	v_cvt_i32_f32_e32 v5, v1
.LBB71_855:
	s_mov_b64 s[56:57], 0
	s_mov_b64 s[0:1], -1
.LBB71_856:
	s_andn2_b64 vcc, exec, s[56:57]
	s_cbranch_vccnz .LBB71_869
; %bb.857:
	s_cmp_gt_i32 s59, 14
	s_cbranch_scc0 .LBB71_860
; %bb.858:
	s_cmp_eq_u32 s59, 15
	s_cbranch_scc0 .LBB71_863
; %bb.859:
	global_load_ushort v1, v[3:4], off
	s_mov_b64 s[0:1], -1
	s_mov_b64 s[54:55], 0
	s_waitcnt vmcnt(0)
	v_lshlrev_b32_e32 v1, 16, v1
	v_cvt_i32_f32_e32 v5, v1
	s_branch .LBB71_864
.LBB71_860:
	s_mov_b64 s[56:57], -1
                                        ; implicit-def: $vgpr5
	s_branch .LBB71_865
.LBB71_861:
	s_andn2_saveexec_b64 s[0:1], s[0:1]
	s_cbranch_execz .LBB71_842
.LBB71_862:
	v_cmp_ne_u16_e32 vcc, 0, v1
	s_andn2_b64 s[56:57], s[56:57], exec
	s_and_b64 s[60:61], vcc, exec
	s_or_b64 s[56:57], s[56:57], s[60:61]
	s_or_b64 exec, exec, s[0:1]
	v_mov_b32_e32 v5, 0
	s_and_saveexec_b64 s[0:1], s[56:57]
	s_cbranch_execnz .LBB71_843
	s_branch .LBB71_844
.LBB71_863:
	s_mov_b64 s[54:55], -1
                                        ; implicit-def: $vgpr5
.LBB71_864:
	s_mov_b64 s[56:57], 0
.LBB71_865:
	s_and_b64 vcc, exec, s[56:57]
	s_cbranch_vccz .LBB71_869
; %bb.866:
	s_cmp_eq_u32 s59, 11
	s_cbranch_scc0 .LBB71_868
; %bb.867:
	global_load_ubyte v1, v[3:4], off
	s_mov_b64 s[0:1], -1
	s_mov_b64 s[54:55], 0
	s_waitcnt vmcnt(0)
	v_cmp_ne_u16_e32 vcc, 0, v1
	v_cndmask_b32_e64 v5, 0, 1, vcc
	s_branch .LBB71_869
.LBB71_868:
	s_mov_b64 s[54:55], -1
                                        ; implicit-def: $vgpr5
.LBB71_869:
	s_mov_b64 s[56:57], 0
.LBB71_870:
	s_and_b64 vcc, exec, s[56:57]
	s_cbranch_vccz .LBB71_919
; %bb.871:
	s_and_b32 s56, 0xffff, s58
	s_cmp_lt_i32 s56, 5
	s_cbranch_scc1 .LBB71_876
; %bb.872:
	s_cmp_lt_i32 s56, 8
	s_cbranch_scc1 .LBB71_877
; %bb.873:
	;; [unrolled: 3-line block ×3, first 2 shown]
	s_cmp_gt_i32 s56, 9
	s_cbranch_scc0 .LBB71_879
; %bb.875:
	global_load_dwordx2 v[5:6], v[3:4], off
	s_mov_b64 s[0:1], 0
	s_waitcnt vmcnt(0)
	v_cvt_i32_f64_e32 v5, v[5:6]
	s_branch .LBB71_880
.LBB71_876:
	s_mov_b64 s[0:1], -1
                                        ; implicit-def: $vgpr5
	s_branch .LBB71_898
.LBB71_877:
	s_mov_b64 s[0:1], -1
                                        ; implicit-def: $vgpr5
	s_branch .LBB71_886
.LBB71_878:
	s_mov_b64 s[0:1], -1
                                        ; implicit-def: $vgpr5
	s_branch .LBB71_883
.LBB71_879:
	s_mov_b64 s[0:1], -1
                                        ; implicit-def: $vgpr5
.LBB71_880:
	s_andn2_b64 vcc, exec, s[0:1]
	s_cbranch_vccnz .LBB71_882
; %bb.881:
	global_load_dword v1, v[3:4], off
	s_waitcnt vmcnt(0)
	v_cvt_i32_f32_e32 v5, v1
.LBB71_882:
	s_mov_b64 s[0:1], 0
.LBB71_883:
	s_andn2_b64 vcc, exec, s[0:1]
	s_cbranch_vccnz .LBB71_885
; %bb.884:
	global_load_dword v1, v[3:4], off
	s_waitcnt vmcnt(0)
	v_cvt_f32_f16_e32 v1, v1
	v_cvt_i32_f32_e32 v5, v1
.LBB71_885:
	s_mov_b64 s[0:1], 0
.LBB71_886:
	s_andn2_b64 vcc, exec, s[0:1]
	s_cbranch_vccnz .LBB71_897
; %bb.887:
	s_cmp_lt_i32 s56, 6
	s_cbranch_scc1 .LBB71_890
; %bb.888:
	s_cmp_gt_i32 s56, 6
	s_cbranch_scc0 .LBB71_891
; %bb.889:
	global_load_dwordx2 v[5:6], v[3:4], off
	s_mov_b64 s[0:1], 0
	s_waitcnt vmcnt(0)
	v_cvt_i32_f64_e32 v5, v[5:6]
	s_branch .LBB71_892
.LBB71_890:
	s_mov_b64 s[0:1], -1
                                        ; implicit-def: $vgpr5
	s_branch .LBB71_895
.LBB71_891:
	s_mov_b64 s[0:1], -1
                                        ; implicit-def: $vgpr5
.LBB71_892:
	s_andn2_b64 vcc, exec, s[0:1]
	s_cbranch_vccnz .LBB71_894
; %bb.893:
	global_load_dword v1, v[3:4], off
	s_waitcnt vmcnt(0)
	v_cvt_i32_f32_e32 v5, v1
.LBB71_894:
	s_mov_b64 s[0:1], 0
.LBB71_895:
	s_andn2_b64 vcc, exec, s[0:1]
	s_cbranch_vccnz .LBB71_897
; %bb.896:
	global_load_ushort v1, v[3:4], off
	s_waitcnt vmcnt(0)
	v_cvt_f32_f16_e32 v1, v1
	v_cvt_i32_f32_e32 v5, v1
.LBB71_897:
	s_mov_b64 s[0:1], 0
.LBB71_898:
	s_andn2_b64 vcc, exec, s[0:1]
	s_cbranch_vccnz .LBB71_918
; %bb.899:
	s_cmp_lt_i32 s56, 2
	s_cbranch_scc1 .LBB71_903
; %bb.900:
	s_cmp_lt_i32 s56, 3
	s_cbranch_scc1 .LBB71_904
; %bb.901:
	s_cmp_gt_i32 s56, 3
	s_cbranch_scc0 .LBB71_905
; %bb.902:
	global_load_dword v5, v[3:4], off
	s_mov_b64 s[0:1], 0
	s_branch .LBB71_906
.LBB71_903:
	s_mov_b64 s[0:1], -1
                                        ; implicit-def: $vgpr5
	s_branch .LBB71_912
.LBB71_904:
	s_mov_b64 s[0:1], -1
                                        ; implicit-def: $vgpr5
	s_branch .LBB71_909
.LBB71_905:
	s_mov_b64 s[0:1], -1
                                        ; implicit-def: $vgpr5
.LBB71_906:
	s_andn2_b64 vcc, exec, s[0:1]
	s_cbranch_vccnz .LBB71_908
; %bb.907:
	global_load_dword v5, v[3:4], off
.LBB71_908:
	s_mov_b64 s[0:1], 0
.LBB71_909:
	s_andn2_b64 vcc, exec, s[0:1]
	s_cbranch_vccnz .LBB71_911
; %bb.910:
	global_load_sshort v5, v[3:4], off
.LBB71_911:
	s_mov_b64 s[0:1], 0
.LBB71_912:
	s_andn2_b64 vcc, exec, s[0:1]
	s_cbranch_vccnz .LBB71_918
; %bb.913:
	s_cmp_gt_i32 s56, 0
	s_cbranch_scc0 .LBB71_915
; %bb.914:
	global_load_sbyte v5, v[3:4], off
	s_mov_b64 s[0:1], 0
	s_branch .LBB71_916
.LBB71_915:
	s_mov_b64 s[0:1], -1
                                        ; implicit-def: $vgpr5
.LBB71_916:
	s_andn2_b64 vcc, exec, s[0:1]
	s_cbranch_vccnz .LBB71_918
; %bb.917:
	global_load_ubyte v5, v[3:4], off
.LBB71_918:
	s_mov_b64 s[0:1], -1
.LBB71_919:
	s_andn2_b64 vcc, exec, s[0:1]
	s_cbranch_vccnz .LBB71_927
; %bb.920:
	v_mov_b32_e32 v3, s25
	s_and_b32 s60, s70, 0xff
	v_add_co_u32_e32 v1, vcc, s24, v2
	s_cmp_lt_i32 s60, 11
	v_addc_co_u32_e32 v2, vcc, 0, v3, vcc
	s_cbranch_scc1 .LBB71_929
; %bb.921:
	s_and_b32 s61, 0xffff, s60
	s_cmp_gt_i32 s61, 25
	s_cbranch_scc0 .LBB71_930
; %bb.922:
	s_cmp_gt_i32 s61, 28
	s_cbranch_scc0 .LBB71_931
; %bb.923:
	;; [unrolled: 3-line block ×4, first 2 shown]
	s_cmp_eq_u32 s61, 46
	s_mov_b64 s[58:59], 0
	s_cbranch_scc0 .LBB71_936
; %bb.926:
	global_load_dword v3, v[1:2], off
	s_mov_b64 s[0:1], -1
	s_mov_b64 s[56:57], 0
	s_waitcnt vmcnt(0)
	v_lshlrev_b32_e32 v3, 16, v3
	v_cvt_i32_f32_e32 v3, v3
	s_branch .LBB71_937
.LBB71_927:
	s_mov_b64 s[60:61], 0
	s_mov_b64 s[0:1], s[48:49]
	;; [unrolled: 1-line block ×3, first 2 shown]
.LBB71_928:
                                        ; implicit-def: $vgpr8
	s_branch .LBB71_1171
.LBB71_929:
	s_mov_b64 s[58:59], -1
	s_mov_b64 s[0:1], 0
                                        ; implicit-def: $vgpr3
	s_mov_b64 s[56:57], s[46:47]
	s_branch .LBB71_998
.LBB71_930:
	s_mov_b64 s[58:59], -1
	s_mov_b64 s[0:1], 0
	s_mov_b64 s[56:57], s[46:47]
                                        ; implicit-def: $vgpr3
	s_branch .LBB71_964
.LBB71_931:
	s_mov_b64 s[58:59], -1
	s_mov_b64 s[0:1], 0
	s_mov_b64 s[56:57], s[46:47]
                                        ; implicit-def: $vgpr3
	s_branch .LBB71_947
.LBB71_932:
	s_mov_b64 s[58:59], -1
	s_mov_b64 s[0:1], 0
	s_mov_b64 s[56:57], s[46:47]
                                        ; implicit-def: $vgpr3
	s_branch .LBB71_942
.LBB71_933:
	s_mov_b64 s[58:59], -1
	s_mov_b64 s[0:1], 0
	s_mov_b64 s[56:57], s[46:47]
                                        ; implicit-def: $vgpr3
	s_branch .LBB71_937
.LBB71_934:
	s_andn2_saveexec_b64 s[54:55], s[54:55]
	s_cbranch_execz .LBB71_702
.LBB71_935:
	s_mov_b32 s58, 0x42800000
	v_add_f32_e64 v2, |v0|, s58
	v_and_b32_e32 v2, 0xff, v2
	v_cmp_ne_u32_e32 vcc, 0, v2
	s_andn2_b64 s[52:53], s[52:53], exec
	s_and_b64 s[58:59], vcc, exec
	s_or_b64 s[52:53], s[52:53], s[58:59]
	s_or_b64 exec, exec, s[54:55]
	v_mov_b32_e32 v5, 0
	s_and_saveexec_b64 s[54:55], s[52:53]
	s_cbranch_execnz .LBB71_703
	s_branch .LBB71_704
.LBB71_936:
	s_mov_b64 s[56:57], -1
                                        ; implicit-def: $vgpr3
	s_mov_b64 s[0:1], 0
.LBB71_937:
	s_and_b64 vcc, exec, s[58:59]
	s_cbranch_vccz .LBB71_941
; %bb.938:
	s_cmp_eq_u32 s61, 44
	s_cbranch_scc0 .LBB71_940
; %bb.939:
	global_load_ubyte v3, v[1:2], off
	s_mov_b64 s[0:1], -1
	s_mov_b64 s[56:57], 0
	s_waitcnt vmcnt(0)
	v_lshlrev_b32_e32 v4, 23, v3
	v_cvt_i32_f32_e32 v4, v4
	v_cmp_ne_u32_e32 vcc, 0, v3
	v_cndmask_b32_e32 v3, 0, v4, vcc
	s_branch .LBB71_941
.LBB71_940:
	s_mov_b64 s[56:57], -1
                                        ; implicit-def: $vgpr3
.LBB71_941:
	s_mov_b64 s[58:59], 0
.LBB71_942:
	s_and_b64 vcc, exec, s[58:59]
	s_cbranch_vccz .LBB71_946
; %bb.943:
	s_cmp_eq_u32 s61, 29
	s_cbranch_scc0 .LBB71_945
; %bb.944:
	global_load_dword v3, v[1:2], off
	s_mov_b64 s[0:1], -1
	s_mov_b64 s[56:57], 0
	s_branch .LBB71_946
.LBB71_945:
	s_mov_b64 s[56:57], -1
                                        ; implicit-def: $vgpr3
.LBB71_946:
	s_mov_b64 s[58:59], 0
.LBB71_947:
	s_and_b64 vcc, exec, s[58:59]
	s_cbranch_vccz .LBB71_963
; %bb.948:
	s_cmp_lt_i32 s61, 27
	s_cbranch_scc1 .LBB71_951
; %bb.949:
	s_cmp_gt_i32 s61, 27
	s_cbranch_scc0 .LBB71_952
; %bb.950:
	global_load_dword v3, v[1:2], off
	s_mov_b64 s[0:1], 0
	s_branch .LBB71_953
.LBB71_951:
	s_mov_b64 s[0:1], -1
                                        ; implicit-def: $vgpr3
	s_branch .LBB71_956
.LBB71_952:
	s_mov_b64 s[0:1], -1
                                        ; implicit-def: $vgpr3
.LBB71_953:
	s_andn2_b64 vcc, exec, s[0:1]
	s_cbranch_vccnz .LBB71_955
; %bb.954:
	global_load_ushort v3, v[1:2], off
.LBB71_955:
	s_mov_b64 s[0:1], 0
.LBB71_956:
	s_andn2_b64 vcc, exec, s[0:1]
	s_cbranch_vccnz .LBB71_962
; %bb.957:
	global_load_ubyte v4, v[1:2], off
	s_movk_i32 s0, 0x7f
	s_mov_b64 s[58:59], 0
	s_waitcnt vmcnt(0)
	v_cmp_lt_i16_e32 vcc, s0, v4
	s_and_saveexec_b64 s[0:1], vcc
	s_xor_b64 s[0:1], exec, s[0:1]
	s_cbranch_execz .LBB71_974
; %bb.958:
	s_movk_i32 s58, 0x80
	v_cmp_ne_u16_e32 vcc, s58, v4
	s_and_b64 s[58:59], vcc, exec
	s_andn2_saveexec_b64 s[0:1], s[0:1]
	s_cbranch_execnz .LBB71_975
.LBB71_959:
	s_or_b64 exec, exec, s[0:1]
	v_mov_b32_e32 v3, 0
	s_and_saveexec_b64 s[0:1], s[58:59]
	s_cbranch_execz .LBB71_961
.LBB71_960:
	v_lshlrev_b32_e32 v3, 24, v4
	v_and_b32_e32 v4, 0xffff, v4
	v_and_b32_e32 v6, 7, v4
	v_ffbh_u32_e32 v9, v6
	v_min_u32_e32 v9, 32, v9
	v_subrev_u32_e32 v10, 28, v9
	v_bfe_u32 v7, v4, 3, 4
	v_lshlrev_b32_e32 v4, v10, v4
	v_sub_u32_e32 v9, 29, v9
	v_and_b32_e32 v4, 7, v4
	v_cmp_eq_u32_e32 vcc, 0, v7
	v_cndmask_b32_e32 v7, v7, v9, vcc
	v_cndmask_b32_e32 v4, v6, v4, vcc
	v_mov_b32_e32 v6, 0x3b800000
	v_lshlrev_b32_e32 v4, 20, v4
	v_and_b32_e32 v3, 0x80000000, v3
	v_lshl_add_u32 v6, v7, 23, v6
	v_or3_b32 v3, v3, v6, v4
	v_cvt_i32_f32_e32 v3, v3
.LBB71_961:
	s_or_b64 exec, exec, s[0:1]
.LBB71_962:
	s_mov_b64 s[0:1], -1
.LBB71_963:
	s_mov_b64 s[58:59], 0
.LBB71_964:
	s_and_b64 vcc, exec, s[58:59]
	s_cbranch_vccz .LBB71_997
; %bb.965:
	s_cmp_gt_i32 s61, 22
	s_cbranch_scc0 .LBB71_973
; %bb.966:
	s_cmp_lt_i32 s61, 24
	s_cbranch_scc1 .LBB71_976
; %bb.967:
	s_cmp_gt_i32 s61, 24
	s_cbranch_scc0 .LBB71_977
; %bb.968:
	global_load_ubyte v4, v[1:2], off
	s_movk_i32 s0, 0x7f
	s_mov_b64 s[58:59], 0
	s_waitcnt vmcnt(0)
	v_cmp_lt_i16_e32 vcc, s0, v4
	s_and_saveexec_b64 s[0:1], vcc
	s_xor_b64 s[0:1], exec, s[0:1]
	s_cbranch_execz .LBB71_989
; %bb.969:
	s_movk_i32 s58, 0x80
	v_cmp_ne_u16_e32 vcc, s58, v4
	s_and_b64 s[58:59], vcc, exec
	s_andn2_saveexec_b64 s[0:1], s[0:1]
	s_cbranch_execnz .LBB71_990
.LBB71_970:
	s_or_b64 exec, exec, s[0:1]
	v_mov_b32_e32 v3, 0
	s_and_saveexec_b64 s[0:1], s[58:59]
	s_cbranch_execz .LBB71_972
.LBB71_971:
	v_lshlrev_b32_e32 v3, 24, v4
	v_and_b32_e32 v4, 0xffff, v4
	v_and_b32_e32 v6, 3, v4
	v_ffbh_u32_e32 v9, v6
	v_min_u32_e32 v9, 32, v9
	v_subrev_u32_e32 v10, 29, v9
	v_bfe_u32 v7, v4, 2, 5
	v_lshlrev_b32_e32 v4, v10, v4
	v_sub_u32_e32 v9, 30, v9
	v_and_b32_e32 v4, 3, v4
	v_cmp_eq_u32_e32 vcc, 0, v7
	v_cndmask_b32_e32 v7, v7, v9, vcc
	v_cndmask_b32_e32 v4, v6, v4, vcc
	v_mov_b32_e32 v6, 0x37800000
	v_lshlrev_b32_e32 v4, 21, v4
	v_and_b32_e32 v3, 0x80000000, v3
	v_lshl_add_u32 v6, v7, 23, v6
	v_or3_b32 v3, v3, v6, v4
	v_cvt_i32_f32_e32 v3, v3
.LBB71_972:
	s_or_b64 exec, exec, s[0:1]
	s_mov_b64 s[0:1], 0
	s_branch .LBB71_978
.LBB71_973:
	s_mov_b64 s[58:59], -1
                                        ; implicit-def: $vgpr3
	s_branch .LBB71_984
.LBB71_974:
	s_andn2_saveexec_b64 s[0:1], s[0:1]
	s_cbranch_execz .LBB71_959
.LBB71_975:
	v_cmp_ne_u16_e32 vcc, 0, v4
	s_andn2_b64 s[58:59], s[58:59], exec
	s_and_b64 s[62:63], vcc, exec
	s_or_b64 s[58:59], s[58:59], s[62:63]
	s_or_b64 exec, exec, s[0:1]
	v_mov_b32_e32 v3, 0
	s_and_saveexec_b64 s[0:1], s[58:59]
	s_cbranch_execnz .LBB71_960
	s_branch .LBB71_961
.LBB71_976:
	s_mov_b64 s[0:1], -1
                                        ; implicit-def: $vgpr3
	s_branch .LBB71_981
.LBB71_977:
	s_mov_b64 s[0:1], -1
                                        ; implicit-def: $vgpr3
.LBB71_978:
	s_and_b64 vcc, exec, s[0:1]
	s_cbranch_vccz .LBB71_980
; %bb.979:
	global_load_ubyte v3, v[1:2], off
	s_mov_b32 s0, 0x7f800000
	s_waitcnt vmcnt(0)
	v_lshlrev_b32_e32 v3, 24, v3
	v_and_b32_e32 v4, 0x7f000000, v3
	v_ffbh_u32_e32 v6, v4
	v_min_u32_e32 v6, 32, v6
	v_sub_u32_e64 v6, v6, 4 clamp
	v_lshlrev_b32_e32 v9, v6, v4
	v_lshlrev_b32_e32 v6, 23, v6
	v_lshrrev_b32_e32 v9, 4, v9
	v_add_u32_e32 v7, 0x1000000, v4
	v_sub_u32_e32 v6, v9, v6
	v_ashrrev_i32_e32 v7, 8, v7
	v_add_u32_e32 v6, 0x3c000000, v6
	v_and_or_b32 v6, v7, s0, v6
	v_cmp_ne_u32_e32 vcc, 0, v4
	v_cndmask_b32_e32 v4, 0, v6, vcc
	s_brev_b32 s0, 1
	v_and_or_b32 v3, v3, s0, v4
	v_cvt_i32_f32_e32 v3, v3
.LBB71_980:
	s_mov_b64 s[0:1], 0
.LBB71_981:
	s_andn2_b64 vcc, exec, s[0:1]
	s_cbranch_vccnz .LBB71_983
; %bb.982:
	global_load_ubyte v3, v[1:2], off
	s_movk_i32 s0, 0x7f00
	s_brev_b32 s1, 16
	s_waitcnt vmcnt(0)
	v_lshlrev_b16_e32 v4, 8, v3
	v_lshlrev_b32_e32 v3, 25, v3
	v_lshrrev_b32_e32 v6, 4, v3
	v_and_or_b32 v7, v4, s0, 0.5
	v_or_b32_e32 v6, 0x70000000, v6
	v_add_f32_e32 v7, -0.5, v7
	v_mul_f32_e32 v6, 0x7800000, v6
	v_cmp_gt_u32_e32 vcc, s1, v3
	v_bfe_i32 v4, v4, 0, 16
	v_cndmask_b32_e32 v3, v6, v7, vcc
	s_brev_b32 s0, 1
	v_and_or_b32 v3, v4, s0, v3
	v_cvt_i32_f32_e32 v3, v3
.LBB71_983:
	s_mov_b64 s[58:59], 0
	s_mov_b64 s[0:1], -1
.LBB71_984:
	s_andn2_b64 vcc, exec, s[58:59]
	s_cbranch_vccnz .LBB71_997
; %bb.985:
	s_cmp_gt_i32 s61, 14
	s_cbranch_scc0 .LBB71_988
; %bb.986:
	s_cmp_eq_u32 s61, 15
	s_cbranch_scc0 .LBB71_991
; %bb.987:
	global_load_ushort v3, v[1:2], off
	s_mov_b64 s[0:1], -1
	s_mov_b64 s[56:57], 0
	s_waitcnt vmcnt(0)
	v_lshlrev_b32_e32 v3, 16, v3
	v_cvt_i32_f32_e32 v3, v3
	s_branch .LBB71_992
.LBB71_988:
	s_mov_b64 s[58:59], -1
                                        ; implicit-def: $vgpr3
	s_branch .LBB71_993
.LBB71_989:
	s_andn2_saveexec_b64 s[0:1], s[0:1]
	s_cbranch_execz .LBB71_970
.LBB71_990:
	v_cmp_ne_u16_e32 vcc, 0, v4
	s_andn2_b64 s[58:59], s[58:59], exec
	s_and_b64 s[62:63], vcc, exec
	s_or_b64 s[58:59], s[58:59], s[62:63]
	s_or_b64 exec, exec, s[0:1]
	v_mov_b32_e32 v3, 0
	s_and_saveexec_b64 s[0:1], s[58:59]
	s_cbranch_execnz .LBB71_971
	s_branch .LBB71_972
.LBB71_991:
	s_mov_b64 s[56:57], -1
                                        ; implicit-def: $vgpr3
.LBB71_992:
	s_mov_b64 s[58:59], 0
.LBB71_993:
	s_and_b64 vcc, exec, s[58:59]
	s_cbranch_vccz .LBB71_997
; %bb.994:
	s_cmp_eq_u32 s61, 11
	s_cbranch_scc0 .LBB71_996
; %bb.995:
	global_load_ubyte v3, v[1:2], off
	s_mov_b64 s[0:1], -1
	s_mov_b64 s[56:57], 0
	s_waitcnt vmcnt(0)
	v_cmp_ne_u16_e32 vcc, 0, v3
	v_cndmask_b32_e64 v3, 0, 1, vcc
	s_branch .LBB71_997
.LBB71_996:
	s_mov_b64 s[56:57], -1
                                        ; implicit-def: $vgpr3
.LBB71_997:
	s_mov_b64 s[58:59], 0
.LBB71_998:
	s_and_b64 vcc, exec, s[58:59]
	s_cbranch_vccz .LBB71_1047
; %bb.999:
	s_and_b32 s58, 0xffff, s60
	s_cmp_lt_i32 s58, 5
	s_cbranch_scc1 .LBB71_1004
; %bb.1000:
	s_cmp_lt_i32 s58, 8
	s_cbranch_scc1 .LBB71_1005
; %bb.1001:
	;; [unrolled: 3-line block ×3, first 2 shown]
	s_cmp_gt_i32 s58, 9
	s_cbranch_scc0 .LBB71_1007
; %bb.1003:
	global_load_dwordx2 v[3:4], v[1:2], off
	s_mov_b64 s[0:1], 0
	s_waitcnt vmcnt(0)
	v_cvt_i32_f64_e32 v3, v[3:4]
	s_branch .LBB71_1008
.LBB71_1004:
	s_mov_b64 s[0:1], -1
                                        ; implicit-def: $vgpr3
	s_branch .LBB71_1026
.LBB71_1005:
	s_mov_b64 s[0:1], -1
                                        ; implicit-def: $vgpr3
	s_branch .LBB71_1014
.LBB71_1006:
	s_mov_b64 s[0:1], -1
                                        ; implicit-def: $vgpr3
	s_branch .LBB71_1011
.LBB71_1007:
	s_mov_b64 s[0:1], -1
                                        ; implicit-def: $vgpr3
.LBB71_1008:
	s_andn2_b64 vcc, exec, s[0:1]
	s_cbranch_vccnz .LBB71_1010
; %bb.1009:
	global_load_dword v3, v[1:2], off
	s_waitcnt vmcnt(0)
	v_cvt_i32_f32_e32 v3, v3
.LBB71_1010:
	s_mov_b64 s[0:1], 0
.LBB71_1011:
	s_andn2_b64 vcc, exec, s[0:1]
	s_cbranch_vccnz .LBB71_1013
; %bb.1012:
	global_load_dword v3, v[1:2], off
	s_waitcnt vmcnt(0)
	v_cvt_f32_f16_e32 v3, v3
	v_cvt_i32_f32_e32 v3, v3
.LBB71_1013:
	s_mov_b64 s[0:1], 0
.LBB71_1014:
	s_andn2_b64 vcc, exec, s[0:1]
	s_cbranch_vccnz .LBB71_1025
; %bb.1015:
	s_cmp_lt_i32 s58, 6
	s_cbranch_scc1 .LBB71_1018
; %bb.1016:
	s_cmp_gt_i32 s58, 6
	s_cbranch_scc0 .LBB71_1019
; %bb.1017:
	global_load_dwordx2 v[3:4], v[1:2], off
	s_mov_b64 s[0:1], 0
	s_waitcnt vmcnt(0)
	v_cvt_i32_f64_e32 v3, v[3:4]
	s_branch .LBB71_1020
.LBB71_1018:
	s_mov_b64 s[0:1], -1
                                        ; implicit-def: $vgpr3
	s_branch .LBB71_1023
.LBB71_1019:
	s_mov_b64 s[0:1], -1
                                        ; implicit-def: $vgpr3
.LBB71_1020:
	s_andn2_b64 vcc, exec, s[0:1]
	s_cbranch_vccnz .LBB71_1022
; %bb.1021:
	global_load_dword v3, v[1:2], off
	s_waitcnt vmcnt(0)
	v_cvt_i32_f32_e32 v3, v3
.LBB71_1022:
	s_mov_b64 s[0:1], 0
.LBB71_1023:
	s_andn2_b64 vcc, exec, s[0:1]
	s_cbranch_vccnz .LBB71_1025
; %bb.1024:
	global_load_ushort v3, v[1:2], off
	s_waitcnt vmcnt(0)
	v_cvt_f32_f16_e32 v3, v3
	v_cvt_i32_f32_e32 v3, v3
.LBB71_1025:
	s_mov_b64 s[0:1], 0
.LBB71_1026:
	s_andn2_b64 vcc, exec, s[0:1]
	s_cbranch_vccnz .LBB71_1046
; %bb.1027:
	s_cmp_lt_i32 s58, 2
	s_cbranch_scc1 .LBB71_1031
; %bb.1028:
	s_cmp_lt_i32 s58, 3
	s_cbranch_scc1 .LBB71_1032
; %bb.1029:
	s_cmp_gt_i32 s58, 3
	s_cbranch_scc0 .LBB71_1033
; %bb.1030:
	global_load_dword v3, v[1:2], off
	s_mov_b64 s[0:1], 0
	s_branch .LBB71_1034
.LBB71_1031:
	s_mov_b64 s[0:1], -1
                                        ; implicit-def: $vgpr3
	s_branch .LBB71_1040
.LBB71_1032:
	s_mov_b64 s[0:1], -1
                                        ; implicit-def: $vgpr3
	s_branch .LBB71_1037
.LBB71_1033:
	s_mov_b64 s[0:1], -1
                                        ; implicit-def: $vgpr3
.LBB71_1034:
	s_andn2_b64 vcc, exec, s[0:1]
	s_cbranch_vccnz .LBB71_1036
; %bb.1035:
	global_load_dword v3, v[1:2], off
.LBB71_1036:
	s_mov_b64 s[0:1], 0
.LBB71_1037:
	s_andn2_b64 vcc, exec, s[0:1]
	s_cbranch_vccnz .LBB71_1039
; %bb.1038:
	global_load_sshort v3, v[1:2], off
.LBB71_1039:
	s_mov_b64 s[0:1], 0
.LBB71_1040:
	s_andn2_b64 vcc, exec, s[0:1]
	s_cbranch_vccnz .LBB71_1046
; %bb.1041:
	s_cmp_gt_i32 s58, 0
	s_cbranch_scc0 .LBB71_1043
; %bb.1042:
	global_load_sbyte v3, v[1:2], off
	s_mov_b64 s[0:1], 0
	s_branch .LBB71_1044
.LBB71_1043:
	s_mov_b64 s[0:1], -1
                                        ; implicit-def: $vgpr3
.LBB71_1044:
	s_andn2_b64 vcc, exec, s[0:1]
	s_cbranch_vccnz .LBB71_1046
; %bb.1045:
	global_load_ubyte v3, v[1:2], off
.LBB71_1046:
	s_mov_b64 s[0:1], -1
.LBB71_1047:
	s_andn2_b64 vcc, exec, s[0:1]
	s_cbranch_vccnz .LBB71_1055
; %bb.1048:
	s_waitcnt vmcnt(0)
	v_lshlrev_b32_e32 v1, v3, v5
	v_cmp_gt_u32_e32 vcc, 32, v3
	v_cndmask_b32_e32 v1, 0, v1, vcc
	v_mov_b32_e32 v2, s9
	s_and_b32 s64, s69, 0xff
	v_add_co_u32_e32 v3, vcc, s8, v0
	s_cmp_lt_i32 s64, 11
	v_addc_co_u32_e32 v4, vcc, 0, v2, vcc
	s_cbranch_scc1 .LBB71_1056
; %bb.1049:
	s_and_b32 s65, 0xffff, s64
	s_cmp_gt_i32 s65, 25
	s_cbranch_scc0 .LBB71_1057
; %bb.1050:
	s_cmp_gt_i32 s65, 28
	s_cbranch_scc0 .LBB71_1058
; %bb.1051:
	;; [unrolled: 3-line block ×4, first 2 shown]
	s_mov_b64 s[60:61], 0
	s_mov_b64 s[0:1], -1
	s_cmp_eq_u32 s65, 46
	s_mov_b64 s[58:59], 0
	s_cbranch_scc0 .LBB71_1061
; %bb.1054:
	v_cvt_f32_i32_e32 v0, v1
	s_movk_i32 s0, 0x7fff
	s_mov_b64 s[58:59], -1
	v_bfe_u32 v2, v0, 16, 1
	v_add3_u32 v0, v0, v2, s0
	v_lshrrev_b32_e32 v0, 16, v0
	global_store_dword v[3:4], v0, off
	s_mov_b64 s[0:1], 0
	s_branch .LBB71_1061
.LBB71_1055:
	s_mov_b64 s[60:61], 0
                                        ; implicit-def: $vgpr8
	s_mov_b64 s[0:1], s[48:49]
	s_branch .LBB71_1171
.LBB71_1056:
	s_mov_b64 s[60:61], -1
	s_mov_b64 s[58:59], 0
	s_mov_b64 s[0:1], s[48:49]
	s_branch .LBB71_1130
.LBB71_1057:
	s_mov_b64 s[60:61], -1
	s_mov_b64 s[58:59], 0
	s_mov_b64 s[0:1], s[48:49]
	s_branch .LBB71_1088
.LBB71_1058:
	s_mov_b64 s[60:61], -1
	s_mov_b64 s[58:59], 0
	s_mov_b64 s[0:1], s[48:49]
	s_branch .LBB71_1071
.LBB71_1059:
	s_mov_b64 s[60:61], -1
	s_mov_b64 s[58:59], 0
	s_mov_b64 s[0:1], s[48:49]
	s_branch .LBB71_1067
.LBB71_1060:
	s_mov_b64 s[60:61], -1
	s_mov_b64 s[58:59], 0
	s_mov_b64 s[0:1], s[48:49]
.LBB71_1061:
	s_and_b64 vcc, exec, s[60:61]
	s_cbranch_vccz .LBB71_1066
; %bb.1062:
	s_cmp_eq_u32 s65, 44
	s_mov_b64 s[0:1], -1
	s_cbranch_scc0 .LBB71_1066
; %bb.1063:
	v_cvt_f32_i32_e32 v0, v1
	s_movk_i32 s0, 0xff
	v_mov_b32_e32 v5, 0xff
	v_bfe_u32 v2, v0, 23, 8
	v_cmp_ne_u32_e32 vcc, s0, v2
	s_and_saveexec_b64 s[58:59], vcc
; %bb.1064:
	s_mov_b32 s0, 0x3fffff
	v_lshrrev_b32_e32 v5, 23, v0
	v_and_b32_e32 v6, 0x400000, v0
	v_and_or_b32 v0, v0, s0, v2
	v_cmp_ne_u32_e32 vcc, 0, v6
	v_cmp_ne_u32_e64 s[0:1], 0, v0
	s_and_b64 s[0:1], vcc, s[0:1]
	v_cndmask_b32_e64 v0, 0, 1, s[0:1]
	v_add_u32_e32 v5, v5, v0
; %bb.1065:
	s_or_b64 exec, exec, s[58:59]
	s_mov_b64 s[58:59], -1
	s_mov_b64 s[0:1], 0
	global_store_byte v[3:4], v5, off
.LBB71_1066:
	s_mov_b64 s[60:61], 0
.LBB71_1067:
	s_and_b64 vcc, exec, s[60:61]
	s_cbranch_vccz .LBB71_1070
; %bb.1068:
	s_cmp_eq_u32 s65, 29
	s_mov_b64 s[0:1], -1
	s_cbranch_scc0 .LBB71_1070
; %bb.1069:
	v_ashrrev_i32_e32 v2, 31, v1
	global_store_dwordx2 v[3:4], v[1:2], off
	s_mov_b64 s[58:59], -1
	s_mov_b64 s[0:1], 0
.LBB71_1070:
	s_mov_b64 s[60:61], 0
.LBB71_1071:
	s_and_b64 vcc, exec, s[60:61]
	s_cbranch_vccz .LBB71_1087
; %bb.1072:
	s_cmp_lt_i32 s65, 27
	s_mov_b64 s[58:59], -1
	s_cbranch_scc1 .LBB71_1078
; %bb.1073:
	s_cmp_gt_i32 s65, 27
	s_cbranch_scc0 .LBB71_1075
; %bb.1074:
	s_mov_b64 s[58:59], 0
	global_store_dword v[3:4], v1, off
.LBB71_1075:
	s_andn2_b64 vcc, exec, s[58:59]
	s_cbranch_vccnz .LBB71_1077
; %bb.1076:
	global_store_short v[3:4], v1, off
.LBB71_1077:
	s_mov_b64 s[58:59], 0
.LBB71_1078:
	s_andn2_b64 vcc, exec, s[58:59]
	s_cbranch_vccnz .LBB71_1086
; %bb.1079:
	v_cvt_f32_i32_e32 v0, v1
	s_mov_b32 s58, 0x43800000
	v_mov_b32_e32 v5, 0x80
	v_and_b32_e32 v2, 0x7fffffff, v0
	v_cmp_gt_u32_e32 vcc, s58, v2
	s_and_saveexec_b64 s[58:59], vcc
	s_cbranch_execz .LBB71_1085
; %bb.1080:
	s_mov_b32 s60, 0x3bffffff
	v_cmp_lt_u32_e32 vcc, s60, v2
	s_mov_b64 s[60:61], 0
                                        ; implicit-def: $vgpr2
	s_and_saveexec_b64 s[62:63], vcc
	s_xor_b64 s[62:63], exec, s[62:63]
	s_cbranch_execz .LBB71_1199
; %bb.1081:
	v_bfe_u32 v2, v0, 20, 1
	s_mov_b32 s67, 0x487ffff
	v_add3_u32 v2, v0, v2, s67
	s_mov_b64 s[60:61], exec
	v_lshrrev_b32_e32 v2, 20, v2
	s_andn2_saveexec_b64 s[62:63], s[62:63]
	s_cbranch_execnz .LBB71_1200
.LBB71_1082:
	s_or_b64 exec, exec, s[62:63]
	v_mov_b32_e32 v5, 0
	s_and_saveexec_b64 s[62:63], s[60:61]
.LBB71_1083:
	v_lshrrev_b32_e32 v0, 24, v0
	s_movk_i32 s60, 0x80
	v_and_or_b32 v5, v0, s60, v2
.LBB71_1084:
	s_or_b64 exec, exec, s[62:63]
.LBB71_1085:
	s_or_b64 exec, exec, s[58:59]
	global_store_byte v[3:4], v5, off
.LBB71_1086:
	s_mov_b64 s[58:59], -1
.LBB71_1087:
	s_mov_b64 s[60:61], 0
.LBB71_1088:
	s_and_b64 vcc, exec, s[60:61]
	s_cbranch_vccz .LBB71_1129
; %bb.1089:
	s_cmp_gt_i32 s65, 22
	s_mov_b64 s[60:61], -1
	s_cbranch_scc0 .LBB71_1121
; %bb.1090:
	s_cmp_lt_i32 s65, 24
	s_mov_b64 s[58:59], -1
	s_cbranch_scc1 .LBB71_1110
; %bb.1091:
	s_cmp_gt_i32 s65, 24
	s_cbranch_scc0 .LBB71_1099
; %bb.1092:
	v_cvt_f32_i32_e32 v0, v1
	s_mov_b32 s58, 0x47800000
	v_mov_b32_e32 v5, 0x80
	v_and_b32_e32 v2, 0x7fffffff, v0
	v_cmp_gt_u32_e32 vcc, s58, v2
	s_and_saveexec_b64 s[58:59], vcc
	s_cbranch_execz .LBB71_1098
; %bb.1093:
	s_mov_b32 s60, 0x37ffffff
	v_cmp_lt_u32_e32 vcc, s60, v2
	s_mov_b64 s[60:61], 0
                                        ; implicit-def: $vgpr2
	s_and_saveexec_b64 s[62:63], vcc
	s_xor_b64 s[62:63], exec, s[62:63]
	s_cbranch_execz .LBB71_2236
; %bb.1094:
	v_bfe_u32 v2, v0, 21, 1
	s_mov_b32 s67, 0x88fffff
	v_add3_u32 v2, v0, v2, s67
	s_mov_b64 s[60:61], exec
	v_lshrrev_b32_e32 v2, 21, v2
	s_andn2_saveexec_b64 s[62:63], s[62:63]
	s_cbranch_execnz .LBB71_2237
.LBB71_1095:
	s_or_b64 exec, exec, s[62:63]
	v_mov_b32_e32 v5, 0
	s_and_saveexec_b64 s[62:63], s[60:61]
.LBB71_1096:
	v_lshrrev_b32_e32 v0, 24, v0
	s_movk_i32 s60, 0x80
	v_and_or_b32 v5, v0, s60, v2
.LBB71_1097:
	s_or_b64 exec, exec, s[62:63]
.LBB71_1098:
	s_or_b64 exec, exec, s[58:59]
	s_mov_b64 s[58:59], 0
	global_store_byte v[3:4], v5, off
.LBB71_1099:
	s_and_b64 vcc, exec, s[58:59]
	s_cbranch_vccz .LBB71_1109
; %bb.1100:
	v_cvt_f32_i32_e32 v0, v1
	s_mov_b32 s58, 0x43f00000
                                        ; implicit-def: $vgpr2
	v_and_b32_e32 v5, 0x7fffffff, v0
	v_cmp_gt_u32_e32 vcc, s58, v5
	s_and_saveexec_b64 s[58:59], vcc
	s_xor_b64 s[58:59], exec, s[58:59]
	s_cbranch_execz .LBB71_1106
; %bb.1101:
	s_mov_b32 s60, 0x3c7fffff
	v_cmp_lt_u32_e32 vcc, s60, v5
                                        ; implicit-def: $vgpr2
	s_and_saveexec_b64 s[60:61], vcc
	s_xor_b64 s[60:61], exec, s[60:61]
; %bb.1102:
	v_bfe_u32 v2, v0, 20, 1
	s_mov_b32 s62, 0x407ffff
	v_add3_u32 v2, v0, v2, s62
	v_lshrrev_b32_e32 v5, 20, v2
	v_and_b32_e32 v2, 0xff00000, v2
	s_mov_b32 s62, 0x7f00000
	v_mov_b32_e32 v6, 0x7e
	v_cmp_ne_u32_e32 vcc, s62, v2
	v_cndmask_b32_e32 v2, v6, v5, vcc
; %bb.1103:
	s_andn2_saveexec_b64 s[60:61], s[60:61]
; %bb.1104:
	s_mov_b32 s62, 0x46800000
	v_add_f32_e64 v2, |v0|, s62
; %bb.1105:
	s_or_b64 exec, exec, s[60:61]
                                        ; implicit-def: $vgpr5
.LBB71_1106:
	s_andn2_saveexec_b64 s[58:59], s[58:59]
; %bb.1107:
	s_mov_b32 s60, 0x7f800000
	v_mov_b32_e32 v2, 0x7e
	v_mov_b32_e32 v6, 0x7f
	v_cmp_lt_u32_e32 vcc, s60, v5
	v_cndmask_b32_e32 v2, v2, v6, vcc
; %bb.1108:
	s_or_b64 exec, exec, s[58:59]
	v_lshrrev_b32_e32 v0, 24, v0
	s_movk_i32 s58, 0x80
	v_and_or_b32 v0, v0, s58, v2
	global_store_byte v[3:4], v0, off
.LBB71_1109:
	s_mov_b64 s[58:59], 0
.LBB71_1110:
	s_andn2_b64 vcc, exec, s[58:59]
	s_cbranch_vccnz .LBB71_1120
; %bb.1111:
	v_cvt_f32_i32_e32 v0, v1
	s_mov_b32 s58, 0x47800000
                                        ; implicit-def: $vgpr2
	v_and_b32_e32 v5, 0x7fffffff, v0
	v_cmp_gt_u32_e32 vcc, s58, v5
	s_and_saveexec_b64 s[58:59], vcc
	s_xor_b64 s[58:59], exec, s[58:59]
	s_cbranch_execz .LBB71_1117
; %bb.1112:
	s_mov_b32 s60, 0x387fffff
	v_cmp_lt_u32_e32 vcc, s60, v5
                                        ; implicit-def: $vgpr2
	s_and_saveexec_b64 s[60:61], vcc
	s_xor_b64 s[60:61], exec, s[60:61]
; %bb.1113:
	v_bfe_u32 v2, v0, 21, 1
	s_mov_b32 s62, 0x80fffff
	v_add3_u32 v2, v0, v2, s62
	v_lshrrev_b32_e32 v2, 21, v2
; %bb.1114:
	s_andn2_saveexec_b64 s[60:61], s[60:61]
; %bb.1115:
	s_mov_b32 s62, 0x43000000
	v_add_f32_e64 v2, |v0|, s62
; %bb.1116:
	s_or_b64 exec, exec, s[60:61]
                                        ; implicit-def: $vgpr5
.LBB71_1117:
	s_andn2_saveexec_b64 s[58:59], s[58:59]
; %bb.1118:
	s_mov_b32 s60, 0x7f800000
	v_mov_b32_e32 v2, 0x7c
	v_mov_b32_e32 v6, 0x7f
	v_cmp_lt_u32_e32 vcc, s60, v5
	v_cndmask_b32_e32 v2, v2, v6, vcc
; %bb.1119:
	s_or_b64 exec, exec, s[58:59]
	v_lshrrev_b32_e32 v0, 24, v0
	s_movk_i32 s58, 0x80
	v_and_or_b32 v0, v0, s58, v2
	global_store_byte v[3:4], v0, off
.LBB71_1120:
	s_mov_b64 s[60:61], 0
	s_mov_b64 s[58:59], -1
.LBB71_1121:
	s_andn2_b64 vcc, exec, s[60:61]
	s_cbranch_vccnz .LBB71_1129
; %bb.1122:
	s_cmp_gt_i32 s65, 14
	s_mov_b64 s[60:61], -1
	s_cbranch_scc0 .LBB71_1126
; %bb.1123:
	s_cmp_eq_u32 s65, 15
	s_mov_b64 s[0:1], -1
	s_cbranch_scc0 .LBB71_1125
; %bb.1124:
	v_cvt_f32_i32_e32 v0, v1
	s_movk_i32 s0, 0x7fff
	s_mov_b64 s[58:59], -1
	v_bfe_u32 v2, v0, 16, 1
	v_add3_u32 v0, v0, v2, s0
	global_store_short_d16_hi v[3:4], v0, off
	s_mov_b64 s[0:1], 0
.LBB71_1125:
	s_mov_b64 s[60:61], 0
.LBB71_1126:
	s_and_b64 vcc, exec, s[60:61]
	s_cbranch_vccz .LBB71_1129
; %bb.1127:
	s_cmp_eq_u32 s65, 11
	s_mov_b64 s[0:1], -1
	s_cbranch_scc0 .LBB71_1129
; %bb.1128:
	v_cmp_ne_u32_e32 vcc, 0, v1
	v_cndmask_b32_e64 v0, 0, 1, vcc
	s_mov_b64 s[58:59], -1
	s_mov_b64 s[0:1], 0
	global_store_byte v[3:4], v0, off
.LBB71_1129:
	s_mov_b64 s[60:61], 0
.LBB71_1130:
	s_and_b64 vcc, exec, s[60:61]
	s_cbranch_vccz .LBB71_1169
; %bb.1131:
	s_and_b32 s60, 0xffff, s64
	s_cmp_lt_i32 s60, 5
	s_mov_b64 s[58:59], -1
	s_cbranch_scc1 .LBB71_1152
; %bb.1132:
	s_cmp_lt_i32 s60, 8
	s_cbranch_scc1 .LBB71_1142
; %bb.1133:
	s_cmp_lt_i32 s60, 9
	s_cbranch_scc1 .LBB71_1139
; %bb.1134:
	s_cmp_gt_i32 s60, 9
	s_cbranch_scc0 .LBB71_1136
; %bb.1135:
	v_cvt_f64_i32_e32 v[9:10], v1
	v_mov_b32_e32 v11, 0
	v_mov_b32_e32 v12, v11
	s_mov_b64 s[58:59], 0
	global_store_dwordx4 v[3:4], v[9:12], off
.LBB71_1136:
	s_andn2_b64 vcc, exec, s[58:59]
	s_cbranch_vccnz .LBB71_1138
; %bb.1137:
	v_cvt_f32_i32_e32 v5, v1
	v_mov_b32_e32 v6, 0
	global_store_dwordx2 v[3:4], v[5:6], off
.LBB71_1138:
	s_mov_b64 s[58:59], 0
.LBB71_1139:
	s_andn2_b64 vcc, exec, s[58:59]
	s_cbranch_vccnz .LBB71_1141
; %bb.1140:
	v_cvt_f32_i32_e32 v0, v1
	v_cvt_f16_f32_e32 v0, v0
	global_store_dword v[3:4], v0, off
.LBB71_1141:
	s_mov_b64 s[58:59], 0
.LBB71_1142:
	s_andn2_b64 vcc, exec, s[58:59]
	s_cbranch_vccnz .LBB71_1151
; %bb.1143:
	s_cmp_lt_i32 s60, 6
	s_mov_b64 s[58:59], -1
	s_cbranch_scc1 .LBB71_1149
; %bb.1144:
	s_cmp_gt_i32 s60, 6
	s_cbranch_scc0 .LBB71_1146
; %bb.1145:
	v_cvt_f64_i32_e32 v[5:6], v1
	s_mov_b64 s[58:59], 0
	global_store_dwordx2 v[3:4], v[5:6], off
.LBB71_1146:
	s_andn2_b64 vcc, exec, s[58:59]
	s_cbranch_vccnz .LBB71_1148
; %bb.1147:
	v_cvt_f32_i32_e32 v0, v1
	global_store_dword v[3:4], v0, off
.LBB71_1148:
	s_mov_b64 s[58:59], 0
.LBB71_1149:
	s_andn2_b64 vcc, exec, s[58:59]
	s_cbranch_vccnz .LBB71_1151
; %bb.1150:
	v_cvt_f32_i32_e32 v0, v1
	v_cvt_f16_f32_e32 v0, v0
	global_store_short v[3:4], v0, off
.LBB71_1151:
	s_mov_b64 s[58:59], 0
.LBB71_1152:
	s_andn2_b64 vcc, exec, s[58:59]
	s_cbranch_vccnz .LBB71_1168
; %bb.1153:
	s_cmp_lt_i32 s60, 2
	s_mov_b64 s[58:59], -1
	s_cbranch_scc1 .LBB71_1163
; %bb.1154:
	s_cmp_lt_i32 s60, 3
	s_cbranch_scc1 .LBB71_1160
; %bb.1155:
	s_cmp_gt_i32 s60, 3
	s_cbranch_scc0 .LBB71_1157
; %bb.1156:
	v_ashrrev_i32_e32 v2, 31, v1
	s_mov_b64 s[58:59], 0
	global_store_dwordx2 v[3:4], v[1:2], off
.LBB71_1157:
	s_andn2_b64 vcc, exec, s[58:59]
	s_cbranch_vccnz .LBB71_1159
; %bb.1158:
	global_store_dword v[3:4], v1, off
.LBB71_1159:
	s_mov_b64 s[58:59], 0
.LBB71_1160:
	s_andn2_b64 vcc, exec, s[58:59]
	s_cbranch_vccnz .LBB71_1162
; %bb.1161:
	global_store_short v[3:4], v1, off
.LBB71_1162:
	s_mov_b64 s[58:59], 0
.LBB71_1163:
	s_andn2_b64 vcc, exec, s[58:59]
	s_cbranch_vccnz .LBB71_1168
; %bb.1164:
	s_cmp_gt_i32 s60, 0
	s_mov_b64 s[58:59], -1
	s_cbranch_scc0 .LBB71_1166
; %bb.1165:
	s_mov_b64 s[58:59], 0
	global_store_byte v[3:4], v1, off
.LBB71_1166:
	s_andn2_b64 vcc, exec, s[58:59]
	s_cbranch_vccnz .LBB71_1168
; %bb.1167:
	global_store_byte v[3:4], v1, off
.LBB71_1168:
	s_mov_b64 s[58:59], -1
.LBB71_1169:
	s_andn2_b64 vcc, exec, s[58:59]
	s_cbranch_vccnz .LBB71_1181
; %bb.1170:
	v_add_u32_e32 v8, 0x80, v8
	s_mov_b64 s[60:61], -1
.LBB71_1171:
	s_andn2_b64 s[58:59], s[48:49], exec
	s_and_b64 s[0:1], s[0:1], exec
	s_or_b64 s[58:59], s[58:59], s[0:1]
	s_andn2_b64 s[0:1], s[46:47], exec
	s_and_b64 s[56:57], s[56:57], exec
	s_or_b64 s[56:57], s[0:1], s[56:57]
	;; [unrolled: 3-line block ×3, first 2 shown]
	s_orn2_b64 s[64:65], s[60:61], exec
.LBB71_1172:
	s_or_b64 exec, exec, s[52:53]
	s_mov_b64 s[60:61], 0
	s_mov_b64 s[54:55], 0
	;; [unrolled: 1-line block ×3, first 2 shown]
                                        ; implicit-def: $sgpr73
                                        ; implicit-def: $vgpr3_vgpr4
                                        ; implicit-def: $vgpr0
                                        ; implicit-def: $vgpr2
                                        ; implicit-def: $vgpr5
	s_and_saveexec_b64 s[52:53], s[64:65]
	s_cbranch_execz .LBB71_1263
; %bb.1173:
	v_cmp_gt_i32_e32 vcc, s66, v8
	s_mov_b64 s[64:65], s[0:1]
	s_mov_b64 s[66:67], 0
                                        ; implicit-def: $sgpr73
                                        ; implicit-def: $vgpr3_vgpr4
                                        ; implicit-def: $vgpr0
                                        ; implicit-def: $vgpr2
                                        ; implicit-def: $vgpr5
	s_and_saveexec_b64 s[54:55], vcc
	s_cbranch_execz .LBB71_1262
; %bb.1174:
	s_andn2_b64 vcc, exec, s[20:21]
	s_cbranch_vccnz .LBB71_1180
; %bb.1175:
	s_andn2_b64 vcc, exec, s[34:35]
	s_cbranch_vccnz .LBB71_1182
; %bb.1176:
	s_add_i32 s34, s72, 1
	s_and_b32 s60, s34, 30
	s_add_u32 s34, s2, 0xffffffe8
	s_addc_u32 s35, s3, -1
	v_mov_b32_e32 v2, 0
	v_mov_b32_e32 v4, 0
	;; [unrolled: 1-line block ×4, first 2 shown]
.LBB71_1177:                            ; =>This Inner Loop Header: Depth=1
	s_load_dwordx4 s[64:67], s[34:35], 0x1c
	s_load_dwordx2 s[62:63], s[34:35], 0x2c
	s_load_dwordx2 s[74:75], s[34:35], 0xec
	s_load_dwordx4 s[76:79], s[34:35], 0xdc
	s_add_u32 s34, s34, 24
	s_waitcnt vmcnt(0) lgkmcnt(0)
	v_mul_hi_u32 v3, s65, v1
	s_addc_u32 s35, s35, 0
	s_add_i32 s60, s60, -2
	s_cmp_eq_u32 s60, 0
	v_add_u32_e32 v3, v1, v3
	v_lshrrev_b32_e32 v3, s66, v3
	v_mul_lo_u32 v5, v3, s64
	v_mul_hi_u32 v6, s62, v3
	v_sub_u32_e32 v5, v1, v5
	v_add_u32_e32 v1, v3, v6
	v_lshrrev_b32_e32 v1, s63, v1
	v_mul_lo_u32 v9, v1, s67
	v_mul_lo_u32 v6, v5, s76
	;; [unrolled: 1-line block ×4, first 2 shown]
	v_sub_u32_e32 v3, v3, v9
	v_mul_lo_u32 v9, v3, s79
	v_mul_lo_u32 v10, v3, s74
	;; [unrolled: 1-line block ×3, first 2 shown]
	v_add3_u32 v0, v6, v0, v9
	v_add3_u32 v4, v7, v4, v10
	v_add3_u32 v2, v5, v2, v3
	s_cbranch_scc0 .LBB71_1177
; %bb.1178:
	s_bitcmp1_b32 s72, 0
	s_cselect_b64 s[60:61], -1, 0
	s_and_b64 vcc, exec, s[60:61]
	s_cbranch_vccnz .LBB71_1183
; %bb.1179:
	s_load_dwordx2 s[60:61], s[34:35], 0x1c
	s_load_dword s64, s[34:35], 0x24
	s_load_dwordx2 s[62:63], s[34:35], 0xdc
	s_waitcnt lgkmcnt(0)
	v_mul_hi_u32 v3, s61, v1
	v_add_u32_e32 v3, v1, v3
	v_lshrrev_b32_e32 v3, s64, v3
	v_mul_lo_u32 v3, v3, s60
	s_load_dword s60, s[34:35], 0xe4
	v_sub_u32_e32 v3, v1, v3
	v_mad_u64_u32 v[0:1], s[34:35], v3, s62, v[0:1]
	v_mad_u64_u32 v[4:5], s[34:35], v3, s63, v[4:5]
	s_waitcnt lgkmcnt(0)
	v_mad_u64_u32 v[2:3], s[34:35], v3, s60, v[2:3]
	s_branch .LBB71_1183
.LBB71_1180:
	s_mov_b64 s[34:35], -1
                                        ; implicit-def: $vgpr0
                                        ; implicit-def: $vgpr4
                                        ; implicit-def: $vgpr2
	s_branch .LBB71_1184
.LBB71_1181:
	s_mov_b64 s[60:61], 0
	s_branch .LBB71_928
.LBB71_1182:
	v_mov_b32_e32 v0, 0
	v_mov_b32_e32 v4, 0
	;; [unrolled: 1-line block ×3, first 2 shown]
.LBB71_1183:
	s_mov_b64 s[34:35], 0
.LBB71_1184:
	s_andn2_b64 vcc, exec, s[34:35]
	s_cbranch_vccnz .LBB71_1187
; %bb.1185:
	s_waitcnt lgkmcnt(0)
	v_mul_hi_u32 v0, s17, v8
	s_andn2_b64 vcc, exec, s[30:31]
	v_add_u32_e32 v0, v8, v0
	v_lshrrev_b32_e32 v1, s18, v0
	v_mul_lo_u32 v0, v1, s16
	v_sub_u32_e32 v2, v8, v0
	v_mul_lo_u32 v0, v2, s12
	v_mul_lo_u32 v4, v2, s13
	v_mul_lo_u32 v2, v2, s14
	s_cbranch_vccnz .LBB71_1187
; %bb.1186:
	s_waitcnt vmcnt(0)
	v_mul_hi_u32 v3, s28, v1
	v_add_u32_e32 v3, v1, v3
	v_lshrrev_b32_e32 v3, s29, v3
	v_mul_lo_u32 v3, v3, s19
	v_sub_u32_e32 v3, v1, v3
	v_mad_u64_u32 v[0:1], s[12:13], v3, s15, v[0:1]
	v_mad_u64_u32 v[4:5], s[12:13], v3, s26, v[4:5]
	v_mad_u64_u32 v[2:3], s[12:13], v3, s27, v[2:3]
.LBB71_1187:
	s_waitcnt lgkmcnt(0)
	v_mov_b32_e32 v1, s11
	s_and_b32 s73, s71, 0xff
	s_waitcnt vmcnt(0)
	v_add_co_u32_e32 v3, vcc, s10, v4
	s_cmp_lt_i32 s73, 11
	v_addc_co_u32_e32 v4, vcc, 0, v1, vcc
	s_cbranch_scc1 .LBB71_1194
; %bb.1188:
	s_and_b32 s18, 0xffff, s73
	s_cmp_gt_i32 s18, 25
	s_mov_b64 s[12:13], 0
	s_cbranch_scc0 .LBB71_1195
; %bb.1189:
	s_cmp_gt_i32 s18, 28
	s_cbranch_scc0 .LBB71_1196
; %bb.1190:
	s_cmp_gt_i32 s18, 43
	;; [unrolled: 3-line block ×3, first 2 shown]
	s_cbranch_scc0 .LBB71_1198
; %bb.1192:
	s_cmp_eq_u32 s18, 46
	s_mov_b64 s[16:17], 0
	s_cbranch_scc0 .LBB71_1201
; %bb.1193:
	global_load_dword v1, v[3:4], off
	s_mov_b64 s[10:11], 0
	s_mov_b64 s[14:15], -1
	s_waitcnt vmcnt(0)
	v_lshlrev_b32_e32 v1, 16, v1
	v_cvt_i32_f32_e32 v5, v1
	s_branch .LBB71_1202
.LBB71_1194:
	s_mov_b64 s[16:17], -1
	s_mov_b64 s[14:15], 0
	s_mov_b64 s[12:13], 0
	;; [unrolled: 1-line block ×3, first 2 shown]
                                        ; implicit-def: $vgpr5
	s_branch .LBB71_1261
.LBB71_1195:
	s_mov_b64 s[16:17], -1
	s_mov_b64 s[14:15], 0
	s_mov_b64 s[10:11], s[0:1]
                                        ; implicit-def: $vgpr5
	s_branch .LBB71_1229
.LBB71_1196:
	s_mov_b64 s[16:17], -1
	s_mov_b64 s[14:15], 0
	s_mov_b64 s[10:11], s[0:1]
                                        ; implicit-def: $vgpr5
	s_branch .LBB71_1212
.LBB71_1197:
	s_mov_b64 s[16:17], -1
	s_mov_b64 s[14:15], 0
	s_mov_b64 s[10:11], s[0:1]
                                        ; implicit-def: $vgpr5
	s_branch .LBB71_1207
.LBB71_1198:
	s_mov_b64 s[16:17], -1
	s_mov_b64 s[14:15], 0
	s_mov_b64 s[10:11], s[0:1]
                                        ; implicit-def: $vgpr5
	s_branch .LBB71_1202
.LBB71_1199:
	s_andn2_saveexec_b64 s[62:63], s[62:63]
	s_cbranch_execz .LBB71_1082
.LBB71_1200:
	s_mov_b32 s67, 0x46000000
	v_add_f32_e64 v2, |v0|, s67
	v_and_b32_e32 v2, 0xff, v2
	v_cmp_ne_u32_e32 vcc, 0, v2
	s_andn2_b64 s[60:61], s[60:61], exec
	s_and_b64 s[74:75], vcc, exec
	s_or_b64 s[60:61], s[60:61], s[74:75]
	s_or_b64 exec, exec, s[62:63]
	v_mov_b32_e32 v5, 0
	s_and_saveexec_b64 s[62:63], s[60:61]
	s_cbranch_execnz .LBB71_1083
	s_branch .LBB71_1084
.LBB71_1201:
	s_mov_b64 s[10:11], -1
                                        ; implicit-def: $vgpr5
	s_mov_b64 s[14:15], 0
.LBB71_1202:
	s_and_b64 vcc, exec, s[16:17]
	s_cbranch_vccz .LBB71_1206
; %bb.1203:
	s_cmp_eq_u32 s18, 44
	s_cbranch_scc0 .LBB71_1205
; %bb.1204:
	global_load_ubyte v1, v[3:4], off
	s_mov_b64 s[10:11], 0
	s_mov_b64 s[14:15], -1
	s_waitcnt vmcnt(0)
	v_lshlrev_b32_e32 v5, 23, v1
	v_cvt_i32_f32_e32 v5, v5
	v_cmp_ne_u32_e32 vcc, 0, v1
	v_cndmask_b32_e32 v5, 0, v5, vcc
	s_branch .LBB71_1206
.LBB71_1205:
	s_mov_b64 s[10:11], -1
                                        ; implicit-def: $vgpr5
.LBB71_1206:
	s_mov_b64 s[16:17], 0
.LBB71_1207:
	s_and_b64 vcc, exec, s[16:17]
	s_cbranch_vccz .LBB71_1211
; %bb.1208:
	s_cmp_eq_u32 s18, 29
	s_cbranch_scc0 .LBB71_1210
; %bb.1209:
	global_load_dword v5, v[3:4], off
	s_mov_b64 s[10:11], 0
	s_mov_b64 s[14:15], -1
	s_branch .LBB71_1211
.LBB71_1210:
	s_mov_b64 s[10:11], -1
                                        ; implicit-def: $vgpr5
.LBB71_1211:
	s_mov_b64 s[16:17], 0
.LBB71_1212:
	s_and_b64 vcc, exec, s[16:17]
	s_cbranch_vccz .LBB71_1228
; %bb.1213:
	s_cmp_lt_i32 s18, 27
	s_cbranch_scc1 .LBB71_1216
; %bb.1214:
	s_cmp_gt_i32 s18, 27
	s_cbranch_scc0 .LBB71_1217
; %bb.1215:
	global_load_dword v5, v[3:4], off
	s_mov_b64 s[14:15], 0
	s_branch .LBB71_1218
.LBB71_1216:
	s_mov_b64 s[14:15], -1
                                        ; implicit-def: $vgpr5
	s_branch .LBB71_1221
.LBB71_1217:
	s_mov_b64 s[14:15], -1
                                        ; implicit-def: $vgpr5
.LBB71_1218:
	s_andn2_b64 vcc, exec, s[14:15]
	s_cbranch_vccnz .LBB71_1220
; %bb.1219:
	global_load_ushort v5, v[3:4], off
.LBB71_1220:
	s_mov_b64 s[14:15], 0
.LBB71_1221:
	s_andn2_b64 vcc, exec, s[14:15]
	s_cbranch_vccnz .LBB71_1227
; %bb.1222:
	global_load_ubyte v1, v[3:4], off
	s_movk_i32 s14, 0x7f
	s_mov_b64 s[16:17], 0
	s_waitcnt vmcnt(0)
	v_cmp_lt_i16_e32 vcc, s14, v1
	s_and_saveexec_b64 s[14:15], vcc
	s_xor_b64 s[14:15], exec, s[14:15]
	s_cbranch_execz .LBB71_1239
; %bb.1223:
	s_movk_i32 s16, 0x80
	v_cmp_ne_u16_e32 vcc, s16, v1
	s_and_b64 s[16:17], vcc, exec
	s_andn2_saveexec_b64 s[14:15], s[14:15]
	s_cbranch_execnz .LBB71_1240
.LBB71_1224:
	s_or_b64 exec, exec, s[14:15]
	v_mov_b32_e32 v5, 0
	s_and_saveexec_b64 s[14:15], s[16:17]
	s_cbranch_execz .LBB71_1226
.LBB71_1225:
	v_lshlrev_b32_e32 v5, 24, v1
	v_and_b32_e32 v1, 0xffff, v1
	v_and_b32_e32 v6, 7, v1
	v_ffbh_u32_e32 v8, v6
	v_min_u32_e32 v8, 32, v8
	v_subrev_u32_e32 v9, 28, v8
	v_bfe_u32 v7, v1, 3, 4
	v_lshlrev_b32_e32 v1, v9, v1
	v_sub_u32_e32 v8, 29, v8
	v_and_b32_e32 v1, 7, v1
	v_cmp_eq_u32_e32 vcc, 0, v7
	v_cndmask_b32_e32 v7, v7, v8, vcc
	v_cndmask_b32_e32 v1, v6, v1, vcc
	v_mov_b32_e32 v6, 0x3b800000
	v_lshlrev_b32_e32 v1, 20, v1
	v_and_b32_e32 v5, 0x80000000, v5
	v_lshl_add_u32 v6, v7, 23, v6
	v_or3_b32 v1, v5, v6, v1
	v_cvt_i32_f32_e32 v5, v1
.LBB71_1226:
	s_or_b64 exec, exec, s[14:15]
.LBB71_1227:
	s_mov_b64 s[14:15], -1
.LBB71_1228:
	s_mov_b64 s[16:17], 0
.LBB71_1229:
	s_and_b64 vcc, exec, s[16:17]
	s_cbranch_vccz .LBB71_1260
; %bb.1230:
	s_cmp_gt_i32 s18, 22
	s_cbranch_scc0 .LBB71_1238
; %bb.1231:
	s_cmp_lt_i32 s18, 24
	s_cbranch_scc1 .LBB71_1241
; %bb.1232:
	s_cmp_gt_i32 s18, 24
	s_cbranch_scc0 .LBB71_1242
; %bb.1233:
	global_load_ubyte v1, v[3:4], off
	s_movk_i32 s12, 0x7f
	s_mov_b64 s[14:15], 0
	s_waitcnt vmcnt(0)
	v_cmp_lt_i16_e32 vcc, s12, v1
	s_and_saveexec_b64 s[12:13], vcc
	s_xor_b64 s[12:13], exec, s[12:13]
	s_cbranch_execz .LBB71_1254
; %bb.1234:
	s_movk_i32 s14, 0x80
	v_cmp_ne_u16_e32 vcc, s14, v1
	s_and_b64 s[14:15], vcc, exec
	s_andn2_saveexec_b64 s[12:13], s[12:13]
	s_cbranch_execnz .LBB71_1255
.LBB71_1235:
	s_or_b64 exec, exec, s[12:13]
	v_mov_b32_e32 v5, 0
	s_and_saveexec_b64 s[12:13], s[14:15]
	s_cbranch_execz .LBB71_1237
.LBB71_1236:
	v_lshlrev_b32_e32 v5, 24, v1
	v_and_b32_e32 v1, 0xffff, v1
	v_and_b32_e32 v6, 3, v1
	v_ffbh_u32_e32 v8, v6
	v_min_u32_e32 v8, 32, v8
	v_subrev_u32_e32 v9, 29, v8
	v_bfe_u32 v7, v1, 2, 5
	v_lshlrev_b32_e32 v1, v9, v1
	v_sub_u32_e32 v8, 30, v8
	v_and_b32_e32 v1, 3, v1
	v_cmp_eq_u32_e32 vcc, 0, v7
	v_cndmask_b32_e32 v7, v7, v8, vcc
	v_cndmask_b32_e32 v1, v6, v1, vcc
	v_mov_b32_e32 v6, 0x37800000
	v_lshlrev_b32_e32 v1, 21, v1
	v_and_b32_e32 v5, 0x80000000, v5
	v_lshl_add_u32 v6, v7, 23, v6
	v_or3_b32 v1, v5, v6, v1
	v_cvt_i32_f32_e32 v5, v1
.LBB71_1237:
	s_or_b64 exec, exec, s[12:13]
	s_mov_b64 s[12:13], 0
	s_branch .LBB71_1243
.LBB71_1238:
	s_mov_b64 s[12:13], -1
                                        ; implicit-def: $vgpr5
	s_branch .LBB71_1249
.LBB71_1239:
	s_andn2_saveexec_b64 s[14:15], s[14:15]
	s_cbranch_execz .LBB71_1224
.LBB71_1240:
	v_cmp_ne_u16_e32 vcc, 0, v1
	s_andn2_b64 s[16:17], s[16:17], exec
	s_and_b64 s[26:27], vcc, exec
	s_or_b64 s[16:17], s[16:17], s[26:27]
	s_or_b64 exec, exec, s[14:15]
	v_mov_b32_e32 v5, 0
	s_and_saveexec_b64 s[14:15], s[16:17]
	s_cbranch_execnz .LBB71_1225
	s_branch .LBB71_1226
.LBB71_1241:
	s_mov_b64 s[12:13], -1
                                        ; implicit-def: $vgpr5
	s_branch .LBB71_1246
.LBB71_1242:
	s_mov_b64 s[12:13], -1
                                        ; implicit-def: $vgpr5
.LBB71_1243:
	s_and_b64 vcc, exec, s[12:13]
	s_cbranch_vccz .LBB71_1245
; %bb.1244:
	global_load_ubyte v1, v[3:4], off
	s_mov_b32 s12, 0x7f800000
	s_waitcnt vmcnt(0)
	v_lshlrev_b32_e32 v1, 24, v1
	v_and_b32_e32 v5, 0x7f000000, v1
	v_ffbh_u32_e32 v6, v5
	v_min_u32_e32 v6, 32, v6
	v_sub_u32_e64 v6, v6, 4 clamp
	v_lshlrev_b32_e32 v8, v6, v5
	v_lshlrev_b32_e32 v6, 23, v6
	v_lshrrev_b32_e32 v8, 4, v8
	v_add_u32_e32 v7, 0x1000000, v5
	v_sub_u32_e32 v6, v8, v6
	v_ashrrev_i32_e32 v7, 8, v7
	v_add_u32_e32 v6, 0x3c000000, v6
	v_and_or_b32 v6, v7, s12, v6
	v_cmp_ne_u32_e32 vcc, 0, v5
	v_cndmask_b32_e32 v5, 0, v6, vcc
	s_brev_b32 s12, 1
	v_and_or_b32 v1, v1, s12, v5
	v_cvt_i32_f32_e32 v5, v1
.LBB71_1245:
	s_mov_b64 s[12:13], 0
.LBB71_1246:
	s_andn2_b64 vcc, exec, s[12:13]
	s_cbranch_vccnz .LBB71_1248
; %bb.1247:
	global_load_ubyte v1, v[3:4], off
	s_movk_i32 s12, 0x7f00
	s_brev_b32 s13, 16
	s_waitcnt vmcnt(0)
	v_lshlrev_b16_e32 v5, 8, v1
	v_lshlrev_b32_e32 v1, 25, v1
	v_lshrrev_b32_e32 v6, 4, v1
	v_and_or_b32 v7, v5, s12, 0.5
	v_or_b32_e32 v6, 0x70000000, v6
	v_add_f32_e32 v7, -0.5, v7
	v_mul_f32_e32 v6, 0x7800000, v6
	v_cmp_gt_u32_e32 vcc, s13, v1
	v_bfe_i32 v5, v5, 0, 16
	v_cndmask_b32_e32 v1, v6, v7, vcc
	s_brev_b32 s12, 1
	v_and_or_b32 v1, v5, s12, v1
	v_cvt_i32_f32_e32 v5, v1
.LBB71_1248:
	s_mov_b64 s[12:13], 0
	s_mov_b64 s[14:15], -1
.LBB71_1249:
	s_andn2_b64 vcc, exec, s[12:13]
	s_mov_b64 s[12:13], 0
	s_cbranch_vccnz .LBB71_1260
; %bb.1250:
	s_cmp_gt_i32 s18, 14
	s_cbranch_scc0 .LBB71_1253
; %bb.1251:
	s_cmp_eq_u32 s18, 15
	s_cbranch_scc0 .LBB71_1256
; %bb.1252:
	global_load_ushort v1, v[3:4], off
	s_mov_b64 s[10:11], 0
	s_mov_b64 s[14:15], -1
	s_waitcnt vmcnt(0)
	v_lshlrev_b32_e32 v1, 16, v1
	v_cvt_i32_f32_e32 v5, v1
	s_branch .LBB71_1257
.LBB71_1253:
	s_mov_b64 s[16:17], -1
                                        ; implicit-def: $vgpr5
	s_branch .LBB71_1258
.LBB71_1254:
	s_andn2_saveexec_b64 s[12:13], s[12:13]
	s_cbranch_execz .LBB71_1235
.LBB71_1255:
	v_cmp_ne_u16_e32 vcc, 0, v1
	s_andn2_b64 s[14:15], s[14:15], exec
	s_and_b64 s[16:17], vcc, exec
	s_or_b64 s[14:15], s[14:15], s[16:17]
	s_or_b64 exec, exec, s[12:13]
	v_mov_b32_e32 v5, 0
	s_and_saveexec_b64 s[12:13], s[14:15]
	s_cbranch_execnz .LBB71_1236
	s_branch .LBB71_1237
.LBB71_1256:
	s_mov_b64 s[10:11], -1
                                        ; implicit-def: $vgpr5
.LBB71_1257:
	s_mov_b64 s[16:17], 0
.LBB71_1258:
	s_and_b64 vcc, exec, s[16:17]
	s_cbranch_vccz .LBB71_1260
; %bb.1259:
	s_cmp_lg_u32 s18, 11
	s_cselect_b64 s[16:17], -1, 0
	s_andn2_b64 s[10:11], s[10:11], exec
	s_and_b64 s[16:17], s[16:17], exec
	s_mov_b64 s[12:13], -1
	s_or_b64 s[10:11], s[10:11], s[16:17]
.LBB71_1260:
	s_mov_b64 s[16:17], 0
.LBB71_1261:
	s_and_b64 s[60:61], s[12:13], exec
	s_andn2_b64 s[12:13], s[0:1], exec
	s_and_b64 s[10:11], s[10:11], exec
	s_and_b64 s[62:63], s[14:15], exec
	;; [unrolled: 1-line block ×3, first 2 shown]
	s_or_b64 s[64:65], s[12:13], s[10:11]
.LBB71_1262:
	s_or_b64 exec, exec, s[54:55]
	s_andn2_b64 s[0:1], s[0:1], exec
	s_waitcnt lgkmcnt(0)
	s_and_b64 s[10:11], s[64:65], exec
	s_and_b64 s[62:63], s[62:63], exec
	;; [unrolled: 1-line block ×4, first 2 shown]
	s_or_b64 s[0:1], s[0:1], s[10:11]
.LBB71_1263:
	s_or_b64 exec, exec, s[52:53]
	s_waitcnt lgkmcnt(0)
	s_andn2_b64 s[10:11], s[48:49], exec
	s_and_b64 s[12:13], s[58:59], exec
	s_or_b64 s[48:49], s[10:11], s[12:13]
	s_andn2_b64 s[10:11], s[46:47], exec
	s_and_b64 s[12:13], s[56:57], exec
	s_or_b64 s[46:47], s[10:11], s[12:13]
	s_andn2_b64 s[10:11], s[44:45], exec
	s_and_b64 s[0:1], s[0:1], exec
	s_and_b64 s[56:57], s[62:63], exec
	;; [unrolled: 1-line block ×4, first 2 shown]
	s_or_b64 s[44:45], s[10:11], s[0:1]
.LBB71_1264:
	s_or_b64 exec, exec, s[50:51]
	s_andn2_b64 s[0:1], s[36:37], exec
	s_waitcnt lgkmcnt(0)
	s_and_b64 s[10:11], s[48:49], exec
	s_or_b64 s[36:37], s[0:1], s[10:11]
	s_andn2_b64 s[0:1], s[38:39], exec
	s_and_b64 s[10:11], s[46:47], exec
	s_or_b64 s[38:39], s[0:1], s[10:11]
	s_andn2_b64 s[0:1], s[40:41], exec
	s_and_b64 s[10:11], s[44:45], exec
	s_and_b64 s[48:49], s[56:57], exec
	;; [unrolled: 1-line block ×4, first 2 shown]
	s_or_b64 s[40:41], s[0:1], s[10:11]
	s_or_b64 exec, exec, s[42:43]
	s_mov_b64 s[10:11], 0
	s_and_saveexec_b64 s[0:1], s[40:41]
	s_cbranch_execz .LBB71_395
.LBB71_1265:
	s_mov_b64 s[10:11], exec
	s_andn2_b64 s[46:47], s[46:47], exec
	s_trap 2
	s_or_b64 exec, exec, s[0:1]
	s_and_saveexec_b64 s[0:1], s[46:47]
	s_xor_b64 s[0:1], exec, s[0:1]
	s_cbranch_execnz .LBB71_396
.LBB71_1266:
	s_or_b64 exec, exec, s[0:1]
	s_and_saveexec_b64 s[0:1], s[50:51]
	s_cbranch_execz .LBB71_1312
.LBB71_1267:
	s_sext_i32_i16 s12, s73
	s_cmp_lt_i32 s12, 5
	s_cbranch_scc1 .LBB71_1272
; %bb.1268:
	s_cmp_lt_i32 s12, 8
	s_cbranch_scc1 .LBB71_1273
; %bb.1269:
	;; [unrolled: 3-line block ×3, first 2 shown]
	s_cmp_gt_i32 s12, 9
	s_cbranch_scc0 .LBB71_1275
; %bb.1271:
	s_waitcnt vmcnt(0)
	global_load_dwordx2 v[5:6], v[3:4], off
	s_mov_b64 s[12:13], 0
	s_waitcnt vmcnt(0)
	v_cvt_i32_f64_e32 v5, v[5:6]
	s_branch .LBB71_1276
.LBB71_1272:
                                        ; implicit-def: $vgpr5
	s_branch .LBB71_1293
.LBB71_1273:
                                        ; implicit-def: $vgpr5
	s_branch .LBB71_1282
.LBB71_1274:
	s_mov_b64 s[12:13], -1
                                        ; implicit-def: $vgpr5
	s_branch .LBB71_1279
.LBB71_1275:
	s_mov_b64 s[12:13], -1
                                        ; implicit-def: $vgpr5
.LBB71_1276:
	s_andn2_b64 vcc, exec, s[12:13]
	s_cbranch_vccnz .LBB71_1278
; %bb.1277:
	s_waitcnt vmcnt(0)
	global_load_dword v1, v[3:4], off
	s_waitcnt vmcnt(0)
	v_cvt_i32_f32_e32 v5, v1
.LBB71_1278:
	s_mov_b64 s[12:13], 0
.LBB71_1279:
	s_andn2_b64 vcc, exec, s[12:13]
	s_cbranch_vccnz .LBB71_1281
; %bb.1280:
	s_waitcnt vmcnt(0)
	global_load_dword v1, v[3:4], off
	s_waitcnt vmcnt(0)
	v_cvt_f32_f16_e32 v1, v1
	v_cvt_i32_f32_e32 v5, v1
.LBB71_1281:
	s_cbranch_execnz .LBB71_1292
.LBB71_1282:
	s_sext_i32_i16 s12, s73
	s_cmp_lt_i32 s12, 6
	s_cbranch_scc1 .LBB71_1285
; %bb.1283:
	s_cmp_gt_i32 s12, 6
	s_cbranch_scc0 .LBB71_1286
; %bb.1284:
	s_waitcnt vmcnt(0)
	global_load_dwordx2 v[5:6], v[3:4], off
	s_mov_b64 s[12:13], 0
	s_waitcnt vmcnt(0)
	v_cvt_i32_f64_e32 v5, v[5:6]
	s_branch .LBB71_1287
.LBB71_1285:
	s_mov_b64 s[12:13], -1
                                        ; implicit-def: $vgpr5
	s_branch .LBB71_1290
.LBB71_1286:
	s_mov_b64 s[12:13], -1
                                        ; implicit-def: $vgpr5
.LBB71_1287:
	s_andn2_b64 vcc, exec, s[12:13]
	s_cbranch_vccnz .LBB71_1289
; %bb.1288:
	s_waitcnt vmcnt(0)
	global_load_dword v1, v[3:4], off
	s_waitcnt vmcnt(0)
	v_cvt_i32_f32_e32 v5, v1
.LBB71_1289:
	s_mov_b64 s[12:13], 0
.LBB71_1290:
	s_andn2_b64 vcc, exec, s[12:13]
	s_cbranch_vccnz .LBB71_1292
; %bb.1291:
	s_waitcnt vmcnt(0)
	global_load_ushort v1, v[3:4], off
	s_waitcnt vmcnt(0)
	v_cvt_f32_f16_e32 v1, v1
	v_cvt_i32_f32_e32 v5, v1
.LBB71_1292:
	s_cbranch_execnz .LBB71_1311
.LBB71_1293:
	s_sext_i32_i16 s12, s73
	s_cmp_lt_i32 s12, 2
	s_cbranch_scc1 .LBB71_1297
; %bb.1294:
	s_cmp_lt_i32 s12, 3
	s_cbranch_scc1 .LBB71_1298
; %bb.1295:
	s_cmp_gt_i32 s12, 3
	s_cbranch_scc0 .LBB71_1299
; %bb.1296:
	s_waitcnt vmcnt(0)
	global_load_dword v5, v[3:4], off
	s_mov_b64 s[12:13], 0
	s_branch .LBB71_1300
.LBB71_1297:
                                        ; implicit-def: $vgpr5
	s_branch .LBB71_1306
.LBB71_1298:
	s_mov_b64 s[12:13], -1
                                        ; implicit-def: $vgpr5
	s_branch .LBB71_1303
.LBB71_1299:
	s_mov_b64 s[12:13], -1
                                        ; implicit-def: $vgpr5
.LBB71_1300:
	s_andn2_b64 vcc, exec, s[12:13]
	s_cbranch_vccnz .LBB71_1302
; %bb.1301:
	s_waitcnt vmcnt(0)
	global_load_dword v5, v[3:4], off
.LBB71_1302:
	s_mov_b64 s[12:13], 0
.LBB71_1303:
	s_andn2_b64 vcc, exec, s[12:13]
	s_cbranch_vccnz .LBB71_1305
; %bb.1304:
	s_waitcnt vmcnt(0)
	global_load_sshort v5, v[3:4], off
.LBB71_1305:
	s_cbranch_execnz .LBB71_1311
.LBB71_1306:
	s_sext_i32_i16 s12, s73
	s_cmp_gt_i32 s12, 0
	s_cbranch_scc0 .LBB71_1308
; %bb.1307:
	s_waitcnt vmcnt(0)
	global_load_sbyte v5, v[3:4], off
	s_mov_b64 s[12:13], 0
	s_branch .LBB71_1309
.LBB71_1308:
	s_mov_b64 s[12:13], -1
                                        ; implicit-def: $vgpr5
.LBB71_1309:
	s_andn2_b64 vcc, exec, s[12:13]
	s_cbranch_vccnz .LBB71_1311
; %bb.1310:
	s_waitcnt vmcnt(0)
	global_load_ubyte v5, v[3:4], off
.LBB71_1311:
	s_or_b64 s[48:49], s[48:49], exec
.LBB71_1312:
	s_or_b64 exec, exec, s[0:1]
	s_mov_b64 s[16:17], 0
	s_mov_b64 s[18:19], 0
	s_mov_b64 s[14:15], 0
                                        ; implicit-def: $sgpr26
                                        ; implicit-def: $vgpr3_vgpr4
                                        ; implicit-def: $vgpr6
	s_and_saveexec_b64 s[0:1], s[48:49]
	s_cbranch_execz .LBB71_1320
; %bb.1313:
	v_mov_b32_e32 v1, s25
	s_and_b32 s26, s70, 0xff
	s_waitcnt vmcnt(0)
	v_add_co_u32_e32 v3, vcc, s24, v2
	s_cmp_lt_i32 s26, 11
	v_addc_co_u32_e32 v4, vcc, 0, v1, vcc
	s_cbranch_scc1 .LBB71_1323
; %bb.1314:
	s_and_b32 s24, 0xffff, s26
	s_cmp_gt_i32 s24, 25
	s_cbranch_scc0 .LBB71_1324
; %bb.1315:
	s_cmp_gt_i32 s24, 28
	s_cbranch_scc0 .LBB71_1325
; %bb.1316:
	;; [unrolled: 3-line block ×4, first 2 shown]
	s_cmp_eq_u32 s24, 46
	s_cbranch_scc0 .LBB71_1328
; %bb.1319:
	global_load_dword v1, v[3:4], off
	s_mov_b64 s[12:13], 0
	s_mov_b64 s[14:15], -1
	s_waitcnt vmcnt(0)
	v_lshlrev_b32_e32 v1, 16, v1
	v_cvt_i32_f32_e32 v6, v1
	s_branch .LBB71_1330
.LBB71_1320:
	s_or_b64 exec, exec, s[0:1]
	s_and_saveexec_b64 s[0:1], s[38:39]
	s_cbranch_execnz .LBB71_1389
.LBB71_1321:
	s_or_b64 exec, exec, s[0:1]
	s_and_saveexec_b64 s[0:1], s[16:17]
	s_xor_b64 s[0:1], exec, s[0:1]
	s_cbranch_execz .LBB71_1390
.LBB71_1322:
	s_waitcnt vmcnt(0)
	global_load_ubyte v1, v[3:4], off
	s_or_b64 s[14:15], s[14:15], exec
	s_waitcnt vmcnt(0)
	v_cmp_ne_u16_e32 vcc, 0, v1
	v_cndmask_b32_e64 v6, 0, 1, vcc
	s_or_b64 exec, exec, s[0:1]
	s_and_saveexec_b64 s[0:1], s[18:19]
	s_cbranch_execz .LBB71_1436
	s_branch .LBB71_1391
.LBB71_1323:
	s_mov_b64 s[18:19], -1
                                        ; implicit-def: $vgpr6
	s_mov_b64 s[12:13], s[38:39]
	s_branch .LBB71_1388
.LBB71_1324:
	s_mov_b64 s[12:13], s[38:39]
                                        ; implicit-def: $vgpr6
	s_cbranch_execnz .LBB71_1357
	s_branch .LBB71_1387
.LBB71_1325:
	s_mov_b64 s[18:19], -1
	s_mov_b64 s[12:13], s[38:39]
                                        ; implicit-def: $vgpr6
	s_branch .LBB71_1340
.LBB71_1326:
	s_mov_b64 s[18:19], -1
	s_mov_b64 s[12:13], s[38:39]
                                        ; implicit-def: $vgpr6
	s_branch .LBB71_1335
.LBB71_1327:
	s_mov_b64 s[18:19], -1
	s_mov_b64 s[12:13], s[38:39]
	s_branch .LBB71_1329
.LBB71_1328:
	s_mov_b64 s[12:13], -1
.LBB71_1329:
                                        ; implicit-def: $vgpr6
.LBB71_1330:
	s_and_b64 vcc, exec, s[18:19]
	s_cbranch_vccz .LBB71_1334
; %bb.1331:
	s_cmp_eq_u32 s24, 44
	s_cbranch_scc0 .LBB71_1333
; %bb.1332:
	global_load_ubyte v1, v[3:4], off
	s_mov_b64 s[12:13], 0
	s_mov_b64 s[14:15], -1
	s_waitcnt vmcnt(0)
	v_lshlrev_b32_e32 v2, 23, v1
	v_cvt_i32_f32_e32 v2, v2
	v_cmp_ne_u32_e32 vcc, 0, v1
	v_cndmask_b32_e32 v6, 0, v2, vcc
	s_branch .LBB71_1334
.LBB71_1333:
	s_mov_b64 s[12:13], -1
                                        ; implicit-def: $vgpr6
.LBB71_1334:
	s_mov_b64 s[18:19], 0
.LBB71_1335:
	s_and_b64 vcc, exec, s[18:19]
	s_cbranch_vccz .LBB71_1339
; %bb.1336:
	s_cmp_eq_u32 s24, 29
	s_cbranch_scc0 .LBB71_1338
; %bb.1337:
	global_load_dword v6, v[3:4], off
	s_mov_b64 s[12:13], 0
	s_mov_b64 s[14:15], -1
	s_branch .LBB71_1339
.LBB71_1338:
	s_mov_b64 s[12:13], -1
                                        ; implicit-def: $vgpr6
.LBB71_1339:
	s_mov_b64 s[18:19], 0
.LBB71_1340:
	s_and_b64 vcc, exec, s[18:19]
	s_cbranch_vccz .LBB71_1356
; %bb.1341:
	s_cmp_lt_i32 s24, 27
	s_cbranch_scc1 .LBB71_1344
; %bb.1342:
	s_cmp_gt_i32 s24, 27
	s_cbranch_scc0 .LBB71_1345
; %bb.1343:
	global_load_dword v6, v[3:4], off
	s_mov_b64 s[14:15], 0
	s_branch .LBB71_1346
.LBB71_1344:
	s_mov_b64 s[14:15], -1
                                        ; implicit-def: $vgpr6
	s_branch .LBB71_1349
.LBB71_1345:
	s_mov_b64 s[14:15], -1
                                        ; implicit-def: $vgpr6
.LBB71_1346:
	s_andn2_b64 vcc, exec, s[14:15]
	s_cbranch_vccnz .LBB71_1348
; %bb.1347:
	global_load_ushort v6, v[3:4], off
.LBB71_1348:
	s_mov_b64 s[14:15], 0
.LBB71_1349:
	s_andn2_b64 vcc, exec, s[14:15]
	s_cbranch_vccnz .LBB71_1355
; %bb.1350:
	global_load_ubyte v1, v[3:4], off
	s_movk_i32 s14, 0x7f
	s_mov_b64 s[18:19], 0
	s_waitcnt vmcnt(0)
	v_cmp_lt_i16_e32 vcc, s14, v1
	s_and_saveexec_b64 s[14:15], vcc
	s_xor_b64 s[14:15], exec, s[14:15]
	s_cbranch_execz .LBB71_1366
; %bb.1351:
	s_movk_i32 s18, 0x80
	v_cmp_ne_u16_e32 vcc, s18, v1
	s_and_b64 s[18:19], vcc, exec
	s_andn2_saveexec_b64 s[14:15], s[14:15]
	s_cbranch_execnz .LBB71_1367
.LBB71_1352:
	s_or_b64 exec, exec, s[14:15]
	v_mov_b32_e32 v6, 0
	s_and_saveexec_b64 s[14:15], s[18:19]
	s_cbranch_execz .LBB71_1354
.LBB71_1353:
	v_lshlrev_b32_e32 v2, 24, v1
	v_and_b32_e32 v1, 0xffff, v1
	v_and_b32_e32 v6, 7, v1
	v_ffbh_u32_e32 v8, v6
	v_min_u32_e32 v8, 32, v8
	v_subrev_u32_e32 v9, 28, v8
	v_bfe_u32 v7, v1, 3, 4
	v_lshlrev_b32_e32 v1, v9, v1
	v_sub_u32_e32 v8, 29, v8
	v_and_b32_e32 v1, 7, v1
	v_cmp_eq_u32_e32 vcc, 0, v7
	v_cndmask_b32_e32 v7, v7, v8, vcc
	v_cndmask_b32_e32 v1, v6, v1, vcc
	v_mov_b32_e32 v6, 0x3b800000
	v_lshlrev_b32_e32 v1, 20, v1
	v_and_b32_e32 v2, 0x80000000, v2
	v_lshl_add_u32 v6, v7, 23, v6
	v_or3_b32 v1, v2, v6, v1
	v_cvt_i32_f32_e32 v6, v1
.LBB71_1354:
	s_or_b64 exec, exec, s[14:15]
.LBB71_1355:
	s_mov_b64 s[14:15], -1
.LBB71_1356:
	s_branch .LBB71_1387
.LBB71_1357:
	s_cmp_gt_i32 s24, 22
	s_cbranch_scc0 .LBB71_1365
; %bb.1358:
	s_cmp_lt_i32 s24, 24
	s_cbranch_scc1 .LBB71_1368
; %bb.1359:
	s_cmp_gt_i32 s24, 24
	s_cbranch_scc0 .LBB71_1369
; %bb.1360:
	global_load_ubyte v1, v[3:4], off
	s_movk_i32 s14, 0x7f
	s_waitcnt vmcnt(0)
	v_cmp_lt_i16_e32 vcc, s14, v1
	s_and_saveexec_b64 s[14:15], vcc
	s_xor_b64 s[14:15], exec, s[14:15]
	s_cbranch_execz .LBB71_1381
; %bb.1361:
	s_movk_i32 s16, 0x80
	v_cmp_ne_u16_e32 vcc, s16, v1
	s_and_b64 s[16:17], vcc, exec
	s_andn2_saveexec_b64 s[14:15], s[14:15]
	s_cbranch_execnz .LBB71_1382
.LBB71_1362:
	s_or_b64 exec, exec, s[14:15]
	v_mov_b32_e32 v6, 0
	s_and_saveexec_b64 s[14:15], s[16:17]
	s_cbranch_execz .LBB71_1364
.LBB71_1363:
	v_lshlrev_b32_e32 v2, 24, v1
	v_and_b32_e32 v1, 0xffff, v1
	v_and_b32_e32 v6, 3, v1
	v_ffbh_u32_e32 v8, v6
	v_min_u32_e32 v8, 32, v8
	v_subrev_u32_e32 v9, 29, v8
	v_bfe_u32 v7, v1, 2, 5
	v_lshlrev_b32_e32 v1, v9, v1
	v_sub_u32_e32 v8, 30, v8
	v_and_b32_e32 v1, 3, v1
	v_cmp_eq_u32_e32 vcc, 0, v7
	v_cndmask_b32_e32 v7, v7, v8, vcc
	v_cndmask_b32_e32 v1, v6, v1, vcc
	v_mov_b32_e32 v6, 0x37800000
	v_lshlrev_b32_e32 v1, 21, v1
	v_and_b32_e32 v2, 0x80000000, v2
	v_lshl_add_u32 v6, v7, 23, v6
	v_or3_b32 v1, v2, v6, v1
	v_cvt_i32_f32_e32 v6, v1
.LBB71_1364:
	s_or_b64 exec, exec, s[14:15]
	s_mov_b64 s[14:15], 0
	s_branch .LBB71_1370
.LBB71_1365:
	s_mov_b64 s[16:17], -1
                                        ; implicit-def: $vgpr6
	s_branch .LBB71_1376
.LBB71_1366:
	s_andn2_saveexec_b64 s[14:15], s[14:15]
	s_cbranch_execz .LBB71_1352
.LBB71_1367:
	v_cmp_ne_u16_e32 vcc, 0, v1
	s_andn2_b64 s[18:19], s[18:19], exec
	s_and_b64 s[28:29], vcc, exec
	s_or_b64 s[18:19], s[18:19], s[28:29]
	s_or_b64 exec, exec, s[14:15]
	v_mov_b32_e32 v6, 0
	s_and_saveexec_b64 s[14:15], s[18:19]
	s_cbranch_execnz .LBB71_1353
	s_branch .LBB71_1354
.LBB71_1368:
	s_mov_b64 s[14:15], -1
                                        ; implicit-def: $vgpr6
	s_branch .LBB71_1373
.LBB71_1369:
	s_mov_b64 s[14:15], -1
                                        ; implicit-def: $vgpr6
.LBB71_1370:
	s_and_b64 vcc, exec, s[14:15]
	s_cbranch_vccz .LBB71_1372
; %bb.1371:
	global_load_ubyte v1, v[3:4], off
	s_mov_b32 s14, 0x7f800000
	s_waitcnt vmcnt(0)
	v_lshlrev_b32_e32 v1, 24, v1
	v_and_b32_e32 v2, 0x7f000000, v1
	v_ffbh_u32_e32 v6, v2
	v_min_u32_e32 v6, 32, v6
	v_sub_u32_e64 v6, v6, 4 clamp
	v_lshlrev_b32_e32 v8, v6, v2
	v_lshlrev_b32_e32 v6, 23, v6
	v_lshrrev_b32_e32 v8, 4, v8
	v_add_u32_e32 v7, 0x1000000, v2
	v_sub_u32_e32 v6, v8, v6
	v_ashrrev_i32_e32 v7, 8, v7
	v_add_u32_e32 v6, 0x3c000000, v6
	v_and_or_b32 v6, v7, s14, v6
	v_cmp_ne_u32_e32 vcc, 0, v2
	v_cndmask_b32_e32 v2, 0, v6, vcc
	s_brev_b32 s14, 1
	v_and_or_b32 v1, v1, s14, v2
	v_cvt_i32_f32_e32 v6, v1
.LBB71_1372:
	s_mov_b64 s[14:15], 0
.LBB71_1373:
	s_andn2_b64 vcc, exec, s[14:15]
	s_cbranch_vccnz .LBB71_1375
; %bb.1374:
	global_load_ubyte v1, v[3:4], off
	s_movk_i32 s14, 0x7f00
	s_brev_b32 s15, 16
	s_waitcnt vmcnt(0)
	v_lshlrev_b16_e32 v2, 8, v1
	v_lshlrev_b32_e32 v1, 25, v1
	v_lshrrev_b32_e32 v6, 4, v1
	v_and_or_b32 v7, v2, s14, 0.5
	v_or_b32_e32 v6, 0x70000000, v6
	v_add_f32_e32 v7, -0.5, v7
	v_mul_f32_e32 v6, 0x7800000, v6
	v_cmp_gt_u32_e32 vcc, s15, v1
	v_bfe_i32 v2, v2, 0, 16
	v_cndmask_b32_e32 v1, v6, v7, vcc
	s_brev_b32 s14, 1
	v_and_or_b32 v1, v2, s14, v1
	v_cvt_i32_f32_e32 v6, v1
.LBB71_1375:
	s_mov_b64 s[16:17], 0
	s_mov_b64 s[14:15], -1
.LBB71_1376:
	s_andn2_b64 vcc, exec, s[16:17]
	s_mov_b64 s[16:17], 0
	s_cbranch_vccnz .LBB71_1387
; %bb.1377:
	s_cmp_gt_i32 s24, 14
	s_cbranch_scc0 .LBB71_1380
; %bb.1378:
	s_cmp_eq_u32 s24, 15
	s_cbranch_scc0 .LBB71_1383
; %bb.1379:
	global_load_ushort v1, v[3:4], off
	s_mov_b64 s[12:13], 0
	s_mov_b64 s[14:15], -1
	s_waitcnt vmcnt(0)
	v_lshlrev_b32_e32 v1, 16, v1
	v_cvt_i32_f32_e32 v6, v1
	s_branch .LBB71_1384
.LBB71_1380:
	s_mov_b64 s[18:19], -1
                                        ; implicit-def: $vgpr6
	s_branch .LBB71_1385
.LBB71_1381:
	s_andn2_saveexec_b64 s[14:15], s[14:15]
	s_cbranch_execz .LBB71_1362
.LBB71_1382:
	v_cmp_ne_u16_e32 vcc, 0, v1
	s_andn2_b64 s[16:17], s[16:17], exec
	s_and_b64 s[18:19], vcc, exec
	s_or_b64 s[16:17], s[16:17], s[18:19]
	s_or_b64 exec, exec, s[14:15]
	v_mov_b32_e32 v6, 0
	s_and_saveexec_b64 s[14:15], s[16:17]
	s_cbranch_execnz .LBB71_1363
	s_branch .LBB71_1364
.LBB71_1383:
	s_mov_b64 s[12:13], -1
                                        ; implicit-def: $vgpr6
.LBB71_1384:
	s_mov_b64 s[18:19], 0
.LBB71_1385:
	s_and_b64 vcc, exec, s[18:19]
	s_cbranch_vccz .LBB71_1387
; %bb.1386:
	s_cmp_lg_u32 s24, 11
	s_cselect_b64 s[18:19], -1, 0
	s_andn2_b64 s[12:13], s[12:13], exec
	s_and_b64 s[18:19], s[18:19], exec
	s_mov_b64 s[16:17], -1
	s_or_b64 s[12:13], s[12:13], s[18:19]
.LBB71_1387:
	s_mov_b64 s[18:19], 0
.LBB71_1388:
	s_andn2_b64 s[24:25], s[38:39], exec
	s_and_b64 s[12:13], s[12:13], exec
	s_and_b64 s[14:15], s[14:15], exec
	;; [unrolled: 1-line block ×4, first 2 shown]
	s_or_b64 s[38:39], s[24:25], s[12:13]
	s_or_b64 exec, exec, s[0:1]
	s_and_saveexec_b64 s[0:1], s[38:39]
	s_cbranch_execz .LBB71_1321
.LBB71_1389:
	s_or_b64 s[10:11], s[10:11], exec
	s_andn2_b64 s[16:17], s[16:17], exec
	s_trap 2
	s_or_b64 exec, exec, s[0:1]
	s_and_saveexec_b64 s[0:1], s[16:17]
	s_xor_b64 s[0:1], exec, s[0:1]
	s_cbranch_execnz .LBB71_1322
.LBB71_1390:
	s_or_b64 exec, exec, s[0:1]
	s_and_saveexec_b64 s[0:1], s[18:19]
	s_cbranch_execz .LBB71_1436
.LBB71_1391:
	s_sext_i32_i16 s12, s26
	s_cmp_lt_i32 s12, 5
	s_cbranch_scc1 .LBB71_1396
; %bb.1392:
	s_cmp_lt_i32 s12, 8
	s_cbranch_scc1 .LBB71_1397
; %bb.1393:
	;; [unrolled: 3-line block ×3, first 2 shown]
	s_cmp_gt_i32 s12, 9
	s_cbranch_scc0 .LBB71_1399
; %bb.1395:
	s_waitcnt vmcnt(0)
	global_load_dwordx2 v[1:2], v[3:4], off
	s_mov_b64 s[12:13], 0
	s_waitcnt vmcnt(0)
	v_cvt_i32_f64_e32 v6, v[1:2]
	s_branch .LBB71_1400
.LBB71_1396:
                                        ; implicit-def: $vgpr6
	s_branch .LBB71_1417
.LBB71_1397:
                                        ; implicit-def: $vgpr6
	s_branch .LBB71_1406
.LBB71_1398:
	s_mov_b64 s[12:13], -1
                                        ; implicit-def: $vgpr6
	s_branch .LBB71_1403
.LBB71_1399:
	s_mov_b64 s[12:13], -1
                                        ; implicit-def: $vgpr6
.LBB71_1400:
	s_andn2_b64 vcc, exec, s[12:13]
	s_cbranch_vccnz .LBB71_1402
; %bb.1401:
	s_waitcnt vmcnt(0)
	global_load_dword v1, v[3:4], off
	s_waitcnt vmcnt(0)
	v_cvt_i32_f32_e32 v6, v1
.LBB71_1402:
	s_mov_b64 s[12:13], 0
.LBB71_1403:
	s_andn2_b64 vcc, exec, s[12:13]
	s_cbranch_vccnz .LBB71_1405
; %bb.1404:
	s_waitcnt vmcnt(0)
	global_load_dword v1, v[3:4], off
	s_waitcnt vmcnt(0)
	v_cvt_f32_f16_e32 v1, v1
	v_cvt_i32_f32_e32 v6, v1
.LBB71_1405:
	s_cbranch_execnz .LBB71_1416
.LBB71_1406:
	s_sext_i32_i16 s12, s26
	s_cmp_lt_i32 s12, 6
	s_cbranch_scc1 .LBB71_1409
; %bb.1407:
	s_cmp_gt_i32 s12, 6
	s_cbranch_scc0 .LBB71_1410
; %bb.1408:
	s_waitcnt vmcnt(0)
	global_load_dwordx2 v[1:2], v[3:4], off
	s_mov_b64 s[12:13], 0
	s_waitcnt vmcnt(0)
	v_cvt_i32_f64_e32 v6, v[1:2]
	s_branch .LBB71_1411
.LBB71_1409:
	s_mov_b64 s[12:13], -1
                                        ; implicit-def: $vgpr6
	s_branch .LBB71_1414
.LBB71_1410:
	s_mov_b64 s[12:13], -1
                                        ; implicit-def: $vgpr6
.LBB71_1411:
	s_andn2_b64 vcc, exec, s[12:13]
	s_cbranch_vccnz .LBB71_1413
; %bb.1412:
	s_waitcnt vmcnt(0)
	global_load_dword v1, v[3:4], off
	s_waitcnt vmcnt(0)
	v_cvt_i32_f32_e32 v6, v1
.LBB71_1413:
	s_mov_b64 s[12:13], 0
.LBB71_1414:
	s_andn2_b64 vcc, exec, s[12:13]
	s_cbranch_vccnz .LBB71_1416
; %bb.1415:
	s_waitcnt vmcnt(0)
	global_load_ushort v1, v[3:4], off
	s_waitcnt vmcnt(0)
	v_cvt_f32_f16_e32 v1, v1
	v_cvt_i32_f32_e32 v6, v1
.LBB71_1416:
	s_cbranch_execnz .LBB71_1435
.LBB71_1417:
	s_sext_i32_i16 s12, s26
	s_cmp_lt_i32 s12, 2
	s_cbranch_scc1 .LBB71_1421
; %bb.1418:
	s_cmp_lt_i32 s12, 3
	s_cbranch_scc1 .LBB71_1422
; %bb.1419:
	s_cmp_gt_i32 s12, 3
	s_cbranch_scc0 .LBB71_1423
; %bb.1420:
	s_waitcnt vmcnt(0)
	global_load_dword v6, v[3:4], off
	s_mov_b64 s[12:13], 0
	s_branch .LBB71_1424
.LBB71_1421:
                                        ; implicit-def: $vgpr6
	s_branch .LBB71_1430
.LBB71_1422:
	s_mov_b64 s[12:13], -1
                                        ; implicit-def: $vgpr6
	s_branch .LBB71_1427
.LBB71_1423:
	s_mov_b64 s[12:13], -1
                                        ; implicit-def: $vgpr6
.LBB71_1424:
	s_andn2_b64 vcc, exec, s[12:13]
	s_cbranch_vccnz .LBB71_1426
; %bb.1425:
	s_waitcnt vmcnt(0)
	global_load_dword v6, v[3:4], off
.LBB71_1426:
	s_mov_b64 s[12:13], 0
.LBB71_1427:
	s_andn2_b64 vcc, exec, s[12:13]
	s_cbranch_vccnz .LBB71_1429
; %bb.1428:
	s_waitcnt vmcnt(0)
	global_load_sshort v6, v[3:4], off
.LBB71_1429:
	s_cbranch_execnz .LBB71_1435
.LBB71_1430:
	s_sext_i32_i16 s12, s26
	s_cmp_gt_i32 s12, 0
	s_cbranch_scc0 .LBB71_1432
; %bb.1431:
	s_waitcnt vmcnt(0)
	global_load_sbyte v6, v[3:4], off
	s_mov_b64 s[12:13], 0
	s_branch .LBB71_1433
.LBB71_1432:
	s_mov_b64 s[12:13], -1
                                        ; implicit-def: $vgpr6
.LBB71_1433:
	s_andn2_b64 vcc, exec, s[12:13]
	s_cbranch_vccnz .LBB71_1435
; %bb.1434:
	s_waitcnt vmcnt(0)
	global_load_ubyte v6, v[3:4], off
.LBB71_1435:
	s_or_b64 s[14:15], s[14:15], exec
.LBB71_1436:
	s_or_b64 exec, exec, s[0:1]
	s_mov_b64 s[18:19], 0
	s_mov_b64 s[16:17], 0
                                        ; implicit-def: $sgpr24
                                        ; implicit-def: $vgpr3_vgpr4
                                        ; implicit-def: $vgpr1
	s_and_saveexec_b64 s[12:13], s[14:15]
	s_cbranch_execz .LBB71_1444
; %bb.1437:
	s_waitcnt vmcnt(0)
	v_lshlrev_b32_e32 v1, v6, v5
	v_cmp_gt_u32_e32 vcc, 32, v6
	v_cndmask_b32_e32 v1, 0, v1, vcc
	v_mov_b32_e32 v2, s9
	s_and_b32 s24, s69, 0xff
	v_add_co_u32_e32 v3, vcc, s8, v0
	s_cmp_lt_i32 s24, 11
	v_addc_co_u32_e32 v4, vcc, 0, v2, vcc
	s_cbranch_scc1 .LBB71_1447
; %bb.1438:
	s_and_b32 s25, 0xffff, s24
	s_mov_b64 s[14:15], -1
	s_cmp_gt_i32 s25, 25
	s_mov_b64 s[0:1], s[36:37]
	s_cbranch_scc0 .LBB71_1475
; %bb.1439:
	s_mov_b64 s[8:9], -1
	s_cmp_gt_i32 s25, 28
	s_mov_b64 s[0:1], s[36:37]
	s_cbranch_scc0 .LBB71_1459
; %bb.1440:
	s_cmp_gt_i32 s25, 43
	s_mov_b64 s[0:1], s[36:37]
	s_cbranch_scc0 .LBB71_1455
; %bb.1441:
	;; [unrolled: 4-line block ×3, first 2 shown]
	s_cmp_eq_u32 s25, 46
	s_mov_b64 s[0:1], -1
	s_cbranch_scc0 .LBB71_1448
; %bb.1443:
	v_cvt_f32_i32_e32 v0, v1
	s_movk_i32 s0, 0x7fff
	s_mov_b64 s[8:9], 0
	v_bfe_u32 v2, v0, 16, 1
	v_add3_u32 v0, v0, v2, s0
	v_lshrrev_b32_e32 v0, 16, v0
	global_store_dword v[3:4], v0, off
	s_mov_b64 s[0:1], 0
	s_branch .LBB71_1449
.LBB71_1444:
	s_or_b64 exec, exec, s[12:13]
	s_and_saveexec_b64 s[0:1], s[36:37]
	s_cbranch_execnz .LBB71_1517
.LBB71_1445:
	s_or_b64 exec, exec, s[0:1]
	s_and_saveexec_b64 s[0:1], s[18:19]
	s_xor_b64 s[0:1], exec, s[0:1]
	s_cbranch_execz .LBB71_1518
.LBB71_1446:
	v_cmp_ne_u32_e32 vcc, 0, v1
	v_cndmask_b32_e64 v0, 0, 1, vcc
	s_waitcnt vmcnt(0)
	global_store_byte v[3:4], v0, off
	s_or_b64 exec, exec, s[0:1]
	s_and_saveexec_b64 s[0:1], s[16:17]
	s_xor_b64 s[0:1], exec, s[0:1]
	s_cbranch_execz .LBB71_1556
	s_branch .LBB71_1519
.LBB71_1447:
	s_mov_b64 s[14:15], 0
	s_mov_b64 s[8:9], -1
	s_mov_b64 s[0:1], s[36:37]
	s_branch .LBB71_1516
.LBB71_1448:
	s_mov_b64 s[8:9], 0
.LBB71_1449:
	s_and_b64 vcc, exec, s[8:9]
	s_cbranch_vccz .LBB71_1454
; %bb.1450:
	s_cmp_eq_u32 s25, 44
	s_mov_b64 s[0:1], -1
	s_cbranch_scc0 .LBB71_1454
; %bb.1451:
	v_cvt_f32_i32_e32 v0, v1
	s_movk_i32 s0, 0xff
	v_mov_b32_e32 v5, 0xff
	v_bfe_u32 v2, v0, 23, 8
	v_cmp_ne_u32_e32 vcc, s0, v2
	s_and_saveexec_b64 s[8:9], vcc
; %bb.1452:
	s_mov_b32 s0, 0x3fffff
	v_lshrrev_b32_e32 v5, 23, v0
	v_and_b32_e32 v6, 0x400000, v0
	v_and_or_b32 v0, v0, s0, v2
	v_cmp_ne_u32_e32 vcc, 0, v6
	v_cmp_ne_u32_e64 s[0:1], 0, v0
	s_and_b64 s[0:1], vcc, s[0:1]
	v_cndmask_b32_e64 v0, 0, 1, s[0:1]
	v_add_u32_e32 v5, v5, v0
; %bb.1453:
	s_or_b64 exec, exec, s[8:9]
	s_mov_b64 s[0:1], 0
	global_store_byte v[3:4], v5, off
.LBB71_1454:
	s_mov_b64 s[8:9], 0
.LBB71_1455:
	s_and_b64 vcc, exec, s[8:9]
	s_cbranch_vccz .LBB71_1458
; %bb.1456:
	s_cmp_eq_u32 s25, 29
	s_mov_b64 s[0:1], -1
	s_cbranch_scc0 .LBB71_1458
; %bb.1457:
	v_ashrrev_i32_e32 v2, 31, v1
	global_store_dwordx2 v[3:4], v[1:2], off
	s_mov_b64 s[0:1], 0
.LBB71_1458:
	s_mov_b64 s[8:9], 0
.LBB71_1459:
	s_and_b64 vcc, exec, s[8:9]
	s_cbranch_vccz .LBB71_1474
; %bb.1460:
	s_cmp_lt_i32 s25, 27
	s_mov_b64 s[8:9], -1
	s_cbranch_scc1 .LBB71_1466
; %bb.1461:
	s_cmp_gt_i32 s25, 27
	s_cbranch_scc0 .LBB71_1463
; %bb.1462:
	s_mov_b64 s[8:9], 0
	global_store_dword v[3:4], v1, off
.LBB71_1463:
	s_andn2_b64 vcc, exec, s[8:9]
	s_cbranch_vccnz .LBB71_1465
; %bb.1464:
	global_store_short v[3:4], v1, off
.LBB71_1465:
	s_mov_b64 s[8:9], 0
.LBB71_1466:
	s_andn2_b64 vcc, exec, s[8:9]
	s_cbranch_vccnz .LBB71_1474
; %bb.1467:
	v_cvt_f32_i32_e32 v0, v1
	s_mov_b32 s8, 0x43800000
	v_mov_b32_e32 v5, 0x80
	v_and_b32_e32 v2, 0x7fffffff, v0
	v_cmp_gt_u32_e32 vcc, s8, v2
	s_and_saveexec_b64 s[8:9], vcc
	s_cbranch_execz .LBB71_1473
; %bb.1468:
	s_mov_b32 s14, 0x3bffffff
	v_cmp_lt_u32_e32 vcc, s14, v2
	s_mov_b64 s[14:15], 0
                                        ; implicit-def: $vgpr2
	s_and_saveexec_b64 s[16:17], vcc
	s_xor_b64 s[16:17], exec, s[16:17]
	s_cbranch_execz .LBB71_1615
; %bb.1469:
	v_bfe_u32 v2, v0, 20, 1
	s_mov_b32 s18, 0x487ffff
	v_add3_u32 v2, v0, v2, s18
	s_mov_b64 s[14:15], exec
	v_lshrrev_b32_e32 v2, 20, v2
	s_andn2_saveexec_b64 s[16:17], s[16:17]
	s_cbranch_execnz .LBB71_1616
.LBB71_1470:
	s_or_b64 exec, exec, s[16:17]
	v_mov_b32_e32 v5, 0
	s_and_saveexec_b64 s[16:17], s[14:15]
.LBB71_1471:
	v_lshrrev_b32_e32 v0, 24, v0
	s_movk_i32 s14, 0x80
	v_and_or_b32 v5, v0, s14, v2
.LBB71_1472:
	s_or_b64 exec, exec, s[16:17]
.LBB71_1473:
	s_or_b64 exec, exec, s[8:9]
	global_store_byte v[3:4], v5, off
.LBB71_1474:
	s_mov_b64 s[14:15], 0
.LBB71_1475:
	s_mov_b64 s[8:9], 0
	s_and_b64 vcc, exec, s[14:15]
	s_cbranch_vccz .LBB71_1515
; %bb.1476:
	s_cmp_gt_i32 s25, 22
	s_mov_b64 s[14:15], -1
	s_cbranch_scc0 .LBB71_1508
; %bb.1477:
	s_cmp_lt_i32 s25, 24
	s_cbranch_scc1 .LBB71_1497
; %bb.1478:
	s_cmp_gt_i32 s25, 24
	s_cbranch_scc0 .LBB71_1486
; %bb.1479:
	v_cvt_f32_i32_e32 v0, v1
	s_mov_b32 s14, 0x47800000
	v_mov_b32_e32 v5, 0x80
	v_and_b32_e32 v2, 0x7fffffff, v0
	v_cmp_gt_u32_e32 vcc, s14, v2
	s_and_saveexec_b64 s[14:15], vcc
	s_cbranch_execz .LBB71_1485
; %bb.1480:
	s_mov_b32 s16, 0x37ffffff
	v_cmp_lt_u32_e32 vcc, s16, v2
	s_mov_b64 s[16:17], 0
                                        ; implicit-def: $vgpr2
	s_and_saveexec_b64 s[18:19], vcc
	s_xor_b64 s[18:19], exec, s[18:19]
	s_cbranch_execz .LBB71_1735
; %bb.1481:
	v_bfe_u32 v2, v0, 21, 1
	s_mov_b32 s26, 0x88fffff
	v_add3_u32 v2, v0, v2, s26
	s_mov_b64 s[16:17], exec
	v_lshrrev_b32_e32 v2, 21, v2
	s_andn2_saveexec_b64 s[18:19], s[18:19]
	s_cbranch_execnz .LBB71_1736
.LBB71_1482:
	s_or_b64 exec, exec, s[18:19]
	v_mov_b32_e32 v5, 0
	s_and_saveexec_b64 s[18:19], s[16:17]
.LBB71_1483:
	v_lshrrev_b32_e32 v0, 24, v0
	s_movk_i32 s16, 0x80
	v_and_or_b32 v5, v0, s16, v2
.LBB71_1484:
	s_or_b64 exec, exec, s[18:19]
.LBB71_1485:
	s_or_b64 exec, exec, s[14:15]
	s_mov_b64 s[14:15], 0
	global_store_byte v[3:4], v5, off
.LBB71_1486:
	s_and_b64 vcc, exec, s[14:15]
	s_cbranch_vccz .LBB71_1496
; %bb.1487:
	v_cvt_f32_i32_e32 v0, v1
	s_mov_b32 s14, 0x43f00000
                                        ; implicit-def: $vgpr2
	v_and_b32_e32 v5, 0x7fffffff, v0
	v_cmp_gt_u32_e32 vcc, s14, v5
	s_and_saveexec_b64 s[14:15], vcc
	s_xor_b64 s[14:15], exec, s[14:15]
	s_cbranch_execz .LBB71_1493
; %bb.1488:
	s_mov_b32 s16, 0x3c7fffff
	v_cmp_lt_u32_e32 vcc, s16, v5
                                        ; implicit-def: $vgpr2
	s_and_saveexec_b64 s[16:17], vcc
	s_xor_b64 s[16:17], exec, s[16:17]
; %bb.1489:
	v_bfe_u32 v2, v0, 20, 1
	s_mov_b32 s18, 0x407ffff
	v_add3_u32 v2, v0, v2, s18
	v_lshrrev_b32_e32 v5, 20, v2
	v_and_b32_e32 v2, 0xff00000, v2
	s_mov_b32 s18, 0x7f00000
	v_mov_b32_e32 v6, 0x7e
	v_cmp_ne_u32_e32 vcc, s18, v2
	v_cndmask_b32_e32 v2, v6, v5, vcc
; %bb.1490:
	s_andn2_saveexec_b64 s[16:17], s[16:17]
; %bb.1491:
	s_mov_b32 s18, 0x46800000
	v_add_f32_e64 v2, |v0|, s18
; %bb.1492:
	s_or_b64 exec, exec, s[16:17]
                                        ; implicit-def: $vgpr5
.LBB71_1493:
	s_andn2_saveexec_b64 s[14:15], s[14:15]
; %bb.1494:
	s_mov_b32 s16, 0x7f800000
	v_mov_b32_e32 v2, 0x7e
	v_mov_b32_e32 v6, 0x7f
	v_cmp_lt_u32_e32 vcc, s16, v5
	v_cndmask_b32_e32 v2, v2, v6, vcc
; %bb.1495:
	s_or_b64 exec, exec, s[14:15]
	v_lshrrev_b32_e32 v0, 24, v0
	s_movk_i32 s14, 0x80
	v_and_or_b32 v0, v0, s14, v2
	global_store_byte v[3:4], v0, off
.LBB71_1496:
	s_mov_b64 s[14:15], 0
.LBB71_1497:
	s_andn2_b64 vcc, exec, s[14:15]
	s_cbranch_vccnz .LBB71_1507
; %bb.1498:
	v_cvt_f32_i32_e32 v0, v1
	s_mov_b32 s14, 0x47800000
                                        ; implicit-def: $vgpr2
	v_and_b32_e32 v5, 0x7fffffff, v0
	v_cmp_gt_u32_e32 vcc, s14, v5
	s_and_saveexec_b64 s[14:15], vcc
	s_xor_b64 s[14:15], exec, s[14:15]
	s_cbranch_execz .LBB71_1504
; %bb.1499:
	s_mov_b32 s16, 0x387fffff
	v_cmp_lt_u32_e32 vcc, s16, v5
                                        ; implicit-def: $vgpr2
	s_and_saveexec_b64 s[16:17], vcc
	s_xor_b64 s[16:17], exec, s[16:17]
; %bb.1500:
	v_bfe_u32 v2, v0, 21, 1
	s_mov_b32 s18, 0x80fffff
	v_add3_u32 v2, v0, v2, s18
	v_lshrrev_b32_e32 v2, 21, v2
; %bb.1501:
	s_andn2_saveexec_b64 s[16:17], s[16:17]
; %bb.1502:
	s_mov_b32 s18, 0x43000000
	v_add_f32_e64 v2, |v0|, s18
; %bb.1503:
	s_or_b64 exec, exec, s[16:17]
                                        ; implicit-def: $vgpr5
.LBB71_1504:
	s_andn2_saveexec_b64 s[14:15], s[14:15]
; %bb.1505:
	s_mov_b32 s16, 0x7f800000
	v_mov_b32_e32 v2, 0x7c
	v_mov_b32_e32 v6, 0x7f
	v_cmp_lt_u32_e32 vcc, s16, v5
	v_cndmask_b32_e32 v2, v2, v6, vcc
; %bb.1506:
	s_or_b64 exec, exec, s[14:15]
	v_lshrrev_b32_e32 v0, 24, v0
	s_movk_i32 s14, 0x80
	v_and_or_b32 v0, v0, s14, v2
	global_store_byte v[3:4], v0, off
.LBB71_1507:
	s_mov_b64 s[14:15], 0
.LBB71_1508:
	s_andn2_b64 vcc, exec, s[14:15]
	s_mov_b64 s[14:15], 0
	s_cbranch_vccnz .LBB71_1516
; %bb.1509:
	s_cmp_gt_i32 s25, 14
	s_mov_b64 s[16:17], -1
	s_cbranch_scc0 .LBB71_1513
; %bb.1510:
	s_cmp_eq_u32 s25, 15
	s_mov_b64 s[0:1], -1
	s_cbranch_scc0 .LBB71_1512
; %bb.1511:
	v_cvt_f32_i32_e32 v0, v1
	s_movk_i32 s0, 0x7fff
	v_bfe_u32 v2, v0, 16, 1
	v_add3_u32 v0, v0, v2, s0
	global_store_short_d16_hi v[3:4], v0, off
	s_mov_b64 s[0:1], 0
.LBB71_1512:
	s_mov_b64 s[16:17], 0
.LBB71_1513:
	s_and_b64 vcc, exec, s[16:17]
	s_cbranch_vccz .LBB71_1516
; %bb.1514:
	s_cmp_lg_u32 s25, 11
	s_cselect_b64 s[16:17], -1, 0
	s_andn2_b64 s[0:1], s[0:1], exec
	s_and_b64 s[16:17], s[16:17], exec
	s_mov_b64 s[14:15], -1
	s_or_b64 s[0:1], s[0:1], s[16:17]
	s_branch .LBB71_1516
.LBB71_1515:
	s_mov_b64 s[14:15], 0
.LBB71_1516:
	s_and_b64 s[16:17], s[8:9], exec
	s_andn2_b64 s[8:9], s[36:37], exec
	s_and_b64 s[0:1], s[0:1], exec
	s_and_b64 s[18:19], s[14:15], exec
	s_or_b64 s[36:37], s[8:9], s[0:1]
	s_or_b64 exec, exec, s[12:13]
	s_and_saveexec_b64 s[0:1], s[36:37]
	s_cbranch_execz .LBB71_1445
.LBB71_1517:
	s_or_b64 s[10:11], s[10:11], exec
	s_andn2_b64 s[18:19], s[18:19], exec
	s_trap 2
	s_or_b64 exec, exec, s[0:1]
	s_and_saveexec_b64 s[0:1], s[18:19]
	s_xor_b64 s[0:1], exec, s[0:1]
	s_cbranch_execnz .LBB71_1446
.LBB71_1518:
	s_or_b64 exec, exec, s[0:1]
	s_and_saveexec_b64 s[0:1], s[16:17]
	s_xor_b64 s[0:1], exec, s[0:1]
	s_cbranch_execz .LBB71_1556
.LBB71_1519:
	s_sext_i32_i16 s12, s24
	s_cmp_lt_i32 s12, 5
	s_mov_b64 s[8:9], -1
	s_cbranch_scc1 .LBB71_1540
; %bb.1520:
	s_cmp_lt_i32 s12, 8
	s_cbranch_scc1 .LBB71_1530
; %bb.1521:
	s_cmp_lt_i32 s12, 9
	s_cbranch_scc1 .LBB71_1527
; %bb.1522:
	s_cmp_gt_i32 s12, 9
	s_cbranch_scc0 .LBB71_1524
; %bb.1523:
	s_waitcnt vmcnt(0)
	v_cvt_f64_i32_e32 v[5:6], v1
	v_mov_b32_e32 v7, 0
	v_mov_b32_e32 v8, v7
	s_mov_b64 s[8:9], 0
	global_store_dwordx4 v[3:4], v[5:8], off
.LBB71_1524:
	s_andn2_b64 vcc, exec, s[8:9]
	s_cbranch_vccnz .LBB71_1526
; %bb.1525:
	s_waitcnt vmcnt(0)
	v_cvt_f32_i32_e32 v5, v1
	v_mov_b32_e32 v6, 0
	global_store_dwordx2 v[3:4], v[5:6], off
.LBB71_1526:
	s_mov_b64 s[8:9], 0
.LBB71_1527:
	s_andn2_b64 vcc, exec, s[8:9]
	s_cbranch_vccnz .LBB71_1529
; %bb.1528:
	v_cvt_f32_i32_e32 v0, v1
	v_cvt_f16_f32_e32 v0, v0
	s_waitcnt vmcnt(0)
	global_store_dword v[3:4], v0, off
.LBB71_1529:
	s_mov_b64 s[8:9], 0
.LBB71_1530:
	s_andn2_b64 vcc, exec, s[8:9]
	s_cbranch_vccnz .LBB71_1539
; %bb.1531:
	s_sext_i32_i16 s12, s24
	s_cmp_lt_i32 s12, 6
	s_mov_b64 s[8:9], -1
	s_cbranch_scc1 .LBB71_1537
; %bb.1532:
	s_cmp_gt_i32 s12, 6
	s_cbranch_scc0 .LBB71_1534
; %bb.1533:
	s_waitcnt vmcnt(0)
	v_cvt_f64_i32_e32 v[5:6], v1
	s_mov_b64 s[8:9], 0
	global_store_dwordx2 v[3:4], v[5:6], off
.LBB71_1534:
	s_andn2_b64 vcc, exec, s[8:9]
	s_cbranch_vccnz .LBB71_1536
; %bb.1535:
	v_cvt_f32_i32_e32 v0, v1
	s_waitcnt vmcnt(0)
	global_store_dword v[3:4], v0, off
.LBB71_1536:
	s_mov_b64 s[8:9], 0
.LBB71_1537:
	s_andn2_b64 vcc, exec, s[8:9]
	s_cbranch_vccnz .LBB71_1539
; %bb.1538:
	v_cvt_f32_i32_e32 v0, v1
	v_cvt_f16_f32_e32 v0, v0
	s_waitcnt vmcnt(0)
	global_store_short v[3:4], v0, off
.LBB71_1539:
	s_mov_b64 s[8:9], 0
.LBB71_1540:
	s_andn2_b64 vcc, exec, s[8:9]
	s_cbranch_vccnz .LBB71_1556
; %bb.1541:
	s_sext_i32_i16 s12, s24
	s_cmp_lt_i32 s12, 2
	s_mov_b64 s[8:9], -1
	s_cbranch_scc1 .LBB71_1551
; %bb.1542:
	s_cmp_lt_i32 s12, 3
	s_cbranch_scc1 .LBB71_1548
; %bb.1543:
	s_cmp_gt_i32 s12, 3
	s_cbranch_scc0 .LBB71_1545
; %bb.1544:
	v_ashrrev_i32_e32 v2, 31, v1
	s_mov_b64 s[8:9], 0
	s_waitcnt vmcnt(0)
	global_store_dwordx2 v[3:4], v[1:2], off
.LBB71_1545:
	s_andn2_b64 vcc, exec, s[8:9]
	s_cbranch_vccnz .LBB71_1547
; %bb.1546:
	s_waitcnt vmcnt(0)
	global_store_dword v[3:4], v1, off
.LBB71_1547:
	s_mov_b64 s[8:9], 0
.LBB71_1548:
	s_andn2_b64 vcc, exec, s[8:9]
	s_cbranch_vccnz .LBB71_1550
; %bb.1549:
	s_waitcnt vmcnt(0)
	global_store_short v[3:4], v1, off
.LBB71_1550:
	s_mov_b64 s[8:9], 0
.LBB71_1551:
	s_andn2_b64 vcc, exec, s[8:9]
	s_cbranch_vccnz .LBB71_1556
; %bb.1552:
	s_sext_i32_i16 s8, s24
	s_cmp_gt_i32 s8, 0
	s_mov_b64 s[8:9], -1
	s_cbranch_scc0 .LBB71_1554
; %bb.1553:
	s_mov_b64 s[8:9], 0
	s_waitcnt vmcnt(0)
	global_store_byte v[3:4], v1, off
.LBB71_1554:
	s_andn2_b64 vcc, exec, s[8:9]
	s_cbranch_vccnz .LBB71_1556
; %bb.1555:
	s_waitcnt vmcnt(0)
	global_store_byte v[3:4], v1, off
.LBB71_1556:
	s_or_b64 exec, exec, s[0:1]
	s_and_b64 s[12:13], s[10:11], exec
                                        ; implicit-def: $vgpr23
                                        ; implicit-def: $vgpr8
.LBB71_1557:
	s_or_saveexec_b64 s[14:15], s[22:23]
	s_mov_b64 s[0:1], 0
                                        ; implicit-def: $vgpr0_vgpr1
                                        ; implicit-def: $sgpr18
                                        ; implicit-def: $vgpr2
	s_xor_b64 exec, exec, s[14:15]
	s_cbranch_execz .LBB71_3038
; %bb.1558:
	v_cndmask_b32_e64 v0, 0, 1, s[20:21]
	v_cmp_ne_u32_e64 s[0:1], 1, v0
	s_andn2_b64 vcc, exec, s[20:21]
	s_cbranch_vccnz .LBB71_1564
; %bb.1559:
	s_cmp_lg_u32 s33, 0
	s_cbranch_scc0 .LBB71_1565
; %bb.1560:
	s_min_u32 s8, s68, 15
	s_add_i32 s6, s8, 1
	s_and_b32 s9, s6, 30
	s_add_u32 s6, s2, 0xffffffe8
	s_addc_u32 s7, s3, -1
	v_mov_b32_e32 v19, 0
	v_mov_b32_e32 v21, 0
	s_waitcnt vmcnt(0)
	v_mov_b32_e32 v6, 0
	v_mov_b32_e32 v0, v8
.LBB71_1561:                            ; =>This Inner Loop Header: Depth=1
	s_load_dwordx4 s[16:19], s[6:7], 0x1c
	s_load_dwordx2 s[10:11], s[6:7], 0x2c
	s_load_dwordx2 s[24:25], s[6:7], 0xec
	s_load_dwordx4 s[20:23], s[6:7], 0xdc
	s_add_u32 s6, s6, 24
	s_waitcnt lgkmcnt(0)
	v_mul_hi_u32 v1, s17, v0
	s_addc_u32 s7, s7, 0
	s_add_i32 s9, s9, -2
	s_cmp_lg_u32 s9, 0
	v_add_u32_e32 v1, v0, v1
	v_lshrrev_b32_e32 v1, s18, v1
	v_mul_lo_u32 v2, v1, s16
	v_mul_hi_u32 v3, s10, v1
	v_sub_u32_e32 v2, v0, v2
	v_add_u32_e32 v0, v1, v3
	v_lshrrev_b32_e32 v0, s11, v0
	v_mul_lo_u32 v5, v0, s19
	v_mul_lo_u32 v3, v2, s20
	;; [unrolled: 1-line block ×4, first 2 shown]
	v_sub_u32_e32 v1, v1, v5
	v_mul_lo_u32 v5, v1, s23
	v_mul_lo_u32 v7, v1, s24
	;; [unrolled: 1-line block ×3, first 2 shown]
	v_add3_u32 v6, v3, v6, v5
	v_add3_u32 v21, v4, v21, v7
	;; [unrolled: 1-line block ×3, first 2 shown]
	s_cbranch_scc1 .LBB71_1561
; %bb.1562:
	s_bitcmp1_b32 s8, 0
	s_cselect_b64 s[8:9], -1, 0
	s_and_b64 vcc, exec, s[8:9]
	s_cbranch_vccnz .LBB71_1566
; %bb.1563:
	s_load_dwordx2 s[8:9], s[6:7], 0x1c
	s_load_dword s16, s[6:7], 0x24
	s_load_dwordx2 s[10:11], s[6:7], 0xdc
	s_waitcnt lgkmcnt(0)
	v_mul_hi_u32 v1, s9, v0
	v_add_u32_e32 v1, v0, v1
	v_lshrrev_b32_e32 v1, s16, v1
	v_mul_lo_u32 v1, v1, s8
	s_load_dword s8, s[6:7], 0xe4
	v_sub_u32_e32 v0, v0, v1
	v_mad_u64_u32 v[6:7], s[6:7], v0, s10, v[6:7]
	v_mad_u64_u32 v[21:22], s[6:7], v0, s11, v[21:22]
	s_waitcnt lgkmcnt(0)
	v_mad_u64_u32 v[19:20], s[6:7], v0, s8, v[19:20]
	s_cbranch_execz .LBB71_1567
	s_branch .LBB71_1569
.LBB71_1564:
                                        ; implicit-def: $vgpr6
                                        ; implicit-def: $vgpr21
                                        ; implicit-def: $vgpr19
	s_branch .LBB71_1567
.LBB71_1565:
	s_waitcnt vmcnt(0)
	v_mov_b32_e32 v6, 0
	v_mov_b32_e32 v21, 0
	;; [unrolled: 1-line block ×3, first 2 shown]
.LBB71_1566:
	s_cbranch_execnz .LBB71_1569
.LBB71_1567:
	s_load_dwordx4 s[8:11], s[2:3], 0x4
	s_load_dwordx4 s[16:19], s[2:3], 0xc4
	s_cmp_lt_u32 s33, 2
	s_waitcnt lgkmcnt(0)
	v_mul_hi_u32 v0, s9, v8
	v_add_u32_e32 v0, v8, v0
	v_lshrrev_b32_e32 v0, s10, v0
	v_mul_lo_u32 v1, v0, s8
	v_sub_u32_e32 v1, v8, v1
	s_waitcnt vmcnt(0)
	v_mul_lo_u32 v6, v1, s16
	v_mul_lo_u32 v21, v1, s17
	;; [unrolled: 1-line block ×3, first 2 shown]
	s_cbranch_scc1 .LBB71_1569
; %bb.1568:
	s_load_dwordx4 s[8:11], s[2:3], 0x10
	s_load_dwordx4 s[16:19], s[2:3], 0xd0
	s_waitcnt lgkmcnt(0)
	v_mul_hi_u32 v1, s9, v0
	v_add_u32_e32 v1, v0, v1
	v_lshrrev_b32_e32 v1, s10, v1
	v_mul_lo_u32 v1, v1, s8
	v_sub_u32_e32 v0, v0, v1
	v_mad_u64_u32 v[6:7], s[6:7], v0, s16, v[6:7]
	v_mad_u64_u32 v[21:22], s[6:7], v0, s17, v[21:22]
	;; [unrolled: 1-line block ×3, first 2 shown]
.LBB71_1569:
	s_and_b64 vcc, exec, s[0:1]
	v_add_u32_e32 v0, 0x80, v8
	s_cbranch_vccnz .LBB71_1575
; %bb.1570:
	s_cmp_lg_u32 s33, 0
	s_cbranch_scc0 .LBB71_1576
; %bb.1571:
	s_min_u32 s8, s68, 15
	s_add_i32 s6, s8, 1
	s_and_b32 s9, s6, 30
	s_add_u32 s6, s2, 0xffffffe8
	s_addc_u32 s7, s3, -1
	v_mov_b32_e32 v15, 0
	v_mov_b32_e32 v17, 0
	;; [unrolled: 1-line block ×4, first 2 shown]
.LBB71_1572:                            ; =>This Inner Loop Header: Depth=1
	s_load_dwordx4 s[16:19], s[6:7], 0x1c
	s_load_dwordx2 s[10:11], s[6:7], 0x2c
	s_load_dwordx2 s[24:25], s[6:7], 0xec
	s_load_dwordx4 s[20:23], s[6:7], 0xdc
	s_add_u32 s6, s6, 24
	s_waitcnt lgkmcnt(0)
	v_mul_hi_u32 v2, s17, v1
	s_addc_u32 s7, s7, 0
	s_add_i32 s9, s9, -2
	s_cmp_lg_u32 s9, 0
	v_add_u32_e32 v2, v1, v2
	v_lshrrev_b32_e32 v2, s18, v2
	s_waitcnt vmcnt(0)
	v_mul_lo_u32 v3, v2, s16
	v_mul_hi_u32 v5, s10, v2
	v_sub_u32_e32 v3, v1, v3
	v_add_u32_e32 v1, v2, v5
	v_lshrrev_b32_e32 v1, s11, v1
	v_mul_lo_u32 v9, v1, s19
	v_mul_lo_u32 v5, v3, s20
	;; [unrolled: 1-line block ×4, first 2 shown]
	v_sub_u32_e32 v2, v2, v9
	v_mul_lo_u32 v9, v2, s23
	v_mul_lo_u32 v10, v2, s24
	;; [unrolled: 1-line block ×3, first 2 shown]
	v_add3_u32 v4, v5, v4, v9
	v_add3_u32 v17, v7, v17, v10
	v_add3_u32 v15, v3, v15, v2
	s_cbranch_scc1 .LBB71_1572
; %bb.1573:
	s_bitcmp1_b32 s8, 0
	s_cselect_b64 s[8:9], -1, 0
	s_and_b64 vcc, exec, s[8:9]
	s_cbranch_vccnz .LBB71_1577
; %bb.1574:
	s_load_dwordx2 s[8:9], s[6:7], 0x1c
	s_load_dword s16, s[6:7], 0x24
	s_load_dwordx2 s[10:11], s[6:7], 0xdc
	s_waitcnt lgkmcnt(0)
	v_mul_hi_u32 v2, s9, v1
	v_add_u32_e32 v2, v1, v2
	v_lshrrev_b32_e32 v2, s16, v2
	v_mul_lo_u32 v2, v2, s8
	s_load_dword s8, s[6:7], 0xe4
	v_sub_u32_e32 v1, v1, v2
	v_mad_u64_u32 v[4:5], s[6:7], v1, s10, v[4:5]
	v_mad_u64_u32 v[17:18], s[6:7], v1, s11, v[17:18]
	s_waitcnt lgkmcnt(0)
	v_mad_u64_u32 v[15:16], s[6:7], v1, s8, v[15:16]
	s_cbranch_execz .LBB71_1578
	s_branch .LBB71_1580
.LBB71_1575:
                                        ; implicit-def: $vgpr4
                                        ; implicit-def: $vgpr17
                                        ; implicit-def: $vgpr15
	s_branch .LBB71_1578
.LBB71_1576:
	v_mov_b32_e32 v4, 0
	v_mov_b32_e32 v17, 0
	;; [unrolled: 1-line block ×3, first 2 shown]
.LBB71_1577:
	s_cbranch_execnz .LBB71_1580
.LBB71_1578:
	s_load_dwordx4 s[8:11], s[2:3], 0x4
	s_load_dwordx4 s[16:19], s[2:3], 0xc4
	s_cmp_lt_u32 s33, 2
	s_waitcnt lgkmcnt(0)
	v_mul_hi_u32 v1, s9, v0
	v_add_u32_e32 v1, v0, v1
	v_lshrrev_b32_e32 v1, s10, v1
	v_mul_lo_u32 v2, v1, s8
	v_sub_u32_e32 v0, v0, v2
	v_mul_lo_u32 v4, v0, s16
	v_mul_lo_u32 v17, v0, s17
	;; [unrolled: 1-line block ×3, first 2 shown]
	s_cbranch_scc1 .LBB71_1580
; %bb.1579:
	s_load_dwordx4 s[8:11], s[2:3], 0x10
	s_load_dwordx4 s[16:19], s[2:3], 0xd0
	s_waitcnt lgkmcnt(0)
	v_mul_hi_u32 v0, s9, v1
	v_add_u32_e32 v0, v1, v0
	v_lshrrev_b32_e32 v0, s10, v0
	v_mul_lo_u32 v0, v0, s8
	v_sub_u32_e32 v0, v1, v0
	s_waitcnt vmcnt(0)
	v_mad_u64_u32 v[4:5], s[6:7], v0, s16, v[4:5]
	v_mad_u64_u32 v[17:18], s[6:7], v0, s17, v[17:18]
	;; [unrolled: 1-line block ×3, first 2 shown]
.LBB71_1580:
	s_and_b64 vcc, exec, s[0:1]
	v_add_u32_e32 v0, 0x100, v8
	s_cbranch_vccnz .LBB71_1586
; %bb.1581:
	s_cmp_lg_u32 s33, 0
	s_cbranch_scc0 .LBB71_1587
; %bb.1582:
	s_min_u32 s8, s68, 15
	s_add_i32 s6, s8, 1
	s_and_b32 s9, s6, 30
	s_add_u32 s6, s2, 0xffffffe8
	s_addc_u32 s7, s3, -1
	v_mov_b32_e32 v11, 0
	v_mov_b32_e32 v13, 0
	;; [unrolled: 1-line block ×4, first 2 shown]
.LBB71_1583:                            ; =>This Inner Loop Header: Depth=1
	s_load_dwordx4 s[16:19], s[6:7], 0x1c
	s_load_dwordx2 s[10:11], s[6:7], 0x2c
	s_load_dwordx2 s[24:25], s[6:7], 0xec
	s_load_dwordx4 s[20:23], s[6:7], 0xdc
	s_add_u32 s6, s6, 24
	s_waitcnt vmcnt(0) lgkmcnt(0)
	v_mul_hi_u32 v3, s17, v1
	s_addc_u32 s7, s7, 0
	s_add_i32 s9, s9, -2
	s_cmp_lg_u32 s9, 0
	v_add_u32_e32 v3, v1, v3
	v_lshrrev_b32_e32 v3, s18, v3
	v_mul_lo_u32 v5, v3, s16
	v_mul_hi_u32 v7, s10, v3
	v_sub_u32_e32 v5, v1, v5
	v_add_u32_e32 v1, v3, v7
	v_lshrrev_b32_e32 v1, s11, v1
	v_mul_lo_u32 v9, v1, s19
	v_mul_lo_u32 v7, v5, s20
	;; [unrolled: 1-line block ×4, first 2 shown]
	v_sub_u32_e32 v3, v3, v9
	v_mul_lo_u32 v9, v3, s23
	v_mul_lo_u32 v10, v3, s24
	;; [unrolled: 1-line block ×3, first 2 shown]
	v_add3_u32 v2, v7, v2, v9
	v_add3_u32 v13, v8, v13, v10
	;; [unrolled: 1-line block ×3, first 2 shown]
	s_cbranch_scc1 .LBB71_1583
; %bb.1584:
	s_bitcmp1_b32 s8, 0
	s_cselect_b64 s[8:9], -1, 0
	s_and_b64 vcc, exec, s[8:9]
	s_cbranch_vccnz .LBB71_1588
; %bb.1585:
	s_load_dwordx2 s[8:9], s[6:7], 0x1c
	s_load_dword s16, s[6:7], 0x24
	s_load_dwordx2 s[10:11], s[6:7], 0xdc
	s_waitcnt lgkmcnt(0)
	v_mul_hi_u32 v3, s9, v1
	v_add_u32_e32 v3, v1, v3
	v_lshrrev_b32_e32 v3, s16, v3
	v_mul_lo_u32 v3, v3, s8
	s_load_dword s8, s[6:7], 0xe4
	v_sub_u32_e32 v1, v1, v3
	v_mad_u64_u32 v[2:3], s[6:7], v1, s10, v[2:3]
	v_mad_u64_u32 v[13:14], s[6:7], v1, s11, v[13:14]
	s_waitcnt lgkmcnt(0)
	v_mad_u64_u32 v[11:12], s[6:7], v1, s8, v[11:12]
	s_cbranch_execz .LBB71_1589
	s_branch .LBB71_1591
.LBB71_1586:
                                        ; implicit-def: $vgpr2
                                        ; implicit-def: $vgpr13
                                        ; implicit-def: $vgpr11
	s_branch .LBB71_1589
.LBB71_1587:
	v_mov_b32_e32 v2, 0
	v_mov_b32_e32 v13, 0
	;; [unrolled: 1-line block ×3, first 2 shown]
.LBB71_1588:
	s_cbranch_execnz .LBB71_1591
.LBB71_1589:
	s_load_dwordx4 s[8:11], s[2:3], 0x4
	s_load_dwordx4 s[16:19], s[2:3], 0xc4
	s_cmp_lt_u32 s33, 2
	s_waitcnt lgkmcnt(0)
	v_mul_hi_u32 v1, s9, v0
	v_add_u32_e32 v1, v0, v1
	v_lshrrev_b32_e32 v1, s10, v1
	v_mul_lo_u32 v2, v1, s8
	v_sub_u32_e32 v0, v0, v2
	v_mul_lo_u32 v2, v0, s16
	v_mul_lo_u32 v13, v0, s17
	v_mul_lo_u32 v11, v0, s18
	s_cbranch_scc1 .LBB71_1591
; %bb.1590:
	s_load_dwordx4 s[8:11], s[2:3], 0x10
	s_load_dwordx4 s[16:19], s[2:3], 0xd0
	s_waitcnt lgkmcnt(0)
	v_mul_hi_u32 v0, s9, v1
	v_add_u32_e32 v0, v1, v0
	v_lshrrev_b32_e32 v0, s10, v0
	v_mul_lo_u32 v0, v0, s8
	v_sub_u32_e32 v0, v1, v0
	s_waitcnt vmcnt(0)
	v_mad_u64_u32 v[2:3], s[6:7], v0, s16, v[2:3]
	v_mad_u64_u32 v[13:14], s[6:7], v0, s17, v[13:14]
	v_mad_u64_u32 v[11:12], s[6:7], v0, s18, v[11:12]
.LBB71_1591:
	s_and_b64 vcc, exec, s[0:1]
	s_cbranch_vccnz .LBB71_1597
; %bb.1592:
	s_cmp_lg_u32 s33, 0
	s_cbranch_scc0 .LBB71_1598
; %bb.1593:
	s_min_u32 s6, s68, 15
	s_add_i32 s0, s6, 1
	s_and_b32 s7, s0, 30
	s_add_u32 s0, s2, 0xffffffe8
	s_addc_u32 s1, s3, -1
	v_mov_b32_e32 v7, 0
	v_mov_b32_e32 v9, 0
	;; [unrolled: 1-line block ×4, first 2 shown]
.LBB71_1594:                            ; =>This Inner Loop Header: Depth=1
	s_load_dwordx4 s[8:11], s[0:1], 0x1c
	s_load_dwordx2 s[20:21], s[0:1], 0x2c
	s_load_dwordx2 s[22:23], s[0:1], 0xec
	s_load_dwordx4 s[16:19], s[0:1], 0xdc
	s_add_u32 s0, s0, 24
	s_waitcnt vmcnt(0) lgkmcnt(0)
	v_mul_hi_u32 v3, s9, v1
	s_addc_u32 s1, s1, 0
	s_add_i32 s7, s7, -2
	s_cmp_lg_u32 s7, 0
	v_add_u32_e32 v3, v1, v3
	v_lshrrev_b32_e32 v3, s10, v3
	v_mul_lo_u32 v5, v3, s8
	v_mul_hi_u32 v8, s20, v3
	v_sub_u32_e32 v5, v1, v5
	v_add_u32_e32 v1, v3, v8
	v_lshrrev_b32_e32 v1, s21, v1
	v_mul_lo_u32 v12, v1, s11
	v_mul_lo_u32 v8, v5, s16
	;; [unrolled: 1-line block ×4, first 2 shown]
	v_sub_u32_e32 v3, v3, v12
	v_mul_lo_u32 v12, v3, s19
	v_mul_lo_u32 v14, v3, s22
	;; [unrolled: 1-line block ×3, first 2 shown]
	v_add3_u32 v0, v8, v0, v12
	v_add3_u32 v9, v10, v9, v14
	;; [unrolled: 1-line block ×3, first 2 shown]
	s_cbranch_scc1 .LBB71_1594
; %bb.1595:
	s_bitcmp1_b32 s6, 0
	s_cselect_b64 s[6:7], -1, 0
	s_and_b64 vcc, exec, s[6:7]
	s_cbranch_vccnz .LBB71_1599
; %bb.1596:
	s_load_dwordx2 s[6:7], s[0:1], 0x1c
	s_load_dword s10, s[0:1], 0x24
	s_load_dwordx2 s[8:9], s[0:1], 0xdc
	s_waitcnt lgkmcnt(0)
	v_mul_hi_u32 v3, s7, v1
	v_add_u32_e32 v3, v1, v3
	v_lshrrev_b32_e32 v3, s10, v3
	v_mul_lo_u32 v3, v3, s6
	s_load_dword s6, s[0:1], 0xe4
	v_sub_u32_e32 v3, v1, v3
	v_mad_u64_u32 v[0:1], s[0:1], v3, s8, v[0:1]
	v_mad_u64_u32 v[9:10], s[0:1], v3, s9, v[9:10]
	s_waitcnt lgkmcnt(0)
	v_mad_u64_u32 v[7:8], s[0:1], v3, s6, v[7:8]
	s_cbranch_execz .LBB71_1600
	s_branch .LBB71_1602
.LBB71_1597:
                                        ; implicit-def: $vgpr0
                                        ; implicit-def: $vgpr9
                                        ; implicit-def: $vgpr7
	s_branch .LBB71_1600
.LBB71_1598:
	v_mov_b32_e32 v0, 0
	v_mov_b32_e32 v9, 0
	;; [unrolled: 1-line block ×3, first 2 shown]
.LBB71_1599:
	s_cbranch_execnz .LBB71_1602
.LBB71_1600:
	s_load_dwordx4 s[8:11], s[2:3], 0x4
	s_load_dwordx4 s[16:19], s[2:3], 0xc4
	s_cmp_lt_u32 s33, 2
	s_waitcnt lgkmcnt(0)
	v_mul_hi_u32 v0, s9, v23
	v_add_u32_e32 v0, v23, v0
	v_lshrrev_b32_e32 v1, s10, v0
	v_mul_lo_u32 v0, v1, s8
	s_waitcnt vmcnt(0)
	v_sub_u32_e32 v3, v23, v0
	v_mul_lo_u32 v0, v3, s16
	v_mul_lo_u32 v9, v3, s17
	;; [unrolled: 1-line block ×3, first 2 shown]
	s_cbranch_scc1 .LBB71_1602
; %bb.1601:
	s_load_dwordx4 s[8:11], s[2:3], 0x10
	s_load_dwordx4 s[16:19], s[2:3], 0xd0
	s_waitcnt lgkmcnt(0)
	v_mul_hi_u32 v3, s9, v1
	v_add_u32_e32 v3, v1, v3
	v_lshrrev_b32_e32 v3, s10, v3
	v_mul_lo_u32 v3, v3, s8
	v_sub_u32_e32 v3, v1, v3
	v_mad_u64_u32 v[0:1], s[0:1], v3, s16, v[0:1]
	v_mad_u64_u32 v[9:10], s[0:1], v3, s17, v[9:10]
	;; [unrolled: 1-line block ×3, first 2 shown]
.LBB71_1602:
	s_load_dwordx4 s[8:11], s[2:3], 0x188
	s_load_dword s20, s[4:5], 0x1a8
	s_waitcnt lgkmcnt(0)
	v_mov_b32_e32 v1, s11
	s_bfe_u32 s18, s20, 0x80010
	v_add_co_u32_e32 v20, vcc, s10, v21
	s_cmp_lt_i32 s18, 11
	v_addc_co_u32_e32 v21, vcc, 0, v1, vcc
	s_cbranch_scc1 .LBB71_1609
; %bb.1603:
	s_and_b32 s19, 0xffff, s18
	s_cmp_gt_i32 s19, 25
	s_mov_b64 s[6:7], 0
	s_cbranch_scc0 .LBB71_1611
; %bb.1604:
	s_cmp_gt_i32 s19, 28
	s_cbranch_scc0 .LBB71_1612
; %bb.1605:
	s_cmp_gt_i32 s19, 43
	;; [unrolled: 3-line block ×3, first 2 shown]
	s_cbranch_scc0 .LBB71_1614
; %bb.1607:
	s_cmp_eq_u32 s19, 46
	s_mov_b64 s[4:5], 0
	s_cbranch_scc0 .LBB71_1617
; %bb.1608:
	global_load_dword v1, v[20:21], off
	s_mov_b64 s[0:1], 0
	s_mov_b64 s[16:17], -1
	s_waitcnt vmcnt(0)
	v_lshlrev_b32_e32 v1, 16, v1
	v_cvt_i32_f32_e32 v1, v1
	s_branch .LBB71_1618
.LBB71_1609:
	s_mov_b64 s[16:17], 0
                                        ; implicit-def: $vgpr1
	s_mov_b64 s[4:5], s[12:13]
	s_cbranch_execnz .LBB71_1676
.LBB71_1610:
	s_andn2_b64 vcc, exec, s[16:17]
	s_cbranch_vccz .LBB71_1721
	s_branch .LBB71_3036
.LBB71_1611:
	s_mov_b64 s[16:17], 0
	s_mov_b64 s[0:1], 0
                                        ; implicit-def: $vgpr1
	s_cbranch_execnz .LBB71_1643
	s_branch .LBB71_1672
.LBB71_1612:
	s_mov_b64 s[16:17], 0
	s_mov_b64 s[0:1], 0
                                        ; implicit-def: $vgpr1
	s_cbranch_execz .LBB71_1642
	s_branch .LBB71_1627
.LBB71_1613:
	s_mov_b64 s[16:17], 0
	s_mov_b64 s[0:1], 0
                                        ; implicit-def: $vgpr1
	s_cbranch_execnz .LBB71_1623
	s_branch .LBB71_1626
.LBB71_1614:
	s_mov_b64 s[4:5], -1
	s_mov_b64 s[16:17], 0
	s_mov_b64 s[0:1], 0
                                        ; implicit-def: $vgpr1
	s_branch .LBB71_1618
.LBB71_1615:
	s_andn2_saveexec_b64 s[16:17], s[16:17]
	s_cbranch_execz .LBB71_1470
.LBB71_1616:
	s_mov_b32 s18, 0x46000000
	v_add_f32_e64 v2, |v0|, s18
	v_and_b32_e32 v2, 0xff, v2
	v_cmp_ne_u32_e32 vcc, 0, v2
	s_andn2_b64 s[14:15], s[14:15], exec
	s_and_b64 s[18:19], vcc, exec
	s_or_b64 s[14:15], s[14:15], s[18:19]
	s_or_b64 exec, exec, s[16:17]
	v_mov_b32_e32 v5, 0
	s_and_saveexec_b64 s[16:17], s[14:15]
	s_cbranch_execnz .LBB71_1471
	s_branch .LBB71_1472
.LBB71_1617:
	s_mov_b64 s[0:1], -1
                                        ; implicit-def: $vgpr1
	s_mov_b64 s[16:17], 0
.LBB71_1618:
	s_and_b64 vcc, exec, s[4:5]
	s_cbranch_vccz .LBB71_1621
; %bb.1619:
	s_cmp_eq_u32 s19, 44
	s_cbranch_scc0 .LBB71_1622
; %bb.1620:
	global_load_ubyte v1, v[20:21], off
	s_mov_b64 s[0:1], 0
	s_mov_b64 s[16:17], -1
	s_waitcnt vmcnt(0)
	v_lshlrev_b32_e32 v3, 23, v1
	v_cvt_i32_f32_e32 v3, v3
	v_cmp_ne_u32_e32 vcc, 0, v1
	v_cndmask_b32_e32 v1, 0, v3, vcc
.LBB71_1621:
	s_branch .LBB71_1626
.LBB71_1622:
	s_mov_b64 s[0:1], -1
                                        ; implicit-def: $vgpr1
	s_branch .LBB71_1626
.LBB71_1623:
	s_cmp_eq_u32 s19, 29
	s_cbranch_scc0 .LBB71_1625
; %bb.1624:
	global_load_dword v1, v[20:21], off
	s_mov_b64 s[0:1], 0
	s_mov_b64 s[16:17], -1
	s_branch .LBB71_1626
.LBB71_1625:
	s_mov_b64 s[0:1], -1
                                        ; implicit-def: $vgpr1
.LBB71_1626:
	s_branch .LBB71_1642
.LBB71_1627:
	s_cmp_lt_i32 s19, 27
	s_cbranch_scc1 .LBB71_1630
; %bb.1628:
	s_cmp_gt_i32 s19, 27
	s_cbranch_scc0 .LBB71_1631
; %bb.1629:
	global_load_dword v1, v[20:21], off
	s_mov_b64 s[4:5], 0
	s_branch .LBB71_1632
.LBB71_1630:
	s_mov_b64 s[4:5], -1
                                        ; implicit-def: $vgpr1
	s_branch .LBB71_1635
.LBB71_1631:
	s_mov_b64 s[4:5], -1
                                        ; implicit-def: $vgpr1
.LBB71_1632:
	s_andn2_b64 vcc, exec, s[4:5]
	s_cbranch_vccnz .LBB71_1634
; %bb.1633:
	global_load_ushort v1, v[20:21], off
.LBB71_1634:
	s_mov_b64 s[4:5], 0
.LBB71_1635:
	s_andn2_b64 vcc, exec, s[4:5]
	s_cbranch_vccnz .LBB71_1641
; %bb.1636:
	global_load_ubyte v3, v[20:21], off
	s_movk_i32 s4, 0x7f
	s_mov_b64 s[16:17], 0
	s_waitcnt vmcnt(0)
	v_cmp_lt_i16_e32 vcc, s4, v3
	s_and_saveexec_b64 s[4:5], vcc
	s_xor_b64 s[4:5], exec, s[4:5]
	s_cbranch_execz .LBB71_1652
; %bb.1637:
	s_movk_i32 s16, 0x80
	v_cmp_ne_u16_e32 vcc, s16, v3
	s_and_b64 s[16:17], vcc, exec
	s_andn2_saveexec_b64 s[4:5], s[4:5]
	s_cbranch_execnz .LBB71_1653
.LBB71_1638:
	s_or_b64 exec, exec, s[4:5]
	v_mov_b32_e32 v1, 0
	s_and_saveexec_b64 s[4:5], s[16:17]
	s_cbranch_execz .LBB71_1640
.LBB71_1639:
	v_lshlrev_b32_e32 v1, 24, v3
	v_and_b32_e32 v3, 0xffff, v3
	v_and_b32_e32 v5, 7, v3
	v_ffbh_u32_e32 v10, v5
	v_min_u32_e32 v10, 32, v10
	v_subrev_u32_e32 v12, 28, v10
	v_bfe_u32 v8, v3, 3, 4
	v_lshlrev_b32_e32 v3, v12, v3
	v_sub_u32_e32 v10, 29, v10
	v_and_b32_e32 v3, 7, v3
	v_cmp_eq_u32_e32 vcc, 0, v8
	v_cndmask_b32_e32 v8, v8, v10, vcc
	v_cndmask_b32_e32 v3, v5, v3, vcc
	v_mov_b32_e32 v5, 0x3b800000
	v_lshlrev_b32_e32 v3, 20, v3
	v_and_b32_e32 v1, 0x80000000, v1
	v_lshl_add_u32 v5, v8, 23, v5
	v_or3_b32 v1, v1, v5, v3
	v_cvt_i32_f32_e32 v1, v1
.LBB71_1640:
	s_or_b64 exec, exec, s[4:5]
.LBB71_1641:
	s_mov_b64 s[16:17], -1
.LBB71_1642:
	s_branch .LBB71_1672
.LBB71_1643:
	s_cmp_gt_i32 s19, 22
	s_cbranch_scc0 .LBB71_1651
; %bb.1644:
	s_cmp_lt_i32 s19, 24
	s_cbranch_scc1 .LBB71_1654
; %bb.1645:
	s_cmp_gt_i32 s19, 24
	s_cbranch_scc0 .LBB71_1655
; %bb.1646:
	global_load_ubyte v3, v[20:21], off
	s_movk_i32 s4, 0x7f
	s_waitcnt vmcnt(0)
	v_cmp_lt_i16_e32 vcc, s4, v3
	s_and_saveexec_b64 s[4:5], vcc
	s_xor_b64 s[4:5], exec, s[4:5]
	s_cbranch_execz .LBB71_1666
; %bb.1647:
	s_movk_i32 s6, 0x80
	v_cmp_ne_u16_e32 vcc, s6, v3
	s_and_b64 s[6:7], vcc, exec
	s_andn2_saveexec_b64 s[4:5], s[4:5]
	s_cbranch_execnz .LBB71_1667
.LBB71_1648:
	s_or_b64 exec, exec, s[4:5]
	v_mov_b32_e32 v1, 0
	s_and_saveexec_b64 s[4:5], s[6:7]
	s_cbranch_execz .LBB71_1650
.LBB71_1649:
	v_lshlrev_b32_e32 v1, 24, v3
	v_and_b32_e32 v3, 0xffff, v3
	v_and_b32_e32 v5, 3, v3
	v_ffbh_u32_e32 v10, v5
	v_min_u32_e32 v10, 32, v10
	v_subrev_u32_e32 v12, 29, v10
	v_bfe_u32 v8, v3, 2, 5
	v_lshlrev_b32_e32 v3, v12, v3
	v_sub_u32_e32 v10, 30, v10
	v_and_b32_e32 v3, 3, v3
	v_cmp_eq_u32_e32 vcc, 0, v8
	v_cndmask_b32_e32 v8, v8, v10, vcc
	v_cndmask_b32_e32 v3, v5, v3, vcc
	v_mov_b32_e32 v5, 0x37800000
	v_lshlrev_b32_e32 v3, 21, v3
	v_and_b32_e32 v1, 0x80000000, v1
	v_lshl_add_u32 v5, v8, 23, v5
	v_or3_b32 v1, v1, v5, v3
	v_cvt_i32_f32_e32 v1, v1
.LBB71_1650:
	s_or_b64 exec, exec, s[4:5]
	s_mov_b64 s[4:5], 0
	s_branch .LBB71_1656
.LBB71_1651:
                                        ; implicit-def: $vgpr1
	s_mov_b64 s[6:7], 0
	s_branch .LBB71_1662
.LBB71_1652:
	s_andn2_saveexec_b64 s[4:5], s[4:5]
	s_cbranch_execz .LBB71_1638
.LBB71_1653:
	v_cmp_ne_u16_e32 vcc, 0, v3
	s_andn2_b64 s[16:17], s[16:17], exec
	s_and_b64 s[22:23], vcc, exec
	s_or_b64 s[16:17], s[16:17], s[22:23]
	s_or_b64 exec, exec, s[4:5]
	v_mov_b32_e32 v1, 0
	s_and_saveexec_b64 s[4:5], s[16:17]
	s_cbranch_execnz .LBB71_1639
	s_branch .LBB71_1640
.LBB71_1654:
	s_mov_b64 s[4:5], -1
                                        ; implicit-def: $vgpr1
	s_branch .LBB71_1659
.LBB71_1655:
	s_mov_b64 s[4:5], -1
                                        ; implicit-def: $vgpr1
.LBB71_1656:
	s_and_b64 vcc, exec, s[4:5]
	s_cbranch_vccz .LBB71_1658
; %bb.1657:
	global_load_ubyte v1, v[20:21], off
	s_mov_b32 s4, 0x7f800000
	s_waitcnt vmcnt(0)
	v_lshlrev_b32_e32 v1, 24, v1
	v_and_b32_e32 v3, 0x7f000000, v1
	v_ffbh_u32_e32 v5, v3
	v_min_u32_e32 v5, 32, v5
	v_sub_u32_e64 v5, v5, 4 clamp
	v_lshlrev_b32_e32 v10, v5, v3
	v_lshlrev_b32_e32 v5, 23, v5
	v_lshrrev_b32_e32 v10, 4, v10
	v_add_u32_e32 v8, 0x1000000, v3
	v_sub_u32_e32 v5, v10, v5
	v_ashrrev_i32_e32 v8, 8, v8
	v_add_u32_e32 v5, 0x3c000000, v5
	v_and_or_b32 v5, v8, s4, v5
	v_cmp_ne_u32_e32 vcc, 0, v3
	v_cndmask_b32_e32 v3, 0, v5, vcc
	s_brev_b32 s4, 1
	v_and_or_b32 v1, v1, s4, v3
	v_cvt_i32_f32_e32 v1, v1
.LBB71_1658:
	s_mov_b64 s[4:5], 0
.LBB71_1659:
	s_andn2_b64 vcc, exec, s[4:5]
	s_cbranch_vccnz .LBB71_1661
; %bb.1660:
	global_load_ubyte v1, v[20:21], off
	s_movk_i32 s4, 0x7f00
	s_brev_b32 s5, 16
	s_waitcnt vmcnt(0)
	v_lshlrev_b16_e32 v3, 8, v1
	v_lshlrev_b32_e32 v1, 25, v1
	v_lshrrev_b32_e32 v5, 4, v1
	v_and_or_b32 v8, v3, s4, 0.5
	v_or_b32_e32 v5, 0x70000000, v5
	v_add_f32_e32 v8, -0.5, v8
	v_mul_f32_e32 v5, 0x7800000, v5
	v_cmp_gt_u32_e32 vcc, s5, v1
	v_bfe_i32 v3, v3, 0, 16
	v_cndmask_b32_e32 v1, v5, v8, vcc
	s_brev_b32 s4, 1
	v_and_or_b32 v1, v3, s4, v1
	v_cvt_i32_f32_e32 v1, v1
.LBB71_1661:
	s_mov_b64 s[16:17], -1
	s_mov_b64 s[6:7], 0
	s_cbranch_execnz .LBB71_1672
.LBB71_1662:
	s_cmp_gt_i32 s19, 14
	s_cbranch_scc0 .LBB71_1665
; %bb.1663:
	s_cmp_eq_u32 s19, 15
	s_cbranch_scc0 .LBB71_1668
; %bb.1664:
	global_load_ushort v1, v[20:21], off
	s_mov_b64 s[0:1], 0
	s_mov_b64 s[16:17], -1
	s_waitcnt vmcnt(0)
	v_lshlrev_b32_e32 v1, 16, v1
	v_cvt_i32_f32_e32 v1, v1
	s_branch .LBB71_1669
.LBB71_1665:
	s_mov_b64 s[4:5], -1
                                        ; implicit-def: $vgpr1
	s_branch .LBB71_1670
.LBB71_1666:
	s_andn2_saveexec_b64 s[4:5], s[4:5]
	s_cbranch_execz .LBB71_1648
.LBB71_1667:
	v_cmp_ne_u16_e32 vcc, 0, v3
	s_andn2_b64 s[6:7], s[6:7], exec
	s_and_b64 s[16:17], vcc, exec
	s_or_b64 s[6:7], s[6:7], s[16:17]
	s_or_b64 exec, exec, s[4:5]
	v_mov_b32_e32 v1, 0
	s_and_saveexec_b64 s[4:5], s[6:7]
	s_cbranch_execnz .LBB71_1649
	s_branch .LBB71_1650
.LBB71_1668:
	s_mov_b64 s[0:1], -1
                                        ; implicit-def: $vgpr1
.LBB71_1669:
	s_mov_b64 s[4:5], 0
.LBB71_1670:
	s_and_b64 vcc, exec, s[4:5]
	s_cbranch_vccz .LBB71_1672
; %bb.1671:
	s_cmp_lg_u32 s19, 11
	s_mov_b64 s[6:7], -1
	s_cselect_b64 s[0:1], -1, 0
.LBB71_1672:
	s_and_b64 vcc, exec, s[0:1]
	s_mov_b64 s[4:5], s[12:13]
	s_cbranch_vccnz .LBB71_1733
; %bb.1673:
	s_andn2_b64 vcc, exec, s[6:7]
	s_cbranch_vccnz .LBB71_1675
.LBB71_1674:
	global_load_ubyte v1, v[20:21], off
	s_mov_b64 s[16:17], -1
	s_waitcnt vmcnt(0)
	v_cmp_ne_u16_e32 vcc, 0, v1
	v_cndmask_b32_e64 v1, 0, 1, vcc
.LBB71_1675:
	s_branch .LBB71_1610
.LBB71_1676:
	s_and_b32 s6, 0xffff, s18
	s_cmp_lt_i32 s6, 5
	s_cbranch_scc1 .LBB71_1681
; %bb.1677:
	s_cmp_lt_i32 s6, 8
	s_cbranch_scc1 .LBB71_1682
; %bb.1678:
	;; [unrolled: 3-line block ×3, first 2 shown]
	s_cmp_gt_i32 s6, 9
	s_cbranch_scc0 .LBB71_1684
; %bb.1680:
	global_load_dwordx2 v[22:23], v[20:21], off
	s_mov_b64 s[0:1], 0
	s_waitcnt vmcnt(0)
	v_cvt_i32_f64_e32 v1, v[22:23]
	s_branch .LBB71_1685
.LBB71_1681:
                                        ; implicit-def: $vgpr1
	s_branch .LBB71_1702
.LBB71_1682:
                                        ; implicit-def: $vgpr1
	s_branch .LBB71_1691
.LBB71_1683:
	s_mov_b64 s[0:1], -1
                                        ; implicit-def: $vgpr1
	s_branch .LBB71_1688
.LBB71_1684:
	s_mov_b64 s[0:1], -1
                                        ; implicit-def: $vgpr1
.LBB71_1685:
	s_andn2_b64 vcc, exec, s[0:1]
	s_cbranch_vccnz .LBB71_1687
; %bb.1686:
	global_load_dword v1, v[20:21], off
	s_waitcnt vmcnt(0)
	v_cvt_i32_f32_e32 v1, v1
.LBB71_1687:
	s_mov_b64 s[0:1], 0
.LBB71_1688:
	s_andn2_b64 vcc, exec, s[0:1]
	s_cbranch_vccnz .LBB71_1690
; %bb.1689:
	global_load_dword v1, v[20:21], off
	s_waitcnt vmcnt(0)
	v_cvt_f32_f16_e32 v1, v1
	v_cvt_i32_f32_e32 v1, v1
.LBB71_1690:
	s_cbranch_execnz .LBB71_1701
.LBB71_1691:
	s_cmp_lt_i32 s6, 6
	s_cbranch_scc1 .LBB71_1694
; %bb.1692:
	s_cmp_gt_i32 s6, 6
	s_cbranch_scc0 .LBB71_1695
; %bb.1693:
	global_load_dwordx2 v[22:23], v[20:21], off
	s_mov_b64 s[0:1], 0
	s_waitcnt vmcnt(0)
	v_cvt_i32_f64_e32 v1, v[22:23]
	s_branch .LBB71_1696
.LBB71_1694:
	s_mov_b64 s[0:1], -1
                                        ; implicit-def: $vgpr1
	s_branch .LBB71_1699
.LBB71_1695:
	s_mov_b64 s[0:1], -1
                                        ; implicit-def: $vgpr1
.LBB71_1696:
	s_andn2_b64 vcc, exec, s[0:1]
	s_cbranch_vccnz .LBB71_1698
; %bb.1697:
	global_load_dword v1, v[20:21], off
	s_waitcnt vmcnt(0)
	v_cvt_i32_f32_e32 v1, v1
.LBB71_1698:
	s_mov_b64 s[0:1], 0
.LBB71_1699:
	s_andn2_b64 vcc, exec, s[0:1]
	s_cbranch_vccnz .LBB71_1701
; %bb.1700:
	global_load_ushort v1, v[20:21], off
	s_waitcnt vmcnt(0)
	v_cvt_f32_f16_e32 v1, v1
	v_cvt_i32_f32_e32 v1, v1
.LBB71_1701:
	s_cbranch_execnz .LBB71_1720
.LBB71_1702:
	s_cmp_lt_i32 s6, 2
	s_cbranch_scc1 .LBB71_1706
; %bb.1703:
	s_cmp_lt_i32 s6, 3
	s_cbranch_scc1 .LBB71_1707
; %bb.1704:
	s_cmp_gt_i32 s6, 3
	s_cbranch_scc0 .LBB71_1708
; %bb.1705:
	global_load_dword v1, v[20:21], off
	s_mov_b64 s[0:1], 0
	s_branch .LBB71_1709
.LBB71_1706:
                                        ; implicit-def: $vgpr1
	s_branch .LBB71_1715
.LBB71_1707:
	s_mov_b64 s[0:1], -1
                                        ; implicit-def: $vgpr1
	s_branch .LBB71_1712
.LBB71_1708:
	s_mov_b64 s[0:1], -1
                                        ; implicit-def: $vgpr1
.LBB71_1709:
	s_andn2_b64 vcc, exec, s[0:1]
	s_cbranch_vccnz .LBB71_1711
; %bb.1710:
	global_load_dword v1, v[20:21], off
.LBB71_1711:
	s_mov_b64 s[0:1], 0
.LBB71_1712:
	s_andn2_b64 vcc, exec, s[0:1]
	s_cbranch_vccnz .LBB71_1714
; %bb.1713:
	global_load_sshort v1, v[20:21], off
.LBB71_1714:
	s_cbranch_execnz .LBB71_1720
.LBB71_1715:
	s_cmp_gt_i32 s6, 0
	s_cbranch_scc0 .LBB71_1717
; %bb.1716:
	global_load_sbyte v1, v[20:21], off
	s_mov_b64 s[0:1], 0
	s_branch .LBB71_1718
.LBB71_1717:
	s_mov_b64 s[0:1], -1
                                        ; implicit-def: $vgpr1
.LBB71_1718:
	s_andn2_b64 vcc, exec, s[0:1]
	s_cbranch_vccnz .LBB71_1720
; %bb.1719:
	global_load_ubyte v1, v[20:21], off
.LBB71_1720:
.LBB71_1721:
	s_load_dwordx2 s[0:1], s[2:3], 0x198
	s_lshr_b32 s21, s20, 24
	s_cmp_lt_i32 s21, 11
	s_waitcnt vmcnt(0) lgkmcnt(0)
	v_mov_b32_e32 v3, s1
	v_add_co_u32_e32 v18, vcc, s0, v19
	v_addc_co_u32_e32 v19, vcc, 0, v3, vcc
	s_cbranch_scc1 .LBB71_1728
; %bb.1722:
	s_and_b32 s22, 0xffff, s21
	s_cmp_gt_i32 s22, 25
	s_mov_b64 s[6:7], 0
	s_cbranch_scc0 .LBB71_1730
; %bb.1723:
	s_cmp_gt_i32 s22, 28
	s_cbranch_scc0 .LBB71_1731
; %bb.1724:
	s_cmp_gt_i32 s22, 43
	;; [unrolled: 3-line block ×3, first 2 shown]
	s_cbranch_scc0 .LBB71_1734
; %bb.1726:
	s_cmp_eq_u32 s22, 46
	s_mov_b64 s[18:19], 0
	s_cbranch_scc0 .LBB71_1737
; %bb.1727:
	global_load_dword v3, v[18:19], off
	s_mov_b64 s[2:3], 0
	s_mov_b64 s[16:17], -1
	s_waitcnt vmcnt(0)
	v_lshlrev_b32_e32 v3, 16, v3
	v_cvt_i32_f32_e32 v5, v3
	s_branch .LBB71_1738
.LBB71_1728:
	s_mov_b64 s[16:17], 0
                                        ; implicit-def: $vgpr5
	s_cbranch_execnz .LBB71_1799
.LBB71_1729:
	s_andn2_b64 vcc, exec, s[16:17]
	s_cbranch_vccnz .LBB71_3036
	s_branch .LBB71_1846
.LBB71_1730:
	s_mov_b64 s[16:17], 0
	s_mov_b64 s[2:3], 0
                                        ; implicit-def: $vgpr5
	s_cbranch_execnz .LBB71_1765
	s_branch .LBB71_1795
.LBB71_1731:
	s_mov_b64 s[18:19], -1
	s_mov_b64 s[16:17], 0
	s_mov_b64 s[2:3], 0
                                        ; implicit-def: $vgpr5
	s_branch .LBB71_1748
.LBB71_1732:
	s_mov_b64 s[18:19], -1
	s_mov_b64 s[16:17], 0
	s_mov_b64 s[2:3], 0
                                        ; implicit-def: $vgpr5
	s_branch .LBB71_1743
.LBB71_1733:
	s_or_b64 s[4:5], s[12:13], exec
	s_trap 2
	s_cbranch_execz .LBB71_1674
	s_branch .LBB71_1675
.LBB71_1734:
	s_mov_b64 s[18:19], -1
	s_mov_b64 s[16:17], 0
	s_mov_b64 s[2:3], 0
                                        ; implicit-def: $vgpr5
	s_branch .LBB71_1738
.LBB71_1735:
	s_andn2_saveexec_b64 s[18:19], s[18:19]
	s_cbranch_execz .LBB71_1482
.LBB71_1736:
	s_mov_b32 s26, 0x42800000
	v_add_f32_e64 v2, |v0|, s26
	v_and_b32_e32 v2, 0xff, v2
	v_cmp_ne_u32_e32 vcc, 0, v2
	s_andn2_b64 s[16:17], s[16:17], exec
	s_and_b64 s[26:27], vcc, exec
	s_or_b64 s[16:17], s[16:17], s[26:27]
	s_or_b64 exec, exec, s[18:19]
	v_mov_b32_e32 v5, 0
	s_and_saveexec_b64 s[18:19], s[16:17]
	s_cbranch_execnz .LBB71_1483
	s_branch .LBB71_1484
.LBB71_1737:
	s_mov_b64 s[2:3], -1
                                        ; implicit-def: $vgpr5
	s_mov_b64 s[16:17], 0
.LBB71_1738:
	s_and_b64 vcc, exec, s[18:19]
	s_cbranch_vccz .LBB71_1742
; %bb.1739:
	s_cmp_eq_u32 s22, 44
	s_cbranch_scc0 .LBB71_1741
; %bb.1740:
	global_load_ubyte v3, v[18:19], off
	s_mov_b64 s[2:3], 0
	s_mov_b64 s[16:17], -1
	s_waitcnt vmcnt(0)
	v_lshlrev_b32_e32 v5, 23, v3
	v_cvt_i32_f32_e32 v5, v5
	v_cmp_ne_u32_e32 vcc, 0, v3
	v_cndmask_b32_e32 v5, 0, v5, vcc
	s_branch .LBB71_1742
.LBB71_1741:
	s_mov_b64 s[2:3], -1
                                        ; implicit-def: $vgpr5
.LBB71_1742:
	s_mov_b64 s[18:19], 0
.LBB71_1743:
	s_and_b64 vcc, exec, s[18:19]
	s_cbranch_vccz .LBB71_1747
; %bb.1744:
	s_cmp_eq_u32 s22, 29
	s_cbranch_scc0 .LBB71_1746
; %bb.1745:
	global_load_dword v5, v[18:19], off
	s_mov_b64 s[2:3], 0
	s_mov_b64 s[16:17], -1
	s_branch .LBB71_1747
.LBB71_1746:
	s_mov_b64 s[2:3], -1
                                        ; implicit-def: $vgpr5
.LBB71_1747:
	s_mov_b64 s[18:19], 0
.LBB71_1748:
	s_and_b64 vcc, exec, s[18:19]
	s_cbranch_vccz .LBB71_1764
; %bb.1749:
	s_cmp_lt_i32 s22, 27
	s_cbranch_scc1 .LBB71_1752
; %bb.1750:
	s_cmp_gt_i32 s22, 27
	s_cbranch_scc0 .LBB71_1753
; %bb.1751:
	global_load_dword v5, v[18:19], off
	s_mov_b64 s[16:17], 0
	s_branch .LBB71_1754
.LBB71_1752:
	s_mov_b64 s[16:17], -1
                                        ; implicit-def: $vgpr5
	s_branch .LBB71_1757
.LBB71_1753:
	s_mov_b64 s[16:17], -1
                                        ; implicit-def: $vgpr5
.LBB71_1754:
	s_andn2_b64 vcc, exec, s[16:17]
	s_cbranch_vccnz .LBB71_1756
; %bb.1755:
	global_load_ushort v5, v[18:19], off
.LBB71_1756:
	s_mov_b64 s[16:17], 0
.LBB71_1757:
	s_andn2_b64 vcc, exec, s[16:17]
	s_cbranch_vccnz .LBB71_1763
; %bb.1758:
	global_load_ubyte v3, v[18:19], off
	s_movk_i32 s16, 0x7f
	s_mov_b64 s[18:19], 0
	s_waitcnt vmcnt(0)
	v_cmp_lt_i16_e32 vcc, s16, v3
	s_and_saveexec_b64 s[16:17], vcc
	s_xor_b64 s[16:17], exec, s[16:17]
	s_cbranch_execz .LBB71_1774
; %bb.1759:
	s_movk_i32 s18, 0x80
	v_cmp_ne_u16_e32 vcc, s18, v3
	s_and_b64 s[18:19], vcc, exec
	s_andn2_saveexec_b64 s[16:17], s[16:17]
	s_cbranch_execnz .LBB71_1775
.LBB71_1760:
	s_or_b64 exec, exec, s[16:17]
	v_mov_b32_e32 v5, 0
	s_and_saveexec_b64 s[16:17], s[18:19]
	s_cbranch_execz .LBB71_1762
.LBB71_1761:
	v_lshlrev_b32_e32 v5, 24, v3
	v_and_b32_e32 v3, 0xffff, v3
	v_and_b32_e32 v8, 7, v3
	v_ffbh_u32_e32 v12, v8
	v_min_u32_e32 v12, 32, v12
	v_subrev_u32_e32 v14, 28, v12
	v_bfe_u32 v10, v3, 3, 4
	v_lshlrev_b32_e32 v3, v14, v3
	v_sub_u32_e32 v12, 29, v12
	v_and_b32_e32 v3, 7, v3
	v_cmp_eq_u32_e32 vcc, 0, v10
	v_cndmask_b32_e32 v10, v10, v12, vcc
	v_cndmask_b32_e32 v3, v8, v3, vcc
	v_mov_b32_e32 v8, 0x3b800000
	v_lshlrev_b32_e32 v3, 20, v3
	v_and_b32_e32 v5, 0x80000000, v5
	v_lshl_add_u32 v8, v10, 23, v8
	v_or3_b32 v3, v5, v8, v3
	v_cvt_i32_f32_e32 v5, v3
.LBB71_1762:
	s_or_b64 exec, exec, s[16:17]
.LBB71_1763:
	s_mov_b64 s[16:17], -1
.LBB71_1764:
	s_branch .LBB71_1795
.LBB71_1765:
	s_cmp_gt_i32 s22, 22
	s_cbranch_scc0 .LBB71_1773
; %bb.1766:
	s_cmp_lt_i32 s22, 24
	s_cbranch_scc1 .LBB71_1776
; %bb.1767:
	s_cmp_gt_i32 s22, 24
	s_cbranch_scc0 .LBB71_1777
; %bb.1768:
	global_load_ubyte v3, v[18:19], off
	s_movk_i32 s6, 0x7f
	s_mov_b64 s[16:17], 0
	s_waitcnt vmcnt(0)
	v_cmp_lt_i16_e32 vcc, s6, v3
	s_and_saveexec_b64 s[6:7], vcc
	s_xor_b64 s[6:7], exec, s[6:7]
	s_cbranch_execz .LBB71_1789
; %bb.1769:
	s_movk_i32 s16, 0x80
	v_cmp_ne_u16_e32 vcc, s16, v3
	s_and_b64 s[16:17], vcc, exec
	s_andn2_saveexec_b64 s[6:7], s[6:7]
	s_cbranch_execnz .LBB71_1790
.LBB71_1770:
	s_or_b64 exec, exec, s[6:7]
	v_mov_b32_e32 v5, 0
	s_and_saveexec_b64 s[6:7], s[16:17]
	s_cbranch_execz .LBB71_1772
.LBB71_1771:
	v_lshlrev_b32_e32 v5, 24, v3
	v_and_b32_e32 v3, 0xffff, v3
	v_and_b32_e32 v8, 3, v3
	v_ffbh_u32_e32 v12, v8
	v_min_u32_e32 v12, 32, v12
	v_subrev_u32_e32 v14, 29, v12
	v_bfe_u32 v10, v3, 2, 5
	v_lshlrev_b32_e32 v3, v14, v3
	v_sub_u32_e32 v12, 30, v12
	v_and_b32_e32 v3, 3, v3
	v_cmp_eq_u32_e32 vcc, 0, v10
	v_cndmask_b32_e32 v10, v10, v12, vcc
	v_cndmask_b32_e32 v3, v8, v3, vcc
	v_mov_b32_e32 v8, 0x37800000
	v_lshlrev_b32_e32 v3, 21, v3
	v_and_b32_e32 v5, 0x80000000, v5
	v_lshl_add_u32 v8, v10, 23, v8
	v_or3_b32 v3, v5, v8, v3
	v_cvt_i32_f32_e32 v5, v3
.LBB71_1772:
	s_or_b64 exec, exec, s[6:7]
	s_mov_b64 s[6:7], 0
	s_branch .LBB71_1778
.LBB71_1773:
	s_mov_b64 s[6:7], -1
                                        ; implicit-def: $vgpr5
	s_branch .LBB71_1784
.LBB71_1774:
	s_andn2_saveexec_b64 s[16:17], s[16:17]
	s_cbranch_execz .LBB71_1760
.LBB71_1775:
	v_cmp_ne_u16_e32 vcc, 0, v3
	s_andn2_b64 s[18:19], s[18:19], exec
	s_and_b64 s[24:25], vcc, exec
	s_or_b64 s[18:19], s[18:19], s[24:25]
	s_or_b64 exec, exec, s[16:17]
	v_mov_b32_e32 v5, 0
	s_and_saveexec_b64 s[16:17], s[18:19]
	s_cbranch_execnz .LBB71_1761
	s_branch .LBB71_1762
.LBB71_1776:
	s_mov_b64 s[6:7], -1
                                        ; implicit-def: $vgpr5
	s_branch .LBB71_1781
.LBB71_1777:
	s_mov_b64 s[6:7], -1
                                        ; implicit-def: $vgpr5
.LBB71_1778:
	s_and_b64 vcc, exec, s[6:7]
	s_cbranch_vccz .LBB71_1780
; %bb.1779:
	global_load_ubyte v3, v[18:19], off
	s_mov_b32 s6, 0x7f800000
	s_waitcnt vmcnt(0)
	v_lshlrev_b32_e32 v3, 24, v3
	v_and_b32_e32 v5, 0x7f000000, v3
	v_ffbh_u32_e32 v8, v5
	v_min_u32_e32 v8, 32, v8
	v_sub_u32_e64 v8, v8, 4 clamp
	v_lshlrev_b32_e32 v12, v8, v5
	v_lshlrev_b32_e32 v8, 23, v8
	v_lshrrev_b32_e32 v12, 4, v12
	v_add_u32_e32 v10, 0x1000000, v5
	v_sub_u32_e32 v8, v12, v8
	v_ashrrev_i32_e32 v10, 8, v10
	v_add_u32_e32 v8, 0x3c000000, v8
	v_and_or_b32 v8, v10, s6, v8
	v_cmp_ne_u32_e32 vcc, 0, v5
	v_cndmask_b32_e32 v5, 0, v8, vcc
	s_brev_b32 s6, 1
	v_and_or_b32 v3, v3, s6, v5
	v_cvt_i32_f32_e32 v5, v3
.LBB71_1780:
	s_mov_b64 s[6:7], 0
.LBB71_1781:
	s_andn2_b64 vcc, exec, s[6:7]
	s_cbranch_vccnz .LBB71_1783
; %bb.1782:
	global_load_ubyte v3, v[18:19], off
	s_movk_i32 s6, 0x7f00
	s_brev_b32 s7, 16
	s_waitcnt vmcnt(0)
	v_lshlrev_b16_e32 v5, 8, v3
	v_lshlrev_b32_e32 v3, 25, v3
	v_lshrrev_b32_e32 v8, 4, v3
	v_and_or_b32 v10, v5, s6, 0.5
	v_or_b32_e32 v8, 0x70000000, v8
	v_add_f32_e32 v10, -0.5, v10
	v_mul_f32_e32 v8, 0x7800000, v8
	v_cmp_gt_u32_e32 vcc, s7, v3
	v_bfe_i32 v5, v5, 0, 16
	v_cndmask_b32_e32 v3, v8, v10, vcc
	s_brev_b32 s6, 1
	v_and_or_b32 v3, v5, s6, v3
	v_cvt_i32_f32_e32 v5, v3
.LBB71_1783:
	s_mov_b64 s[6:7], 0
	s_mov_b64 s[16:17], -1
.LBB71_1784:
	s_andn2_b64 vcc, exec, s[6:7]
	s_mov_b64 s[6:7], 0
	s_cbranch_vccnz .LBB71_1795
; %bb.1785:
	s_cmp_gt_i32 s22, 14
	s_cbranch_scc0 .LBB71_1788
; %bb.1786:
	s_cmp_eq_u32 s22, 15
	s_cbranch_scc0 .LBB71_1791
; %bb.1787:
	global_load_ushort v3, v[18:19], off
	s_mov_b64 s[2:3], 0
	s_mov_b64 s[16:17], -1
	s_waitcnt vmcnt(0)
	v_lshlrev_b32_e32 v3, 16, v3
	v_cvt_i32_f32_e32 v5, v3
	s_branch .LBB71_1792
.LBB71_1788:
	s_mov_b64 s[18:19], -1
                                        ; implicit-def: $vgpr5
	s_branch .LBB71_1793
.LBB71_1789:
	s_andn2_saveexec_b64 s[6:7], s[6:7]
	s_cbranch_execz .LBB71_1770
.LBB71_1790:
	v_cmp_ne_u16_e32 vcc, 0, v3
	s_andn2_b64 s[16:17], s[16:17], exec
	s_and_b64 s[18:19], vcc, exec
	s_or_b64 s[16:17], s[16:17], s[18:19]
	s_or_b64 exec, exec, s[6:7]
	v_mov_b32_e32 v5, 0
	s_and_saveexec_b64 s[6:7], s[16:17]
	s_cbranch_execnz .LBB71_1771
	s_branch .LBB71_1772
.LBB71_1791:
	s_mov_b64 s[2:3], -1
                                        ; implicit-def: $vgpr5
.LBB71_1792:
	s_mov_b64 s[18:19], 0
.LBB71_1793:
	s_and_b64 vcc, exec, s[18:19]
	s_cbranch_vccz .LBB71_1795
; %bb.1794:
	s_cmp_lg_u32 s22, 11
	s_mov_b64 s[6:7], -1
	s_cselect_b64 s[2:3], -1, 0
.LBB71_1795:
	s_and_b64 vcc, exec, s[2:3]
	s_cbranch_vccnz .LBB71_1858
; %bb.1796:
	s_andn2_b64 vcc, exec, s[6:7]
	s_cbranch_vccnz .LBB71_1798
.LBB71_1797:
	global_load_ubyte v3, v[18:19], off
	s_mov_b64 s[16:17], -1
	s_waitcnt vmcnt(0)
	v_cmp_ne_u16_e32 vcc, 0, v3
	v_cndmask_b32_e64 v5, 0, 1, vcc
.LBB71_1798:
	s_branch .LBB71_1729
.LBB71_1799:
	s_and_b32 s6, 0xffff, s21
	s_cmp_lt_i32 s6, 5
	s_cbranch_scc1 .LBB71_1804
; %bb.1800:
	s_cmp_lt_i32 s6, 8
	s_cbranch_scc1 .LBB71_1805
; %bb.1801:
	;; [unrolled: 3-line block ×3, first 2 shown]
	s_cmp_gt_i32 s6, 9
	s_cbranch_scc0 .LBB71_1807
; %bb.1803:
	global_load_dwordx2 v[20:21], v[18:19], off
	s_mov_b64 s[2:3], 0
	s_waitcnt vmcnt(0)
	v_cvt_i32_f64_e32 v5, v[20:21]
	s_branch .LBB71_1808
.LBB71_1804:
                                        ; implicit-def: $vgpr5
	s_branch .LBB71_1826
.LBB71_1805:
	s_mov_b64 s[2:3], -1
                                        ; implicit-def: $vgpr5
	s_branch .LBB71_1814
.LBB71_1806:
	s_mov_b64 s[2:3], -1
                                        ; implicit-def: $vgpr5
	s_branch .LBB71_1811
.LBB71_1807:
	s_mov_b64 s[2:3], -1
                                        ; implicit-def: $vgpr5
.LBB71_1808:
	s_andn2_b64 vcc, exec, s[2:3]
	s_cbranch_vccnz .LBB71_1810
; %bb.1809:
	global_load_dword v3, v[18:19], off
	s_waitcnt vmcnt(0)
	v_cvt_i32_f32_e32 v5, v3
.LBB71_1810:
	s_mov_b64 s[2:3], 0
.LBB71_1811:
	s_andn2_b64 vcc, exec, s[2:3]
	s_cbranch_vccnz .LBB71_1813
; %bb.1812:
	global_load_dword v3, v[18:19], off
	s_waitcnt vmcnt(0)
	v_cvt_f32_f16_e32 v3, v3
	v_cvt_i32_f32_e32 v5, v3
.LBB71_1813:
	s_mov_b64 s[2:3], 0
.LBB71_1814:
	s_andn2_b64 vcc, exec, s[2:3]
	s_cbranch_vccnz .LBB71_1825
; %bb.1815:
	s_cmp_lt_i32 s6, 6
	s_cbranch_scc1 .LBB71_1818
; %bb.1816:
	s_cmp_gt_i32 s6, 6
	s_cbranch_scc0 .LBB71_1819
; %bb.1817:
	global_load_dwordx2 v[20:21], v[18:19], off
	s_mov_b64 s[2:3], 0
	s_waitcnt vmcnt(0)
	v_cvt_i32_f64_e32 v5, v[20:21]
	s_branch .LBB71_1820
.LBB71_1818:
	s_mov_b64 s[2:3], -1
                                        ; implicit-def: $vgpr5
	s_branch .LBB71_1823
.LBB71_1819:
	s_mov_b64 s[2:3], -1
                                        ; implicit-def: $vgpr5
.LBB71_1820:
	s_andn2_b64 vcc, exec, s[2:3]
	s_cbranch_vccnz .LBB71_1822
; %bb.1821:
	global_load_dword v3, v[18:19], off
	s_waitcnt vmcnt(0)
	v_cvt_i32_f32_e32 v5, v3
.LBB71_1822:
	s_mov_b64 s[2:3], 0
.LBB71_1823:
	s_andn2_b64 vcc, exec, s[2:3]
	s_cbranch_vccnz .LBB71_1825
; %bb.1824:
	global_load_ushort v3, v[18:19], off
	s_waitcnt vmcnt(0)
	v_cvt_f32_f16_e32 v3, v3
	v_cvt_i32_f32_e32 v5, v3
.LBB71_1825:
	s_cbranch_execnz .LBB71_1845
.LBB71_1826:
	s_cmp_lt_i32 s6, 2
	s_cbranch_scc1 .LBB71_1830
; %bb.1827:
	s_cmp_lt_i32 s6, 3
	s_cbranch_scc1 .LBB71_1831
; %bb.1828:
	s_cmp_gt_i32 s6, 3
	s_cbranch_scc0 .LBB71_1832
; %bb.1829:
	global_load_dword v5, v[18:19], off
	s_mov_b64 s[2:3], 0
	s_branch .LBB71_1833
.LBB71_1830:
	s_mov_b64 s[2:3], -1
                                        ; implicit-def: $vgpr5
	s_branch .LBB71_1839
.LBB71_1831:
	s_mov_b64 s[2:3], -1
                                        ; implicit-def: $vgpr5
	s_branch .LBB71_1836
.LBB71_1832:
	s_mov_b64 s[2:3], -1
                                        ; implicit-def: $vgpr5
.LBB71_1833:
	s_andn2_b64 vcc, exec, s[2:3]
	s_cbranch_vccnz .LBB71_1835
; %bb.1834:
	global_load_dword v5, v[18:19], off
.LBB71_1835:
	s_mov_b64 s[2:3], 0
.LBB71_1836:
	s_andn2_b64 vcc, exec, s[2:3]
	s_cbranch_vccnz .LBB71_1838
; %bb.1837:
	global_load_sshort v5, v[18:19], off
.LBB71_1838:
	s_mov_b64 s[2:3], 0
.LBB71_1839:
	s_andn2_b64 vcc, exec, s[2:3]
	s_cbranch_vccnz .LBB71_1845
; %bb.1840:
	s_cmp_gt_i32 s6, 0
	s_cbranch_scc0 .LBB71_1842
; %bb.1841:
	global_load_sbyte v5, v[18:19], off
	s_mov_b64 s[2:3], 0
	s_branch .LBB71_1843
.LBB71_1842:
	s_mov_b64 s[2:3], -1
                                        ; implicit-def: $vgpr5
.LBB71_1843:
	s_andn2_b64 vcc, exec, s[2:3]
	s_cbranch_vccnz .LBB71_1845
; %bb.1844:
	global_load_ubyte v5, v[18:19], off
.LBB71_1845:
.LBB71_1846:
	s_lshr_b32 s2, s20, 16
	v_mov_b32_e32 v3, s11
	s_and_b32 s22, s2, 0xff
	v_add_co_u32_e32 v16, vcc, s10, v17
	s_cmp_lt_i32 s22, 11
	v_addc_co_u32_e32 v17, vcc, 0, v3, vcc
	s_cbranch_scc1 .LBB71_1853
; %bb.1847:
	s_and_b32 s23, 0xffff, s22
	s_cmp_gt_i32 s23, 25
	s_mov_b64 s[6:7], 0
	s_cbranch_scc0 .LBB71_1855
; %bb.1848:
	s_cmp_gt_i32 s23, 28
	s_cbranch_scc0 .LBB71_1856
; %bb.1849:
	s_cmp_gt_i32 s23, 43
	;; [unrolled: 3-line block ×3, first 2 shown]
	s_cbranch_scc0 .LBB71_1859
; %bb.1851:
	s_cmp_eq_u32 s23, 46
	s_mov_b64 s[18:19], 0
	s_cbranch_scc0 .LBB71_1860
; %bb.1852:
	global_load_dword v3, v[16:17], off
	s_mov_b64 s[2:3], 0
	s_mov_b64 s[16:17], -1
	s_waitcnt vmcnt(0)
	v_lshlrev_b32_e32 v3, 16, v3
	v_cvt_i32_f32_e32 v3, v3
	s_branch .LBB71_1861
.LBB71_1853:
	s_mov_b64 s[16:17], 0
                                        ; implicit-def: $vgpr3
	s_cbranch_execnz .LBB71_1923
.LBB71_1854:
	s_andn2_b64 vcc, exec, s[16:17]
	s_cbranch_vccnz .LBB71_3036
	s_branch .LBB71_1971
.LBB71_1855:
	s_mov_b64 s[18:19], -1
	s_mov_b64 s[16:17], 0
	s_mov_b64 s[2:3], 0
                                        ; implicit-def: $vgpr3
	s_branch .LBB71_1888
.LBB71_1856:
	s_mov_b64 s[18:19], -1
	s_mov_b64 s[16:17], 0
	s_mov_b64 s[2:3], 0
                                        ; implicit-def: $vgpr3
	s_branch .LBB71_1871
.LBB71_1857:
	s_mov_b64 s[18:19], -1
	s_mov_b64 s[16:17], 0
	s_mov_b64 s[2:3], 0
                                        ; implicit-def: $vgpr3
	s_branch .LBB71_1866
.LBB71_1858:
	s_trap 2
	s_or_b64 s[4:5], s[4:5], exec
	s_cbranch_execz .LBB71_1797
	s_branch .LBB71_1798
.LBB71_1859:
	s_mov_b64 s[18:19], -1
	s_mov_b64 s[16:17], 0
	s_mov_b64 s[2:3], 0
                                        ; implicit-def: $vgpr3
	s_branch .LBB71_1861
.LBB71_1860:
	s_mov_b64 s[2:3], -1
                                        ; implicit-def: $vgpr3
	s_mov_b64 s[16:17], 0
.LBB71_1861:
	s_and_b64 vcc, exec, s[18:19]
	s_cbranch_vccz .LBB71_1865
; %bb.1862:
	s_cmp_eq_u32 s23, 44
	s_cbranch_scc0 .LBB71_1864
; %bb.1863:
	global_load_ubyte v3, v[16:17], off
	s_mov_b64 s[2:3], 0
	s_mov_b64 s[16:17], -1
	s_waitcnt vmcnt(0)
	v_lshlrev_b32_e32 v8, 23, v3
	v_cvt_i32_f32_e32 v8, v8
	v_cmp_ne_u32_e32 vcc, 0, v3
	v_cndmask_b32_e32 v3, 0, v8, vcc
	s_branch .LBB71_1865
.LBB71_1864:
	s_mov_b64 s[2:3], -1
                                        ; implicit-def: $vgpr3
.LBB71_1865:
	s_mov_b64 s[18:19], 0
.LBB71_1866:
	s_and_b64 vcc, exec, s[18:19]
	s_cbranch_vccz .LBB71_1870
; %bb.1867:
	s_cmp_eq_u32 s23, 29
	s_cbranch_scc0 .LBB71_1869
; %bb.1868:
	global_load_dword v3, v[16:17], off
	s_mov_b64 s[2:3], 0
	s_mov_b64 s[16:17], -1
	s_branch .LBB71_1870
.LBB71_1869:
	s_mov_b64 s[2:3], -1
                                        ; implicit-def: $vgpr3
.LBB71_1870:
	s_mov_b64 s[18:19], 0
.LBB71_1871:
	s_and_b64 vcc, exec, s[18:19]
	s_cbranch_vccz .LBB71_1887
; %bb.1872:
	s_cmp_lt_i32 s23, 27
	s_cbranch_scc1 .LBB71_1875
; %bb.1873:
	s_cmp_gt_i32 s23, 27
	s_cbranch_scc0 .LBB71_1876
; %bb.1874:
	global_load_dword v3, v[16:17], off
	s_mov_b64 s[16:17], 0
	s_branch .LBB71_1877
.LBB71_1875:
	s_mov_b64 s[16:17], -1
                                        ; implicit-def: $vgpr3
	s_branch .LBB71_1880
.LBB71_1876:
	s_mov_b64 s[16:17], -1
                                        ; implicit-def: $vgpr3
.LBB71_1877:
	s_andn2_b64 vcc, exec, s[16:17]
	s_cbranch_vccnz .LBB71_1879
; %bb.1878:
	global_load_ushort v3, v[16:17], off
.LBB71_1879:
	s_mov_b64 s[16:17], 0
.LBB71_1880:
	s_andn2_b64 vcc, exec, s[16:17]
	s_cbranch_vccnz .LBB71_1886
; %bb.1881:
	global_load_ubyte v8, v[16:17], off
	s_movk_i32 s16, 0x7f
	s_mov_b64 s[18:19], 0
	s_waitcnt vmcnt(0)
	v_cmp_lt_i16_e32 vcc, s16, v8
	s_and_saveexec_b64 s[16:17], vcc
	s_xor_b64 s[16:17], exec, s[16:17]
	s_cbranch_execz .LBB71_1898
; %bb.1882:
	s_movk_i32 s18, 0x80
	v_cmp_ne_u16_e32 vcc, s18, v8
	s_and_b64 s[18:19], vcc, exec
	s_andn2_saveexec_b64 s[16:17], s[16:17]
	s_cbranch_execnz .LBB71_1899
.LBB71_1883:
	s_or_b64 exec, exec, s[16:17]
	v_mov_b32_e32 v3, 0
	s_and_saveexec_b64 s[16:17], s[18:19]
	s_cbranch_execz .LBB71_1885
.LBB71_1884:
	v_lshlrev_b32_e32 v3, 24, v8
	v_and_b32_e32 v8, 0xffff, v8
	v_and_b32_e32 v10, 7, v8
	v_ffbh_u32_e32 v14, v10
	v_min_u32_e32 v14, 32, v14
	v_subrev_u32_e32 v18, 28, v14
	v_bfe_u32 v12, v8, 3, 4
	v_lshlrev_b32_e32 v8, v18, v8
	v_sub_u32_e32 v14, 29, v14
	v_and_b32_e32 v8, 7, v8
	v_cmp_eq_u32_e32 vcc, 0, v12
	v_cndmask_b32_e32 v12, v12, v14, vcc
	v_cndmask_b32_e32 v8, v10, v8, vcc
	v_mov_b32_e32 v10, 0x3b800000
	v_lshlrev_b32_e32 v8, 20, v8
	v_and_b32_e32 v3, 0x80000000, v3
	v_lshl_add_u32 v10, v12, 23, v10
	v_or3_b32 v3, v3, v10, v8
	v_cvt_i32_f32_e32 v3, v3
.LBB71_1885:
	s_or_b64 exec, exec, s[16:17]
.LBB71_1886:
	s_mov_b64 s[16:17], -1
.LBB71_1887:
	s_mov_b64 s[18:19], 0
.LBB71_1888:
	s_and_b64 vcc, exec, s[18:19]
	s_cbranch_vccz .LBB71_1919
; %bb.1889:
	s_cmp_gt_i32 s23, 22
	s_cbranch_scc0 .LBB71_1897
; %bb.1890:
	s_cmp_lt_i32 s23, 24
	s_cbranch_scc1 .LBB71_1900
; %bb.1891:
	s_cmp_gt_i32 s23, 24
	s_cbranch_scc0 .LBB71_1901
; %bb.1892:
	global_load_ubyte v8, v[16:17], off
	s_movk_i32 s6, 0x7f
	s_mov_b64 s[16:17], 0
	s_waitcnt vmcnt(0)
	v_cmp_lt_i16_e32 vcc, s6, v8
	s_and_saveexec_b64 s[6:7], vcc
	s_xor_b64 s[6:7], exec, s[6:7]
	s_cbranch_execz .LBB71_1913
; %bb.1893:
	s_movk_i32 s16, 0x80
	v_cmp_ne_u16_e32 vcc, s16, v8
	s_and_b64 s[16:17], vcc, exec
	s_andn2_saveexec_b64 s[6:7], s[6:7]
	s_cbranch_execnz .LBB71_1914
.LBB71_1894:
	s_or_b64 exec, exec, s[6:7]
	v_mov_b32_e32 v3, 0
	s_and_saveexec_b64 s[6:7], s[16:17]
	s_cbranch_execz .LBB71_1896
.LBB71_1895:
	v_lshlrev_b32_e32 v3, 24, v8
	v_and_b32_e32 v8, 0xffff, v8
	v_and_b32_e32 v10, 3, v8
	v_ffbh_u32_e32 v14, v10
	v_min_u32_e32 v14, 32, v14
	v_subrev_u32_e32 v18, 29, v14
	v_bfe_u32 v12, v8, 2, 5
	v_lshlrev_b32_e32 v8, v18, v8
	v_sub_u32_e32 v14, 30, v14
	v_and_b32_e32 v8, 3, v8
	v_cmp_eq_u32_e32 vcc, 0, v12
	v_cndmask_b32_e32 v12, v12, v14, vcc
	v_cndmask_b32_e32 v8, v10, v8, vcc
	v_mov_b32_e32 v10, 0x37800000
	v_lshlrev_b32_e32 v8, 21, v8
	v_and_b32_e32 v3, 0x80000000, v3
	v_lshl_add_u32 v10, v12, 23, v10
	v_or3_b32 v3, v3, v10, v8
	v_cvt_i32_f32_e32 v3, v3
.LBB71_1896:
	s_or_b64 exec, exec, s[6:7]
	s_mov_b64 s[6:7], 0
	s_branch .LBB71_1902
.LBB71_1897:
	s_mov_b64 s[6:7], -1
                                        ; implicit-def: $vgpr3
	s_branch .LBB71_1908
.LBB71_1898:
	s_andn2_saveexec_b64 s[16:17], s[16:17]
	s_cbranch_execz .LBB71_1883
.LBB71_1899:
	v_cmp_ne_u16_e32 vcc, 0, v8
	s_andn2_b64 s[18:19], s[18:19], exec
	s_and_b64 s[24:25], vcc, exec
	s_or_b64 s[18:19], s[18:19], s[24:25]
	s_or_b64 exec, exec, s[16:17]
	v_mov_b32_e32 v3, 0
	s_and_saveexec_b64 s[16:17], s[18:19]
	s_cbranch_execnz .LBB71_1884
	s_branch .LBB71_1885
.LBB71_1900:
	s_mov_b64 s[6:7], -1
                                        ; implicit-def: $vgpr3
	s_branch .LBB71_1905
.LBB71_1901:
	s_mov_b64 s[6:7], -1
                                        ; implicit-def: $vgpr3
.LBB71_1902:
	s_and_b64 vcc, exec, s[6:7]
	s_cbranch_vccz .LBB71_1904
; %bb.1903:
	global_load_ubyte v3, v[16:17], off
	s_mov_b32 s6, 0x7f800000
	s_waitcnt vmcnt(0)
	v_lshlrev_b32_e32 v3, 24, v3
	v_and_b32_e32 v8, 0x7f000000, v3
	v_ffbh_u32_e32 v10, v8
	v_min_u32_e32 v10, 32, v10
	v_sub_u32_e64 v10, v10, 4 clamp
	v_lshlrev_b32_e32 v14, v10, v8
	v_lshlrev_b32_e32 v10, 23, v10
	v_lshrrev_b32_e32 v14, 4, v14
	v_add_u32_e32 v12, 0x1000000, v8
	v_sub_u32_e32 v10, v14, v10
	v_ashrrev_i32_e32 v12, 8, v12
	v_add_u32_e32 v10, 0x3c000000, v10
	v_and_or_b32 v10, v12, s6, v10
	v_cmp_ne_u32_e32 vcc, 0, v8
	v_cndmask_b32_e32 v8, 0, v10, vcc
	s_brev_b32 s6, 1
	v_and_or_b32 v3, v3, s6, v8
	v_cvt_i32_f32_e32 v3, v3
.LBB71_1904:
	s_mov_b64 s[6:7], 0
.LBB71_1905:
	s_andn2_b64 vcc, exec, s[6:7]
	s_cbranch_vccnz .LBB71_1907
; %bb.1906:
	global_load_ubyte v3, v[16:17], off
	s_movk_i32 s6, 0x7f00
	s_brev_b32 s7, 16
	s_waitcnt vmcnt(0)
	v_lshlrev_b16_e32 v8, 8, v3
	v_lshlrev_b32_e32 v3, 25, v3
	v_lshrrev_b32_e32 v10, 4, v3
	v_and_or_b32 v12, v8, s6, 0.5
	v_or_b32_e32 v10, 0x70000000, v10
	v_add_f32_e32 v12, -0.5, v12
	v_mul_f32_e32 v10, 0x7800000, v10
	v_cmp_gt_u32_e32 vcc, s7, v3
	v_bfe_i32 v8, v8, 0, 16
	v_cndmask_b32_e32 v3, v10, v12, vcc
	s_brev_b32 s6, 1
	v_and_or_b32 v3, v8, s6, v3
	v_cvt_i32_f32_e32 v3, v3
.LBB71_1907:
	s_mov_b64 s[6:7], 0
	s_mov_b64 s[16:17], -1
.LBB71_1908:
	s_andn2_b64 vcc, exec, s[6:7]
	s_mov_b64 s[6:7], 0
	s_cbranch_vccnz .LBB71_1919
; %bb.1909:
	s_cmp_gt_i32 s23, 14
	s_cbranch_scc0 .LBB71_1912
; %bb.1910:
	s_cmp_eq_u32 s23, 15
	s_cbranch_scc0 .LBB71_1915
; %bb.1911:
	global_load_ushort v3, v[16:17], off
	s_mov_b64 s[2:3], 0
	s_mov_b64 s[16:17], -1
	s_waitcnt vmcnt(0)
	v_lshlrev_b32_e32 v3, 16, v3
	v_cvt_i32_f32_e32 v3, v3
	s_branch .LBB71_1916
.LBB71_1912:
	s_mov_b64 s[18:19], -1
                                        ; implicit-def: $vgpr3
	s_branch .LBB71_1917
.LBB71_1913:
	s_andn2_saveexec_b64 s[6:7], s[6:7]
	s_cbranch_execz .LBB71_1894
.LBB71_1914:
	v_cmp_ne_u16_e32 vcc, 0, v8
	s_andn2_b64 s[16:17], s[16:17], exec
	s_and_b64 s[18:19], vcc, exec
	s_or_b64 s[16:17], s[16:17], s[18:19]
	s_or_b64 exec, exec, s[6:7]
	v_mov_b32_e32 v3, 0
	s_and_saveexec_b64 s[6:7], s[16:17]
	s_cbranch_execnz .LBB71_1895
	s_branch .LBB71_1896
.LBB71_1915:
	s_mov_b64 s[2:3], -1
                                        ; implicit-def: $vgpr3
.LBB71_1916:
	s_mov_b64 s[18:19], 0
.LBB71_1917:
	s_and_b64 vcc, exec, s[18:19]
	s_cbranch_vccz .LBB71_1919
; %bb.1918:
	s_cmp_lg_u32 s23, 11
	s_mov_b64 s[6:7], -1
	s_cselect_b64 s[2:3], -1, 0
.LBB71_1919:
	s_and_b64 vcc, exec, s[2:3]
	s_cbranch_vccnz .LBB71_1982
; %bb.1920:
	s_andn2_b64 vcc, exec, s[6:7]
	s_cbranch_vccnz .LBB71_1922
.LBB71_1921:
	global_load_ubyte v3, v[16:17], off
	s_mov_b64 s[16:17], -1
	s_waitcnt vmcnt(0)
	v_cmp_ne_u16_e32 vcc, 0, v3
	v_cndmask_b32_e64 v3, 0, 1, vcc
.LBB71_1922:
	s_branch .LBB71_1854
.LBB71_1923:
	s_and_b32 s6, 0xffff, s22
	s_cmp_lt_i32 s6, 5
	s_cbranch_scc1 .LBB71_1928
; %bb.1924:
	s_cmp_lt_i32 s6, 8
	s_cbranch_scc1 .LBB71_1929
; %bb.1925:
	;; [unrolled: 3-line block ×3, first 2 shown]
	s_cmp_gt_i32 s6, 9
	s_cbranch_scc0 .LBB71_1931
; %bb.1927:
	global_load_dwordx2 v[18:19], v[16:17], off
	s_mov_b64 s[2:3], 0
	s_waitcnt vmcnt(0)
	v_cvt_i32_f64_e32 v3, v[18:19]
	s_branch .LBB71_1932
.LBB71_1928:
	s_mov_b64 s[2:3], -1
                                        ; implicit-def: $vgpr3
	s_branch .LBB71_1950
.LBB71_1929:
	s_mov_b64 s[2:3], -1
                                        ; implicit-def: $vgpr3
	s_branch .LBB71_1938
.LBB71_1930:
	s_mov_b64 s[2:3], -1
                                        ; implicit-def: $vgpr3
	s_branch .LBB71_1935
.LBB71_1931:
	s_mov_b64 s[2:3], -1
                                        ; implicit-def: $vgpr3
.LBB71_1932:
	s_andn2_b64 vcc, exec, s[2:3]
	s_cbranch_vccnz .LBB71_1934
; %bb.1933:
	global_load_dword v3, v[16:17], off
	s_waitcnt vmcnt(0)
	v_cvt_i32_f32_e32 v3, v3
.LBB71_1934:
	s_mov_b64 s[2:3], 0
.LBB71_1935:
	s_andn2_b64 vcc, exec, s[2:3]
	s_cbranch_vccnz .LBB71_1937
; %bb.1936:
	global_load_dword v3, v[16:17], off
	s_waitcnt vmcnt(0)
	v_cvt_f32_f16_e32 v3, v3
	v_cvt_i32_f32_e32 v3, v3
.LBB71_1937:
	s_mov_b64 s[2:3], 0
.LBB71_1938:
	s_andn2_b64 vcc, exec, s[2:3]
	s_cbranch_vccnz .LBB71_1949
; %bb.1939:
	s_cmp_lt_i32 s6, 6
	s_cbranch_scc1 .LBB71_1942
; %bb.1940:
	s_cmp_gt_i32 s6, 6
	s_cbranch_scc0 .LBB71_1943
; %bb.1941:
	global_load_dwordx2 v[18:19], v[16:17], off
	s_mov_b64 s[2:3], 0
	s_waitcnt vmcnt(0)
	v_cvt_i32_f64_e32 v3, v[18:19]
	s_branch .LBB71_1944
.LBB71_1942:
	s_mov_b64 s[2:3], -1
                                        ; implicit-def: $vgpr3
	s_branch .LBB71_1947
.LBB71_1943:
	s_mov_b64 s[2:3], -1
                                        ; implicit-def: $vgpr3
.LBB71_1944:
	s_andn2_b64 vcc, exec, s[2:3]
	s_cbranch_vccnz .LBB71_1946
; %bb.1945:
	global_load_dword v3, v[16:17], off
	s_waitcnt vmcnt(0)
	v_cvt_i32_f32_e32 v3, v3
.LBB71_1946:
	s_mov_b64 s[2:3], 0
.LBB71_1947:
	s_andn2_b64 vcc, exec, s[2:3]
	s_cbranch_vccnz .LBB71_1949
; %bb.1948:
	global_load_ushort v3, v[16:17], off
	s_waitcnt vmcnt(0)
	v_cvt_f32_f16_e32 v3, v3
	v_cvt_i32_f32_e32 v3, v3
.LBB71_1949:
	s_mov_b64 s[2:3], 0
.LBB71_1950:
	s_andn2_b64 vcc, exec, s[2:3]
	s_cbranch_vccnz .LBB71_1970
; %bb.1951:
	s_cmp_lt_i32 s6, 2
	s_cbranch_scc1 .LBB71_1955
; %bb.1952:
	s_cmp_lt_i32 s6, 3
	s_cbranch_scc1 .LBB71_1956
; %bb.1953:
	s_cmp_gt_i32 s6, 3
	s_cbranch_scc0 .LBB71_1957
; %bb.1954:
	global_load_dword v3, v[16:17], off
	s_mov_b64 s[2:3], 0
	s_branch .LBB71_1958
.LBB71_1955:
	s_mov_b64 s[2:3], -1
                                        ; implicit-def: $vgpr3
	s_branch .LBB71_1964
.LBB71_1956:
	s_mov_b64 s[2:3], -1
                                        ; implicit-def: $vgpr3
	s_branch .LBB71_1961
.LBB71_1957:
	s_mov_b64 s[2:3], -1
                                        ; implicit-def: $vgpr3
.LBB71_1958:
	s_andn2_b64 vcc, exec, s[2:3]
	s_cbranch_vccnz .LBB71_1960
; %bb.1959:
	global_load_dword v3, v[16:17], off
.LBB71_1960:
	s_mov_b64 s[2:3], 0
.LBB71_1961:
	s_andn2_b64 vcc, exec, s[2:3]
	s_cbranch_vccnz .LBB71_1963
; %bb.1962:
	global_load_sshort v3, v[16:17], off
.LBB71_1963:
	s_mov_b64 s[2:3], 0
.LBB71_1964:
	s_andn2_b64 vcc, exec, s[2:3]
	s_cbranch_vccnz .LBB71_1970
; %bb.1965:
	s_cmp_gt_i32 s6, 0
	s_cbranch_scc0 .LBB71_1967
; %bb.1966:
	global_load_sbyte v3, v[16:17], off
	s_mov_b64 s[2:3], 0
	s_branch .LBB71_1968
.LBB71_1967:
	s_mov_b64 s[2:3], -1
                                        ; implicit-def: $vgpr3
.LBB71_1968:
	s_andn2_b64 vcc, exec, s[2:3]
	s_cbranch_vccnz .LBB71_1970
; %bb.1969:
	global_load_ubyte v3, v[16:17], off
.LBB71_1970:
.LBB71_1971:
	v_mov_b32_e32 v8, s1
	s_and_b32 s21, 0xffff, s21
	v_add_co_u32_e32 v14, vcc, s0, v15
	s_cmp_lt_i32 s21, 11
	v_addc_co_u32_e32 v15, vcc, 0, v8, vcc
	s_cbranch_scc1 .LBB71_1978
; %bb.1972:
	s_cmp_gt_i32 s21, 25
	s_mov_b64 s[6:7], 0
	s_cbranch_scc0 .LBB71_1979
; %bb.1973:
	s_cmp_gt_i32 s21, 28
	s_cbranch_scc0 .LBB71_1980
; %bb.1974:
	s_cmp_gt_i32 s21, 43
	;; [unrolled: 3-line block ×3, first 2 shown]
	s_cbranch_scc0 .LBB71_1983
; %bb.1976:
	s_cmp_eq_u32 s21, 46
	s_mov_b64 s[18:19], 0
	s_cbranch_scc0 .LBB71_1984
; %bb.1977:
	global_load_dword v8, v[14:15], off
	s_mov_b64 s[2:3], 0
	s_mov_b64 s[16:17], -1
	s_waitcnt vmcnt(0)
	v_lshlrev_b32_e32 v8, 16, v8
	v_cvt_i32_f32_e32 v16, v8
	s_branch .LBB71_1985
.LBB71_1978:
	s_mov_b64 s[2:3], -1
	s_mov_b64 s[16:17], 0
                                        ; implicit-def: $vgpr16
	s_branch .LBB71_2047
.LBB71_1979:
	s_mov_b64 s[18:19], -1
	s_mov_b64 s[16:17], 0
	s_mov_b64 s[2:3], 0
                                        ; implicit-def: $vgpr16
	s_branch .LBB71_2012
.LBB71_1980:
	s_mov_b64 s[18:19], -1
	s_mov_b64 s[16:17], 0
	s_mov_b64 s[2:3], 0
                                        ; implicit-def: $vgpr16
	s_branch .LBB71_1995
.LBB71_1981:
	s_mov_b64 s[18:19], -1
	s_mov_b64 s[16:17], 0
	s_mov_b64 s[2:3], 0
                                        ; implicit-def: $vgpr16
	s_branch .LBB71_1990
.LBB71_1982:
	s_trap 2
	s_or_b64 s[4:5], s[4:5], exec
	s_cbranch_execz .LBB71_1921
	s_branch .LBB71_1922
.LBB71_1983:
	s_mov_b64 s[18:19], -1
	s_mov_b64 s[16:17], 0
	s_mov_b64 s[2:3], 0
                                        ; implicit-def: $vgpr16
	s_branch .LBB71_1985
.LBB71_1984:
	s_mov_b64 s[2:3], -1
                                        ; implicit-def: $vgpr16
	s_mov_b64 s[16:17], 0
.LBB71_1985:
	s_and_b64 vcc, exec, s[18:19]
	s_cbranch_vccz .LBB71_1989
; %bb.1986:
	s_cmp_eq_u32 s21, 44
	s_cbranch_scc0 .LBB71_1988
; %bb.1987:
	global_load_ubyte v8, v[14:15], off
	s_mov_b64 s[2:3], 0
	s_mov_b64 s[16:17], -1
	s_waitcnt vmcnt(0)
	v_lshlrev_b32_e32 v10, 23, v8
	v_cvt_i32_f32_e32 v10, v10
	v_cmp_ne_u32_e32 vcc, 0, v8
	v_cndmask_b32_e32 v16, 0, v10, vcc
	s_branch .LBB71_1989
.LBB71_1988:
	s_mov_b64 s[2:3], -1
                                        ; implicit-def: $vgpr16
.LBB71_1989:
	s_mov_b64 s[18:19], 0
.LBB71_1990:
	s_and_b64 vcc, exec, s[18:19]
	s_cbranch_vccz .LBB71_1994
; %bb.1991:
	s_cmp_eq_u32 s21, 29
	s_cbranch_scc0 .LBB71_1993
; %bb.1992:
	global_load_dword v16, v[14:15], off
	s_mov_b64 s[2:3], 0
	s_mov_b64 s[16:17], -1
	s_branch .LBB71_1994
.LBB71_1993:
	s_mov_b64 s[2:3], -1
                                        ; implicit-def: $vgpr16
.LBB71_1994:
	s_mov_b64 s[18:19], 0
.LBB71_1995:
	s_and_b64 vcc, exec, s[18:19]
	s_cbranch_vccz .LBB71_2011
; %bb.1996:
	s_cmp_lt_i32 s21, 27
	s_cbranch_scc1 .LBB71_1999
; %bb.1997:
	s_cmp_gt_i32 s21, 27
	s_cbranch_scc0 .LBB71_2000
; %bb.1998:
	global_load_dword v16, v[14:15], off
	s_mov_b64 s[16:17], 0
	s_branch .LBB71_2001
.LBB71_1999:
	s_mov_b64 s[16:17], -1
                                        ; implicit-def: $vgpr16
	s_branch .LBB71_2004
.LBB71_2000:
	s_mov_b64 s[16:17], -1
                                        ; implicit-def: $vgpr16
.LBB71_2001:
	s_andn2_b64 vcc, exec, s[16:17]
	s_cbranch_vccnz .LBB71_2003
; %bb.2002:
	global_load_ushort v16, v[14:15], off
.LBB71_2003:
	s_mov_b64 s[16:17], 0
.LBB71_2004:
	s_andn2_b64 vcc, exec, s[16:17]
	s_cbranch_vccnz .LBB71_2010
; %bb.2005:
	global_load_ubyte v8, v[14:15], off
	s_movk_i32 s16, 0x7f
	s_mov_b64 s[18:19], 0
	s_waitcnt vmcnt(0)
	v_cmp_lt_i16_e32 vcc, s16, v8
	s_and_saveexec_b64 s[16:17], vcc
	s_xor_b64 s[16:17], exec, s[16:17]
	s_cbranch_execz .LBB71_2022
; %bb.2006:
	s_movk_i32 s18, 0x80
	v_cmp_ne_u16_e32 vcc, s18, v8
	s_and_b64 s[18:19], vcc, exec
	s_andn2_saveexec_b64 s[16:17], s[16:17]
	s_cbranch_execnz .LBB71_2023
.LBB71_2007:
	s_or_b64 exec, exec, s[16:17]
	v_mov_b32_e32 v16, 0
	s_and_saveexec_b64 s[16:17], s[18:19]
	s_cbranch_execz .LBB71_2009
.LBB71_2008:
	v_lshlrev_b32_e32 v10, 24, v8
	v_and_b32_e32 v8, 0xffff, v8
	v_and_b32_e32 v12, 7, v8
	v_ffbh_u32_e32 v17, v12
	v_min_u32_e32 v17, 32, v17
	v_subrev_u32_e32 v18, 28, v17
	v_bfe_u32 v16, v8, 3, 4
	v_lshlrev_b32_e32 v8, v18, v8
	v_sub_u32_e32 v17, 29, v17
	v_and_b32_e32 v8, 7, v8
	v_cmp_eq_u32_e32 vcc, 0, v16
	v_cndmask_b32_e32 v16, v16, v17, vcc
	v_cndmask_b32_e32 v8, v12, v8, vcc
	v_mov_b32_e32 v12, 0x3b800000
	v_lshlrev_b32_e32 v8, 20, v8
	v_and_b32_e32 v10, 0x80000000, v10
	v_lshl_add_u32 v12, v16, 23, v12
	v_or3_b32 v8, v10, v12, v8
	v_cvt_i32_f32_e32 v16, v8
.LBB71_2009:
	s_or_b64 exec, exec, s[16:17]
.LBB71_2010:
	s_mov_b64 s[16:17], -1
.LBB71_2011:
	s_mov_b64 s[18:19], 0
.LBB71_2012:
	s_and_b64 vcc, exec, s[18:19]
	s_cbranch_vccz .LBB71_2043
; %bb.2013:
	s_cmp_gt_i32 s21, 22
	s_cbranch_scc0 .LBB71_2021
; %bb.2014:
	s_cmp_lt_i32 s21, 24
	s_cbranch_scc1 .LBB71_2024
; %bb.2015:
	s_cmp_gt_i32 s21, 24
	s_cbranch_scc0 .LBB71_2025
; %bb.2016:
	global_load_ubyte v8, v[14:15], off
	s_movk_i32 s6, 0x7f
	s_mov_b64 s[16:17], 0
	s_waitcnt vmcnt(0)
	v_cmp_lt_i16_e32 vcc, s6, v8
	s_and_saveexec_b64 s[6:7], vcc
	s_xor_b64 s[6:7], exec, s[6:7]
	s_cbranch_execz .LBB71_2037
; %bb.2017:
	s_movk_i32 s16, 0x80
	v_cmp_ne_u16_e32 vcc, s16, v8
	s_and_b64 s[16:17], vcc, exec
	s_andn2_saveexec_b64 s[6:7], s[6:7]
	s_cbranch_execnz .LBB71_2038
.LBB71_2018:
	s_or_b64 exec, exec, s[6:7]
	v_mov_b32_e32 v16, 0
	s_and_saveexec_b64 s[6:7], s[16:17]
	s_cbranch_execz .LBB71_2020
.LBB71_2019:
	v_lshlrev_b32_e32 v10, 24, v8
	v_and_b32_e32 v8, 0xffff, v8
	v_and_b32_e32 v12, 3, v8
	v_ffbh_u32_e32 v17, v12
	v_min_u32_e32 v17, 32, v17
	v_subrev_u32_e32 v18, 29, v17
	v_bfe_u32 v16, v8, 2, 5
	v_lshlrev_b32_e32 v8, v18, v8
	v_sub_u32_e32 v17, 30, v17
	v_and_b32_e32 v8, 3, v8
	v_cmp_eq_u32_e32 vcc, 0, v16
	v_cndmask_b32_e32 v16, v16, v17, vcc
	v_cndmask_b32_e32 v8, v12, v8, vcc
	v_mov_b32_e32 v12, 0x37800000
	v_lshlrev_b32_e32 v8, 21, v8
	v_and_b32_e32 v10, 0x80000000, v10
	v_lshl_add_u32 v12, v16, 23, v12
	v_or3_b32 v8, v10, v12, v8
	v_cvt_i32_f32_e32 v16, v8
.LBB71_2020:
	s_or_b64 exec, exec, s[6:7]
	s_mov_b64 s[6:7], 0
	s_branch .LBB71_2026
.LBB71_2021:
	s_mov_b64 s[6:7], -1
                                        ; implicit-def: $vgpr16
	s_branch .LBB71_2032
.LBB71_2022:
	s_andn2_saveexec_b64 s[16:17], s[16:17]
	s_cbranch_execz .LBB71_2007
.LBB71_2023:
	v_cmp_ne_u16_e32 vcc, 0, v8
	s_andn2_b64 s[18:19], s[18:19], exec
	s_and_b64 s[24:25], vcc, exec
	s_or_b64 s[18:19], s[18:19], s[24:25]
	s_or_b64 exec, exec, s[16:17]
	v_mov_b32_e32 v16, 0
	s_and_saveexec_b64 s[16:17], s[18:19]
	s_cbranch_execnz .LBB71_2008
	s_branch .LBB71_2009
.LBB71_2024:
	s_mov_b64 s[6:7], -1
                                        ; implicit-def: $vgpr16
	s_branch .LBB71_2029
.LBB71_2025:
	s_mov_b64 s[6:7], -1
                                        ; implicit-def: $vgpr16
.LBB71_2026:
	s_and_b64 vcc, exec, s[6:7]
	s_cbranch_vccz .LBB71_2028
; %bb.2027:
	global_load_ubyte v8, v[14:15], off
	s_mov_b32 s6, 0x7f800000
	s_waitcnt vmcnt(0)
	v_lshlrev_b32_e32 v8, 24, v8
	v_and_b32_e32 v10, 0x7f000000, v8
	v_ffbh_u32_e32 v12, v10
	v_min_u32_e32 v12, 32, v12
	v_sub_u32_e64 v12, v12, 4 clamp
	v_lshlrev_b32_e32 v17, v12, v10
	v_lshlrev_b32_e32 v12, 23, v12
	v_lshrrev_b32_e32 v17, 4, v17
	v_add_u32_e32 v16, 0x1000000, v10
	v_sub_u32_e32 v12, v17, v12
	v_ashrrev_i32_e32 v16, 8, v16
	v_add_u32_e32 v12, 0x3c000000, v12
	v_and_or_b32 v12, v16, s6, v12
	v_cmp_ne_u32_e32 vcc, 0, v10
	v_cndmask_b32_e32 v10, 0, v12, vcc
	s_brev_b32 s6, 1
	v_and_or_b32 v8, v8, s6, v10
	v_cvt_i32_f32_e32 v16, v8
.LBB71_2028:
	s_mov_b64 s[6:7], 0
.LBB71_2029:
	s_andn2_b64 vcc, exec, s[6:7]
	s_cbranch_vccnz .LBB71_2031
; %bb.2030:
	global_load_ubyte v8, v[14:15], off
	s_movk_i32 s6, 0x7f00
	s_brev_b32 s7, 16
	s_waitcnt vmcnt(0)
	v_lshlrev_b16_e32 v10, 8, v8
	v_lshlrev_b32_e32 v8, 25, v8
	v_lshrrev_b32_e32 v12, 4, v8
	v_and_or_b32 v16, v10, s6, 0.5
	v_or_b32_e32 v12, 0x70000000, v12
	v_add_f32_e32 v16, -0.5, v16
	v_mul_f32_e32 v12, 0x7800000, v12
	v_cmp_gt_u32_e32 vcc, s7, v8
	v_bfe_i32 v10, v10, 0, 16
	v_cndmask_b32_e32 v8, v12, v16, vcc
	s_brev_b32 s6, 1
	v_and_or_b32 v8, v10, s6, v8
	v_cvt_i32_f32_e32 v16, v8
.LBB71_2031:
	s_mov_b64 s[6:7], 0
	s_mov_b64 s[16:17], -1
.LBB71_2032:
	s_andn2_b64 vcc, exec, s[6:7]
	s_mov_b64 s[6:7], 0
	s_cbranch_vccnz .LBB71_2043
; %bb.2033:
	s_cmp_gt_i32 s21, 14
	s_cbranch_scc0 .LBB71_2036
; %bb.2034:
	s_cmp_eq_u32 s21, 15
	s_cbranch_scc0 .LBB71_2039
; %bb.2035:
	global_load_ushort v8, v[14:15], off
	s_mov_b64 s[2:3], 0
	s_mov_b64 s[16:17], -1
	s_waitcnt vmcnt(0)
	v_lshlrev_b32_e32 v8, 16, v8
	v_cvt_i32_f32_e32 v16, v8
	s_branch .LBB71_2040
.LBB71_2036:
	s_mov_b64 s[18:19], -1
                                        ; implicit-def: $vgpr16
	s_branch .LBB71_2041
.LBB71_2037:
	s_andn2_saveexec_b64 s[6:7], s[6:7]
	s_cbranch_execz .LBB71_2018
.LBB71_2038:
	v_cmp_ne_u16_e32 vcc, 0, v8
	s_andn2_b64 s[16:17], s[16:17], exec
	s_and_b64 s[18:19], vcc, exec
	s_or_b64 s[16:17], s[16:17], s[18:19]
	s_or_b64 exec, exec, s[6:7]
	v_mov_b32_e32 v16, 0
	s_and_saveexec_b64 s[6:7], s[16:17]
	s_cbranch_execnz .LBB71_2019
	s_branch .LBB71_2020
.LBB71_2039:
	s_mov_b64 s[2:3], -1
                                        ; implicit-def: $vgpr16
.LBB71_2040:
	s_mov_b64 s[18:19], 0
.LBB71_2041:
	s_and_b64 vcc, exec, s[18:19]
	s_cbranch_vccz .LBB71_2043
; %bb.2042:
	s_cmp_lg_u32 s21, 11
	s_mov_b64 s[6:7], -1
	s_cselect_b64 s[2:3], -1, 0
.LBB71_2043:
	s_and_b64 vcc, exec, s[2:3]
	s_cbranch_vccnz .LBB71_2108
; %bb.2044:
	s_andn2_b64 vcc, exec, s[6:7]
	s_cbranch_vccnz .LBB71_2046
.LBB71_2045:
	global_load_ubyte v8, v[14:15], off
	s_mov_b64 s[16:17], -1
	s_waitcnt vmcnt(0)
	v_cmp_ne_u16_e32 vcc, 0, v8
	v_cndmask_b32_e64 v16, 0, 1, vcc
.LBB71_2046:
	s_mov_b64 s[2:3], 0
.LBB71_2047:
	s_and_b64 vcc, exec, s[2:3]
	s_cbranch_vccz .LBB71_2096
; %bb.2048:
	s_cmp_lt_i32 s21, 5
	s_cbranch_scc1 .LBB71_2053
; %bb.2049:
	s_cmp_lt_i32 s21, 8
	s_cbranch_scc1 .LBB71_2054
	;; [unrolled: 3-line block ×3, first 2 shown]
; %bb.2051:
	s_cmp_gt_i32 s21, 9
	s_cbranch_scc0 .LBB71_2056
; %bb.2052:
	global_load_dwordx2 v[16:17], v[14:15], off
	s_mov_b64 s[2:3], 0
	s_waitcnt vmcnt(0)
	v_cvt_i32_f64_e32 v16, v[16:17]
	s_branch .LBB71_2057
.LBB71_2053:
	s_mov_b64 s[2:3], -1
                                        ; implicit-def: $vgpr16
	s_branch .LBB71_2075
.LBB71_2054:
	s_mov_b64 s[2:3], -1
                                        ; implicit-def: $vgpr16
	s_branch .LBB71_2063
.LBB71_2055:
	s_mov_b64 s[2:3], -1
                                        ; implicit-def: $vgpr16
	s_branch .LBB71_2060
.LBB71_2056:
	s_mov_b64 s[2:3], -1
                                        ; implicit-def: $vgpr16
.LBB71_2057:
	s_andn2_b64 vcc, exec, s[2:3]
	s_cbranch_vccnz .LBB71_2059
; %bb.2058:
	global_load_dword v8, v[14:15], off
	s_waitcnt vmcnt(0)
	v_cvt_i32_f32_e32 v16, v8
.LBB71_2059:
	s_mov_b64 s[2:3], 0
.LBB71_2060:
	s_andn2_b64 vcc, exec, s[2:3]
	s_cbranch_vccnz .LBB71_2062
; %bb.2061:
	global_load_dword v8, v[14:15], off
	s_waitcnt vmcnt(0)
	v_cvt_f32_f16_e32 v8, v8
	v_cvt_i32_f32_e32 v16, v8
.LBB71_2062:
	s_mov_b64 s[2:3], 0
.LBB71_2063:
	s_andn2_b64 vcc, exec, s[2:3]
	s_cbranch_vccnz .LBB71_2074
; %bb.2064:
	s_cmp_lt_i32 s21, 6
	s_cbranch_scc1 .LBB71_2067
; %bb.2065:
	s_cmp_gt_i32 s21, 6
	s_cbranch_scc0 .LBB71_2068
; %bb.2066:
	global_load_dwordx2 v[16:17], v[14:15], off
	s_mov_b64 s[2:3], 0
	s_waitcnt vmcnt(0)
	v_cvt_i32_f64_e32 v16, v[16:17]
	s_branch .LBB71_2069
.LBB71_2067:
	s_mov_b64 s[2:3], -1
                                        ; implicit-def: $vgpr16
	s_branch .LBB71_2072
.LBB71_2068:
	s_mov_b64 s[2:3], -1
                                        ; implicit-def: $vgpr16
.LBB71_2069:
	s_andn2_b64 vcc, exec, s[2:3]
	s_cbranch_vccnz .LBB71_2071
; %bb.2070:
	global_load_dword v8, v[14:15], off
	s_waitcnt vmcnt(0)
	v_cvt_i32_f32_e32 v16, v8
.LBB71_2071:
	s_mov_b64 s[2:3], 0
.LBB71_2072:
	s_andn2_b64 vcc, exec, s[2:3]
	s_cbranch_vccnz .LBB71_2074
; %bb.2073:
	global_load_ushort v8, v[14:15], off
	s_waitcnt vmcnt(0)
	v_cvt_f32_f16_e32 v8, v8
	v_cvt_i32_f32_e32 v16, v8
.LBB71_2074:
	s_mov_b64 s[2:3], 0
.LBB71_2075:
	s_andn2_b64 vcc, exec, s[2:3]
	s_cbranch_vccnz .LBB71_2095
; %bb.2076:
	s_cmp_lt_i32 s21, 2
	s_cbranch_scc1 .LBB71_2080
; %bb.2077:
	s_cmp_lt_i32 s21, 3
	s_cbranch_scc1 .LBB71_2081
; %bb.2078:
	s_cmp_gt_i32 s21, 3
	s_cbranch_scc0 .LBB71_2082
; %bb.2079:
	global_load_dword v16, v[14:15], off
	s_mov_b64 s[2:3], 0
	s_branch .LBB71_2083
.LBB71_2080:
	s_mov_b64 s[2:3], -1
                                        ; implicit-def: $vgpr16
	s_branch .LBB71_2089
.LBB71_2081:
	s_mov_b64 s[2:3], -1
                                        ; implicit-def: $vgpr16
	s_branch .LBB71_2086
.LBB71_2082:
	s_mov_b64 s[2:3], -1
                                        ; implicit-def: $vgpr16
.LBB71_2083:
	s_andn2_b64 vcc, exec, s[2:3]
	s_cbranch_vccnz .LBB71_2085
; %bb.2084:
	global_load_dword v16, v[14:15], off
.LBB71_2085:
	s_mov_b64 s[2:3], 0
.LBB71_2086:
	s_andn2_b64 vcc, exec, s[2:3]
	s_cbranch_vccnz .LBB71_2088
; %bb.2087:
	global_load_sshort v16, v[14:15], off
.LBB71_2088:
	s_mov_b64 s[2:3], 0
.LBB71_2089:
	s_andn2_b64 vcc, exec, s[2:3]
	s_cbranch_vccnz .LBB71_2095
; %bb.2090:
	s_cmp_gt_i32 s21, 0
	s_cbranch_scc0 .LBB71_2092
; %bb.2091:
	global_load_sbyte v16, v[14:15], off
	s_mov_b64 s[2:3], 0
	s_branch .LBB71_2093
.LBB71_2092:
	s_mov_b64 s[2:3], -1
                                        ; implicit-def: $vgpr16
.LBB71_2093:
	s_andn2_b64 vcc, exec, s[2:3]
	s_cbranch_vccnz .LBB71_2095
; %bb.2094:
	global_load_ubyte v16, v[14:15], off
.LBB71_2095:
	s_mov_b64 s[16:17], -1
.LBB71_2096:
	s_andn2_b64 vcc, exec, s[16:17]
	s_cbranch_vccnz .LBB71_3036
; %bb.2097:
	v_mov_b32_e32 v8, s11
	v_add_co_u32_e32 v12, vcc, s10, v13
	s_cmp_lt_i32 s22, 11
	v_addc_co_u32_e32 v13, vcc, 0, v8, vcc
	s_cbranch_scc1 .LBB71_2104
; %bb.2098:
	s_and_b32 s23, 0xffff, s22
	s_cmp_gt_i32 s23, 25
	s_mov_b64 s[6:7], 0
	s_cbranch_scc0 .LBB71_2105
; %bb.2099:
	s_cmp_gt_i32 s23, 28
	s_cbranch_scc0 .LBB71_2106
; %bb.2100:
	s_cmp_gt_i32 s23, 43
	;; [unrolled: 3-line block ×3, first 2 shown]
	s_cbranch_scc0 .LBB71_2109
; %bb.2102:
	s_cmp_eq_u32 s23, 46
	s_mov_b64 s[18:19], 0
	s_cbranch_scc0 .LBB71_2110
; %bb.2103:
	global_load_dword v8, v[12:13], off
	s_mov_b64 s[2:3], 0
	s_mov_b64 s[16:17], -1
	s_waitcnt vmcnt(0)
	v_lshlrev_b32_e32 v8, 16, v8
	v_cvt_i32_f32_e32 v14, v8
	s_branch .LBB71_2111
.LBB71_2104:
	s_mov_b64 s[2:3], -1
	s_mov_b64 s[16:17], 0
                                        ; implicit-def: $vgpr14
	s_branch .LBB71_2173
.LBB71_2105:
	s_mov_b64 s[18:19], -1
	s_mov_b64 s[16:17], 0
	s_mov_b64 s[2:3], 0
                                        ; implicit-def: $vgpr14
	s_branch .LBB71_2138
.LBB71_2106:
	s_mov_b64 s[18:19], -1
	s_mov_b64 s[16:17], 0
	s_mov_b64 s[2:3], 0
                                        ; implicit-def: $vgpr14
	s_branch .LBB71_2121
.LBB71_2107:
	s_mov_b64 s[18:19], -1
	s_mov_b64 s[16:17], 0
	s_mov_b64 s[2:3], 0
                                        ; implicit-def: $vgpr14
	s_branch .LBB71_2116
.LBB71_2108:
	s_trap 2
	s_or_b64 s[4:5], s[4:5], exec
	s_cbranch_execz .LBB71_2045
	s_branch .LBB71_2046
.LBB71_2109:
	s_mov_b64 s[18:19], -1
	s_mov_b64 s[16:17], 0
	s_mov_b64 s[2:3], 0
                                        ; implicit-def: $vgpr14
	s_branch .LBB71_2111
.LBB71_2110:
	s_mov_b64 s[2:3], -1
                                        ; implicit-def: $vgpr14
	s_mov_b64 s[16:17], 0
.LBB71_2111:
	s_and_b64 vcc, exec, s[18:19]
	s_cbranch_vccz .LBB71_2115
; %bb.2112:
	s_cmp_eq_u32 s23, 44
	s_cbranch_scc0 .LBB71_2114
; %bb.2113:
	global_load_ubyte v8, v[12:13], off
	s_mov_b64 s[2:3], 0
	s_mov_b64 s[16:17], -1
	s_waitcnt vmcnt(0)
	v_lshlrev_b32_e32 v10, 23, v8
	v_cvt_i32_f32_e32 v10, v10
	v_cmp_ne_u32_e32 vcc, 0, v8
	v_cndmask_b32_e32 v14, 0, v10, vcc
	s_branch .LBB71_2115
.LBB71_2114:
	s_mov_b64 s[2:3], -1
                                        ; implicit-def: $vgpr14
.LBB71_2115:
	s_mov_b64 s[18:19], 0
.LBB71_2116:
	s_and_b64 vcc, exec, s[18:19]
	s_cbranch_vccz .LBB71_2120
; %bb.2117:
	s_cmp_eq_u32 s23, 29
	s_cbranch_scc0 .LBB71_2119
; %bb.2118:
	global_load_dword v14, v[12:13], off
	s_mov_b64 s[2:3], 0
	s_mov_b64 s[16:17], -1
	s_branch .LBB71_2120
.LBB71_2119:
	s_mov_b64 s[2:3], -1
                                        ; implicit-def: $vgpr14
.LBB71_2120:
	s_mov_b64 s[18:19], 0
.LBB71_2121:
	s_and_b64 vcc, exec, s[18:19]
	s_cbranch_vccz .LBB71_2137
; %bb.2122:
	s_cmp_lt_i32 s23, 27
	s_cbranch_scc1 .LBB71_2125
; %bb.2123:
	s_cmp_gt_i32 s23, 27
	s_cbranch_scc0 .LBB71_2126
; %bb.2124:
	global_load_dword v14, v[12:13], off
	s_mov_b64 s[16:17], 0
	s_branch .LBB71_2127
.LBB71_2125:
	s_mov_b64 s[16:17], -1
                                        ; implicit-def: $vgpr14
	s_branch .LBB71_2130
.LBB71_2126:
	s_mov_b64 s[16:17], -1
                                        ; implicit-def: $vgpr14
.LBB71_2127:
	s_andn2_b64 vcc, exec, s[16:17]
	s_cbranch_vccnz .LBB71_2129
; %bb.2128:
	global_load_ushort v14, v[12:13], off
.LBB71_2129:
	s_mov_b64 s[16:17], 0
.LBB71_2130:
	s_andn2_b64 vcc, exec, s[16:17]
	s_cbranch_vccnz .LBB71_2136
; %bb.2131:
	global_load_ubyte v8, v[12:13], off
	s_movk_i32 s16, 0x7f
	s_mov_b64 s[18:19], 0
	s_waitcnt vmcnt(0)
	v_cmp_lt_i16_e32 vcc, s16, v8
	s_and_saveexec_b64 s[16:17], vcc
	s_xor_b64 s[16:17], exec, s[16:17]
	s_cbranch_execz .LBB71_2148
; %bb.2132:
	s_movk_i32 s18, 0x80
	v_cmp_ne_u16_e32 vcc, s18, v8
	s_and_b64 s[18:19], vcc, exec
	s_andn2_saveexec_b64 s[16:17], s[16:17]
	s_cbranch_execnz .LBB71_2149
.LBB71_2133:
	s_or_b64 exec, exec, s[16:17]
	v_mov_b32_e32 v14, 0
	s_and_saveexec_b64 s[16:17], s[18:19]
	s_cbranch_execz .LBB71_2135
.LBB71_2134:
	v_lshlrev_b32_e32 v10, 24, v8
	v_and_b32_e32 v8, 0xffff, v8
	v_and_b32_e32 v14, 7, v8
	v_ffbh_u32_e32 v17, v14
	v_min_u32_e32 v17, 32, v17
	v_subrev_u32_e32 v18, 28, v17
	v_bfe_u32 v15, v8, 3, 4
	v_lshlrev_b32_e32 v8, v18, v8
	v_sub_u32_e32 v17, 29, v17
	v_and_b32_e32 v8, 7, v8
	v_cmp_eq_u32_e32 vcc, 0, v15
	v_cndmask_b32_e32 v15, v15, v17, vcc
	v_cndmask_b32_e32 v8, v14, v8, vcc
	v_mov_b32_e32 v14, 0x3b800000
	v_lshlrev_b32_e32 v8, 20, v8
	v_and_b32_e32 v10, 0x80000000, v10
	v_lshl_add_u32 v14, v15, 23, v14
	v_or3_b32 v8, v10, v14, v8
	v_cvt_i32_f32_e32 v14, v8
.LBB71_2135:
	s_or_b64 exec, exec, s[16:17]
.LBB71_2136:
	s_mov_b64 s[16:17], -1
.LBB71_2137:
	s_mov_b64 s[18:19], 0
.LBB71_2138:
	s_and_b64 vcc, exec, s[18:19]
	s_cbranch_vccz .LBB71_2169
; %bb.2139:
	s_cmp_gt_i32 s23, 22
	s_cbranch_scc0 .LBB71_2147
; %bb.2140:
	s_cmp_lt_i32 s23, 24
	s_cbranch_scc1 .LBB71_2150
; %bb.2141:
	s_cmp_gt_i32 s23, 24
	s_cbranch_scc0 .LBB71_2151
; %bb.2142:
	global_load_ubyte v8, v[12:13], off
	s_movk_i32 s6, 0x7f
	s_mov_b64 s[16:17], 0
	s_waitcnt vmcnt(0)
	v_cmp_lt_i16_e32 vcc, s6, v8
	s_and_saveexec_b64 s[6:7], vcc
	s_xor_b64 s[6:7], exec, s[6:7]
	s_cbranch_execz .LBB71_2163
; %bb.2143:
	s_movk_i32 s16, 0x80
	v_cmp_ne_u16_e32 vcc, s16, v8
	s_and_b64 s[16:17], vcc, exec
	s_andn2_saveexec_b64 s[6:7], s[6:7]
	s_cbranch_execnz .LBB71_2164
.LBB71_2144:
	s_or_b64 exec, exec, s[6:7]
	v_mov_b32_e32 v14, 0
	s_and_saveexec_b64 s[6:7], s[16:17]
	s_cbranch_execz .LBB71_2146
.LBB71_2145:
	v_lshlrev_b32_e32 v10, 24, v8
	v_and_b32_e32 v8, 0xffff, v8
	v_and_b32_e32 v14, 3, v8
	v_ffbh_u32_e32 v17, v14
	v_min_u32_e32 v17, 32, v17
	v_subrev_u32_e32 v18, 29, v17
	v_bfe_u32 v15, v8, 2, 5
	v_lshlrev_b32_e32 v8, v18, v8
	v_sub_u32_e32 v17, 30, v17
	v_and_b32_e32 v8, 3, v8
	v_cmp_eq_u32_e32 vcc, 0, v15
	v_cndmask_b32_e32 v15, v15, v17, vcc
	v_cndmask_b32_e32 v8, v14, v8, vcc
	v_mov_b32_e32 v14, 0x37800000
	v_lshlrev_b32_e32 v8, 21, v8
	v_and_b32_e32 v10, 0x80000000, v10
	v_lshl_add_u32 v14, v15, 23, v14
	v_or3_b32 v8, v10, v14, v8
	v_cvt_i32_f32_e32 v14, v8
.LBB71_2146:
	s_or_b64 exec, exec, s[6:7]
	s_mov_b64 s[6:7], 0
	s_branch .LBB71_2152
.LBB71_2147:
	s_mov_b64 s[6:7], -1
                                        ; implicit-def: $vgpr14
	s_branch .LBB71_2158
.LBB71_2148:
	s_andn2_saveexec_b64 s[16:17], s[16:17]
	s_cbranch_execz .LBB71_2133
.LBB71_2149:
	v_cmp_ne_u16_e32 vcc, 0, v8
	s_andn2_b64 s[18:19], s[18:19], exec
	s_and_b64 s[24:25], vcc, exec
	s_or_b64 s[18:19], s[18:19], s[24:25]
	s_or_b64 exec, exec, s[16:17]
	v_mov_b32_e32 v14, 0
	s_and_saveexec_b64 s[16:17], s[18:19]
	s_cbranch_execnz .LBB71_2134
	s_branch .LBB71_2135
.LBB71_2150:
	s_mov_b64 s[6:7], -1
                                        ; implicit-def: $vgpr14
	s_branch .LBB71_2155
.LBB71_2151:
	s_mov_b64 s[6:7], -1
                                        ; implicit-def: $vgpr14
.LBB71_2152:
	s_and_b64 vcc, exec, s[6:7]
	s_cbranch_vccz .LBB71_2154
; %bb.2153:
	global_load_ubyte v8, v[12:13], off
	s_mov_b32 s6, 0x7f800000
	s_waitcnt vmcnt(0)
	v_lshlrev_b32_e32 v8, 24, v8
	v_and_b32_e32 v10, 0x7f000000, v8
	v_ffbh_u32_e32 v14, v10
	v_min_u32_e32 v14, 32, v14
	v_sub_u32_e64 v14, v14, 4 clamp
	v_lshlrev_b32_e32 v17, v14, v10
	v_lshlrev_b32_e32 v14, 23, v14
	v_lshrrev_b32_e32 v17, 4, v17
	v_add_u32_e32 v15, 0x1000000, v10
	v_sub_u32_e32 v14, v17, v14
	v_ashrrev_i32_e32 v15, 8, v15
	v_add_u32_e32 v14, 0x3c000000, v14
	v_and_or_b32 v14, v15, s6, v14
	v_cmp_ne_u32_e32 vcc, 0, v10
	v_cndmask_b32_e32 v10, 0, v14, vcc
	s_brev_b32 s6, 1
	v_and_or_b32 v8, v8, s6, v10
	v_cvt_i32_f32_e32 v14, v8
.LBB71_2154:
	s_mov_b64 s[6:7], 0
.LBB71_2155:
	s_andn2_b64 vcc, exec, s[6:7]
	s_cbranch_vccnz .LBB71_2157
; %bb.2156:
	global_load_ubyte v8, v[12:13], off
	s_movk_i32 s6, 0x7f00
	s_brev_b32 s7, 16
	s_waitcnt vmcnt(0)
	v_lshlrev_b16_e32 v10, 8, v8
	v_lshlrev_b32_e32 v8, 25, v8
	v_lshrrev_b32_e32 v14, 4, v8
	v_and_or_b32 v15, v10, s6, 0.5
	v_or_b32_e32 v14, 0x70000000, v14
	v_add_f32_e32 v15, -0.5, v15
	v_mul_f32_e32 v14, 0x7800000, v14
	v_cmp_gt_u32_e32 vcc, s7, v8
	v_bfe_i32 v10, v10, 0, 16
	v_cndmask_b32_e32 v8, v14, v15, vcc
	s_brev_b32 s6, 1
	v_and_or_b32 v8, v10, s6, v8
	v_cvt_i32_f32_e32 v14, v8
.LBB71_2157:
	s_mov_b64 s[6:7], 0
	s_mov_b64 s[16:17], -1
.LBB71_2158:
	s_andn2_b64 vcc, exec, s[6:7]
	s_mov_b64 s[6:7], 0
	s_cbranch_vccnz .LBB71_2169
; %bb.2159:
	s_cmp_gt_i32 s23, 14
	s_cbranch_scc0 .LBB71_2162
; %bb.2160:
	s_cmp_eq_u32 s23, 15
	s_cbranch_scc0 .LBB71_2165
; %bb.2161:
	global_load_ushort v8, v[12:13], off
	s_mov_b64 s[2:3], 0
	s_mov_b64 s[16:17], -1
	s_waitcnt vmcnt(0)
	v_lshlrev_b32_e32 v8, 16, v8
	v_cvt_i32_f32_e32 v14, v8
	s_branch .LBB71_2166
.LBB71_2162:
	s_mov_b64 s[18:19], -1
                                        ; implicit-def: $vgpr14
	s_branch .LBB71_2167
.LBB71_2163:
	s_andn2_saveexec_b64 s[6:7], s[6:7]
	s_cbranch_execz .LBB71_2144
.LBB71_2164:
	v_cmp_ne_u16_e32 vcc, 0, v8
	s_andn2_b64 s[16:17], s[16:17], exec
	s_and_b64 s[18:19], vcc, exec
	s_or_b64 s[16:17], s[16:17], s[18:19]
	s_or_b64 exec, exec, s[6:7]
	v_mov_b32_e32 v14, 0
	s_and_saveexec_b64 s[6:7], s[16:17]
	s_cbranch_execnz .LBB71_2145
	s_branch .LBB71_2146
.LBB71_2165:
	s_mov_b64 s[2:3], -1
                                        ; implicit-def: $vgpr14
.LBB71_2166:
	s_mov_b64 s[18:19], 0
.LBB71_2167:
	s_and_b64 vcc, exec, s[18:19]
	s_cbranch_vccz .LBB71_2169
; %bb.2168:
	s_cmp_lg_u32 s23, 11
	s_mov_b64 s[6:7], -1
	s_cselect_b64 s[2:3], -1, 0
.LBB71_2169:
	s_and_b64 vcc, exec, s[2:3]
	s_cbranch_vccnz .LBB71_2234
; %bb.2170:
	s_andn2_b64 vcc, exec, s[6:7]
	s_cbranch_vccnz .LBB71_2172
.LBB71_2171:
	global_load_ubyte v8, v[12:13], off
	s_mov_b64 s[16:17], -1
	s_waitcnt vmcnt(0)
	v_cmp_ne_u16_e32 vcc, 0, v8
	v_cndmask_b32_e64 v14, 0, 1, vcc
.LBB71_2172:
	s_mov_b64 s[2:3], 0
.LBB71_2173:
	s_and_b64 vcc, exec, s[2:3]
	s_cbranch_vccz .LBB71_2222
; %bb.2174:
	s_and_b32 s6, 0xffff, s22
	s_cmp_lt_i32 s6, 5
	s_cbranch_scc1 .LBB71_2179
; %bb.2175:
	s_cmp_lt_i32 s6, 8
	s_cbranch_scc1 .LBB71_2180
; %bb.2176:
	;; [unrolled: 3-line block ×3, first 2 shown]
	s_cmp_gt_i32 s6, 9
	s_cbranch_scc0 .LBB71_2182
; %bb.2178:
	global_load_dwordx2 v[14:15], v[12:13], off
	s_mov_b64 s[2:3], 0
	s_waitcnt vmcnt(0)
	v_cvt_i32_f64_e32 v14, v[14:15]
	s_branch .LBB71_2183
.LBB71_2179:
	s_mov_b64 s[2:3], -1
                                        ; implicit-def: $vgpr14
	s_branch .LBB71_2201
.LBB71_2180:
	s_mov_b64 s[2:3], -1
                                        ; implicit-def: $vgpr14
	s_branch .LBB71_2189
.LBB71_2181:
	s_mov_b64 s[2:3], -1
                                        ; implicit-def: $vgpr14
	s_branch .LBB71_2186
.LBB71_2182:
	s_mov_b64 s[2:3], -1
                                        ; implicit-def: $vgpr14
.LBB71_2183:
	s_andn2_b64 vcc, exec, s[2:3]
	s_cbranch_vccnz .LBB71_2185
; %bb.2184:
	global_load_dword v8, v[12:13], off
	s_waitcnt vmcnt(0)
	v_cvt_i32_f32_e32 v14, v8
.LBB71_2185:
	s_mov_b64 s[2:3], 0
.LBB71_2186:
	s_andn2_b64 vcc, exec, s[2:3]
	s_cbranch_vccnz .LBB71_2188
; %bb.2187:
	global_load_dword v8, v[12:13], off
	s_waitcnt vmcnt(0)
	v_cvt_f32_f16_e32 v8, v8
	v_cvt_i32_f32_e32 v14, v8
.LBB71_2188:
	s_mov_b64 s[2:3], 0
.LBB71_2189:
	s_andn2_b64 vcc, exec, s[2:3]
	s_cbranch_vccnz .LBB71_2200
; %bb.2190:
	s_cmp_lt_i32 s6, 6
	s_cbranch_scc1 .LBB71_2193
; %bb.2191:
	s_cmp_gt_i32 s6, 6
	s_cbranch_scc0 .LBB71_2194
; %bb.2192:
	global_load_dwordx2 v[14:15], v[12:13], off
	s_mov_b64 s[2:3], 0
	s_waitcnt vmcnt(0)
	v_cvt_i32_f64_e32 v14, v[14:15]
	s_branch .LBB71_2195
.LBB71_2193:
	s_mov_b64 s[2:3], -1
                                        ; implicit-def: $vgpr14
	s_branch .LBB71_2198
.LBB71_2194:
	s_mov_b64 s[2:3], -1
                                        ; implicit-def: $vgpr14
.LBB71_2195:
	s_andn2_b64 vcc, exec, s[2:3]
	s_cbranch_vccnz .LBB71_2197
; %bb.2196:
	global_load_dword v8, v[12:13], off
	s_waitcnt vmcnt(0)
	v_cvt_i32_f32_e32 v14, v8
.LBB71_2197:
	s_mov_b64 s[2:3], 0
.LBB71_2198:
	s_andn2_b64 vcc, exec, s[2:3]
	s_cbranch_vccnz .LBB71_2200
; %bb.2199:
	global_load_ushort v8, v[12:13], off
	s_waitcnt vmcnt(0)
	v_cvt_f32_f16_e32 v8, v8
	v_cvt_i32_f32_e32 v14, v8
.LBB71_2200:
	s_mov_b64 s[2:3], 0
.LBB71_2201:
	s_andn2_b64 vcc, exec, s[2:3]
	s_cbranch_vccnz .LBB71_2221
; %bb.2202:
	s_cmp_lt_i32 s6, 2
	s_cbranch_scc1 .LBB71_2206
; %bb.2203:
	s_cmp_lt_i32 s6, 3
	s_cbranch_scc1 .LBB71_2207
; %bb.2204:
	s_cmp_gt_i32 s6, 3
	s_cbranch_scc0 .LBB71_2208
; %bb.2205:
	global_load_dword v14, v[12:13], off
	s_mov_b64 s[2:3], 0
	s_branch .LBB71_2209
.LBB71_2206:
	s_mov_b64 s[2:3], -1
                                        ; implicit-def: $vgpr14
	s_branch .LBB71_2215
.LBB71_2207:
	s_mov_b64 s[2:3], -1
                                        ; implicit-def: $vgpr14
	s_branch .LBB71_2212
.LBB71_2208:
	s_mov_b64 s[2:3], -1
                                        ; implicit-def: $vgpr14
.LBB71_2209:
	s_andn2_b64 vcc, exec, s[2:3]
	s_cbranch_vccnz .LBB71_2211
; %bb.2210:
	global_load_dword v14, v[12:13], off
.LBB71_2211:
	s_mov_b64 s[2:3], 0
.LBB71_2212:
	s_andn2_b64 vcc, exec, s[2:3]
	s_cbranch_vccnz .LBB71_2214
; %bb.2213:
	global_load_sshort v14, v[12:13], off
.LBB71_2214:
	s_mov_b64 s[2:3], 0
.LBB71_2215:
	s_andn2_b64 vcc, exec, s[2:3]
	s_cbranch_vccnz .LBB71_2221
; %bb.2216:
	s_cmp_gt_i32 s6, 0
	s_cbranch_scc0 .LBB71_2218
; %bb.2217:
	global_load_sbyte v14, v[12:13], off
	s_mov_b64 s[2:3], 0
	s_branch .LBB71_2219
.LBB71_2218:
	s_mov_b64 s[2:3], -1
                                        ; implicit-def: $vgpr14
.LBB71_2219:
	s_andn2_b64 vcc, exec, s[2:3]
	s_cbranch_vccnz .LBB71_2221
; %bb.2220:
	global_load_ubyte v14, v[12:13], off
.LBB71_2221:
	s_mov_b64 s[16:17], -1
.LBB71_2222:
	s_andn2_b64 vcc, exec, s[16:17]
	s_cbranch_vccnz .LBB71_3036
; %bb.2223:
	v_mov_b32_e32 v8, s1
	v_add_co_u32_e32 v10, vcc, s0, v11
	s_cmp_lt_i32 s21, 11
	v_addc_co_u32_e32 v11, vcc, 0, v8, vcc
	s_cbranch_scc1 .LBB71_2230
; %bb.2224:
	s_cmp_gt_i32 s21, 25
	s_mov_b64 s[6:7], 0
	s_cbranch_scc0 .LBB71_2231
; %bb.2225:
	s_cmp_gt_i32 s21, 28
	s_cbranch_scc0 .LBB71_2232
; %bb.2226:
	s_cmp_gt_i32 s21, 43
	;; [unrolled: 3-line block ×3, first 2 shown]
	s_cbranch_scc0 .LBB71_2235
; %bb.2228:
	s_cmp_eq_u32 s21, 46
	s_mov_b64 s[18:19], 0
	s_cbranch_scc0 .LBB71_2238
; %bb.2229:
	global_load_dword v8, v[10:11], off
	s_mov_b64 s[2:3], 0
	s_mov_b64 s[16:17], -1
	s_waitcnt vmcnt(0)
	v_lshlrev_b32_e32 v8, 16, v8
	v_cvt_i32_f32_e32 v12, v8
	s_branch .LBB71_2239
.LBB71_2230:
	s_mov_b64 s[2:3], -1
	s_mov_b64 s[16:17], 0
                                        ; implicit-def: $vgpr12
	s_branch .LBB71_2301
.LBB71_2231:
	s_mov_b64 s[18:19], -1
	s_mov_b64 s[16:17], 0
	s_mov_b64 s[2:3], 0
                                        ; implicit-def: $vgpr12
	s_branch .LBB71_2266
.LBB71_2232:
	s_mov_b64 s[18:19], -1
	s_mov_b64 s[16:17], 0
	s_mov_b64 s[2:3], 0
                                        ; implicit-def: $vgpr12
	s_branch .LBB71_2249
.LBB71_2233:
	s_mov_b64 s[18:19], -1
	s_mov_b64 s[16:17], 0
	s_mov_b64 s[2:3], 0
                                        ; implicit-def: $vgpr12
	s_branch .LBB71_2244
.LBB71_2234:
	s_trap 2
	s_or_b64 s[4:5], s[4:5], exec
	s_cbranch_execz .LBB71_2171
	s_branch .LBB71_2172
.LBB71_2235:
	s_mov_b64 s[18:19], -1
	s_mov_b64 s[16:17], 0
	s_mov_b64 s[2:3], 0
                                        ; implicit-def: $vgpr12
	s_branch .LBB71_2239
.LBB71_2236:
	s_andn2_saveexec_b64 s[62:63], s[62:63]
	s_cbranch_execz .LBB71_1095
.LBB71_2237:
	s_mov_b32 s67, 0x42800000
	v_add_f32_e64 v2, |v0|, s67
	v_and_b32_e32 v2, 0xff, v2
	v_cmp_ne_u32_e32 vcc, 0, v2
	s_andn2_b64 s[60:61], s[60:61], exec
	s_and_b64 s[74:75], vcc, exec
	s_or_b64 s[60:61], s[60:61], s[74:75]
	s_or_b64 exec, exec, s[62:63]
	v_mov_b32_e32 v5, 0
	s_and_saveexec_b64 s[62:63], s[60:61]
	s_cbranch_execnz .LBB71_1096
	s_branch .LBB71_1097
.LBB71_2238:
	s_mov_b64 s[2:3], -1
                                        ; implicit-def: $vgpr12
	s_mov_b64 s[16:17], 0
.LBB71_2239:
	s_and_b64 vcc, exec, s[18:19]
	s_cbranch_vccz .LBB71_2243
; %bb.2240:
	s_cmp_eq_u32 s21, 44
	s_cbranch_scc0 .LBB71_2242
; %bb.2241:
	global_load_ubyte v8, v[10:11], off
	s_mov_b64 s[2:3], 0
	s_mov_b64 s[16:17], -1
	s_waitcnt vmcnt(0)
	v_lshlrev_b32_e32 v12, 23, v8
	v_cvt_i32_f32_e32 v12, v12
	v_cmp_ne_u32_e32 vcc, 0, v8
	v_cndmask_b32_e32 v12, 0, v12, vcc
	s_branch .LBB71_2243
.LBB71_2242:
	s_mov_b64 s[2:3], -1
                                        ; implicit-def: $vgpr12
.LBB71_2243:
	s_mov_b64 s[18:19], 0
.LBB71_2244:
	s_and_b64 vcc, exec, s[18:19]
	s_cbranch_vccz .LBB71_2248
; %bb.2245:
	s_cmp_eq_u32 s21, 29
	s_cbranch_scc0 .LBB71_2247
; %bb.2246:
	global_load_dword v12, v[10:11], off
	s_mov_b64 s[2:3], 0
	s_mov_b64 s[16:17], -1
	s_branch .LBB71_2248
.LBB71_2247:
	s_mov_b64 s[2:3], -1
                                        ; implicit-def: $vgpr12
.LBB71_2248:
	s_mov_b64 s[18:19], 0
.LBB71_2249:
	s_and_b64 vcc, exec, s[18:19]
	s_cbranch_vccz .LBB71_2265
; %bb.2250:
	s_cmp_lt_i32 s21, 27
	s_cbranch_scc1 .LBB71_2253
; %bb.2251:
	s_cmp_gt_i32 s21, 27
	s_cbranch_scc0 .LBB71_2254
; %bb.2252:
	global_load_dword v12, v[10:11], off
	s_mov_b64 s[16:17], 0
	s_branch .LBB71_2255
.LBB71_2253:
	s_mov_b64 s[16:17], -1
                                        ; implicit-def: $vgpr12
	s_branch .LBB71_2258
.LBB71_2254:
	s_mov_b64 s[16:17], -1
                                        ; implicit-def: $vgpr12
.LBB71_2255:
	s_andn2_b64 vcc, exec, s[16:17]
	s_cbranch_vccnz .LBB71_2257
; %bb.2256:
	global_load_ushort v12, v[10:11], off
.LBB71_2257:
	s_mov_b64 s[16:17], 0
.LBB71_2258:
	s_andn2_b64 vcc, exec, s[16:17]
	s_cbranch_vccnz .LBB71_2264
; %bb.2259:
	global_load_ubyte v8, v[10:11], off
	s_movk_i32 s16, 0x7f
	s_mov_b64 s[18:19], 0
	s_waitcnt vmcnt(0)
	v_cmp_lt_i16_e32 vcc, s16, v8
	s_and_saveexec_b64 s[16:17], vcc
	s_xor_b64 s[16:17], exec, s[16:17]
	s_cbranch_execz .LBB71_2276
; %bb.2260:
	s_movk_i32 s18, 0x80
	v_cmp_ne_u16_e32 vcc, s18, v8
	s_and_b64 s[18:19], vcc, exec
	s_andn2_saveexec_b64 s[16:17], s[16:17]
	s_cbranch_execnz .LBB71_2277
.LBB71_2261:
	s_or_b64 exec, exec, s[16:17]
	v_mov_b32_e32 v12, 0
	s_and_saveexec_b64 s[16:17], s[18:19]
	s_cbranch_execz .LBB71_2263
.LBB71_2262:
	v_lshlrev_b32_e32 v12, 24, v8
	v_and_b32_e32 v8, 0xffff, v8
	v_and_b32_e32 v13, 7, v8
	v_ffbh_u32_e32 v17, v13
	v_min_u32_e32 v17, 32, v17
	v_subrev_u32_e32 v18, 28, v17
	v_bfe_u32 v15, v8, 3, 4
	v_lshlrev_b32_e32 v8, v18, v8
	v_sub_u32_e32 v17, 29, v17
	v_and_b32_e32 v8, 7, v8
	v_cmp_eq_u32_e32 vcc, 0, v15
	v_cndmask_b32_e32 v15, v15, v17, vcc
	v_cndmask_b32_e32 v8, v13, v8, vcc
	v_mov_b32_e32 v13, 0x3b800000
	v_lshlrev_b32_e32 v8, 20, v8
	v_and_b32_e32 v12, 0x80000000, v12
	v_lshl_add_u32 v13, v15, 23, v13
	v_or3_b32 v8, v12, v13, v8
	v_cvt_i32_f32_e32 v12, v8
.LBB71_2263:
	s_or_b64 exec, exec, s[16:17]
.LBB71_2264:
	s_mov_b64 s[16:17], -1
.LBB71_2265:
	s_mov_b64 s[18:19], 0
.LBB71_2266:
	s_and_b64 vcc, exec, s[18:19]
	s_cbranch_vccz .LBB71_2297
; %bb.2267:
	s_cmp_gt_i32 s21, 22
	s_cbranch_scc0 .LBB71_2275
; %bb.2268:
	s_cmp_lt_i32 s21, 24
	s_cbranch_scc1 .LBB71_2278
; %bb.2269:
	s_cmp_gt_i32 s21, 24
	s_cbranch_scc0 .LBB71_2279
; %bb.2270:
	global_load_ubyte v8, v[10:11], off
	s_movk_i32 s6, 0x7f
	s_mov_b64 s[16:17], 0
	s_waitcnt vmcnt(0)
	v_cmp_lt_i16_e32 vcc, s6, v8
	s_and_saveexec_b64 s[6:7], vcc
	s_xor_b64 s[6:7], exec, s[6:7]
	s_cbranch_execz .LBB71_2291
; %bb.2271:
	s_movk_i32 s16, 0x80
	v_cmp_ne_u16_e32 vcc, s16, v8
	s_and_b64 s[16:17], vcc, exec
	s_andn2_saveexec_b64 s[6:7], s[6:7]
	s_cbranch_execnz .LBB71_2292
.LBB71_2272:
	s_or_b64 exec, exec, s[6:7]
	v_mov_b32_e32 v12, 0
	s_and_saveexec_b64 s[6:7], s[16:17]
	s_cbranch_execz .LBB71_2274
.LBB71_2273:
	v_lshlrev_b32_e32 v12, 24, v8
	v_and_b32_e32 v8, 0xffff, v8
	v_and_b32_e32 v13, 3, v8
	v_ffbh_u32_e32 v17, v13
	v_min_u32_e32 v17, 32, v17
	v_subrev_u32_e32 v18, 29, v17
	v_bfe_u32 v15, v8, 2, 5
	v_lshlrev_b32_e32 v8, v18, v8
	v_sub_u32_e32 v17, 30, v17
	v_and_b32_e32 v8, 3, v8
	v_cmp_eq_u32_e32 vcc, 0, v15
	v_cndmask_b32_e32 v15, v15, v17, vcc
	v_cndmask_b32_e32 v8, v13, v8, vcc
	v_mov_b32_e32 v13, 0x37800000
	v_lshlrev_b32_e32 v8, 21, v8
	v_and_b32_e32 v12, 0x80000000, v12
	v_lshl_add_u32 v13, v15, 23, v13
	v_or3_b32 v8, v12, v13, v8
	v_cvt_i32_f32_e32 v12, v8
.LBB71_2274:
	s_or_b64 exec, exec, s[6:7]
	s_mov_b64 s[6:7], 0
	s_branch .LBB71_2280
.LBB71_2275:
	s_mov_b64 s[6:7], -1
                                        ; implicit-def: $vgpr12
	s_branch .LBB71_2286
.LBB71_2276:
	s_andn2_saveexec_b64 s[16:17], s[16:17]
	s_cbranch_execz .LBB71_2261
.LBB71_2277:
	v_cmp_ne_u16_e32 vcc, 0, v8
	s_andn2_b64 s[18:19], s[18:19], exec
	s_and_b64 s[24:25], vcc, exec
	s_or_b64 s[18:19], s[18:19], s[24:25]
	s_or_b64 exec, exec, s[16:17]
	v_mov_b32_e32 v12, 0
	s_and_saveexec_b64 s[16:17], s[18:19]
	s_cbranch_execnz .LBB71_2262
	s_branch .LBB71_2263
.LBB71_2278:
	s_mov_b64 s[6:7], -1
                                        ; implicit-def: $vgpr12
	s_branch .LBB71_2283
.LBB71_2279:
	s_mov_b64 s[6:7], -1
                                        ; implicit-def: $vgpr12
.LBB71_2280:
	s_and_b64 vcc, exec, s[6:7]
	s_cbranch_vccz .LBB71_2282
; %bb.2281:
	global_load_ubyte v8, v[10:11], off
	s_mov_b32 s6, 0x7f800000
	s_waitcnt vmcnt(0)
	v_lshlrev_b32_e32 v8, 24, v8
	v_and_b32_e32 v12, 0x7f000000, v8
	v_ffbh_u32_e32 v13, v12
	v_min_u32_e32 v13, 32, v13
	v_sub_u32_e64 v13, v13, 4 clamp
	v_lshlrev_b32_e32 v17, v13, v12
	v_lshlrev_b32_e32 v13, 23, v13
	v_lshrrev_b32_e32 v17, 4, v17
	v_add_u32_e32 v15, 0x1000000, v12
	v_sub_u32_e32 v13, v17, v13
	v_ashrrev_i32_e32 v15, 8, v15
	v_add_u32_e32 v13, 0x3c000000, v13
	v_and_or_b32 v13, v15, s6, v13
	v_cmp_ne_u32_e32 vcc, 0, v12
	v_cndmask_b32_e32 v12, 0, v13, vcc
	s_brev_b32 s6, 1
	v_and_or_b32 v8, v8, s6, v12
	v_cvt_i32_f32_e32 v12, v8
.LBB71_2282:
	s_mov_b64 s[6:7], 0
.LBB71_2283:
	s_andn2_b64 vcc, exec, s[6:7]
	s_cbranch_vccnz .LBB71_2285
; %bb.2284:
	global_load_ubyte v8, v[10:11], off
	s_movk_i32 s6, 0x7f00
	s_brev_b32 s7, 16
	s_waitcnt vmcnt(0)
	v_lshlrev_b16_e32 v12, 8, v8
	v_lshlrev_b32_e32 v8, 25, v8
	v_lshrrev_b32_e32 v13, 4, v8
	v_and_or_b32 v15, v12, s6, 0.5
	v_or_b32_e32 v13, 0x70000000, v13
	v_add_f32_e32 v15, -0.5, v15
	v_mul_f32_e32 v13, 0x7800000, v13
	v_cmp_gt_u32_e32 vcc, s7, v8
	v_bfe_i32 v12, v12, 0, 16
	v_cndmask_b32_e32 v8, v13, v15, vcc
	s_brev_b32 s6, 1
	v_and_or_b32 v8, v12, s6, v8
	v_cvt_i32_f32_e32 v12, v8
.LBB71_2285:
	s_mov_b64 s[6:7], 0
	s_mov_b64 s[16:17], -1
.LBB71_2286:
	s_andn2_b64 vcc, exec, s[6:7]
	s_mov_b64 s[6:7], 0
	s_cbranch_vccnz .LBB71_2297
; %bb.2287:
	s_cmp_gt_i32 s21, 14
	s_cbranch_scc0 .LBB71_2290
; %bb.2288:
	s_cmp_eq_u32 s21, 15
	s_cbranch_scc0 .LBB71_2293
; %bb.2289:
	global_load_ushort v8, v[10:11], off
	s_mov_b64 s[2:3], 0
	s_mov_b64 s[16:17], -1
	s_waitcnt vmcnt(0)
	v_lshlrev_b32_e32 v8, 16, v8
	v_cvt_i32_f32_e32 v12, v8
	s_branch .LBB71_2294
.LBB71_2290:
	s_mov_b64 s[18:19], -1
                                        ; implicit-def: $vgpr12
	s_branch .LBB71_2295
.LBB71_2291:
	s_andn2_saveexec_b64 s[6:7], s[6:7]
	s_cbranch_execz .LBB71_2272
.LBB71_2292:
	v_cmp_ne_u16_e32 vcc, 0, v8
	s_andn2_b64 s[16:17], s[16:17], exec
	s_and_b64 s[18:19], vcc, exec
	s_or_b64 s[16:17], s[16:17], s[18:19]
	s_or_b64 exec, exec, s[6:7]
	v_mov_b32_e32 v12, 0
	s_and_saveexec_b64 s[6:7], s[16:17]
	s_cbranch_execnz .LBB71_2273
	s_branch .LBB71_2274
.LBB71_2293:
	s_mov_b64 s[2:3], -1
                                        ; implicit-def: $vgpr12
.LBB71_2294:
	s_mov_b64 s[18:19], 0
.LBB71_2295:
	s_and_b64 vcc, exec, s[18:19]
	s_cbranch_vccz .LBB71_2297
; %bb.2296:
	s_cmp_lg_u32 s21, 11
	s_mov_b64 s[6:7], -1
	s_cselect_b64 s[2:3], -1, 0
.LBB71_2297:
	s_and_b64 vcc, exec, s[2:3]
	s_cbranch_vccnz .LBB71_2362
; %bb.2298:
	s_andn2_b64 vcc, exec, s[6:7]
	s_cbranch_vccnz .LBB71_2300
.LBB71_2299:
	global_load_ubyte v8, v[10:11], off
	s_mov_b64 s[16:17], -1
	s_waitcnt vmcnt(0)
	v_cmp_ne_u16_e32 vcc, 0, v8
	v_cndmask_b32_e64 v12, 0, 1, vcc
.LBB71_2300:
	s_mov_b64 s[2:3], 0
.LBB71_2301:
	s_and_b64 vcc, exec, s[2:3]
	s_cbranch_vccz .LBB71_2350
; %bb.2302:
	s_cmp_lt_i32 s21, 5
	s_cbranch_scc1 .LBB71_2307
; %bb.2303:
	s_cmp_lt_i32 s21, 8
	s_cbranch_scc1 .LBB71_2308
	;; [unrolled: 3-line block ×3, first 2 shown]
; %bb.2305:
	s_cmp_gt_i32 s21, 9
	s_cbranch_scc0 .LBB71_2310
; %bb.2306:
	global_load_dwordx2 v[12:13], v[10:11], off
	s_mov_b64 s[2:3], 0
	s_waitcnt vmcnt(0)
	v_cvt_i32_f64_e32 v12, v[12:13]
	s_branch .LBB71_2311
.LBB71_2307:
	s_mov_b64 s[2:3], -1
                                        ; implicit-def: $vgpr12
	s_branch .LBB71_2329
.LBB71_2308:
	s_mov_b64 s[2:3], -1
                                        ; implicit-def: $vgpr12
	s_branch .LBB71_2317
.LBB71_2309:
	s_mov_b64 s[2:3], -1
                                        ; implicit-def: $vgpr12
	s_branch .LBB71_2314
.LBB71_2310:
	s_mov_b64 s[2:3], -1
                                        ; implicit-def: $vgpr12
.LBB71_2311:
	s_andn2_b64 vcc, exec, s[2:3]
	s_cbranch_vccnz .LBB71_2313
; %bb.2312:
	global_load_dword v8, v[10:11], off
	s_waitcnt vmcnt(0)
	v_cvt_i32_f32_e32 v12, v8
.LBB71_2313:
	s_mov_b64 s[2:3], 0
.LBB71_2314:
	s_andn2_b64 vcc, exec, s[2:3]
	s_cbranch_vccnz .LBB71_2316
; %bb.2315:
	global_load_dword v8, v[10:11], off
	s_waitcnt vmcnt(0)
	v_cvt_f32_f16_e32 v8, v8
	v_cvt_i32_f32_e32 v12, v8
.LBB71_2316:
	s_mov_b64 s[2:3], 0
.LBB71_2317:
	s_andn2_b64 vcc, exec, s[2:3]
	s_cbranch_vccnz .LBB71_2328
; %bb.2318:
	s_cmp_lt_i32 s21, 6
	s_cbranch_scc1 .LBB71_2321
; %bb.2319:
	s_cmp_gt_i32 s21, 6
	s_cbranch_scc0 .LBB71_2322
; %bb.2320:
	global_load_dwordx2 v[12:13], v[10:11], off
	s_mov_b64 s[2:3], 0
	s_waitcnt vmcnt(0)
	v_cvt_i32_f64_e32 v12, v[12:13]
	s_branch .LBB71_2323
.LBB71_2321:
	s_mov_b64 s[2:3], -1
                                        ; implicit-def: $vgpr12
	s_branch .LBB71_2326
.LBB71_2322:
	s_mov_b64 s[2:3], -1
                                        ; implicit-def: $vgpr12
.LBB71_2323:
	s_andn2_b64 vcc, exec, s[2:3]
	s_cbranch_vccnz .LBB71_2325
; %bb.2324:
	global_load_dword v8, v[10:11], off
	s_waitcnt vmcnt(0)
	v_cvt_i32_f32_e32 v12, v8
.LBB71_2325:
	s_mov_b64 s[2:3], 0
.LBB71_2326:
	s_andn2_b64 vcc, exec, s[2:3]
	s_cbranch_vccnz .LBB71_2328
; %bb.2327:
	global_load_ushort v8, v[10:11], off
	s_waitcnt vmcnt(0)
	v_cvt_f32_f16_e32 v8, v8
	v_cvt_i32_f32_e32 v12, v8
.LBB71_2328:
	s_mov_b64 s[2:3], 0
.LBB71_2329:
	s_andn2_b64 vcc, exec, s[2:3]
	s_cbranch_vccnz .LBB71_2349
; %bb.2330:
	s_cmp_lt_i32 s21, 2
	s_cbranch_scc1 .LBB71_2334
; %bb.2331:
	s_cmp_lt_i32 s21, 3
	s_cbranch_scc1 .LBB71_2335
; %bb.2332:
	s_cmp_gt_i32 s21, 3
	s_cbranch_scc0 .LBB71_2336
; %bb.2333:
	global_load_dword v12, v[10:11], off
	s_mov_b64 s[2:3], 0
	s_branch .LBB71_2337
.LBB71_2334:
	s_mov_b64 s[2:3], -1
                                        ; implicit-def: $vgpr12
	s_branch .LBB71_2343
.LBB71_2335:
	s_mov_b64 s[2:3], -1
                                        ; implicit-def: $vgpr12
	s_branch .LBB71_2340
.LBB71_2336:
	s_mov_b64 s[2:3], -1
                                        ; implicit-def: $vgpr12
.LBB71_2337:
	s_andn2_b64 vcc, exec, s[2:3]
	s_cbranch_vccnz .LBB71_2339
; %bb.2338:
	global_load_dword v12, v[10:11], off
.LBB71_2339:
	s_mov_b64 s[2:3], 0
.LBB71_2340:
	s_andn2_b64 vcc, exec, s[2:3]
	s_cbranch_vccnz .LBB71_2342
; %bb.2341:
	global_load_sshort v12, v[10:11], off
.LBB71_2342:
	s_mov_b64 s[2:3], 0
.LBB71_2343:
	s_andn2_b64 vcc, exec, s[2:3]
	s_cbranch_vccnz .LBB71_2349
; %bb.2344:
	s_cmp_gt_i32 s21, 0
	s_cbranch_scc0 .LBB71_2346
; %bb.2345:
	global_load_sbyte v12, v[10:11], off
	s_mov_b64 s[2:3], 0
	s_branch .LBB71_2347
.LBB71_2346:
	s_mov_b64 s[2:3], -1
                                        ; implicit-def: $vgpr12
.LBB71_2347:
	s_andn2_b64 vcc, exec, s[2:3]
	s_cbranch_vccnz .LBB71_2349
; %bb.2348:
	global_load_ubyte v12, v[10:11], off
.LBB71_2349:
	s_mov_b64 s[16:17], -1
.LBB71_2350:
	s_andn2_b64 vcc, exec, s[16:17]
	s_cbranch_vccnz .LBB71_3036
; %bb.2351:
	v_mov_b32_e32 v10, s11
	v_add_co_u32_e32 v8, vcc, s10, v9
	s_cmp_lt_i32 s22, 11
	v_addc_co_u32_e32 v9, vcc, 0, v10, vcc
	s_cbranch_scc1 .LBB71_2358
; %bb.2352:
	s_and_b32 s18, 0xffff, s22
	s_cmp_gt_i32 s18, 25
	s_mov_b64 s[6:7], 0
	s_cbranch_scc0 .LBB71_2359
; %bb.2353:
	s_cmp_gt_i32 s18, 28
	s_cbranch_scc0 .LBB71_2360
; %bb.2354:
	s_cmp_gt_i32 s18, 43
	;; [unrolled: 3-line block ×3, first 2 shown]
	s_cbranch_scc0 .LBB71_2363
; %bb.2356:
	s_cmp_eq_u32 s18, 46
	s_mov_b64 s[16:17], 0
	s_cbranch_scc0 .LBB71_2364
; %bb.2357:
	global_load_dword v10, v[8:9], off
	s_mov_b64 s[2:3], 0
	s_mov_b64 s[10:11], -1
	s_waitcnt vmcnt(0)
	v_lshlrev_b32_e32 v10, 16, v10
	v_cvt_i32_f32_e32 v10, v10
	s_branch .LBB71_2365
.LBB71_2358:
	s_mov_b64 s[2:3], -1
	s_mov_b64 s[10:11], 0
                                        ; implicit-def: $vgpr10
	s_branch .LBB71_2427
.LBB71_2359:
	s_mov_b64 s[16:17], -1
	s_mov_b64 s[10:11], 0
	s_mov_b64 s[2:3], 0
                                        ; implicit-def: $vgpr10
	s_branch .LBB71_2392
.LBB71_2360:
	s_mov_b64 s[16:17], -1
	s_mov_b64 s[10:11], 0
	s_mov_b64 s[2:3], 0
                                        ; implicit-def: $vgpr10
	s_branch .LBB71_2375
.LBB71_2361:
	s_mov_b64 s[16:17], -1
	s_mov_b64 s[10:11], 0
	s_mov_b64 s[2:3], 0
                                        ; implicit-def: $vgpr10
	s_branch .LBB71_2370
.LBB71_2362:
	s_trap 2
	s_or_b64 s[4:5], s[4:5], exec
	s_cbranch_execz .LBB71_2299
	s_branch .LBB71_2300
.LBB71_2363:
	s_mov_b64 s[16:17], -1
	s_mov_b64 s[10:11], 0
	s_mov_b64 s[2:3], 0
                                        ; implicit-def: $vgpr10
	s_branch .LBB71_2365
.LBB71_2364:
	s_mov_b64 s[2:3], -1
                                        ; implicit-def: $vgpr10
	s_mov_b64 s[10:11], 0
.LBB71_2365:
	s_and_b64 vcc, exec, s[16:17]
	s_cbranch_vccz .LBB71_2369
; %bb.2366:
	s_cmp_eq_u32 s18, 44
	s_cbranch_scc0 .LBB71_2368
; %bb.2367:
	global_load_ubyte v10, v[8:9], off
	s_mov_b64 s[2:3], 0
	s_mov_b64 s[10:11], -1
	s_waitcnt vmcnt(0)
	v_lshlrev_b32_e32 v11, 23, v10
	v_cvt_i32_f32_e32 v11, v11
	v_cmp_ne_u32_e32 vcc, 0, v10
	v_cndmask_b32_e32 v10, 0, v11, vcc
	s_branch .LBB71_2369
.LBB71_2368:
	s_mov_b64 s[2:3], -1
                                        ; implicit-def: $vgpr10
.LBB71_2369:
	s_mov_b64 s[16:17], 0
.LBB71_2370:
	s_and_b64 vcc, exec, s[16:17]
	s_cbranch_vccz .LBB71_2374
; %bb.2371:
	s_cmp_eq_u32 s18, 29
	s_cbranch_scc0 .LBB71_2373
; %bb.2372:
	global_load_dword v10, v[8:9], off
	s_mov_b64 s[2:3], 0
	s_mov_b64 s[10:11], -1
	s_branch .LBB71_2374
.LBB71_2373:
	s_mov_b64 s[2:3], -1
                                        ; implicit-def: $vgpr10
.LBB71_2374:
	s_mov_b64 s[16:17], 0
.LBB71_2375:
	s_and_b64 vcc, exec, s[16:17]
	s_cbranch_vccz .LBB71_2391
; %bb.2376:
	s_cmp_lt_i32 s18, 27
	s_cbranch_scc1 .LBB71_2379
; %bb.2377:
	s_cmp_gt_i32 s18, 27
	s_cbranch_scc0 .LBB71_2380
; %bb.2378:
	global_load_dword v10, v[8:9], off
	s_mov_b64 s[10:11], 0
	s_branch .LBB71_2381
.LBB71_2379:
	s_mov_b64 s[10:11], -1
                                        ; implicit-def: $vgpr10
	s_branch .LBB71_2384
.LBB71_2380:
	s_mov_b64 s[10:11], -1
                                        ; implicit-def: $vgpr10
.LBB71_2381:
	s_andn2_b64 vcc, exec, s[10:11]
	s_cbranch_vccnz .LBB71_2383
; %bb.2382:
	global_load_ushort v10, v[8:9], off
.LBB71_2383:
	s_mov_b64 s[10:11], 0
.LBB71_2384:
	s_andn2_b64 vcc, exec, s[10:11]
	s_cbranch_vccnz .LBB71_2390
; %bb.2385:
	global_load_ubyte v11, v[8:9], off
	s_movk_i32 s10, 0x7f
	s_mov_b64 s[16:17], 0
	s_waitcnt vmcnt(0)
	v_cmp_lt_i16_e32 vcc, s10, v11
	s_and_saveexec_b64 s[10:11], vcc
	s_xor_b64 s[10:11], exec, s[10:11]
	s_cbranch_execz .LBB71_2402
; %bb.2386:
	s_movk_i32 s16, 0x80
	v_cmp_ne_u16_e32 vcc, s16, v11
	s_and_b64 s[16:17], vcc, exec
	s_andn2_saveexec_b64 s[10:11], s[10:11]
	s_cbranch_execnz .LBB71_2403
.LBB71_2387:
	s_or_b64 exec, exec, s[10:11]
	v_mov_b32_e32 v10, 0
	s_and_saveexec_b64 s[10:11], s[16:17]
	s_cbranch_execz .LBB71_2389
.LBB71_2388:
	v_lshlrev_b32_e32 v10, 24, v11
	v_and_b32_e32 v11, 0xffff, v11
	v_and_b32_e32 v13, 7, v11
	v_ffbh_u32_e32 v17, v13
	v_min_u32_e32 v17, 32, v17
	v_subrev_u32_e32 v18, 28, v17
	v_bfe_u32 v15, v11, 3, 4
	v_lshlrev_b32_e32 v11, v18, v11
	v_sub_u32_e32 v17, 29, v17
	v_and_b32_e32 v11, 7, v11
	v_cmp_eq_u32_e32 vcc, 0, v15
	v_cndmask_b32_e32 v15, v15, v17, vcc
	v_cndmask_b32_e32 v11, v13, v11, vcc
	v_mov_b32_e32 v13, 0x3b800000
	v_lshlrev_b32_e32 v11, 20, v11
	v_and_b32_e32 v10, 0x80000000, v10
	v_lshl_add_u32 v13, v15, 23, v13
	v_or3_b32 v10, v10, v13, v11
	v_cvt_i32_f32_e32 v10, v10
.LBB71_2389:
	s_or_b64 exec, exec, s[10:11]
.LBB71_2390:
	s_mov_b64 s[10:11], -1
.LBB71_2391:
	s_mov_b64 s[16:17], 0
.LBB71_2392:
	s_and_b64 vcc, exec, s[16:17]
	s_cbranch_vccz .LBB71_2423
; %bb.2393:
	s_cmp_gt_i32 s18, 22
	s_cbranch_scc0 .LBB71_2401
; %bb.2394:
	s_cmp_lt_i32 s18, 24
	s_cbranch_scc1 .LBB71_2404
; %bb.2395:
	s_cmp_gt_i32 s18, 24
	s_cbranch_scc0 .LBB71_2405
; %bb.2396:
	global_load_ubyte v11, v[8:9], off
	s_movk_i32 s6, 0x7f
	s_mov_b64 s[10:11], 0
	s_waitcnt vmcnt(0)
	v_cmp_lt_i16_e32 vcc, s6, v11
	s_and_saveexec_b64 s[6:7], vcc
	s_xor_b64 s[6:7], exec, s[6:7]
	s_cbranch_execz .LBB71_2417
; %bb.2397:
	s_movk_i32 s10, 0x80
	v_cmp_ne_u16_e32 vcc, s10, v11
	s_and_b64 s[10:11], vcc, exec
	s_andn2_saveexec_b64 s[6:7], s[6:7]
	s_cbranch_execnz .LBB71_2418
.LBB71_2398:
	s_or_b64 exec, exec, s[6:7]
	v_mov_b32_e32 v10, 0
	s_and_saveexec_b64 s[6:7], s[10:11]
	s_cbranch_execz .LBB71_2400
.LBB71_2399:
	v_lshlrev_b32_e32 v10, 24, v11
	v_and_b32_e32 v11, 0xffff, v11
	v_and_b32_e32 v13, 3, v11
	v_ffbh_u32_e32 v17, v13
	v_min_u32_e32 v17, 32, v17
	v_subrev_u32_e32 v18, 29, v17
	v_bfe_u32 v15, v11, 2, 5
	v_lshlrev_b32_e32 v11, v18, v11
	v_sub_u32_e32 v17, 30, v17
	v_and_b32_e32 v11, 3, v11
	v_cmp_eq_u32_e32 vcc, 0, v15
	v_cndmask_b32_e32 v15, v15, v17, vcc
	v_cndmask_b32_e32 v11, v13, v11, vcc
	v_mov_b32_e32 v13, 0x37800000
	v_lshlrev_b32_e32 v11, 21, v11
	v_and_b32_e32 v10, 0x80000000, v10
	v_lshl_add_u32 v13, v15, 23, v13
	v_or3_b32 v10, v10, v13, v11
	v_cvt_i32_f32_e32 v10, v10
.LBB71_2400:
	s_or_b64 exec, exec, s[6:7]
	s_mov_b64 s[6:7], 0
	s_branch .LBB71_2406
.LBB71_2401:
	s_mov_b64 s[6:7], -1
                                        ; implicit-def: $vgpr10
	s_branch .LBB71_2412
.LBB71_2402:
	s_andn2_saveexec_b64 s[10:11], s[10:11]
	s_cbranch_execz .LBB71_2387
.LBB71_2403:
	v_cmp_ne_u16_e32 vcc, 0, v11
	s_andn2_b64 s[16:17], s[16:17], exec
	s_and_b64 s[24:25], vcc, exec
	s_or_b64 s[16:17], s[16:17], s[24:25]
	s_or_b64 exec, exec, s[10:11]
	v_mov_b32_e32 v10, 0
	s_and_saveexec_b64 s[10:11], s[16:17]
	s_cbranch_execnz .LBB71_2388
	s_branch .LBB71_2389
.LBB71_2404:
	s_mov_b64 s[6:7], -1
                                        ; implicit-def: $vgpr10
	s_branch .LBB71_2409
.LBB71_2405:
	s_mov_b64 s[6:7], -1
                                        ; implicit-def: $vgpr10
.LBB71_2406:
	s_and_b64 vcc, exec, s[6:7]
	s_cbranch_vccz .LBB71_2408
; %bb.2407:
	global_load_ubyte v10, v[8:9], off
	s_mov_b32 s6, 0x7f800000
	s_waitcnt vmcnt(0)
	v_lshlrev_b32_e32 v10, 24, v10
	v_and_b32_e32 v11, 0x7f000000, v10
	v_ffbh_u32_e32 v13, v11
	v_min_u32_e32 v13, 32, v13
	v_sub_u32_e64 v13, v13, 4 clamp
	v_lshlrev_b32_e32 v17, v13, v11
	v_lshlrev_b32_e32 v13, 23, v13
	v_lshrrev_b32_e32 v17, 4, v17
	v_add_u32_e32 v15, 0x1000000, v11
	v_sub_u32_e32 v13, v17, v13
	v_ashrrev_i32_e32 v15, 8, v15
	v_add_u32_e32 v13, 0x3c000000, v13
	v_and_or_b32 v13, v15, s6, v13
	v_cmp_ne_u32_e32 vcc, 0, v11
	v_cndmask_b32_e32 v11, 0, v13, vcc
	s_brev_b32 s6, 1
	v_and_or_b32 v10, v10, s6, v11
	v_cvt_i32_f32_e32 v10, v10
.LBB71_2408:
	s_mov_b64 s[6:7], 0
.LBB71_2409:
	s_andn2_b64 vcc, exec, s[6:7]
	s_cbranch_vccnz .LBB71_2411
; %bb.2410:
	global_load_ubyte v10, v[8:9], off
	s_movk_i32 s6, 0x7f00
	s_brev_b32 s7, 16
	s_waitcnt vmcnt(0)
	v_lshlrev_b16_e32 v11, 8, v10
	v_lshlrev_b32_e32 v10, 25, v10
	v_lshrrev_b32_e32 v13, 4, v10
	v_and_or_b32 v15, v11, s6, 0.5
	v_or_b32_e32 v13, 0x70000000, v13
	v_add_f32_e32 v15, -0.5, v15
	v_mul_f32_e32 v13, 0x7800000, v13
	v_cmp_gt_u32_e32 vcc, s7, v10
	v_bfe_i32 v11, v11, 0, 16
	v_cndmask_b32_e32 v10, v13, v15, vcc
	s_brev_b32 s6, 1
	v_and_or_b32 v10, v11, s6, v10
	v_cvt_i32_f32_e32 v10, v10
.LBB71_2411:
	s_mov_b64 s[6:7], 0
	s_mov_b64 s[10:11], -1
.LBB71_2412:
	s_andn2_b64 vcc, exec, s[6:7]
	s_mov_b64 s[6:7], 0
	s_cbranch_vccnz .LBB71_2423
; %bb.2413:
	s_cmp_gt_i32 s18, 14
	s_cbranch_scc0 .LBB71_2416
; %bb.2414:
	s_cmp_eq_u32 s18, 15
	s_cbranch_scc0 .LBB71_2419
; %bb.2415:
	global_load_ushort v10, v[8:9], off
	s_mov_b64 s[2:3], 0
	s_mov_b64 s[10:11], -1
	s_waitcnt vmcnt(0)
	v_lshlrev_b32_e32 v10, 16, v10
	v_cvt_i32_f32_e32 v10, v10
	s_branch .LBB71_2420
.LBB71_2416:
	s_mov_b64 s[16:17], -1
                                        ; implicit-def: $vgpr10
	s_branch .LBB71_2421
.LBB71_2417:
	s_andn2_saveexec_b64 s[6:7], s[6:7]
	s_cbranch_execz .LBB71_2398
.LBB71_2418:
	v_cmp_ne_u16_e32 vcc, 0, v11
	s_andn2_b64 s[10:11], s[10:11], exec
	s_and_b64 s[16:17], vcc, exec
	s_or_b64 s[10:11], s[10:11], s[16:17]
	s_or_b64 exec, exec, s[6:7]
	v_mov_b32_e32 v10, 0
	s_and_saveexec_b64 s[6:7], s[10:11]
	s_cbranch_execnz .LBB71_2399
	s_branch .LBB71_2400
.LBB71_2419:
	s_mov_b64 s[2:3], -1
                                        ; implicit-def: $vgpr10
.LBB71_2420:
	s_mov_b64 s[16:17], 0
.LBB71_2421:
	s_and_b64 vcc, exec, s[16:17]
	s_cbranch_vccz .LBB71_2423
; %bb.2422:
	s_cmp_lg_u32 s18, 11
	s_mov_b64 s[6:7], -1
	s_cselect_b64 s[2:3], -1, 0
.LBB71_2423:
	s_and_b64 vcc, exec, s[2:3]
	s_cbranch_vccnz .LBB71_2488
; %bb.2424:
	s_andn2_b64 vcc, exec, s[6:7]
	s_cbranch_vccnz .LBB71_2426
.LBB71_2425:
	global_load_ubyte v10, v[8:9], off
	s_mov_b64 s[10:11], -1
	s_waitcnt vmcnt(0)
	v_cmp_ne_u16_e32 vcc, 0, v10
	v_cndmask_b32_e64 v10, 0, 1, vcc
.LBB71_2426:
	s_mov_b64 s[2:3], 0
.LBB71_2427:
	s_and_b64 vcc, exec, s[2:3]
	s_cbranch_vccz .LBB71_2476
; %bb.2428:
	s_and_b32 s6, 0xffff, s22
	s_cmp_lt_i32 s6, 5
	s_cbranch_scc1 .LBB71_2433
; %bb.2429:
	s_cmp_lt_i32 s6, 8
	s_cbranch_scc1 .LBB71_2434
; %bb.2430:
	s_cmp_lt_i32 s6, 9
	s_cbranch_scc1 .LBB71_2435
; %bb.2431:
	s_cmp_gt_i32 s6, 9
	s_cbranch_scc0 .LBB71_2436
; %bb.2432:
	global_load_dwordx2 v[10:11], v[8:9], off
	s_mov_b64 s[2:3], 0
	s_waitcnt vmcnt(0)
	v_cvt_i32_f64_e32 v10, v[10:11]
	s_branch .LBB71_2437
.LBB71_2433:
	s_mov_b64 s[2:3], -1
                                        ; implicit-def: $vgpr10
	s_branch .LBB71_2455
.LBB71_2434:
	s_mov_b64 s[2:3], -1
                                        ; implicit-def: $vgpr10
	s_branch .LBB71_2443
.LBB71_2435:
	s_mov_b64 s[2:3], -1
                                        ; implicit-def: $vgpr10
	s_branch .LBB71_2440
.LBB71_2436:
	s_mov_b64 s[2:3], -1
                                        ; implicit-def: $vgpr10
.LBB71_2437:
	s_andn2_b64 vcc, exec, s[2:3]
	s_cbranch_vccnz .LBB71_2439
; %bb.2438:
	global_load_dword v10, v[8:9], off
	s_waitcnt vmcnt(0)
	v_cvt_i32_f32_e32 v10, v10
.LBB71_2439:
	s_mov_b64 s[2:3], 0
.LBB71_2440:
	s_andn2_b64 vcc, exec, s[2:3]
	s_cbranch_vccnz .LBB71_2442
; %bb.2441:
	global_load_dword v10, v[8:9], off
	s_waitcnt vmcnt(0)
	v_cvt_f32_f16_e32 v10, v10
	v_cvt_i32_f32_e32 v10, v10
.LBB71_2442:
	s_mov_b64 s[2:3], 0
.LBB71_2443:
	s_andn2_b64 vcc, exec, s[2:3]
	s_cbranch_vccnz .LBB71_2454
; %bb.2444:
	s_cmp_lt_i32 s6, 6
	s_cbranch_scc1 .LBB71_2447
; %bb.2445:
	s_cmp_gt_i32 s6, 6
	s_cbranch_scc0 .LBB71_2448
; %bb.2446:
	global_load_dwordx2 v[10:11], v[8:9], off
	s_mov_b64 s[2:3], 0
	s_waitcnt vmcnt(0)
	v_cvt_i32_f64_e32 v10, v[10:11]
	s_branch .LBB71_2449
.LBB71_2447:
	s_mov_b64 s[2:3], -1
                                        ; implicit-def: $vgpr10
	s_branch .LBB71_2452
.LBB71_2448:
	s_mov_b64 s[2:3], -1
                                        ; implicit-def: $vgpr10
.LBB71_2449:
	s_andn2_b64 vcc, exec, s[2:3]
	s_cbranch_vccnz .LBB71_2451
; %bb.2450:
	global_load_dword v10, v[8:9], off
	s_waitcnt vmcnt(0)
	v_cvt_i32_f32_e32 v10, v10
.LBB71_2451:
	s_mov_b64 s[2:3], 0
.LBB71_2452:
	s_andn2_b64 vcc, exec, s[2:3]
	s_cbranch_vccnz .LBB71_2454
; %bb.2453:
	global_load_ushort v10, v[8:9], off
	s_waitcnt vmcnt(0)
	v_cvt_f32_f16_e32 v10, v10
	v_cvt_i32_f32_e32 v10, v10
.LBB71_2454:
	s_mov_b64 s[2:3], 0
.LBB71_2455:
	s_andn2_b64 vcc, exec, s[2:3]
	s_cbranch_vccnz .LBB71_2475
; %bb.2456:
	s_cmp_lt_i32 s6, 2
	s_cbranch_scc1 .LBB71_2460
; %bb.2457:
	s_cmp_lt_i32 s6, 3
	s_cbranch_scc1 .LBB71_2461
; %bb.2458:
	s_cmp_gt_i32 s6, 3
	s_cbranch_scc0 .LBB71_2462
; %bb.2459:
	global_load_dword v10, v[8:9], off
	s_mov_b64 s[2:3], 0
	s_branch .LBB71_2463
.LBB71_2460:
	s_mov_b64 s[2:3], -1
                                        ; implicit-def: $vgpr10
	s_branch .LBB71_2469
.LBB71_2461:
	s_mov_b64 s[2:3], -1
                                        ; implicit-def: $vgpr10
	s_branch .LBB71_2466
.LBB71_2462:
	s_mov_b64 s[2:3], -1
                                        ; implicit-def: $vgpr10
.LBB71_2463:
	s_andn2_b64 vcc, exec, s[2:3]
	s_cbranch_vccnz .LBB71_2465
; %bb.2464:
	global_load_dword v10, v[8:9], off
.LBB71_2465:
	s_mov_b64 s[2:3], 0
.LBB71_2466:
	s_andn2_b64 vcc, exec, s[2:3]
	s_cbranch_vccnz .LBB71_2468
; %bb.2467:
	global_load_sshort v10, v[8:9], off
.LBB71_2468:
	s_mov_b64 s[2:3], 0
.LBB71_2469:
	s_andn2_b64 vcc, exec, s[2:3]
	s_cbranch_vccnz .LBB71_2475
; %bb.2470:
	s_cmp_gt_i32 s6, 0
	s_cbranch_scc0 .LBB71_2472
; %bb.2471:
	global_load_sbyte v10, v[8:9], off
	s_mov_b64 s[2:3], 0
	s_branch .LBB71_2473
.LBB71_2472:
	s_mov_b64 s[2:3], -1
                                        ; implicit-def: $vgpr10
.LBB71_2473:
	s_andn2_b64 vcc, exec, s[2:3]
	s_cbranch_vccnz .LBB71_2475
; %bb.2474:
	global_load_ubyte v10, v[8:9], off
.LBB71_2475:
	s_mov_b64 s[10:11], -1
.LBB71_2476:
	s_andn2_b64 vcc, exec, s[10:11]
	s_cbranch_vccnz .LBB71_3036
; %bb.2477:
	v_mov_b32_e32 v8, s1
	v_add_co_u32_e32 v7, vcc, s0, v7
	s_cmp_lt_i32 s21, 11
	v_addc_co_u32_e32 v8, vcc, 0, v8, vcc
	s_cbranch_scc1 .LBB71_2484
; %bb.2478:
	s_cmp_gt_i32 s21, 25
	s_mov_b64 s[2:3], 0
	s_cbranch_scc0 .LBB71_2485
; %bb.2479:
	s_cmp_gt_i32 s21, 28
	s_cbranch_scc0 .LBB71_2486
; %bb.2480:
	s_cmp_gt_i32 s21, 43
	;; [unrolled: 3-line block ×3, first 2 shown]
	s_cbranch_scc0 .LBB71_2489
; %bb.2482:
	s_cmp_eq_u32 s21, 46
	s_mov_b64 s[10:11], 0
	s_cbranch_scc0 .LBB71_2490
; %bb.2483:
	global_load_dword v9, v[7:8], off
	s_mov_b64 s[0:1], 0
	s_mov_b64 s[6:7], -1
	s_waitcnt vmcnt(0)
	v_lshlrev_b32_e32 v9, 16, v9
	v_cvt_i32_f32_e32 v9, v9
	s_branch .LBB71_2491
.LBB71_2484:
	s_mov_b64 s[0:1], -1
	s_mov_b64 s[6:7], 0
                                        ; implicit-def: $vgpr9
	s_branch .LBB71_2553
.LBB71_2485:
	s_mov_b64 s[10:11], -1
	s_mov_b64 s[6:7], 0
	s_mov_b64 s[0:1], 0
                                        ; implicit-def: $vgpr9
	s_branch .LBB71_2518
.LBB71_2486:
	s_mov_b64 s[10:11], -1
	s_mov_b64 s[6:7], 0
	s_mov_b64 s[0:1], 0
                                        ; implicit-def: $vgpr9
	s_branch .LBB71_2501
.LBB71_2487:
	s_mov_b64 s[10:11], -1
	s_mov_b64 s[6:7], 0
	s_mov_b64 s[0:1], 0
                                        ; implicit-def: $vgpr9
	s_branch .LBB71_2496
.LBB71_2488:
	s_trap 2
	s_or_b64 s[4:5], s[4:5], exec
	s_cbranch_execz .LBB71_2425
	s_branch .LBB71_2426
.LBB71_2489:
	s_mov_b64 s[10:11], -1
	s_mov_b64 s[6:7], 0
	s_mov_b64 s[0:1], 0
                                        ; implicit-def: $vgpr9
	s_branch .LBB71_2491
.LBB71_2490:
	s_mov_b64 s[0:1], -1
                                        ; implicit-def: $vgpr9
	s_mov_b64 s[6:7], 0
.LBB71_2491:
	s_and_b64 vcc, exec, s[10:11]
	s_cbranch_vccz .LBB71_2495
; %bb.2492:
	s_cmp_eq_u32 s21, 44
	s_cbranch_scc0 .LBB71_2494
; %bb.2493:
	global_load_ubyte v9, v[7:8], off
	s_mov_b64 s[0:1], 0
	s_mov_b64 s[6:7], -1
	s_waitcnt vmcnt(0)
	v_lshlrev_b32_e32 v11, 23, v9
	v_cvt_i32_f32_e32 v11, v11
	v_cmp_ne_u32_e32 vcc, 0, v9
	v_cndmask_b32_e32 v9, 0, v11, vcc
	s_branch .LBB71_2495
.LBB71_2494:
	s_mov_b64 s[0:1], -1
                                        ; implicit-def: $vgpr9
.LBB71_2495:
	s_mov_b64 s[10:11], 0
.LBB71_2496:
	s_and_b64 vcc, exec, s[10:11]
	s_cbranch_vccz .LBB71_2500
; %bb.2497:
	s_cmp_eq_u32 s21, 29
	s_cbranch_scc0 .LBB71_2499
; %bb.2498:
	global_load_dword v9, v[7:8], off
	s_mov_b64 s[0:1], 0
	s_mov_b64 s[6:7], -1
	s_branch .LBB71_2500
.LBB71_2499:
	s_mov_b64 s[0:1], -1
                                        ; implicit-def: $vgpr9
.LBB71_2500:
	s_mov_b64 s[10:11], 0
.LBB71_2501:
	s_and_b64 vcc, exec, s[10:11]
	s_cbranch_vccz .LBB71_2517
; %bb.2502:
	s_cmp_lt_i32 s21, 27
	s_cbranch_scc1 .LBB71_2505
; %bb.2503:
	s_cmp_gt_i32 s21, 27
	s_cbranch_scc0 .LBB71_2506
; %bb.2504:
	global_load_dword v9, v[7:8], off
	s_mov_b64 s[6:7], 0
	s_branch .LBB71_2507
.LBB71_2505:
	s_mov_b64 s[6:7], -1
                                        ; implicit-def: $vgpr9
	s_branch .LBB71_2510
.LBB71_2506:
	s_mov_b64 s[6:7], -1
                                        ; implicit-def: $vgpr9
.LBB71_2507:
	s_andn2_b64 vcc, exec, s[6:7]
	s_cbranch_vccnz .LBB71_2509
; %bb.2508:
	global_load_ushort v9, v[7:8], off
.LBB71_2509:
	s_mov_b64 s[6:7], 0
.LBB71_2510:
	s_andn2_b64 vcc, exec, s[6:7]
	s_cbranch_vccnz .LBB71_2516
; %bb.2511:
	global_load_ubyte v11, v[7:8], off
	s_movk_i32 s6, 0x7f
	s_mov_b64 s[10:11], 0
	s_waitcnt vmcnt(0)
	v_cmp_lt_i16_e32 vcc, s6, v11
	s_and_saveexec_b64 s[6:7], vcc
	s_xor_b64 s[6:7], exec, s[6:7]
	s_cbranch_execz .LBB71_2528
; %bb.2512:
	s_movk_i32 s10, 0x80
	v_cmp_ne_u16_e32 vcc, s10, v11
	s_and_b64 s[10:11], vcc, exec
	s_andn2_saveexec_b64 s[6:7], s[6:7]
	s_cbranch_execnz .LBB71_2529
.LBB71_2513:
	s_or_b64 exec, exec, s[6:7]
	v_mov_b32_e32 v9, 0
	s_and_saveexec_b64 s[6:7], s[10:11]
	s_cbranch_execz .LBB71_2515
.LBB71_2514:
	v_lshlrev_b32_e32 v9, 24, v11
	v_and_b32_e32 v11, 0xffff, v11
	v_and_b32_e32 v13, 7, v11
	v_ffbh_u32_e32 v17, v13
	v_min_u32_e32 v17, 32, v17
	v_subrev_u32_e32 v18, 28, v17
	v_bfe_u32 v15, v11, 3, 4
	v_lshlrev_b32_e32 v11, v18, v11
	v_sub_u32_e32 v17, 29, v17
	v_and_b32_e32 v11, 7, v11
	v_cmp_eq_u32_e32 vcc, 0, v15
	v_cndmask_b32_e32 v15, v15, v17, vcc
	v_cndmask_b32_e32 v11, v13, v11, vcc
	v_mov_b32_e32 v13, 0x3b800000
	v_lshlrev_b32_e32 v11, 20, v11
	v_and_b32_e32 v9, 0x80000000, v9
	v_lshl_add_u32 v13, v15, 23, v13
	v_or3_b32 v9, v9, v13, v11
	v_cvt_i32_f32_e32 v9, v9
.LBB71_2515:
	s_or_b64 exec, exec, s[6:7]
.LBB71_2516:
	s_mov_b64 s[6:7], -1
.LBB71_2517:
	s_mov_b64 s[10:11], 0
.LBB71_2518:
	s_and_b64 vcc, exec, s[10:11]
	s_cbranch_vccz .LBB71_2549
; %bb.2519:
	s_cmp_gt_i32 s21, 22
	s_cbranch_scc0 .LBB71_2527
; %bb.2520:
	s_cmp_lt_i32 s21, 24
	s_cbranch_scc1 .LBB71_2530
; %bb.2521:
	s_cmp_gt_i32 s21, 24
	s_cbranch_scc0 .LBB71_2531
; %bb.2522:
	global_load_ubyte v11, v[7:8], off
	s_movk_i32 s2, 0x7f
	s_mov_b64 s[6:7], 0
	s_waitcnt vmcnt(0)
	v_cmp_lt_i16_e32 vcc, s2, v11
	s_and_saveexec_b64 s[2:3], vcc
	s_xor_b64 s[2:3], exec, s[2:3]
	s_cbranch_execz .LBB71_2543
; %bb.2523:
	s_movk_i32 s6, 0x80
	v_cmp_ne_u16_e32 vcc, s6, v11
	s_and_b64 s[6:7], vcc, exec
	s_andn2_saveexec_b64 s[2:3], s[2:3]
	s_cbranch_execnz .LBB71_2544
.LBB71_2524:
	s_or_b64 exec, exec, s[2:3]
	v_mov_b32_e32 v9, 0
	s_and_saveexec_b64 s[2:3], s[6:7]
	s_cbranch_execz .LBB71_2526
.LBB71_2525:
	v_lshlrev_b32_e32 v9, 24, v11
	v_and_b32_e32 v11, 0xffff, v11
	v_and_b32_e32 v13, 3, v11
	v_ffbh_u32_e32 v17, v13
	v_min_u32_e32 v17, 32, v17
	v_subrev_u32_e32 v18, 29, v17
	v_bfe_u32 v15, v11, 2, 5
	v_lshlrev_b32_e32 v11, v18, v11
	v_sub_u32_e32 v17, 30, v17
	v_and_b32_e32 v11, 3, v11
	v_cmp_eq_u32_e32 vcc, 0, v15
	v_cndmask_b32_e32 v15, v15, v17, vcc
	v_cndmask_b32_e32 v11, v13, v11, vcc
	v_mov_b32_e32 v13, 0x37800000
	v_lshlrev_b32_e32 v11, 21, v11
	v_and_b32_e32 v9, 0x80000000, v9
	v_lshl_add_u32 v13, v15, 23, v13
	v_or3_b32 v9, v9, v13, v11
	v_cvt_i32_f32_e32 v9, v9
.LBB71_2526:
	s_or_b64 exec, exec, s[2:3]
	s_mov_b64 s[2:3], 0
	s_branch .LBB71_2532
.LBB71_2527:
	s_mov_b64 s[2:3], -1
                                        ; implicit-def: $vgpr9
	s_branch .LBB71_2538
.LBB71_2528:
	s_andn2_saveexec_b64 s[6:7], s[6:7]
	s_cbranch_execz .LBB71_2513
.LBB71_2529:
	v_cmp_ne_u16_e32 vcc, 0, v11
	s_andn2_b64 s[10:11], s[10:11], exec
	s_and_b64 s[16:17], vcc, exec
	s_or_b64 s[10:11], s[10:11], s[16:17]
	s_or_b64 exec, exec, s[6:7]
	v_mov_b32_e32 v9, 0
	s_and_saveexec_b64 s[6:7], s[10:11]
	s_cbranch_execnz .LBB71_2514
	s_branch .LBB71_2515
.LBB71_2530:
	s_mov_b64 s[2:3], -1
                                        ; implicit-def: $vgpr9
	s_branch .LBB71_2535
.LBB71_2531:
	s_mov_b64 s[2:3], -1
                                        ; implicit-def: $vgpr9
.LBB71_2532:
	s_and_b64 vcc, exec, s[2:3]
	s_cbranch_vccz .LBB71_2534
; %bb.2533:
	global_load_ubyte v9, v[7:8], off
	s_mov_b32 s2, 0x7f800000
	s_waitcnt vmcnt(0)
	v_lshlrev_b32_e32 v9, 24, v9
	v_and_b32_e32 v11, 0x7f000000, v9
	v_ffbh_u32_e32 v13, v11
	v_min_u32_e32 v13, 32, v13
	v_sub_u32_e64 v13, v13, 4 clamp
	v_lshlrev_b32_e32 v17, v13, v11
	v_lshlrev_b32_e32 v13, 23, v13
	v_lshrrev_b32_e32 v17, 4, v17
	v_add_u32_e32 v15, 0x1000000, v11
	v_sub_u32_e32 v13, v17, v13
	v_ashrrev_i32_e32 v15, 8, v15
	v_add_u32_e32 v13, 0x3c000000, v13
	v_and_or_b32 v13, v15, s2, v13
	v_cmp_ne_u32_e32 vcc, 0, v11
	v_cndmask_b32_e32 v11, 0, v13, vcc
	s_brev_b32 s2, 1
	v_and_or_b32 v9, v9, s2, v11
	v_cvt_i32_f32_e32 v9, v9
.LBB71_2534:
	s_mov_b64 s[2:3], 0
.LBB71_2535:
	s_andn2_b64 vcc, exec, s[2:3]
	s_cbranch_vccnz .LBB71_2537
; %bb.2536:
	global_load_ubyte v9, v[7:8], off
	s_movk_i32 s2, 0x7f00
	s_brev_b32 s3, 16
	s_waitcnt vmcnt(0)
	v_lshlrev_b16_e32 v11, 8, v9
	v_lshlrev_b32_e32 v9, 25, v9
	v_lshrrev_b32_e32 v13, 4, v9
	v_and_or_b32 v15, v11, s2, 0.5
	v_or_b32_e32 v13, 0x70000000, v13
	v_add_f32_e32 v15, -0.5, v15
	v_mul_f32_e32 v13, 0x7800000, v13
	v_cmp_gt_u32_e32 vcc, s3, v9
	v_bfe_i32 v11, v11, 0, 16
	v_cndmask_b32_e32 v9, v13, v15, vcc
	s_brev_b32 s2, 1
	v_and_or_b32 v9, v11, s2, v9
	v_cvt_i32_f32_e32 v9, v9
.LBB71_2537:
	s_mov_b64 s[2:3], 0
	s_mov_b64 s[6:7], -1
.LBB71_2538:
	s_andn2_b64 vcc, exec, s[2:3]
	s_mov_b64 s[2:3], 0
	s_cbranch_vccnz .LBB71_2549
; %bb.2539:
	s_cmp_gt_i32 s21, 14
	s_cbranch_scc0 .LBB71_2542
; %bb.2540:
	s_cmp_eq_u32 s21, 15
	s_cbranch_scc0 .LBB71_2545
; %bb.2541:
	global_load_ushort v9, v[7:8], off
	s_mov_b64 s[0:1], 0
	s_mov_b64 s[6:7], -1
	s_waitcnt vmcnt(0)
	v_lshlrev_b32_e32 v9, 16, v9
	v_cvt_i32_f32_e32 v9, v9
	s_branch .LBB71_2546
.LBB71_2542:
	s_mov_b64 s[10:11], -1
                                        ; implicit-def: $vgpr9
	s_branch .LBB71_2547
.LBB71_2543:
	s_andn2_saveexec_b64 s[2:3], s[2:3]
	s_cbranch_execz .LBB71_2524
.LBB71_2544:
	v_cmp_ne_u16_e32 vcc, 0, v11
	s_andn2_b64 s[6:7], s[6:7], exec
	s_and_b64 s[10:11], vcc, exec
	s_or_b64 s[6:7], s[6:7], s[10:11]
	s_or_b64 exec, exec, s[2:3]
	v_mov_b32_e32 v9, 0
	s_and_saveexec_b64 s[2:3], s[6:7]
	s_cbranch_execnz .LBB71_2525
	s_branch .LBB71_2526
.LBB71_2545:
	s_mov_b64 s[0:1], -1
                                        ; implicit-def: $vgpr9
.LBB71_2546:
	s_mov_b64 s[10:11], 0
.LBB71_2547:
	s_and_b64 vcc, exec, s[10:11]
	s_cbranch_vccz .LBB71_2549
; %bb.2548:
	s_cmp_lg_u32 s21, 11
	s_mov_b64 s[2:3], -1
	s_cselect_b64 s[0:1], -1, 0
.LBB71_2549:
	s_and_b64 vcc, exec, s[0:1]
	s_cbranch_vccnz .LBB71_3082
; %bb.2550:
	s_andn2_b64 vcc, exec, s[2:3]
	s_cbranch_vccnz .LBB71_2552
.LBB71_2551:
	global_load_ubyte v9, v[7:8], off
	s_mov_b64 s[6:7], -1
	s_waitcnt vmcnt(0)
	v_cmp_ne_u16_e32 vcc, 0, v9
	v_cndmask_b32_e64 v9, 0, 1, vcc
.LBB71_2552:
	s_mov_b64 s[0:1], 0
.LBB71_2553:
	s_and_b64 vcc, exec, s[0:1]
	s_cbranch_vccz .LBB71_2602
; %bb.2554:
	s_cmp_lt_i32 s21, 5
	s_cbranch_scc1 .LBB71_2559
; %bb.2555:
	s_cmp_lt_i32 s21, 8
	s_cbranch_scc1 .LBB71_2560
	;; [unrolled: 3-line block ×3, first 2 shown]
; %bb.2557:
	s_cmp_gt_i32 s21, 9
	s_cbranch_scc0 .LBB71_2562
; %bb.2558:
	global_load_dwordx2 v[17:18], v[7:8], off
	s_mov_b64 s[0:1], 0
	s_waitcnt vmcnt(0)
	v_cvt_i32_f64_e32 v9, v[17:18]
	s_branch .LBB71_2563
.LBB71_2559:
	s_mov_b64 s[0:1], -1
                                        ; implicit-def: $vgpr9
	s_branch .LBB71_2581
.LBB71_2560:
	s_mov_b64 s[0:1], -1
                                        ; implicit-def: $vgpr9
	s_branch .LBB71_2569
.LBB71_2561:
	s_mov_b64 s[0:1], -1
                                        ; implicit-def: $vgpr9
	s_branch .LBB71_2566
.LBB71_2562:
	s_mov_b64 s[0:1], -1
                                        ; implicit-def: $vgpr9
.LBB71_2563:
	s_andn2_b64 vcc, exec, s[0:1]
	s_cbranch_vccnz .LBB71_2565
; %bb.2564:
	global_load_dword v9, v[7:8], off
	s_waitcnt vmcnt(0)
	v_cvt_i32_f32_e32 v9, v9
.LBB71_2565:
	s_mov_b64 s[0:1], 0
.LBB71_2566:
	s_andn2_b64 vcc, exec, s[0:1]
	s_cbranch_vccnz .LBB71_2568
; %bb.2567:
	global_load_dword v9, v[7:8], off
	s_waitcnt vmcnt(0)
	v_cvt_f32_f16_e32 v9, v9
	v_cvt_i32_f32_e32 v9, v9
.LBB71_2568:
	s_mov_b64 s[0:1], 0
.LBB71_2569:
	s_andn2_b64 vcc, exec, s[0:1]
	s_cbranch_vccnz .LBB71_2580
; %bb.2570:
	s_cmp_lt_i32 s21, 6
	s_cbranch_scc1 .LBB71_2573
; %bb.2571:
	s_cmp_gt_i32 s21, 6
	s_cbranch_scc0 .LBB71_2574
; %bb.2572:
	global_load_dwordx2 v[17:18], v[7:8], off
	s_mov_b64 s[0:1], 0
	s_waitcnt vmcnt(0)
	v_cvt_i32_f64_e32 v9, v[17:18]
	s_branch .LBB71_2575
.LBB71_2573:
	s_mov_b64 s[0:1], -1
                                        ; implicit-def: $vgpr9
	s_branch .LBB71_2578
.LBB71_2574:
	s_mov_b64 s[0:1], -1
                                        ; implicit-def: $vgpr9
.LBB71_2575:
	s_andn2_b64 vcc, exec, s[0:1]
	s_cbranch_vccnz .LBB71_2577
; %bb.2576:
	global_load_dword v9, v[7:8], off
	s_waitcnt vmcnt(0)
	v_cvt_i32_f32_e32 v9, v9
.LBB71_2577:
	s_mov_b64 s[0:1], 0
.LBB71_2578:
	s_andn2_b64 vcc, exec, s[0:1]
	s_cbranch_vccnz .LBB71_2580
; %bb.2579:
	global_load_ushort v9, v[7:8], off
	s_waitcnt vmcnt(0)
	v_cvt_f32_f16_e32 v9, v9
	v_cvt_i32_f32_e32 v9, v9
.LBB71_2580:
	s_mov_b64 s[0:1], 0
.LBB71_2581:
	s_andn2_b64 vcc, exec, s[0:1]
	s_cbranch_vccnz .LBB71_2601
; %bb.2582:
	s_cmp_lt_i32 s21, 2
	s_cbranch_scc1 .LBB71_2586
; %bb.2583:
	s_cmp_lt_i32 s21, 3
	s_cbranch_scc1 .LBB71_2587
; %bb.2584:
	s_cmp_gt_i32 s21, 3
	s_cbranch_scc0 .LBB71_2588
; %bb.2585:
	global_load_dword v9, v[7:8], off
	s_mov_b64 s[0:1], 0
	s_branch .LBB71_2589
.LBB71_2586:
	s_mov_b64 s[0:1], -1
                                        ; implicit-def: $vgpr9
	s_branch .LBB71_2595
.LBB71_2587:
	s_mov_b64 s[0:1], -1
                                        ; implicit-def: $vgpr9
	s_branch .LBB71_2592
.LBB71_2588:
	s_mov_b64 s[0:1], -1
                                        ; implicit-def: $vgpr9
.LBB71_2589:
	s_andn2_b64 vcc, exec, s[0:1]
	s_cbranch_vccnz .LBB71_2591
; %bb.2590:
	global_load_dword v9, v[7:8], off
.LBB71_2591:
	s_mov_b64 s[0:1], 0
.LBB71_2592:
	s_andn2_b64 vcc, exec, s[0:1]
	s_cbranch_vccnz .LBB71_2594
; %bb.2593:
	global_load_sshort v9, v[7:8], off
.LBB71_2594:
	s_mov_b64 s[0:1], 0
.LBB71_2595:
	s_andn2_b64 vcc, exec, s[0:1]
	s_cbranch_vccnz .LBB71_2601
; %bb.2596:
	s_cmp_gt_i32 s21, 0
	s_cbranch_scc0 .LBB71_2598
; %bb.2597:
	global_load_sbyte v9, v[7:8], off
	s_mov_b64 s[0:1], 0
	s_branch .LBB71_2599
.LBB71_2598:
	s_mov_b64 s[0:1], -1
                                        ; implicit-def: $vgpr9
.LBB71_2599:
	s_andn2_b64 vcc, exec, s[0:1]
	s_cbranch_vccnz .LBB71_2601
; %bb.2600:
	global_load_ubyte v9, v[7:8], off
.LBB71_2601:
	s_mov_b64 s[6:7], -1
.LBB71_2602:
	s_andn2_b64 vcc, exec, s[6:7]
	s_cbranch_vccnz .LBB71_3036
; %bb.2603:
	s_waitcnt vmcnt(0)
	v_lshlrev_b32_e32 v1, v5, v1
	v_cmp_gt_u32_e32 vcc, 32, v5
	s_bfe_u32 s18, s20, 0x80008
	v_cndmask_b32_e32 v5, 0, v1, vcc
	v_mov_b32_e32 v1, s9
	v_add_co_u32_e32 v7, vcc, s8, v6
	s_cmp_lt_i32 s18, 11
	v_addc_co_u32_e32 v8, vcc, 0, v1, vcc
	s_cbranch_scc1 .LBB71_2681
; %bb.2604:
	s_and_b32 s19, 0xffff, s18
	s_mov_b64 s[10:11], -1
	s_mov_b64 s[2:3], 0
	s_cmp_gt_i32 s19, 25
	s_mov_b64 s[6:7], 0
	s_mov_b64 s[0:1], 0
	s_cbranch_scc0 .LBB71_2637
; %bb.2605:
	s_cmp_gt_i32 s19, 28
	s_cbranch_scc0 .LBB71_2620
; %bb.2606:
	s_cmp_gt_i32 s19, 43
	;; [unrolled: 3-line block ×3, first 2 shown]
	s_cbranch_scc0 .LBB71_2610
; %bb.2608:
	s_mov_b64 s[0:1], -1
	s_mov_b64 s[10:11], 0
	s_cmp_eq_u32 s19, 46
	s_cbranch_scc0 .LBB71_2610
; %bb.2609:
	v_cvt_f32_i32_e32 v1, v5
	s_movk_i32 s6, 0x7fff
	s_mov_b64 s[0:1], 0
	v_bfe_u32 v6, v1, 16, 1
	v_add3_u32 v1, v1, v6, s6
	v_lshrrev_b32_e32 v1, 16, v1
	global_store_dword v[7:8], v1, off
	s_mov_b64 s[6:7], -1
.LBB71_2610:
	s_and_b64 vcc, exec, s[10:11]
	s_cbranch_vccz .LBB71_2615
; %bb.2611:
	s_cmp_eq_u32 s19, 44
	s_mov_b64 s[0:1], -1
	s_cbranch_scc0 .LBB71_2615
; %bb.2612:
	v_cvt_f32_i32_e32 v1, v5
	s_movk_i32 s0, 0xff
	v_mov_b32_e32 v11, 0xff
	v_bfe_u32 v6, v1, 23, 8
	v_cmp_ne_u32_e32 vcc, s0, v6
	s_and_saveexec_b64 s[6:7], vcc
; %bb.2613:
	s_mov_b32 s0, 0x3fffff
	v_lshrrev_b32_e32 v11, 23, v1
	v_and_b32_e32 v13, 0x400000, v1
	v_and_or_b32 v1, v1, s0, v6
	v_cmp_ne_u32_e32 vcc, 0, v13
	v_cmp_ne_u32_e64 s[0:1], 0, v1
	s_and_b64 s[0:1], vcc, s[0:1]
	v_cndmask_b32_e64 v1, 0, 1, s[0:1]
	v_add_u32_e32 v11, v11, v1
; %bb.2614:
	s_or_b64 exec, exec, s[6:7]
	s_mov_b64 s[0:1], 0
	s_mov_b64 s[6:7], -1
	global_store_byte v[7:8], v11, off
.LBB71_2615:
	s_mov_b64 s[10:11], 0
.LBB71_2616:
	s_and_b64 vcc, exec, s[10:11]
	s_cbranch_vccz .LBB71_2619
; %bb.2617:
	s_cmp_eq_u32 s19, 29
	s_mov_b64 s[0:1], -1
	s_cbranch_scc0 .LBB71_2619
; %bb.2618:
	v_ashrrev_i32_e32 v6, 31, v5
	global_store_dwordx2 v[7:8], v[5:6], off
	s_mov_b64 s[0:1], 0
	s_mov_b64 s[6:7], -1
.LBB71_2619:
	s_mov_b64 s[10:11], 0
.LBB71_2620:
	s_and_b64 vcc, exec, s[10:11]
	s_cbranch_vccz .LBB71_2636
; %bb.2621:
	s_cmp_lt_i32 s19, 27
	s_mov_b64 s[6:7], -1
	s_cbranch_scc1 .LBB71_2627
; %bb.2622:
	s_cmp_gt_i32 s19, 27
	s_cbranch_scc0 .LBB71_2624
; %bb.2623:
	s_mov_b64 s[6:7], 0
	global_store_dword v[7:8], v5, off
.LBB71_2624:
	s_andn2_b64 vcc, exec, s[6:7]
	s_cbranch_vccnz .LBB71_2626
; %bb.2625:
	global_store_short v[7:8], v5, off
.LBB71_2626:
	s_mov_b64 s[6:7], 0
.LBB71_2627:
	s_andn2_b64 vcc, exec, s[6:7]
	s_cbranch_vccnz .LBB71_2635
; %bb.2628:
	v_cvt_f32_i32_e32 v1, v5
	s_mov_b32 s6, 0x43800000
	v_mov_b32_e32 v11, 0x80
	v_and_b32_e32 v6, 0x7fffffff, v1
	v_cmp_gt_u32_e32 vcc, s6, v6
	s_and_saveexec_b64 s[6:7], vcc
	s_cbranch_execz .LBB71_2634
; %bb.2629:
	s_mov_b32 s10, 0x3bffffff
	v_cmp_lt_u32_e32 vcc, s10, v6
	s_mov_b64 s[10:11], 0
                                        ; implicit-def: $vgpr6
	s_and_saveexec_b64 s[16:17], vcc
	s_xor_b64 s[16:17], exec, s[16:17]
	s_cbranch_execz .LBB71_3083
; %bb.2630:
	v_bfe_u32 v6, v1, 20, 1
	s_mov_b32 s21, 0x487ffff
	v_add3_u32 v6, v1, v6, s21
	s_mov_b64 s[10:11], exec
	v_lshrrev_b32_e32 v6, 20, v6
	s_andn2_saveexec_b64 s[16:17], s[16:17]
	s_cbranch_execnz .LBB71_3084
.LBB71_2631:
	s_or_b64 exec, exec, s[16:17]
	v_mov_b32_e32 v11, 0
	s_and_saveexec_b64 s[16:17], s[10:11]
.LBB71_2632:
	v_lshrrev_b32_e32 v1, 24, v1
	s_movk_i32 s10, 0x80
	v_and_or_b32 v11, v1, s10, v6
.LBB71_2633:
	s_or_b64 exec, exec, s[16:17]
.LBB71_2634:
	s_or_b64 exec, exec, s[6:7]
	global_store_byte v[7:8], v11, off
.LBB71_2635:
	s_mov_b64 s[6:7], -1
.LBB71_2636:
	s_mov_b64 s[10:11], 0
.LBB71_2637:
	s_and_b64 vcc, exec, s[10:11]
	s_cbranch_vccz .LBB71_2677
; %bb.2638:
	s_cmp_gt_i32 s19, 22
	s_mov_b64 s[2:3], -1
	s_cbranch_scc0 .LBB71_2670
; %bb.2639:
	s_cmp_lt_i32 s19, 24
	s_cbranch_scc1 .LBB71_2659
; %bb.2640:
	s_cmp_gt_i32 s19, 24
	s_cbranch_scc0 .LBB71_2648
; %bb.2641:
	v_cvt_f32_i32_e32 v1, v5
	s_mov_b32 s2, 0x47800000
	v_mov_b32_e32 v11, 0x80
	v_and_b32_e32 v6, 0x7fffffff, v1
	v_cmp_gt_u32_e32 vcc, s2, v6
	s_and_saveexec_b64 s[2:3], vcc
	s_cbranch_execz .LBB71_2647
; %bb.2642:
	s_mov_b32 s6, 0x37ffffff
	v_cmp_lt_u32_e32 vcc, s6, v6
	s_mov_b64 s[6:7], 0
                                        ; implicit-def: $vgpr6
	s_and_saveexec_b64 s[10:11], vcc
	s_xor_b64 s[10:11], exec, s[10:11]
	s_cbranch_execz .LBB71_3086
; %bb.2643:
	v_bfe_u32 v6, v1, 21, 1
	s_mov_b32 s16, 0x88fffff
	v_add3_u32 v6, v1, v6, s16
	s_mov_b64 s[6:7], exec
	v_lshrrev_b32_e32 v6, 21, v6
	s_andn2_saveexec_b64 s[10:11], s[10:11]
	s_cbranch_execnz .LBB71_3087
.LBB71_2644:
	s_or_b64 exec, exec, s[10:11]
	v_mov_b32_e32 v11, 0
	s_and_saveexec_b64 s[10:11], s[6:7]
.LBB71_2645:
	v_lshrrev_b32_e32 v1, 24, v1
	s_movk_i32 s6, 0x80
	v_and_or_b32 v11, v1, s6, v6
.LBB71_2646:
	s_or_b64 exec, exec, s[10:11]
.LBB71_2647:
	s_or_b64 exec, exec, s[2:3]
	s_mov_b64 s[2:3], 0
	global_store_byte v[7:8], v11, off
.LBB71_2648:
	s_and_b64 vcc, exec, s[2:3]
	s_cbranch_vccz .LBB71_2658
; %bb.2649:
	v_cvt_f32_i32_e32 v1, v5
	s_mov_b32 s2, 0x43f00000
                                        ; implicit-def: $vgpr6
	v_and_b32_e32 v11, 0x7fffffff, v1
	v_cmp_gt_u32_e32 vcc, s2, v11
	s_and_saveexec_b64 s[2:3], vcc
	s_xor_b64 s[2:3], exec, s[2:3]
	s_cbranch_execz .LBB71_2655
; %bb.2650:
	s_mov_b32 s6, 0x3c7fffff
	v_cmp_lt_u32_e32 vcc, s6, v11
                                        ; implicit-def: $vgpr6
	s_and_saveexec_b64 s[6:7], vcc
	s_xor_b64 s[6:7], exec, s[6:7]
; %bb.2651:
	v_bfe_u32 v6, v1, 20, 1
	s_mov_b32 s10, 0x407ffff
	v_add3_u32 v6, v1, v6, s10
	v_lshrrev_b32_e32 v11, 20, v6
	v_and_b32_e32 v6, 0xff00000, v6
	s_mov_b32 s10, 0x7f00000
	v_mov_b32_e32 v13, 0x7e
	v_cmp_ne_u32_e32 vcc, s10, v6
	v_cndmask_b32_e32 v6, v13, v11, vcc
; %bb.2652:
	s_andn2_saveexec_b64 s[6:7], s[6:7]
; %bb.2653:
	s_mov_b32 s10, 0x46800000
	v_add_f32_e64 v6, |v1|, s10
; %bb.2654:
	s_or_b64 exec, exec, s[6:7]
                                        ; implicit-def: $vgpr11
.LBB71_2655:
	s_andn2_saveexec_b64 s[2:3], s[2:3]
; %bb.2656:
	s_mov_b32 s6, 0x7f800000
	v_mov_b32_e32 v6, 0x7e
	v_mov_b32_e32 v13, 0x7f
	v_cmp_lt_u32_e32 vcc, s6, v11
	v_cndmask_b32_e32 v6, v6, v13, vcc
; %bb.2657:
	s_or_b64 exec, exec, s[2:3]
	v_lshrrev_b32_e32 v1, 24, v1
	s_movk_i32 s2, 0x80
	v_and_or_b32 v1, v1, s2, v6
	global_store_byte v[7:8], v1, off
.LBB71_2658:
	s_mov_b64 s[2:3], 0
.LBB71_2659:
	s_andn2_b64 vcc, exec, s[2:3]
	s_cbranch_vccnz .LBB71_2669
; %bb.2660:
	v_cvt_f32_i32_e32 v1, v5
	s_mov_b32 s2, 0x47800000
                                        ; implicit-def: $vgpr6
	v_and_b32_e32 v11, 0x7fffffff, v1
	v_cmp_gt_u32_e32 vcc, s2, v11
	s_and_saveexec_b64 s[2:3], vcc
	s_xor_b64 s[2:3], exec, s[2:3]
	s_cbranch_execz .LBB71_2666
; %bb.2661:
	s_mov_b32 s6, 0x387fffff
	v_cmp_lt_u32_e32 vcc, s6, v11
                                        ; implicit-def: $vgpr6
	s_and_saveexec_b64 s[6:7], vcc
	s_xor_b64 s[6:7], exec, s[6:7]
; %bb.2662:
	v_bfe_u32 v6, v1, 21, 1
	s_mov_b32 s10, 0x80fffff
	v_add3_u32 v6, v1, v6, s10
	v_lshrrev_b32_e32 v6, 21, v6
; %bb.2663:
	s_andn2_saveexec_b64 s[6:7], s[6:7]
; %bb.2664:
	s_mov_b32 s10, 0x43000000
	v_add_f32_e64 v6, |v1|, s10
; %bb.2665:
	s_or_b64 exec, exec, s[6:7]
                                        ; implicit-def: $vgpr11
.LBB71_2666:
	s_andn2_saveexec_b64 s[2:3], s[2:3]
; %bb.2667:
	s_mov_b32 s6, 0x7f800000
	v_mov_b32_e32 v6, 0x7c
	v_mov_b32_e32 v13, 0x7f
	v_cmp_lt_u32_e32 vcc, s6, v11
	v_cndmask_b32_e32 v6, v6, v13, vcc
; %bb.2668:
	s_or_b64 exec, exec, s[2:3]
	v_lshrrev_b32_e32 v1, 24, v1
	s_movk_i32 s2, 0x80
	v_and_or_b32 v1, v1, s2, v6
	global_store_byte v[7:8], v1, off
.LBB71_2669:
	s_mov_b64 s[2:3], 0
	s_mov_b64 s[6:7], -1
.LBB71_2670:
	s_andn2_b64 vcc, exec, s[2:3]
	s_mov_b64 s[2:3], 0
	s_cbranch_vccnz .LBB71_2677
; %bb.2671:
	s_cmp_gt_i32 s19, 14
	s_mov_b64 s[10:11], -1
	s_cbranch_scc0 .LBB71_2675
; %bb.2672:
	s_cmp_eq_u32 s19, 15
	s_mov_b64 s[0:1], -1
	s_cbranch_scc0 .LBB71_2674
; %bb.2673:
	v_cvt_f32_i32_e32 v1, v5
	s_movk_i32 s2, 0x7fff
	s_mov_b64 s[0:1], 0
	s_mov_b64 s[6:7], -1
	v_bfe_u32 v6, v1, 16, 1
	v_add3_u32 v1, v1, v6, s2
	global_store_short_d16_hi v[7:8], v1, off
.LBB71_2674:
	s_mov_b64 s[10:11], 0
.LBB71_2675:
	s_mov_b64 s[2:3], 0
	s_and_b64 vcc, exec, s[10:11]
	s_cbranch_vccz .LBB71_2677
; %bb.2676:
	s_cmp_lg_u32 s19, 11
	s_mov_b64 s[2:3], -1
	s_cselect_b64 s[0:1], -1, 0
.LBB71_2677:
	s_and_b64 vcc, exec, s[0:1]
	s_cbranch_vccnz .LBB71_3085
; %bb.2678:
	s_andn2_b64 vcc, exec, s[2:3]
	s_cbranch_vccnz .LBB71_2680
.LBB71_2679:
	v_cmp_ne_u32_e32 vcc, 0, v5
	v_cndmask_b32_e64 v1, 0, 1, vcc
	s_mov_b64 s[6:7], -1
	global_store_byte v[7:8], v1, off
.LBB71_2680:
	s_mov_b64 s[0:1], 0
	s_branch .LBB71_2682
.LBB71_2681:
	s_mov_b64 s[0:1], -1
	s_mov_b64 s[6:7], 0
.LBB71_2682:
	s_and_b64 vcc, exec, s[0:1]
	s_cbranch_vccz .LBB71_2721
; %bb.2683:
	s_and_b32 s2, 0xffff, s18
	s_cmp_lt_i32 s2, 5
	s_mov_b64 s[0:1], -1
	s_cbranch_scc1 .LBB71_2704
; %bb.2684:
	s_cmp_lt_i32 s2, 8
	s_cbranch_scc1 .LBB71_2694
; %bb.2685:
	s_cmp_lt_i32 s2, 9
	s_cbranch_scc1 .LBB71_2691
; %bb.2686:
	s_cmp_gt_i32 s2, 9
	s_cbranch_scc0 .LBB71_2688
; %bb.2687:
	v_cvt_f64_i32_e32 v[17:18], v5
	v_mov_b32_e32 v19, 0
	v_mov_b32_e32 v20, v19
	s_mov_b64 s[0:1], 0
	global_store_dwordx4 v[7:8], v[17:20], off
.LBB71_2688:
	s_andn2_b64 vcc, exec, s[0:1]
	s_cbranch_vccnz .LBB71_2690
; %bb.2689:
	v_cvt_f32_i32_e32 v17, v5
	v_mov_b32_e32 v18, 0
	global_store_dwordx2 v[7:8], v[17:18], off
.LBB71_2690:
	s_mov_b64 s[0:1], 0
.LBB71_2691:
	s_andn2_b64 vcc, exec, s[0:1]
	s_cbranch_vccnz .LBB71_2693
; %bb.2692:
	v_cvt_f32_i32_e32 v1, v5
	v_cvt_f16_f32_e32 v1, v1
	global_store_dword v[7:8], v1, off
.LBB71_2693:
	s_mov_b64 s[0:1], 0
.LBB71_2694:
	s_andn2_b64 vcc, exec, s[0:1]
	s_cbranch_vccnz .LBB71_2703
; %bb.2695:
	s_cmp_lt_i32 s2, 6
	s_mov_b64 s[0:1], -1
	s_cbranch_scc1 .LBB71_2701
; %bb.2696:
	s_cmp_gt_i32 s2, 6
	s_cbranch_scc0 .LBB71_2698
; %bb.2697:
	v_cvt_f64_i32_e32 v[17:18], v5
	s_mov_b64 s[0:1], 0
	global_store_dwordx2 v[7:8], v[17:18], off
.LBB71_2698:
	s_andn2_b64 vcc, exec, s[0:1]
	s_cbranch_vccnz .LBB71_2700
; %bb.2699:
	v_cvt_f32_i32_e32 v1, v5
	global_store_dword v[7:8], v1, off
.LBB71_2700:
	s_mov_b64 s[0:1], 0
.LBB71_2701:
	s_andn2_b64 vcc, exec, s[0:1]
	s_cbranch_vccnz .LBB71_2703
; %bb.2702:
	v_cvt_f32_i32_e32 v1, v5
	v_cvt_f16_f32_e32 v1, v1
	global_store_short v[7:8], v1, off
.LBB71_2703:
	s_mov_b64 s[0:1], 0
.LBB71_2704:
	s_andn2_b64 vcc, exec, s[0:1]
	s_cbranch_vccnz .LBB71_2720
; %bb.2705:
	s_cmp_lt_i32 s2, 2
	s_mov_b64 s[0:1], -1
	s_cbranch_scc1 .LBB71_2715
; %bb.2706:
	s_cmp_lt_i32 s2, 3
	s_cbranch_scc1 .LBB71_2712
; %bb.2707:
	s_cmp_gt_i32 s2, 3
	s_cbranch_scc0 .LBB71_2709
; %bb.2708:
	v_ashrrev_i32_e32 v6, 31, v5
	global_store_dwordx2 v[7:8], v[5:6], off
	s_mov_b64 s[0:1], 0
.LBB71_2709:
	s_andn2_b64 vcc, exec, s[0:1]
	s_cbranch_vccnz .LBB71_2711
; %bb.2710:
	global_store_dword v[7:8], v5, off
.LBB71_2711:
	s_mov_b64 s[0:1], 0
.LBB71_2712:
	s_andn2_b64 vcc, exec, s[0:1]
	s_cbranch_vccnz .LBB71_2714
; %bb.2713:
	global_store_short v[7:8], v5, off
.LBB71_2714:
	s_mov_b64 s[0:1], 0
.LBB71_2715:
	s_andn2_b64 vcc, exec, s[0:1]
	s_cbranch_vccnz .LBB71_2720
; %bb.2716:
	s_cmp_gt_i32 s2, 0
	s_mov_b64 s[0:1], -1
	s_cbranch_scc0 .LBB71_2718
; %bb.2717:
	global_store_byte v[7:8], v5, off
	s_mov_b64 s[0:1], 0
.LBB71_2718:
	s_andn2_b64 vcc, exec, s[0:1]
	s_cbranch_vccnz .LBB71_2720
; %bb.2719:
	global_store_byte v[7:8], v5, off
.LBB71_2720:
	s_mov_b64 s[6:7], -1
.LBB71_2721:
	s_andn2_b64 vcc, exec, s[6:7]
	s_cbranch_vccnz .LBB71_3036
; %bb.2722:
	s_lshr_b32 s0, s20, 8
	v_lshlrev_b32_e32 v1, v16, v3
	v_cmp_gt_u32_e32 vcc, 32, v16
	s_and_b32 s18, s0, 0xff
	v_cndmask_b32_e32 v3, 0, v1, vcc
	v_mov_b32_e32 v1, s9
	v_add_co_u32_e32 v5, vcc, s8, v4
	s_cmp_lt_i32 s18, 11
	v_addc_co_u32_e32 v6, vcc, 0, v1, vcc
	s_cbranch_scc1 .LBB71_2800
; %bb.2723:
	s_and_b32 s19, 0xffff, s18
	s_mov_b64 s[10:11], -1
	s_mov_b64 s[2:3], 0
	s_cmp_gt_i32 s19, 25
	s_mov_b64 s[6:7], 0
	s_mov_b64 s[0:1], 0
	s_cbranch_scc0 .LBB71_2756
; %bb.2724:
	s_cmp_gt_i32 s19, 28
	s_cbranch_scc0 .LBB71_2739
; %bb.2725:
	s_cmp_gt_i32 s19, 43
	;; [unrolled: 3-line block ×3, first 2 shown]
	s_cbranch_scc0 .LBB71_2729
; %bb.2727:
	s_mov_b64 s[0:1], -1
	s_mov_b64 s[10:11], 0
	s_cmp_eq_u32 s19, 46
	s_cbranch_scc0 .LBB71_2729
; %bb.2728:
	v_cvt_f32_i32_e32 v1, v3
	s_movk_i32 s6, 0x7fff
	s_mov_b64 s[0:1], 0
	v_bfe_u32 v4, v1, 16, 1
	v_add3_u32 v1, v1, v4, s6
	v_lshrrev_b32_e32 v1, 16, v1
	global_store_dword v[5:6], v1, off
	s_mov_b64 s[6:7], -1
.LBB71_2729:
	s_and_b64 vcc, exec, s[10:11]
	s_cbranch_vccz .LBB71_2734
; %bb.2730:
	s_cmp_eq_u32 s19, 44
	s_mov_b64 s[0:1], -1
	s_cbranch_scc0 .LBB71_2734
; %bb.2731:
	v_cvt_f32_i32_e32 v1, v3
	s_movk_i32 s0, 0xff
	v_mov_b32_e32 v7, 0xff
	v_bfe_u32 v4, v1, 23, 8
	v_cmp_ne_u32_e32 vcc, s0, v4
	s_and_saveexec_b64 s[6:7], vcc
; %bb.2732:
	s_mov_b32 s0, 0x3fffff
	v_lshrrev_b32_e32 v7, 23, v1
	v_and_b32_e32 v8, 0x400000, v1
	v_and_or_b32 v1, v1, s0, v4
	v_cmp_ne_u32_e32 vcc, 0, v8
	v_cmp_ne_u32_e64 s[0:1], 0, v1
	s_and_b64 s[0:1], vcc, s[0:1]
	v_cndmask_b32_e64 v1, 0, 1, s[0:1]
	v_add_u32_e32 v7, v7, v1
; %bb.2733:
	s_or_b64 exec, exec, s[6:7]
	s_mov_b64 s[0:1], 0
	s_mov_b64 s[6:7], -1
	global_store_byte v[5:6], v7, off
.LBB71_2734:
	s_mov_b64 s[10:11], 0
.LBB71_2735:
	s_and_b64 vcc, exec, s[10:11]
	s_cbranch_vccz .LBB71_2738
; %bb.2736:
	s_cmp_eq_u32 s19, 29
	s_mov_b64 s[0:1], -1
	s_cbranch_scc0 .LBB71_2738
; %bb.2737:
	v_ashrrev_i32_e32 v4, 31, v3
	global_store_dwordx2 v[5:6], v[3:4], off
	s_mov_b64 s[0:1], 0
	s_mov_b64 s[6:7], -1
.LBB71_2738:
	s_mov_b64 s[10:11], 0
.LBB71_2739:
	s_and_b64 vcc, exec, s[10:11]
	s_cbranch_vccz .LBB71_2755
; %bb.2740:
	s_cmp_lt_i32 s19, 27
	s_mov_b64 s[6:7], -1
	s_cbranch_scc1 .LBB71_2746
; %bb.2741:
	s_cmp_gt_i32 s19, 27
	s_cbranch_scc0 .LBB71_2743
; %bb.2742:
	s_mov_b64 s[6:7], 0
	global_store_dword v[5:6], v3, off
.LBB71_2743:
	s_andn2_b64 vcc, exec, s[6:7]
	s_cbranch_vccnz .LBB71_2745
; %bb.2744:
	global_store_short v[5:6], v3, off
.LBB71_2745:
	s_mov_b64 s[6:7], 0
.LBB71_2746:
	s_andn2_b64 vcc, exec, s[6:7]
	s_cbranch_vccnz .LBB71_2754
; %bb.2747:
	v_cvt_f32_i32_e32 v1, v3
	s_mov_b32 s6, 0x43800000
	v_mov_b32_e32 v7, 0x80
	v_and_b32_e32 v4, 0x7fffffff, v1
	v_cmp_gt_u32_e32 vcc, s6, v4
	s_and_saveexec_b64 s[6:7], vcc
	s_cbranch_execz .LBB71_2753
; %bb.2748:
	s_mov_b32 s10, 0x3bffffff
	v_cmp_lt_u32_e32 vcc, s10, v4
	s_mov_b64 s[10:11], 0
                                        ; implicit-def: $vgpr4
	s_and_saveexec_b64 s[16:17], vcc
	s_xor_b64 s[16:17], exec, s[16:17]
	s_cbranch_execz .LBB71_3088
; %bb.2749:
	v_bfe_u32 v4, v1, 20, 1
	s_mov_b32 s20, 0x487ffff
	v_add3_u32 v4, v1, v4, s20
	s_mov_b64 s[10:11], exec
	v_lshrrev_b32_e32 v4, 20, v4
	s_andn2_saveexec_b64 s[16:17], s[16:17]
	s_cbranch_execnz .LBB71_3089
.LBB71_2750:
	s_or_b64 exec, exec, s[16:17]
	v_mov_b32_e32 v7, 0
	s_and_saveexec_b64 s[16:17], s[10:11]
.LBB71_2751:
	v_lshrrev_b32_e32 v1, 24, v1
	s_movk_i32 s10, 0x80
	v_and_or_b32 v7, v1, s10, v4
.LBB71_2752:
	s_or_b64 exec, exec, s[16:17]
.LBB71_2753:
	s_or_b64 exec, exec, s[6:7]
	global_store_byte v[5:6], v7, off
.LBB71_2754:
	s_mov_b64 s[6:7], -1
.LBB71_2755:
	s_mov_b64 s[10:11], 0
.LBB71_2756:
	s_and_b64 vcc, exec, s[10:11]
	s_cbranch_vccz .LBB71_2796
; %bb.2757:
	s_cmp_gt_i32 s19, 22
	s_mov_b64 s[2:3], -1
	s_cbranch_scc0 .LBB71_2789
; %bb.2758:
	s_cmp_lt_i32 s19, 24
	s_cbranch_scc1 .LBB71_2778
; %bb.2759:
	s_cmp_gt_i32 s19, 24
	s_cbranch_scc0 .LBB71_2767
; %bb.2760:
	v_cvt_f32_i32_e32 v1, v3
	s_mov_b32 s2, 0x47800000
	v_mov_b32_e32 v7, 0x80
	v_and_b32_e32 v4, 0x7fffffff, v1
	v_cmp_gt_u32_e32 vcc, s2, v4
	s_and_saveexec_b64 s[2:3], vcc
	s_cbranch_execz .LBB71_2766
; %bb.2761:
	s_mov_b32 s6, 0x37ffffff
	v_cmp_lt_u32_e32 vcc, s6, v4
	s_mov_b64 s[6:7], 0
                                        ; implicit-def: $vgpr4
	s_and_saveexec_b64 s[10:11], vcc
	s_xor_b64 s[10:11], exec, s[10:11]
	s_cbranch_execz .LBB71_3091
; %bb.2762:
	v_bfe_u32 v4, v1, 21, 1
	s_mov_b32 s16, 0x88fffff
	v_add3_u32 v4, v1, v4, s16
	s_mov_b64 s[6:7], exec
	v_lshrrev_b32_e32 v4, 21, v4
	s_andn2_saveexec_b64 s[10:11], s[10:11]
	s_cbranch_execnz .LBB71_3092
.LBB71_2763:
	s_or_b64 exec, exec, s[10:11]
	v_mov_b32_e32 v7, 0
	s_and_saveexec_b64 s[10:11], s[6:7]
.LBB71_2764:
	v_lshrrev_b32_e32 v1, 24, v1
	s_movk_i32 s6, 0x80
	v_and_or_b32 v7, v1, s6, v4
.LBB71_2765:
	s_or_b64 exec, exec, s[10:11]
.LBB71_2766:
	s_or_b64 exec, exec, s[2:3]
	s_mov_b64 s[2:3], 0
	global_store_byte v[5:6], v7, off
.LBB71_2767:
	s_and_b64 vcc, exec, s[2:3]
	s_cbranch_vccz .LBB71_2777
; %bb.2768:
	v_cvt_f32_i32_e32 v1, v3
	s_mov_b32 s2, 0x43f00000
                                        ; implicit-def: $vgpr4
	v_and_b32_e32 v7, 0x7fffffff, v1
	v_cmp_gt_u32_e32 vcc, s2, v7
	s_and_saveexec_b64 s[2:3], vcc
	s_xor_b64 s[2:3], exec, s[2:3]
	s_cbranch_execz .LBB71_2774
; %bb.2769:
	s_mov_b32 s6, 0x3c7fffff
	v_cmp_lt_u32_e32 vcc, s6, v7
                                        ; implicit-def: $vgpr4
	s_and_saveexec_b64 s[6:7], vcc
	s_xor_b64 s[6:7], exec, s[6:7]
; %bb.2770:
	v_bfe_u32 v4, v1, 20, 1
	s_mov_b32 s10, 0x407ffff
	v_add3_u32 v4, v1, v4, s10
	v_lshrrev_b32_e32 v7, 20, v4
	v_and_b32_e32 v4, 0xff00000, v4
	s_mov_b32 s10, 0x7f00000
	v_mov_b32_e32 v8, 0x7e
	v_cmp_ne_u32_e32 vcc, s10, v4
	v_cndmask_b32_e32 v4, v8, v7, vcc
; %bb.2771:
	s_andn2_saveexec_b64 s[6:7], s[6:7]
; %bb.2772:
	s_mov_b32 s10, 0x46800000
	v_add_f32_e64 v4, |v1|, s10
; %bb.2773:
	s_or_b64 exec, exec, s[6:7]
                                        ; implicit-def: $vgpr7
.LBB71_2774:
	s_andn2_saveexec_b64 s[2:3], s[2:3]
; %bb.2775:
	s_mov_b32 s6, 0x7f800000
	v_mov_b32_e32 v4, 0x7e
	v_mov_b32_e32 v8, 0x7f
	v_cmp_lt_u32_e32 vcc, s6, v7
	v_cndmask_b32_e32 v4, v4, v8, vcc
; %bb.2776:
	s_or_b64 exec, exec, s[2:3]
	v_lshrrev_b32_e32 v1, 24, v1
	s_movk_i32 s2, 0x80
	v_and_or_b32 v1, v1, s2, v4
	global_store_byte v[5:6], v1, off
.LBB71_2777:
	s_mov_b64 s[2:3], 0
.LBB71_2778:
	s_andn2_b64 vcc, exec, s[2:3]
	s_cbranch_vccnz .LBB71_2788
; %bb.2779:
	v_cvt_f32_i32_e32 v1, v3
	s_mov_b32 s2, 0x47800000
                                        ; implicit-def: $vgpr4
	v_and_b32_e32 v7, 0x7fffffff, v1
	v_cmp_gt_u32_e32 vcc, s2, v7
	s_and_saveexec_b64 s[2:3], vcc
	s_xor_b64 s[2:3], exec, s[2:3]
	s_cbranch_execz .LBB71_2785
; %bb.2780:
	s_mov_b32 s6, 0x387fffff
	v_cmp_lt_u32_e32 vcc, s6, v7
                                        ; implicit-def: $vgpr4
	s_and_saveexec_b64 s[6:7], vcc
	s_xor_b64 s[6:7], exec, s[6:7]
; %bb.2781:
	v_bfe_u32 v4, v1, 21, 1
	s_mov_b32 s10, 0x80fffff
	v_add3_u32 v4, v1, v4, s10
	v_lshrrev_b32_e32 v4, 21, v4
; %bb.2782:
	s_andn2_saveexec_b64 s[6:7], s[6:7]
; %bb.2783:
	s_mov_b32 s10, 0x43000000
	v_add_f32_e64 v4, |v1|, s10
; %bb.2784:
	s_or_b64 exec, exec, s[6:7]
                                        ; implicit-def: $vgpr7
.LBB71_2785:
	s_andn2_saveexec_b64 s[2:3], s[2:3]
; %bb.2786:
	s_mov_b32 s6, 0x7f800000
	v_mov_b32_e32 v4, 0x7c
	v_mov_b32_e32 v8, 0x7f
	v_cmp_lt_u32_e32 vcc, s6, v7
	v_cndmask_b32_e32 v4, v4, v8, vcc
; %bb.2787:
	s_or_b64 exec, exec, s[2:3]
	v_lshrrev_b32_e32 v1, 24, v1
	s_movk_i32 s2, 0x80
	v_and_or_b32 v1, v1, s2, v4
	global_store_byte v[5:6], v1, off
.LBB71_2788:
	s_mov_b64 s[2:3], 0
	s_mov_b64 s[6:7], -1
.LBB71_2789:
	s_andn2_b64 vcc, exec, s[2:3]
	s_mov_b64 s[2:3], 0
	s_cbranch_vccnz .LBB71_2796
; %bb.2790:
	s_cmp_gt_i32 s19, 14
	s_mov_b64 s[10:11], -1
	s_cbranch_scc0 .LBB71_2794
; %bb.2791:
	s_cmp_eq_u32 s19, 15
	s_mov_b64 s[0:1], -1
	s_cbranch_scc0 .LBB71_2793
; %bb.2792:
	v_cvt_f32_i32_e32 v1, v3
	s_movk_i32 s2, 0x7fff
	s_mov_b64 s[0:1], 0
	s_mov_b64 s[6:7], -1
	v_bfe_u32 v4, v1, 16, 1
	v_add3_u32 v1, v1, v4, s2
	global_store_short_d16_hi v[5:6], v1, off
.LBB71_2793:
	s_mov_b64 s[10:11], 0
.LBB71_2794:
	s_mov_b64 s[2:3], 0
	s_and_b64 vcc, exec, s[10:11]
	s_cbranch_vccz .LBB71_2796
; %bb.2795:
	s_cmp_lg_u32 s19, 11
	s_mov_b64 s[2:3], -1
	s_cselect_b64 s[0:1], -1, 0
.LBB71_2796:
	s_and_b64 vcc, exec, s[0:1]
	s_cbranch_vccnz .LBB71_3090
; %bb.2797:
	s_andn2_b64 vcc, exec, s[2:3]
	s_cbranch_vccnz .LBB71_2799
.LBB71_2798:
	v_cmp_ne_u32_e32 vcc, 0, v3
	v_cndmask_b32_e64 v1, 0, 1, vcc
	s_mov_b64 s[6:7], -1
	global_store_byte v[5:6], v1, off
.LBB71_2799:
	s_mov_b64 s[0:1], 0
	s_branch .LBB71_2801
.LBB71_2800:
	s_mov_b64 s[0:1], -1
	s_mov_b64 s[6:7], 0
.LBB71_2801:
	s_and_b64 vcc, exec, s[0:1]
	s_cbranch_vccz .LBB71_2840
; %bb.2802:
	s_and_b32 s2, 0xffff, s18
	s_cmp_lt_i32 s2, 5
	s_mov_b64 s[0:1], -1
	s_cbranch_scc1 .LBB71_2823
; %bb.2803:
	s_cmp_lt_i32 s2, 8
	s_cbranch_scc1 .LBB71_2813
; %bb.2804:
	s_cmp_lt_i32 s2, 9
	s_cbranch_scc1 .LBB71_2810
; %bb.2805:
	s_cmp_gt_i32 s2, 9
	s_cbranch_scc0 .LBB71_2807
; %bb.2806:
	v_cvt_f64_i32_e32 v[15:16], v3
	v_mov_b32_e32 v17, 0
	v_mov_b32_e32 v18, v17
	s_mov_b64 s[0:1], 0
	global_store_dwordx4 v[5:6], v[15:18], off
.LBB71_2807:
	s_andn2_b64 vcc, exec, s[0:1]
	s_cbranch_vccnz .LBB71_2809
; %bb.2808:
	v_cvt_f32_i32_e32 v7, v3
	v_mov_b32_e32 v8, 0
	global_store_dwordx2 v[5:6], v[7:8], off
.LBB71_2809:
	s_mov_b64 s[0:1], 0
.LBB71_2810:
	s_andn2_b64 vcc, exec, s[0:1]
	s_cbranch_vccnz .LBB71_2812
; %bb.2811:
	v_cvt_f32_i32_e32 v1, v3
	v_cvt_f16_f32_e32 v1, v1
	global_store_dword v[5:6], v1, off
.LBB71_2812:
	s_mov_b64 s[0:1], 0
.LBB71_2813:
	s_andn2_b64 vcc, exec, s[0:1]
	s_cbranch_vccnz .LBB71_2822
; %bb.2814:
	s_cmp_lt_i32 s2, 6
	s_mov_b64 s[0:1], -1
	s_cbranch_scc1 .LBB71_2820
; %bb.2815:
	s_cmp_gt_i32 s2, 6
	s_cbranch_scc0 .LBB71_2817
; %bb.2816:
	v_cvt_f64_i32_e32 v[7:8], v3
	s_mov_b64 s[0:1], 0
	global_store_dwordx2 v[5:6], v[7:8], off
.LBB71_2817:
	s_andn2_b64 vcc, exec, s[0:1]
	s_cbranch_vccnz .LBB71_2819
; %bb.2818:
	v_cvt_f32_i32_e32 v1, v3
	global_store_dword v[5:6], v1, off
.LBB71_2819:
	s_mov_b64 s[0:1], 0
.LBB71_2820:
	s_andn2_b64 vcc, exec, s[0:1]
	s_cbranch_vccnz .LBB71_2822
; %bb.2821:
	v_cvt_f32_i32_e32 v1, v3
	v_cvt_f16_f32_e32 v1, v1
	global_store_short v[5:6], v1, off
.LBB71_2822:
	s_mov_b64 s[0:1], 0
.LBB71_2823:
	s_andn2_b64 vcc, exec, s[0:1]
	s_cbranch_vccnz .LBB71_2839
; %bb.2824:
	s_cmp_lt_i32 s2, 2
	s_mov_b64 s[0:1], -1
	s_cbranch_scc1 .LBB71_2834
; %bb.2825:
	s_cmp_lt_i32 s2, 3
	s_cbranch_scc1 .LBB71_2831
; %bb.2826:
	s_cmp_gt_i32 s2, 3
	s_cbranch_scc0 .LBB71_2828
; %bb.2827:
	v_ashrrev_i32_e32 v4, 31, v3
	global_store_dwordx2 v[5:6], v[3:4], off
	s_mov_b64 s[0:1], 0
.LBB71_2828:
	s_andn2_b64 vcc, exec, s[0:1]
	s_cbranch_vccnz .LBB71_2830
; %bb.2829:
	global_store_dword v[5:6], v3, off
.LBB71_2830:
	s_mov_b64 s[0:1], 0
.LBB71_2831:
	s_andn2_b64 vcc, exec, s[0:1]
	s_cbranch_vccnz .LBB71_2833
; %bb.2832:
	global_store_short v[5:6], v3, off
.LBB71_2833:
	s_mov_b64 s[0:1], 0
.LBB71_2834:
	s_andn2_b64 vcc, exec, s[0:1]
	s_cbranch_vccnz .LBB71_2839
; %bb.2835:
	s_cmp_gt_i32 s2, 0
	s_mov_b64 s[0:1], -1
	s_cbranch_scc0 .LBB71_2837
; %bb.2836:
	global_store_byte v[5:6], v3, off
	s_mov_b64 s[0:1], 0
.LBB71_2837:
	s_andn2_b64 vcc, exec, s[0:1]
	s_cbranch_vccnz .LBB71_2839
; %bb.2838:
	global_store_byte v[5:6], v3, off
.LBB71_2839:
	s_mov_b64 s[6:7], -1
.LBB71_2840:
	s_andn2_b64 vcc, exec, s[6:7]
	s_cbranch_vccnz .LBB71_3036
; %bb.2841:
	v_lshlrev_b32_e32 v1, v12, v14
	v_cmp_gt_u32_e32 vcc, 32, v12
	v_cndmask_b32_e32 v1, 0, v1, vcc
	v_mov_b32_e32 v4, s9
	v_add_co_u32_e32 v3, vcc, s8, v2
	s_cmp_lt_i32 s18, 11
	v_addc_co_u32_e32 v4, vcc, 0, v4, vcc
	s_cbranch_scc1 .LBB71_2919
; %bb.2842:
	s_and_b32 s19, 0xffff, s18
	s_mov_b64 s[10:11], -1
	s_mov_b64 s[2:3], 0
	s_cmp_gt_i32 s19, 25
	s_mov_b64 s[6:7], 0
	s_mov_b64 s[0:1], 0
	s_cbranch_scc0 .LBB71_2875
; %bb.2843:
	s_cmp_gt_i32 s19, 28
	s_cbranch_scc0 .LBB71_2858
; %bb.2844:
	s_cmp_gt_i32 s19, 43
	;; [unrolled: 3-line block ×3, first 2 shown]
	s_cbranch_scc0 .LBB71_2848
; %bb.2846:
	s_mov_b64 s[0:1], -1
	s_mov_b64 s[10:11], 0
	s_cmp_eq_u32 s19, 46
	s_cbranch_scc0 .LBB71_2848
; %bb.2847:
	v_cvt_f32_i32_e32 v2, v1
	s_movk_i32 s6, 0x7fff
	s_mov_b64 s[0:1], 0
	v_bfe_u32 v5, v2, 16, 1
	v_add3_u32 v2, v2, v5, s6
	v_lshrrev_b32_e32 v2, 16, v2
	global_store_dword v[3:4], v2, off
	s_mov_b64 s[6:7], -1
.LBB71_2848:
	s_and_b64 vcc, exec, s[10:11]
	s_cbranch_vccz .LBB71_2853
; %bb.2849:
	s_cmp_eq_u32 s19, 44
	s_mov_b64 s[0:1], -1
	s_cbranch_scc0 .LBB71_2853
; %bb.2850:
	v_cvt_f32_i32_e32 v2, v1
	s_movk_i32 s0, 0xff
	v_mov_b32_e32 v6, 0xff
	v_bfe_u32 v5, v2, 23, 8
	v_cmp_ne_u32_e32 vcc, s0, v5
	s_and_saveexec_b64 s[6:7], vcc
; %bb.2851:
	s_mov_b32 s0, 0x3fffff
	v_lshrrev_b32_e32 v6, 23, v2
	v_and_b32_e32 v7, 0x400000, v2
	v_and_or_b32 v2, v2, s0, v5
	v_cmp_ne_u32_e32 vcc, 0, v7
	v_cmp_ne_u32_e64 s[0:1], 0, v2
	s_and_b64 s[0:1], vcc, s[0:1]
	v_cndmask_b32_e64 v2, 0, 1, s[0:1]
	v_add_u32_e32 v6, v6, v2
; %bb.2852:
	s_or_b64 exec, exec, s[6:7]
	s_mov_b64 s[0:1], 0
	s_mov_b64 s[6:7], -1
	global_store_byte v[3:4], v6, off
.LBB71_2853:
	s_mov_b64 s[10:11], 0
.LBB71_2854:
	s_and_b64 vcc, exec, s[10:11]
	s_cbranch_vccz .LBB71_2857
; %bb.2855:
	s_cmp_eq_u32 s19, 29
	s_mov_b64 s[0:1], -1
	s_cbranch_scc0 .LBB71_2857
; %bb.2856:
	v_ashrrev_i32_e32 v2, 31, v1
	global_store_dwordx2 v[3:4], v[1:2], off
	s_mov_b64 s[0:1], 0
	s_mov_b64 s[6:7], -1
.LBB71_2857:
	s_mov_b64 s[10:11], 0
.LBB71_2858:
	s_and_b64 vcc, exec, s[10:11]
	s_cbranch_vccz .LBB71_2874
; %bb.2859:
	s_cmp_lt_i32 s19, 27
	s_mov_b64 s[6:7], -1
	s_cbranch_scc1 .LBB71_2865
; %bb.2860:
	s_cmp_gt_i32 s19, 27
	s_cbranch_scc0 .LBB71_2862
; %bb.2861:
	s_mov_b64 s[6:7], 0
	global_store_dword v[3:4], v1, off
.LBB71_2862:
	s_andn2_b64 vcc, exec, s[6:7]
	s_cbranch_vccnz .LBB71_2864
; %bb.2863:
	global_store_short v[3:4], v1, off
.LBB71_2864:
	s_mov_b64 s[6:7], 0
.LBB71_2865:
	s_andn2_b64 vcc, exec, s[6:7]
	s_cbranch_vccnz .LBB71_2873
; %bb.2866:
	v_cvt_f32_i32_e32 v2, v1
	s_mov_b32 s6, 0x43800000
	v_mov_b32_e32 v6, 0x80
	v_and_b32_e32 v5, 0x7fffffff, v2
	v_cmp_gt_u32_e32 vcc, s6, v5
	s_and_saveexec_b64 s[6:7], vcc
	s_cbranch_execz .LBB71_2872
; %bb.2867:
	s_mov_b32 s10, 0x3bffffff
	v_cmp_lt_u32_e32 vcc, s10, v5
	s_mov_b64 s[10:11], 0
                                        ; implicit-def: $vgpr5
	s_and_saveexec_b64 s[16:17], vcc
	s_xor_b64 s[16:17], exec, s[16:17]
	s_cbranch_execz .LBB71_3093
; %bb.2868:
	v_bfe_u32 v5, v2, 20, 1
	s_mov_b32 s20, 0x487ffff
	v_add3_u32 v5, v2, v5, s20
	s_mov_b64 s[10:11], exec
	v_lshrrev_b32_e32 v5, 20, v5
	s_andn2_saveexec_b64 s[16:17], s[16:17]
	s_cbranch_execnz .LBB71_3094
.LBB71_2869:
	s_or_b64 exec, exec, s[16:17]
	v_mov_b32_e32 v6, 0
	s_and_saveexec_b64 s[16:17], s[10:11]
.LBB71_2870:
	v_lshrrev_b32_e32 v2, 24, v2
	s_movk_i32 s10, 0x80
	v_and_or_b32 v6, v2, s10, v5
.LBB71_2871:
	s_or_b64 exec, exec, s[16:17]
.LBB71_2872:
	s_or_b64 exec, exec, s[6:7]
	global_store_byte v[3:4], v6, off
.LBB71_2873:
	s_mov_b64 s[6:7], -1
.LBB71_2874:
	s_mov_b64 s[10:11], 0
.LBB71_2875:
	s_and_b64 vcc, exec, s[10:11]
	s_cbranch_vccz .LBB71_2915
; %bb.2876:
	s_cmp_gt_i32 s19, 22
	s_mov_b64 s[2:3], -1
	s_cbranch_scc0 .LBB71_2908
; %bb.2877:
	s_cmp_lt_i32 s19, 24
	s_cbranch_scc1 .LBB71_2897
; %bb.2878:
	s_cmp_gt_i32 s19, 24
	s_cbranch_scc0 .LBB71_2886
; %bb.2879:
	v_cvt_f32_i32_e32 v2, v1
	s_mov_b32 s2, 0x47800000
	v_mov_b32_e32 v6, 0x80
	v_and_b32_e32 v5, 0x7fffffff, v2
	v_cmp_gt_u32_e32 vcc, s2, v5
	s_and_saveexec_b64 s[2:3], vcc
	s_cbranch_execz .LBB71_2885
; %bb.2880:
	s_mov_b32 s6, 0x37ffffff
	v_cmp_lt_u32_e32 vcc, s6, v5
	s_mov_b64 s[6:7], 0
                                        ; implicit-def: $vgpr5
	s_and_saveexec_b64 s[10:11], vcc
	s_xor_b64 s[10:11], exec, s[10:11]
	s_cbranch_execz .LBB71_3096
; %bb.2881:
	v_bfe_u32 v5, v2, 21, 1
	s_mov_b32 s16, 0x88fffff
	v_add3_u32 v5, v2, v5, s16
	s_mov_b64 s[6:7], exec
	v_lshrrev_b32_e32 v5, 21, v5
	s_andn2_saveexec_b64 s[10:11], s[10:11]
	s_cbranch_execnz .LBB71_3097
.LBB71_2882:
	s_or_b64 exec, exec, s[10:11]
	v_mov_b32_e32 v6, 0
	s_and_saveexec_b64 s[10:11], s[6:7]
.LBB71_2883:
	v_lshrrev_b32_e32 v2, 24, v2
	s_movk_i32 s6, 0x80
	v_and_or_b32 v6, v2, s6, v5
.LBB71_2884:
	s_or_b64 exec, exec, s[10:11]
.LBB71_2885:
	s_or_b64 exec, exec, s[2:3]
	s_mov_b64 s[2:3], 0
	global_store_byte v[3:4], v6, off
.LBB71_2886:
	s_and_b64 vcc, exec, s[2:3]
	s_cbranch_vccz .LBB71_2896
; %bb.2887:
	v_cvt_f32_i32_e32 v2, v1
	s_mov_b32 s2, 0x43f00000
                                        ; implicit-def: $vgpr5
	v_and_b32_e32 v6, 0x7fffffff, v2
	v_cmp_gt_u32_e32 vcc, s2, v6
	s_and_saveexec_b64 s[2:3], vcc
	s_xor_b64 s[2:3], exec, s[2:3]
	s_cbranch_execz .LBB71_2893
; %bb.2888:
	s_mov_b32 s6, 0x3c7fffff
	v_cmp_lt_u32_e32 vcc, s6, v6
                                        ; implicit-def: $vgpr5
	s_and_saveexec_b64 s[6:7], vcc
	s_xor_b64 s[6:7], exec, s[6:7]
; %bb.2889:
	v_bfe_u32 v5, v2, 20, 1
	s_mov_b32 s10, 0x407ffff
	v_add3_u32 v5, v2, v5, s10
	v_lshrrev_b32_e32 v6, 20, v5
	v_and_b32_e32 v5, 0xff00000, v5
	s_mov_b32 s10, 0x7f00000
	v_mov_b32_e32 v7, 0x7e
	v_cmp_ne_u32_e32 vcc, s10, v5
	v_cndmask_b32_e32 v5, v7, v6, vcc
; %bb.2890:
	s_andn2_saveexec_b64 s[6:7], s[6:7]
; %bb.2891:
	s_mov_b32 s10, 0x46800000
	v_add_f32_e64 v5, |v2|, s10
; %bb.2892:
	s_or_b64 exec, exec, s[6:7]
                                        ; implicit-def: $vgpr6
.LBB71_2893:
	s_andn2_saveexec_b64 s[2:3], s[2:3]
; %bb.2894:
	s_mov_b32 s6, 0x7f800000
	v_mov_b32_e32 v5, 0x7e
	v_mov_b32_e32 v7, 0x7f
	v_cmp_lt_u32_e32 vcc, s6, v6
	v_cndmask_b32_e32 v5, v5, v7, vcc
; %bb.2895:
	s_or_b64 exec, exec, s[2:3]
	v_lshrrev_b32_e32 v2, 24, v2
	s_movk_i32 s2, 0x80
	v_and_or_b32 v2, v2, s2, v5
	global_store_byte v[3:4], v2, off
.LBB71_2896:
	s_mov_b64 s[2:3], 0
.LBB71_2897:
	s_andn2_b64 vcc, exec, s[2:3]
	s_cbranch_vccnz .LBB71_2907
; %bb.2898:
	v_cvt_f32_i32_e32 v2, v1
	s_mov_b32 s2, 0x47800000
                                        ; implicit-def: $vgpr5
	v_and_b32_e32 v6, 0x7fffffff, v2
	v_cmp_gt_u32_e32 vcc, s2, v6
	s_and_saveexec_b64 s[2:3], vcc
	s_xor_b64 s[2:3], exec, s[2:3]
	s_cbranch_execz .LBB71_2904
; %bb.2899:
	s_mov_b32 s6, 0x387fffff
	v_cmp_lt_u32_e32 vcc, s6, v6
                                        ; implicit-def: $vgpr5
	s_and_saveexec_b64 s[6:7], vcc
	s_xor_b64 s[6:7], exec, s[6:7]
; %bb.2900:
	v_bfe_u32 v5, v2, 21, 1
	s_mov_b32 s10, 0x80fffff
	v_add3_u32 v5, v2, v5, s10
	v_lshrrev_b32_e32 v5, 21, v5
; %bb.2901:
	s_andn2_saveexec_b64 s[6:7], s[6:7]
; %bb.2902:
	s_mov_b32 s10, 0x43000000
	v_add_f32_e64 v5, |v2|, s10
; %bb.2903:
	s_or_b64 exec, exec, s[6:7]
                                        ; implicit-def: $vgpr6
.LBB71_2904:
	s_andn2_saveexec_b64 s[2:3], s[2:3]
; %bb.2905:
	s_mov_b32 s6, 0x7f800000
	v_mov_b32_e32 v5, 0x7c
	v_mov_b32_e32 v7, 0x7f
	v_cmp_lt_u32_e32 vcc, s6, v6
	v_cndmask_b32_e32 v5, v5, v7, vcc
; %bb.2906:
	s_or_b64 exec, exec, s[2:3]
	v_lshrrev_b32_e32 v2, 24, v2
	s_movk_i32 s2, 0x80
	v_and_or_b32 v2, v2, s2, v5
	global_store_byte v[3:4], v2, off
.LBB71_2907:
	s_mov_b64 s[2:3], 0
	s_mov_b64 s[6:7], -1
.LBB71_2908:
	s_andn2_b64 vcc, exec, s[2:3]
	s_mov_b64 s[2:3], 0
	s_cbranch_vccnz .LBB71_2915
; %bb.2909:
	s_cmp_gt_i32 s19, 14
	s_mov_b64 s[10:11], -1
	s_cbranch_scc0 .LBB71_2913
; %bb.2910:
	s_cmp_eq_u32 s19, 15
	s_mov_b64 s[0:1], -1
	s_cbranch_scc0 .LBB71_2912
; %bb.2911:
	v_cvt_f32_i32_e32 v2, v1
	s_movk_i32 s2, 0x7fff
	s_mov_b64 s[0:1], 0
	s_mov_b64 s[6:7], -1
	v_bfe_u32 v5, v2, 16, 1
	v_add3_u32 v2, v2, v5, s2
	global_store_short_d16_hi v[3:4], v2, off
.LBB71_2912:
	s_mov_b64 s[10:11], 0
.LBB71_2913:
	s_mov_b64 s[2:3], 0
	s_and_b64 vcc, exec, s[10:11]
	s_cbranch_vccz .LBB71_2915
; %bb.2914:
	s_cmp_lg_u32 s19, 11
	s_mov_b64 s[2:3], -1
	s_cselect_b64 s[0:1], -1, 0
.LBB71_2915:
	s_and_b64 vcc, exec, s[0:1]
	s_cbranch_vccnz .LBB71_3095
; %bb.2916:
	s_andn2_b64 vcc, exec, s[2:3]
	s_cbranch_vccnz .LBB71_2918
.LBB71_2917:
	v_cmp_ne_u32_e32 vcc, 0, v1
	v_cndmask_b32_e64 v2, 0, 1, vcc
	s_mov_b64 s[6:7], -1
	global_store_byte v[3:4], v2, off
.LBB71_2918:
	s_mov_b64 s[0:1], 0
	s_branch .LBB71_2920
.LBB71_2919:
	s_mov_b64 s[0:1], -1
	s_mov_b64 s[6:7], 0
.LBB71_2920:
	s_and_b64 vcc, exec, s[0:1]
	s_cbranch_vccz .LBB71_2959
; %bb.2921:
	s_and_b32 s2, 0xffff, s18
	s_cmp_lt_i32 s2, 5
	s_mov_b64 s[0:1], -1
	s_cbranch_scc1 .LBB71_2942
; %bb.2922:
	s_cmp_lt_i32 s2, 8
	s_cbranch_scc1 .LBB71_2932
; %bb.2923:
	s_cmp_lt_i32 s2, 9
	s_cbranch_scc1 .LBB71_2929
; %bb.2924:
	s_cmp_gt_i32 s2, 9
	s_cbranch_scc0 .LBB71_2926
; %bb.2925:
	v_cvt_f64_i32_e32 v[5:6], v1
	v_mov_b32_e32 v7, 0
	v_mov_b32_e32 v8, v7
	s_mov_b64 s[0:1], 0
	global_store_dwordx4 v[3:4], v[5:8], off
.LBB71_2926:
	s_andn2_b64 vcc, exec, s[0:1]
	s_cbranch_vccnz .LBB71_2928
; %bb.2927:
	v_cvt_f32_i32_e32 v5, v1
	v_mov_b32_e32 v6, 0
	global_store_dwordx2 v[3:4], v[5:6], off
.LBB71_2928:
	s_mov_b64 s[0:1], 0
.LBB71_2929:
	s_andn2_b64 vcc, exec, s[0:1]
	s_cbranch_vccnz .LBB71_2931
; %bb.2930:
	v_cvt_f32_i32_e32 v2, v1
	v_cvt_f16_f32_e32 v2, v2
	global_store_dword v[3:4], v2, off
.LBB71_2931:
	s_mov_b64 s[0:1], 0
.LBB71_2932:
	s_andn2_b64 vcc, exec, s[0:1]
	s_cbranch_vccnz .LBB71_2941
; %bb.2933:
	s_cmp_lt_i32 s2, 6
	s_mov_b64 s[0:1], -1
	s_cbranch_scc1 .LBB71_2939
; %bb.2934:
	s_cmp_gt_i32 s2, 6
	s_cbranch_scc0 .LBB71_2936
; %bb.2935:
	v_cvt_f64_i32_e32 v[5:6], v1
	s_mov_b64 s[0:1], 0
	global_store_dwordx2 v[3:4], v[5:6], off
.LBB71_2936:
	s_andn2_b64 vcc, exec, s[0:1]
	s_cbranch_vccnz .LBB71_2938
; %bb.2937:
	v_cvt_f32_i32_e32 v2, v1
	global_store_dword v[3:4], v2, off
.LBB71_2938:
	s_mov_b64 s[0:1], 0
.LBB71_2939:
	s_andn2_b64 vcc, exec, s[0:1]
	s_cbranch_vccnz .LBB71_2941
; %bb.2940:
	v_cvt_f32_i32_e32 v2, v1
	v_cvt_f16_f32_e32 v2, v2
	global_store_short v[3:4], v2, off
.LBB71_2941:
	s_mov_b64 s[0:1], 0
.LBB71_2942:
	s_andn2_b64 vcc, exec, s[0:1]
	s_cbranch_vccnz .LBB71_2958
; %bb.2943:
	s_cmp_lt_i32 s2, 2
	s_mov_b64 s[0:1], -1
	s_cbranch_scc1 .LBB71_2953
; %bb.2944:
	s_cmp_lt_i32 s2, 3
	s_cbranch_scc1 .LBB71_2950
; %bb.2945:
	s_cmp_gt_i32 s2, 3
	s_cbranch_scc0 .LBB71_2947
; %bb.2946:
	v_ashrrev_i32_e32 v2, 31, v1
	global_store_dwordx2 v[3:4], v[1:2], off
	s_mov_b64 s[0:1], 0
.LBB71_2947:
	s_andn2_b64 vcc, exec, s[0:1]
	s_cbranch_vccnz .LBB71_2949
; %bb.2948:
	global_store_dword v[3:4], v1, off
.LBB71_2949:
	s_mov_b64 s[0:1], 0
.LBB71_2950:
	s_andn2_b64 vcc, exec, s[0:1]
	s_cbranch_vccnz .LBB71_2952
; %bb.2951:
	global_store_short v[3:4], v1, off
.LBB71_2952:
	s_mov_b64 s[0:1], 0
.LBB71_2953:
	s_andn2_b64 vcc, exec, s[0:1]
	s_cbranch_vccnz .LBB71_2958
; %bb.2954:
	s_cmp_gt_i32 s2, 0
	s_mov_b64 s[0:1], -1
	s_cbranch_scc0 .LBB71_2956
; %bb.2955:
	global_store_byte v[3:4], v1, off
	s_mov_b64 s[0:1], 0
.LBB71_2956:
	s_andn2_b64 vcc, exec, s[0:1]
	s_cbranch_vccnz .LBB71_2958
; %bb.2957:
	global_store_byte v[3:4], v1, off
.LBB71_2958:
	s_mov_b64 s[6:7], -1
.LBB71_2959:
	s_andn2_b64 vcc, exec, s[6:7]
	s_cbranch_vccnz .LBB71_3036
; %bb.2960:
	v_lshlrev_b32_e32 v1, v9, v10
	v_cmp_gt_u32_e32 vcc, 32, v9
	v_cndmask_b32_e32 v2, 0, v1, vcc
	v_mov_b32_e32 v1, s9
	v_add_co_u32_e32 v0, vcc, s8, v0
	s_cmp_lt_i32 s18, 11
	v_addc_co_u32_e32 v1, vcc, 0, v1, vcc
	s_cbranch_scc1 .LBB71_3081
; %bb.2961:
	s_and_b32 s16, 0xffff, s18
	s_mov_b64 s[6:7], -1
	s_mov_b64 s[2:3], 0
	s_cmp_gt_i32 s16, 25
	s_mov_b64 s[0:1], 0
	s_cbranch_scc0 .LBB71_2994
; %bb.2962:
	s_cmp_gt_i32 s16, 28
	s_cbranch_scc0 .LBB71_2978
; %bb.2963:
	s_cmp_gt_i32 s16, 43
	;; [unrolled: 3-line block ×3, first 2 shown]
	s_cbranch_scc0 .LBB71_2968
; %bb.2965:
	s_cmp_eq_u32 s16, 46
	s_mov_b64 s[0:1], -1
	s_cbranch_scc0 .LBB71_2967
; %bb.2966:
	v_cvt_f32_i32_e32 v3, v2
	s_movk_i32 s0, 0x7fff
	v_bfe_u32 v4, v3, 16, 1
	v_add3_u32 v3, v3, v4, s0
	v_lshrrev_b32_e32 v3, 16, v3
	global_store_dword v[0:1], v3, off
	s_mov_b64 s[0:1], 0
.LBB71_2967:
	s_mov_b64 s[6:7], 0
.LBB71_2968:
	s_and_b64 vcc, exec, s[6:7]
	s_cbranch_vccz .LBB71_2973
; %bb.2969:
	s_cmp_eq_u32 s16, 44
	s_mov_b64 s[0:1], -1
	s_cbranch_scc0 .LBB71_2973
; %bb.2970:
	v_cvt_f32_i32_e32 v3, v2
	s_movk_i32 s0, 0xff
	v_mov_b32_e32 v5, 0xff
	v_bfe_u32 v4, v3, 23, 8
	v_cmp_ne_u32_e32 vcc, s0, v4
	s_and_saveexec_b64 s[6:7], vcc
; %bb.2971:
	s_mov_b32 s0, 0x3fffff
	v_lshrrev_b32_e32 v5, 23, v3
	v_and_b32_e32 v6, 0x400000, v3
	v_and_or_b32 v3, v3, s0, v4
	v_cmp_ne_u32_e32 vcc, 0, v6
	v_cmp_ne_u32_e64 s[0:1], 0, v3
	s_and_b64 s[0:1], vcc, s[0:1]
	v_cndmask_b32_e64 v3, 0, 1, s[0:1]
	v_add_u32_e32 v5, v5, v3
; %bb.2972:
	s_or_b64 exec, exec, s[6:7]
	s_mov_b64 s[0:1], 0
	global_store_byte v[0:1], v5, off
.LBB71_2973:
	s_mov_b64 s[6:7], 0
.LBB71_2974:
	s_and_b64 vcc, exec, s[6:7]
	s_cbranch_vccz .LBB71_2977
; %bb.2975:
	s_cmp_eq_u32 s16, 29
	s_mov_b64 s[0:1], -1
	s_cbranch_scc0 .LBB71_2977
; %bb.2976:
	v_ashrrev_i32_e32 v3, 31, v2
	global_store_dwordx2 v[0:1], v[2:3], off
	s_mov_b64 s[0:1], 0
.LBB71_2977:
	s_mov_b64 s[6:7], 0
.LBB71_2978:
	s_and_b64 vcc, exec, s[6:7]
	s_cbranch_vccz .LBB71_2993
; %bb.2979:
	s_cmp_lt_i32 s16, 27
	s_mov_b64 s[6:7], -1
	s_cbranch_scc1 .LBB71_2985
; %bb.2980:
	s_cmp_gt_i32 s16, 27
	s_cbranch_scc0 .LBB71_2982
; %bb.2981:
	global_store_dword v[0:1], v2, off
	s_mov_b64 s[6:7], 0
.LBB71_2982:
	s_andn2_b64 vcc, exec, s[6:7]
	s_cbranch_vccnz .LBB71_2984
; %bb.2983:
	global_store_short v[0:1], v2, off
.LBB71_2984:
	s_mov_b64 s[6:7], 0
.LBB71_2985:
	s_andn2_b64 vcc, exec, s[6:7]
	s_cbranch_vccnz .LBB71_2993
; %bb.2986:
	v_cvt_f32_i32_e32 v3, v2
	s_mov_b32 s6, 0x43800000
	v_mov_b32_e32 v5, 0x80
	v_and_b32_e32 v4, 0x7fffffff, v3
	v_cmp_gt_u32_e32 vcc, s6, v4
	s_and_saveexec_b64 s[6:7], vcc
	s_cbranch_execz .LBB71_2992
; %bb.2987:
	s_mov_b32 s8, 0x3bffffff
	v_cmp_lt_u32_e32 vcc, s8, v4
	s_mov_b64 s[8:9], 0
                                        ; implicit-def: $vgpr4
	s_and_saveexec_b64 s[10:11], vcc
	s_xor_b64 s[10:11], exec, s[10:11]
	s_cbranch_execz .LBB71_3098
; %bb.2988:
	v_bfe_u32 v4, v3, 20, 1
	s_mov_b32 s17, 0x487ffff
	v_add3_u32 v4, v3, v4, s17
	s_mov_b64 s[8:9], exec
	v_lshrrev_b32_e32 v4, 20, v4
	s_andn2_saveexec_b64 s[10:11], s[10:11]
	s_cbranch_execnz .LBB71_3099
.LBB71_2989:
	s_or_b64 exec, exec, s[10:11]
	v_mov_b32_e32 v5, 0
	s_and_saveexec_b64 s[10:11], s[8:9]
.LBB71_2990:
	v_lshrrev_b32_e32 v3, 24, v3
	s_movk_i32 s8, 0x80
	v_and_or_b32 v5, v3, s8, v4
.LBB71_2991:
	s_or_b64 exec, exec, s[10:11]
.LBB71_2992:
	s_or_b64 exec, exec, s[6:7]
	global_store_byte v[0:1], v5, off
.LBB71_2993:
	s_mov_b64 s[6:7], 0
.LBB71_2994:
	s_and_b64 vcc, exec, s[6:7]
	s_cbranch_vccz .LBB71_3034
; %bb.2995:
	s_cmp_gt_i32 s16, 22
	s_mov_b64 s[2:3], -1
	s_cbranch_scc0 .LBB71_3027
; %bb.2996:
	s_cmp_lt_i32 s16, 24
	s_cbranch_scc1 .LBB71_3016
; %bb.2997:
	s_cmp_gt_i32 s16, 24
	s_cbranch_scc0 .LBB71_3005
; %bb.2998:
	v_cvt_f32_i32_e32 v3, v2
	s_mov_b32 s2, 0x47800000
	v_mov_b32_e32 v5, 0x80
	v_and_b32_e32 v4, 0x7fffffff, v3
	v_cmp_gt_u32_e32 vcc, s2, v4
	s_and_saveexec_b64 s[2:3], vcc
	s_cbranch_execz .LBB71_3004
; %bb.2999:
	s_mov_b32 s6, 0x37ffffff
	v_cmp_lt_u32_e32 vcc, s6, v4
	s_mov_b64 s[6:7], 0
                                        ; implicit-def: $vgpr4
	s_and_saveexec_b64 s[8:9], vcc
	s_xor_b64 s[8:9], exec, s[8:9]
	s_cbranch_execz .LBB71_3101
; %bb.3000:
	v_bfe_u32 v4, v3, 21, 1
	s_mov_b32 s10, 0x88fffff
	v_add3_u32 v4, v3, v4, s10
	s_mov_b64 s[6:7], exec
	v_lshrrev_b32_e32 v4, 21, v4
	s_andn2_saveexec_b64 s[8:9], s[8:9]
	s_cbranch_execnz .LBB71_3102
.LBB71_3001:
	s_or_b64 exec, exec, s[8:9]
	v_mov_b32_e32 v5, 0
	s_and_saveexec_b64 s[8:9], s[6:7]
.LBB71_3002:
	v_lshrrev_b32_e32 v3, 24, v3
	s_movk_i32 s6, 0x80
	v_and_or_b32 v5, v3, s6, v4
.LBB71_3003:
	s_or_b64 exec, exec, s[8:9]
.LBB71_3004:
	s_or_b64 exec, exec, s[2:3]
	s_mov_b64 s[2:3], 0
	global_store_byte v[0:1], v5, off
.LBB71_3005:
	s_and_b64 vcc, exec, s[2:3]
	s_cbranch_vccz .LBB71_3015
; %bb.3006:
	v_cvt_f32_i32_e32 v3, v2
	s_mov_b32 s2, 0x43f00000
                                        ; implicit-def: $vgpr4
	v_and_b32_e32 v5, 0x7fffffff, v3
	v_cmp_gt_u32_e32 vcc, s2, v5
	s_and_saveexec_b64 s[2:3], vcc
	s_xor_b64 s[2:3], exec, s[2:3]
	s_cbranch_execz .LBB71_3012
; %bb.3007:
	s_mov_b32 s6, 0x3c7fffff
	v_cmp_lt_u32_e32 vcc, s6, v5
                                        ; implicit-def: $vgpr4
	s_and_saveexec_b64 s[6:7], vcc
	s_xor_b64 s[6:7], exec, s[6:7]
; %bb.3008:
	v_bfe_u32 v4, v3, 20, 1
	s_mov_b32 s8, 0x407ffff
	v_add3_u32 v4, v3, v4, s8
	v_lshrrev_b32_e32 v5, 20, v4
	v_and_b32_e32 v4, 0xff00000, v4
	s_mov_b32 s8, 0x7f00000
	v_mov_b32_e32 v6, 0x7e
	v_cmp_ne_u32_e32 vcc, s8, v4
	v_cndmask_b32_e32 v4, v6, v5, vcc
; %bb.3009:
	s_andn2_saveexec_b64 s[6:7], s[6:7]
; %bb.3010:
	s_mov_b32 s8, 0x46800000
	v_add_f32_e64 v4, |v3|, s8
; %bb.3011:
	s_or_b64 exec, exec, s[6:7]
                                        ; implicit-def: $vgpr5
.LBB71_3012:
	s_andn2_saveexec_b64 s[2:3], s[2:3]
; %bb.3013:
	s_mov_b32 s6, 0x7f800000
	v_mov_b32_e32 v4, 0x7e
	v_mov_b32_e32 v6, 0x7f
	v_cmp_lt_u32_e32 vcc, s6, v5
	v_cndmask_b32_e32 v4, v4, v6, vcc
; %bb.3014:
	s_or_b64 exec, exec, s[2:3]
	v_lshrrev_b32_e32 v3, 24, v3
	s_movk_i32 s2, 0x80
	v_and_or_b32 v3, v3, s2, v4
	global_store_byte v[0:1], v3, off
.LBB71_3015:
	s_mov_b64 s[2:3], 0
.LBB71_3016:
	s_andn2_b64 vcc, exec, s[2:3]
	s_cbranch_vccnz .LBB71_3026
; %bb.3017:
	v_cvt_f32_i32_e32 v3, v2
	s_mov_b32 s2, 0x47800000
                                        ; implicit-def: $vgpr4
	v_and_b32_e32 v5, 0x7fffffff, v3
	v_cmp_gt_u32_e32 vcc, s2, v5
	s_and_saveexec_b64 s[2:3], vcc
	s_xor_b64 s[2:3], exec, s[2:3]
	s_cbranch_execz .LBB71_3023
; %bb.3018:
	s_mov_b32 s6, 0x387fffff
	v_cmp_lt_u32_e32 vcc, s6, v5
                                        ; implicit-def: $vgpr4
	s_and_saveexec_b64 s[6:7], vcc
	s_xor_b64 s[6:7], exec, s[6:7]
; %bb.3019:
	v_bfe_u32 v4, v3, 21, 1
	s_mov_b32 s8, 0x80fffff
	v_add3_u32 v4, v3, v4, s8
	v_lshrrev_b32_e32 v4, 21, v4
; %bb.3020:
	s_andn2_saveexec_b64 s[6:7], s[6:7]
; %bb.3021:
	s_mov_b32 s8, 0x43000000
	v_add_f32_e64 v4, |v3|, s8
; %bb.3022:
	s_or_b64 exec, exec, s[6:7]
                                        ; implicit-def: $vgpr5
.LBB71_3023:
	s_andn2_saveexec_b64 s[2:3], s[2:3]
; %bb.3024:
	s_mov_b32 s6, 0x7f800000
	v_mov_b32_e32 v4, 0x7c
	v_mov_b32_e32 v6, 0x7f
	v_cmp_lt_u32_e32 vcc, s6, v5
	v_cndmask_b32_e32 v4, v4, v6, vcc
; %bb.3025:
	s_or_b64 exec, exec, s[2:3]
	v_lshrrev_b32_e32 v3, 24, v3
	s_movk_i32 s2, 0x80
	v_and_or_b32 v3, v3, s2, v4
	global_store_byte v[0:1], v3, off
.LBB71_3026:
	s_mov_b64 s[2:3], 0
.LBB71_3027:
	s_andn2_b64 vcc, exec, s[2:3]
	s_mov_b64 s[2:3], 0
	s_cbranch_vccnz .LBB71_3034
; %bb.3028:
	s_cmp_gt_i32 s16, 14
	s_mov_b64 s[6:7], -1
	s_cbranch_scc0 .LBB71_3032
; %bb.3029:
	s_cmp_eq_u32 s16, 15
	s_mov_b64 s[0:1], -1
	s_cbranch_scc0 .LBB71_3031
; %bb.3030:
	v_cvt_f32_i32_e32 v3, v2
	s_movk_i32 s0, 0x7fff
	v_bfe_u32 v4, v3, 16, 1
	v_add3_u32 v3, v3, v4, s0
	global_store_short_d16_hi v[0:1], v3, off
	s_mov_b64 s[0:1], 0
.LBB71_3031:
	s_mov_b64 s[6:7], 0
.LBB71_3032:
	s_and_b64 vcc, exec, s[6:7]
	s_cbranch_vccz .LBB71_3034
; %bb.3033:
	s_cmp_lg_u32 s16, 11
	s_mov_b64 s[2:3], -1
	s_cselect_b64 s[0:1], -1, 0
.LBB71_3034:
	s_and_b64 vcc, exec, s[0:1]
	s_cbranch_vccnz .LBB71_3100
.LBB71_3035:
	s_mov_b64 s[0:1], 0
	s_branch .LBB71_3037
.LBB71_3036:
	s_mov_b64 s[0:1], 0
	s_mov_b64 s[2:3], 0
                                        ; implicit-def: $vgpr0_vgpr1
                                        ; implicit-def: $sgpr18
                                        ; implicit-def: $vgpr2
.LBB71_3037:
	s_and_b64 s[6:7], s[2:3], exec
	s_andn2_b64 s[2:3], s[12:13], exec
	s_and_b64 s[4:5], s[4:5], exec
	s_and_b64 s[0:1], s[0:1], exec
	s_or_b64 s[12:13], s[2:3], s[4:5]
.LBB71_3038:
	s_or_b64 exec, exec, s[14:15]
	s_and_saveexec_b64 s[2:3], s[12:13]
	s_cbranch_execz .LBB71_3041
; %bb.3039:
	; divergent unreachable
	s_or_b64 exec, exec, s[2:3]
	s_and_saveexec_b64 s[2:3], s[6:7]
	s_xor_b64 s[2:3], exec, s[2:3]
	s_cbranch_execnz .LBB71_3042
.LBB71_3040:
	s_or_b64 exec, exec, s[2:3]
	s_and_saveexec_b64 s[2:3], s[0:1]
	s_cbranch_execnz .LBB71_3043
	s_branch .LBB71_3080
.LBB71_3041:
	s_or_b64 exec, exec, s[2:3]
	s_and_saveexec_b64 s[2:3], s[6:7]
	s_xor_b64 s[2:3], exec, s[2:3]
	s_cbranch_execz .LBB71_3040
.LBB71_3042:
	v_cmp_ne_u32_e32 vcc, 0, v2
	s_waitcnt vmcnt(0)
	v_cndmask_b32_e64 v3, 0, 1, vcc
	global_store_byte v[0:1], v3, off
	s_or_b64 exec, exec, s[2:3]
	s_and_saveexec_b64 s[2:3], s[0:1]
	s_cbranch_execz .LBB71_3080
.LBB71_3043:
	s_sext_i32_i16 s2, s18
	s_cmp_lt_i32 s2, 5
	s_mov_b64 s[0:1], -1
	s_cbranch_scc1 .LBB71_3064
; %bb.3044:
	s_cmp_lt_i32 s2, 8
	s_cbranch_scc1 .LBB71_3054
; %bb.3045:
	s_cmp_lt_i32 s2, 9
	s_cbranch_scc1 .LBB71_3051
; %bb.3046:
	s_cmp_gt_i32 s2, 9
	s_cbranch_scc0 .LBB71_3048
; %bb.3047:
	s_waitcnt vmcnt(0)
	v_cvt_f64_i32_e32 v[3:4], v2
	v_mov_b32_e32 v5, 0
	v_mov_b32_e32 v6, v5
	s_mov_b64 s[0:1], 0
	global_store_dwordx4 v[0:1], v[3:6], off
.LBB71_3048:
	s_andn2_b64 vcc, exec, s[0:1]
	s_cbranch_vccnz .LBB71_3050
; %bb.3049:
	s_waitcnt vmcnt(0)
	v_cvt_f32_i32_e32 v3, v2
	v_mov_b32_e32 v4, 0
	global_store_dwordx2 v[0:1], v[3:4], off
.LBB71_3050:
	s_mov_b64 s[0:1], 0
.LBB71_3051:
	s_andn2_b64 vcc, exec, s[0:1]
	s_cbranch_vccnz .LBB71_3053
; %bb.3052:
	s_waitcnt vmcnt(0)
	v_cvt_f32_i32_e32 v3, v2
	v_cvt_f16_f32_e32 v3, v3
	global_store_dword v[0:1], v3, off
.LBB71_3053:
	s_mov_b64 s[0:1], 0
.LBB71_3054:
	s_andn2_b64 vcc, exec, s[0:1]
	s_cbranch_vccnz .LBB71_3063
; %bb.3055:
	s_sext_i32_i16 s2, s18
	s_cmp_lt_i32 s2, 6
	s_mov_b64 s[0:1], -1
	s_cbranch_scc1 .LBB71_3061
; %bb.3056:
	s_cmp_gt_i32 s2, 6
	s_cbranch_scc0 .LBB71_3058
; %bb.3057:
	s_waitcnt vmcnt(0)
	v_cvt_f64_i32_e32 v[3:4], v2
	s_mov_b64 s[0:1], 0
	global_store_dwordx2 v[0:1], v[3:4], off
.LBB71_3058:
	s_andn2_b64 vcc, exec, s[0:1]
	s_cbranch_vccnz .LBB71_3060
; %bb.3059:
	s_waitcnt vmcnt(0)
	v_cvt_f32_i32_e32 v3, v2
	global_store_dword v[0:1], v3, off
.LBB71_3060:
	s_mov_b64 s[0:1], 0
.LBB71_3061:
	s_andn2_b64 vcc, exec, s[0:1]
	s_cbranch_vccnz .LBB71_3063
; %bb.3062:
	s_waitcnt vmcnt(0)
	v_cvt_f32_i32_e32 v3, v2
	v_cvt_f16_f32_e32 v3, v3
	global_store_short v[0:1], v3, off
.LBB71_3063:
	s_mov_b64 s[0:1], 0
.LBB71_3064:
	s_andn2_b64 vcc, exec, s[0:1]
	s_cbranch_vccnz .LBB71_3080
; %bb.3065:
	s_sext_i32_i16 s2, s18
	s_cmp_lt_i32 s2, 2
	s_mov_b64 s[0:1], -1
	s_cbranch_scc1 .LBB71_3075
; %bb.3066:
	s_cmp_lt_i32 s2, 3
	s_cbranch_scc1 .LBB71_3072
; %bb.3067:
	s_cmp_gt_i32 s2, 3
	s_cbranch_scc0 .LBB71_3069
; %bb.3068:
	s_waitcnt vmcnt(0)
	v_ashrrev_i32_e32 v3, 31, v2
	global_store_dwordx2 v[0:1], v[2:3], off
	s_mov_b64 s[0:1], 0
.LBB71_3069:
	s_andn2_b64 vcc, exec, s[0:1]
	s_cbranch_vccnz .LBB71_3071
; %bb.3070:
	s_waitcnt vmcnt(0)
	global_store_dword v[0:1], v2, off
.LBB71_3071:
	s_mov_b64 s[0:1], 0
.LBB71_3072:
	s_andn2_b64 vcc, exec, s[0:1]
	s_cbranch_vccnz .LBB71_3074
; %bb.3073:
	s_waitcnt vmcnt(0)
	global_store_short v[0:1], v2, off
.LBB71_3074:
	s_mov_b64 s[0:1], 0
.LBB71_3075:
	s_andn2_b64 vcc, exec, s[0:1]
	s_cbranch_vccnz .LBB71_3080
; %bb.3076:
	s_sext_i32_i16 s0, s18
	s_cmp_gt_i32 s0, 0
	s_mov_b64 s[0:1], -1
	s_cbranch_scc0 .LBB71_3078
; %bb.3077:
	s_waitcnt vmcnt(0)
	global_store_byte v[0:1], v2, off
	s_mov_b64 s[0:1], 0
.LBB71_3078:
	s_andn2_b64 vcc, exec, s[0:1]
	s_cbranch_vccnz .LBB71_3080
; %bb.3079:
	s_waitcnt vmcnt(0)
	global_store_byte v[0:1], v2, off
	s_endpgm
.LBB71_3080:
	s_endpgm
.LBB71_3081:
	s_mov_b64 s[2:3], 0
	s_mov_b64 s[0:1], -1
	s_branch .LBB71_3037
.LBB71_3082:
	s_trap 2
	s_or_b64 s[4:5], s[4:5], exec
	s_cbranch_execz .LBB71_2551
	s_branch .LBB71_2552
.LBB71_3083:
	s_andn2_saveexec_b64 s[16:17], s[16:17]
	s_cbranch_execz .LBB71_2631
.LBB71_3084:
	s_mov_b32 s21, 0x46000000
	v_add_f32_e64 v6, |v1|, s21
	v_and_b32_e32 v6, 0xff, v6
	v_cmp_ne_u32_e32 vcc, 0, v6
	s_andn2_b64 s[10:11], s[10:11], exec
	s_and_b64 s[22:23], vcc, exec
	s_or_b64 s[10:11], s[10:11], s[22:23]
	s_or_b64 exec, exec, s[16:17]
	v_mov_b32_e32 v11, 0
	s_and_saveexec_b64 s[16:17], s[10:11]
	s_cbranch_execnz .LBB71_2632
	s_branch .LBB71_2633
.LBB71_3085:
	s_trap 2
	s_or_b64 s[4:5], s[4:5], exec
	s_cbranch_execz .LBB71_2679
	s_branch .LBB71_2680
.LBB71_3086:
	s_andn2_saveexec_b64 s[10:11], s[10:11]
	s_cbranch_execz .LBB71_2644
.LBB71_3087:
	s_mov_b32 s16, 0x42800000
	v_add_f32_e64 v6, |v1|, s16
	v_and_b32_e32 v6, 0xff, v6
	v_cmp_ne_u32_e32 vcc, 0, v6
	s_andn2_b64 s[6:7], s[6:7], exec
	s_and_b64 s[16:17], vcc, exec
	s_or_b64 s[6:7], s[6:7], s[16:17]
	s_or_b64 exec, exec, s[10:11]
	v_mov_b32_e32 v11, 0
	s_and_saveexec_b64 s[10:11], s[6:7]
	s_cbranch_execnz .LBB71_2645
	s_branch .LBB71_2646
.LBB71_3088:
	s_andn2_saveexec_b64 s[16:17], s[16:17]
	s_cbranch_execz .LBB71_2750
.LBB71_3089:
	s_mov_b32 s20, 0x46000000
	v_add_f32_e64 v4, |v1|, s20
	v_and_b32_e32 v4, 0xff, v4
	v_cmp_ne_u32_e32 vcc, 0, v4
	s_andn2_b64 s[10:11], s[10:11], exec
	s_and_b64 s[20:21], vcc, exec
	s_or_b64 s[10:11], s[10:11], s[20:21]
	s_or_b64 exec, exec, s[16:17]
	v_mov_b32_e32 v7, 0
	s_and_saveexec_b64 s[16:17], s[10:11]
	s_cbranch_execnz .LBB71_2751
	s_branch .LBB71_2752
.LBB71_3090:
	s_trap 2
	s_or_b64 s[4:5], s[4:5], exec
	s_cbranch_execz .LBB71_2798
	s_branch .LBB71_2799
.LBB71_3091:
	s_andn2_saveexec_b64 s[10:11], s[10:11]
	s_cbranch_execz .LBB71_2763
.LBB71_3092:
	s_mov_b32 s16, 0x42800000
	v_add_f32_e64 v4, |v1|, s16
	v_and_b32_e32 v4, 0xff, v4
	v_cmp_ne_u32_e32 vcc, 0, v4
	s_andn2_b64 s[6:7], s[6:7], exec
	s_and_b64 s[16:17], vcc, exec
	s_or_b64 s[6:7], s[6:7], s[16:17]
	s_or_b64 exec, exec, s[10:11]
	v_mov_b32_e32 v7, 0
	s_and_saveexec_b64 s[10:11], s[6:7]
	s_cbranch_execnz .LBB71_2764
	s_branch .LBB71_2765
.LBB71_3093:
	s_andn2_saveexec_b64 s[16:17], s[16:17]
	s_cbranch_execz .LBB71_2869
.LBB71_3094:
	s_mov_b32 s20, 0x46000000
	v_add_f32_e64 v5, |v2|, s20
	v_and_b32_e32 v5, 0xff, v5
	v_cmp_ne_u32_e32 vcc, 0, v5
	s_andn2_b64 s[10:11], s[10:11], exec
	s_and_b64 s[20:21], vcc, exec
	s_or_b64 s[10:11], s[10:11], s[20:21]
	s_or_b64 exec, exec, s[16:17]
	v_mov_b32_e32 v6, 0
	s_and_saveexec_b64 s[16:17], s[10:11]
	s_cbranch_execnz .LBB71_2870
	s_branch .LBB71_2871
.LBB71_3095:
	s_trap 2
	s_or_b64 s[4:5], s[4:5], exec
	s_cbranch_execz .LBB71_2917
	s_branch .LBB71_2918
.LBB71_3096:
	s_andn2_saveexec_b64 s[10:11], s[10:11]
	s_cbranch_execz .LBB71_2882
.LBB71_3097:
	s_mov_b32 s16, 0x42800000
	v_add_f32_e64 v5, |v2|, s16
	v_and_b32_e32 v5, 0xff, v5
	v_cmp_ne_u32_e32 vcc, 0, v5
	s_andn2_b64 s[6:7], s[6:7], exec
	s_and_b64 s[16:17], vcc, exec
	s_or_b64 s[6:7], s[6:7], s[16:17]
	s_or_b64 exec, exec, s[10:11]
	v_mov_b32_e32 v6, 0
	s_and_saveexec_b64 s[10:11], s[6:7]
	s_cbranch_execnz .LBB71_2883
	s_branch .LBB71_2884
.LBB71_3098:
	s_andn2_saveexec_b64 s[10:11], s[10:11]
	s_cbranch_execz .LBB71_2989
.LBB71_3099:
	s_mov_b32 s17, 0x46000000
	v_add_f32_e64 v4, |v3|, s17
	v_and_b32_e32 v4, 0xff, v4
	v_cmp_ne_u32_e32 vcc, 0, v4
	s_andn2_b64 s[8:9], s[8:9], exec
	s_and_b64 s[20:21], vcc, exec
	s_or_b64 s[8:9], s[8:9], s[20:21]
	s_or_b64 exec, exec, s[10:11]
	v_mov_b32_e32 v5, 0
	s_and_saveexec_b64 s[10:11], s[8:9]
	s_cbranch_execnz .LBB71_2990
	s_branch .LBB71_2991
.LBB71_3100:
	s_mov_b64 s[2:3], 0
	s_or_b64 s[4:5], s[4:5], exec
	s_trap 2
	s_branch .LBB71_3035
.LBB71_3101:
	s_andn2_saveexec_b64 s[8:9], s[8:9]
	s_cbranch_execz .LBB71_3001
.LBB71_3102:
	s_mov_b32 s10, 0x42800000
	v_add_f32_e64 v4, |v3|, s10
	v_and_b32_e32 v4, 0xff, v4
	v_cmp_ne_u32_e32 vcc, 0, v4
	s_andn2_b64 s[6:7], s[6:7], exec
	s_and_b64 s[10:11], vcc, exec
	s_or_b64 s[6:7], s[6:7], s[10:11]
	s_or_b64 exec, exec, s[8:9]
	v_mov_b32_e32 v5, 0
	s_and_saveexec_b64 s[8:9], s[6:7]
	s_cbranch_execnz .LBB71_3002
	s_branch .LBB71_3003
	.section	.rodata,"a",@progbits
	.p2align	6, 0x0
	.amdhsa_kernel _ZN2at6native32elementwise_kernel_manual_unrollILi128ELi4EZNS0_15gpu_kernel_implINS0_13BinaryFunctorIiiiZZZNS0_18lshift_kernel_cudaERNS_18TensorIteratorBaseEENKUlvE_clEvENKUlvE1_clEvEUliiE_EEEEvS5_RKT_EUlibE0_EEviT1_
		.amdhsa_group_segment_fixed_size 0
		.amdhsa_private_segment_fixed_size 0
		.amdhsa_kernarg_size 432
		.amdhsa_user_sgpr_count 6
		.amdhsa_user_sgpr_private_segment_buffer 1
		.amdhsa_user_sgpr_dispatch_ptr 0
		.amdhsa_user_sgpr_queue_ptr 0
		.amdhsa_user_sgpr_kernarg_segment_ptr 1
		.amdhsa_user_sgpr_dispatch_id 0
		.amdhsa_user_sgpr_flat_scratch_init 0
		.amdhsa_user_sgpr_private_segment_size 0
		.amdhsa_uses_dynamic_stack 0
		.amdhsa_system_sgpr_private_segment_wavefront_offset 0
		.amdhsa_system_sgpr_workgroup_id_x 1
		.amdhsa_system_sgpr_workgroup_id_y 0
		.amdhsa_system_sgpr_workgroup_id_z 0
		.amdhsa_system_sgpr_workgroup_info 0
		.amdhsa_system_vgpr_workitem_id 0
		.amdhsa_next_free_vgpr 24
		.amdhsa_next_free_sgpr 80
		.amdhsa_reserve_vcc 1
		.amdhsa_reserve_flat_scratch 0
		.amdhsa_float_round_mode_32 0
		.amdhsa_float_round_mode_16_64 0
		.amdhsa_float_denorm_mode_32 3
		.amdhsa_float_denorm_mode_16_64 3
		.amdhsa_dx10_clamp 1
		.amdhsa_ieee_mode 1
		.amdhsa_fp16_overflow 0
		.amdhsa_exception_fp_ieee_invalid_op 0
		.amdhsa_exception_fp_denorm_src 0
		.amdhsa_exception_fp_ieee_div_zero 0
		.amdhsa_exception_fp_ieee_overflow 0
		.amdhsa_exception_fp_ieee_underflow 0
		.amdhsa_exception_fp_ieee_inexact 0
		.amdhsa_exception_int_div_zero 0
	.end_amdhsa_kernel
	.section	.text._ZN2at6native32elementwise_kernel_manual_unrollILi128ELi4EZNS0_15gpu_kernel_implINS0_13BinaryFunctorIiiiZZZNS0_18lshift_kernel_cudaERNS_18TensorIteratorBaseEENKUlvE_clEvENKUlvE1_clEvEUliiE_EEEEvS5_RKT_EUlibE0_EEviT1_,"axG",@progbits,_ZN2at6native32elementwise_kernel_manual_unrollILi128ELi4EZNS0_15gpu_kernel_implINS0_13BinaryFunctorIiiiZZZNS0_18lshift_kernel_cudaERNS_18TensorIteratorBaseEENKUlvE_clEvENKUlvE1_clEvEUliiE_EEEEvS5_RKT_EUlibE0_EEviT1_,comdat
.Lfunc_end71:
	.size	_ZN2at6native32elementwise_kernel_manual_unrollILi128ELi4EZNS0_15gpu_kernel_implINS0_13BinaryFunctorIiiiZZZNS0_18lshift_kernel_cudaERNS_18TensorIteratorBaseEENKUlvE_clEvENKUlvE1_clEvEUliiE_EEEEvS5_RKT_EUlibE0_EEviT1_, .Lfunc_end71-_ZN2at6native32elementwise_kernel_manual_unrollILi128ELi4EZNS0_15gpu_kernel_implINS0_13BinaryFunctorIiiiZZZNS0_18lshift_kernel_cudaERNS_18TensorIteratorBaseEENKUlvE_clEvENKUlvE1_clEvEUliiE_EEEEvS5_RKT_EUlibE0_EEviT1_
                                        ; -- End function
	.set _ZN2at6native32elementwise_kernel_manual_unrollILi128ELi4EZNS0_15gpu_kernel_implINS0_13BinaryFunctorIiiiZZZNS0_18lshift_kernel_cudaERNS_18TensorIteratorBaseEENKUlvE_clEvENKUlvE1_clEvEUliiE_EEEEvS5_RKT_EUlibE0_EEviT1_.num_vgpr, 24
	.set _ZN2at6native32elementwise_kernel_manual_unrollILi128ELi4EZNS0_15gpu_kernel_implINS0_13BinaryFunctorIiiiZZZNS0_18lshift_kernel_cudaERNS_18TensorIteratorBaseEENKUlvE_clEvENKUlvE1_clEvEUliiE_EEEEvS5_RKT_EUlibE0_EEviT1_.num_agpr, 0
	.set _ZN2at6native32elementwise_kernel_manual_unrollILi128ELi4EZNS0_15gpu_kernel_implINS0_13BinaryFunctorIiiiZZZNS0_18lshift_kernel_cudaERNS_18TensorIteratorBaseEENKUlvE_clEvENKUlvE1_clEvEUliiE_EEEEvS5_RKT_EUlibE0_EEviT1_.numbered_sgpr, 80
	.set _ZN2at6native32elementwise_kernel_manual_unrollILi128ELi4EZNS0_15gpu_kernel_implINS0_13BinaryFunctorIiiiZZZNS0_18lshift_kernel_cudaERNS_18TensorIteratorBaseEENKUlvE_clEvENKUlvE1_clEvEUliiE_EEEEvS5_RKT_EUlibE0_EEviT1_.num_named_barrier, 0
	.set _ZN2at6native32elementwise_kernel_manual_unrollILi128ELi4EZNS0_15gpu_kernel_implINS0_13BinaryFunctorIiiiZZZNS0_18lshift_kernel_cudaERNS_18TensorIteratorBaseEENKUlvE_clEvENKUlvE1_clEvEUliiE_EEEEvS5_RKT_EUlibE0_EEviT1_.private_seg_size, 0
	.set _ZN2at6native32elementwise_kernel_manual_unrollILi128ELi4EZNS0_15gpu_kernel_implINS0_13BinaryFunctorIiiiZZZNS0_18lshift_kernel_cudaERNS_18TensorIteratorBaseEENKUlvE_clEvENKUlvE1_clEvEUliiE_EEEEvS5_RKT_EUlibE0_EEviT1_.uses_vcc, 1
	.set _ZN2at6native32elementwise_kernel_manual_unrollILi128ELi4EZNS0_15gpu_kernel_implINS0_13BinaryFunctorIiiiZZZNS0_18lshift_kernel_cudaERNS_18TensorIteratorBaseEENKUlvE_clEvENKUlvE1_clEvEUliiE_EEEEvS5_RKT_EUlibE0_EEviT1_.uses_flat_scratch, 0
	.set _ZN2at6native32elementwise_kernel_manual_unrollILi128ELi4EZNS0_15gpu_kernel_implINS0_13BinaryFunctorIiiiZZZNS0_18lshift_kernel_cudaERNS_18TensorIteratorBaseEENKUlvE_clEvENKUlvE1_clEvEUliiE_EEEEvS5_RKT_EUlibE0_EEviT1_.has_dyn_sized_stack, 0
	.set _ZN2at6native32elementwise_kernel_manual_unrollILi128ELi4EZNS0_15gpu_kernel_implINS0_13BinaryFunctorIiiiZZZNS0_18lshift_kernel_cudaERNS_18TensorIteratorBaseEENKUlvE_clEvENKUlvE1_clEvEUliiE_EEEEvS5_RKT_EUlibE0_EEviT1_.has_recursion, 0
	.set _ZN2at6native32elementwise_kernel_manual_unrollILi128ELi4EZNS0_15gpu_kernel_implINS0_13BinaryFunctorIiiiZZZNS0_18lshift_kernel_cudaERNS_18TensorIteratorBaseEENKUlvE_clEvENKUlvE1_clEvEUliiE_EEEEvS5_RKT_EUlibE0_EEviT1_.has_indirect_call, 0
	.section	.AMDGPU.csdata,"",@progbits
; Kernel info:
; codeLenInByte = 47804
; TotalNumSgprs: 84
; NumVgprs: 24
; ScratchSize: 0
; MemoryBound: 1
; FloatMode: 240
; IeeeMode: 1
; LDSByteSize: 0 bytes/workgroup (compile time only)
; SGPRBlocks: 10
; VGPRBlocks: 5
; NumSGPRsForWavesPerEU: 84
; NumVGPRsForWavesPerEU: 24
; Occupancy: 9
; WaveLimiterHint : 1
; COMPUTE_PGM_RSRC2:SCRATCH_EN: 0
; COMPUTE_PGM_RSRC2:USER_SGPR: 6
; COMPUTE_PGM_RSRC2:TRAP_HANDLER: 0
; COMPUTE_PGM_RSRC2:TGID_X_EN: 1
; COMPUTE_PGM_RSRC2:TGID_Y_EN: 0
; COMPUTE_PGM_RSRC2:TGID_Z_EN: 0
; COMPUTE_PGM_RSRC2:TIDIG_COMP_CNT: 0
	.section	.text._ZN2at6native29vectorized_elementwise_kernelILi16ENS0_13AUnaryFunctorIlllZZZNS0_18lshift_kernel_cudaERNS_18TensorIteratorBaseEENKUlvE_clEvENKUlvE2_clEvEUlllE_EESt5arrayIPcLm2EEEEviT0_T1_,"axG",@progbits,_ZN2at6native29vectorized_elementwise_kernelILi16ENS0_13AUnaryFunctorIlllZZZNS0_18lshift_kernel_cudaERNS_18TensorIteratorBaseEENKUlvE_clEvENKUlvE2_clEvEUlllE_EESt5arrayIPcLm2EEEEviT0_T1_,comdat
	.globl	_ZN2at6native29vectorized_elementwise_kernelILi16ENS0_13AUnaryFunctorIlllZZZNS0_18lshift_kernel_cudaERNS_18TensorIteratorBaseEENKUlvE_clEvENKUlvE2_clEvEUlllE_EESt5arrayIPcLm2EEEEviT0_T1_ ; -- Begin function _ZN2at6native29vectorized_elementwise_kernelILi16ENS0_13AUnaryFunctorIlllZZZNS0_18lshift_kernel_cudaERNS_18TensorIteratorBaseEENKUlvE_clEvENKUlvE2_clEvEUlllE_EESt5arrayIPcLm2EEEEviT0_T1_
	.p2align	8
	.type	_ZN2at6native29vectorized_elementwise_kernelILi16ENS0_13AUnaryFunctorIlllZZZNS0_18lshift_kernel_cudaERNS_18TensorIteratorBaseEENKUlvE_clEvENKUlvE2_clEvEUlllE_EESt5arrayIPcLm2EEEEviT0_T1_,@function
_ZN2at6native29vectorized_elementwise_kernelILi16ENS0_13AUnaryFunctorIlllZZZNS0_18lshift_kernel_cudaERNS_18TensorIteratorBaseEENKUlvE_clEvENKUlvE2_clEvEUlllE_EESt5arrayIPcLm2EEEEviT0_T1_: ; @_ZN2at6native29vectorized_elementwise_kernelILi16ENS0_13AUnaryFunctorIlllZZZNS0_18lshift_kernel_cudaERNS_18TensorIteratorBaseEENKUlvE_clEvENKUlvE2_clEvEUlllE_EESt5arrayIPcLm2EEEEviT0_T1_
; %bb.0:
	s_load_dword s0, s[4:5], 0x0
	s_load_dwordx4 s[8:11], s[4:5], 0x10
	s_load_dwordx2 s[2:3], s[4:5], 0x20
	s_lshl_b32 s4, s6, 10
	s_waitcnt lgkmcnt(0)
	s_sub_i32 s12, s0, s4
	s_cmpk_gt_i32 s12, 0x3ff
	s_mov_b64 s[0:1], -1
	s_cbranch_scc0 .LBB72_2
; %bb.1:
	s_ashr_i32 s5, s4, 31
	s_lshl_b64 s[0:1], s[4:5], 3
	s_add_u32 s6, s2, s0
	s_addc_u32 s7, s3, s1
	v_lshlrev_b32_e32 v15, 5, v0
	global_load_dwordx4 v[1:4], v15, s[6:7]
	global_load_dwordx4 v[5:8], v15, s[6:7] offset:16
	s_add_u32 s0, s10, s0
	s_addc_u32 s1, s11, s1
	s_waitcnt vmcnt(1)
	v_lshlrev_b64 v[9:10], v1, s[8:9]
	v_cmp_gt_u64_e32 vcc, 64, v[1:2]
	v_lshlrev_b64 v[11:12], v3, s[8:9]
	v_cndmask_b32_e32 v2, 0, v10, vcc
	v_cndmask_b32_e32 v1, 0, v9, vcc
	v_cmp_gt_u64_e32 vcc, 64, v[3:4]
	s_waitcnt vmcnt(0)
	v_lshlrev_b64 v[13:14], v5, s[8:9]
	v_cndmask_b32_e32 v4, 0, v12, vcc
	v_cndmask_b32_e32 v3, 0, v11, vcc
	v_cmp_gt_u64_e32 vcc, 64, v[5:6]
	v_lshlrev_b64 v[9:10], v7, s[8:9]
	v_cndmask_b32_e32 v6, 0, v14, vcc
	v_cndmask_b32_e32 v5, 0, v13, vcc
	v_cmp_gt_u64_e32 vcc, 64, v[7:8]
	v_cndmask_b32_e32 v8, 0, v10, vcc
	v_cndmask_b32_e32 v7, 0, v9, vcc
	global_store_dwordx4 v15, v[1:4], s[0:1]
	global_store_dwordx4 v15, v[5:8], s[0:1] offset:16
	s_mov_b64 s[0:1], 0
.LBB72_2:
	s_andn2_b64 vcc, exec, s[0:1]
	s_cbranch_vccnz .LBB72_16
; %bb.3:
	v_mov_b32_e32 v3, 0
	v_mov_b32_e32 v5, 0
	v_cmp_gt_i32_e32 vcc, s12, v0
	v_mov_b32_e32 v4, 0
	v_or_b32_e32 v1, s4, v0
	v_mov_b32_e32 v6, 0
	v_mov_b32_e32 v2, v0
	s_and_saveexec_b64 s[6:7], vcc
	s_cbranch_execz .LBB72_5
; %bb.4:
	v_mov_b32_e32 v2, 0
	v_lshlrev_b64 v[5:6], 3, v[1:2]
	v_mov_b32_e32 v2, s3
	v_add_co_u32_e64 v5, s[0:1], s2, v5
	v_addc_co_u32_e64 v6, s[0:1], v2, v6, s[0:1]
	global_load_dwordx2 v[5:6], v[5:6], off
	v_or_b32_e32 v2, 0x100, v0
.LBB72_5:
	s_or_b64 exec, exec, s[6:7]
	v_cmp_gt_i32_e64 s[0:1], s12, v2
	s_and_saveexec_b64 s[6:7], s[0:1]
	s_cbranch_execz .LBB72_7
; %bb.6:
	v_add_u32_e32 v3, s4, v2
	v_mov_b32_e32 v4, 0
	v_lshlrev_b64 v[3:4], 3, v[3:4]
	v_mov_b32_e32 v7, s3
	v_add_co_u32_e64 v3, s[0:1], s2, v3
	v_addc_co_u32_e64 v4, s[0:1], v7, v4, s[0:1]
	global_load_dwordx2 v[3:4], v[3:4], off
	v_add_u32_e32 v2, 0x100, v2
.LBB72_7:
	s_or_b64 exec, exec, s[6:7]
	v_mov_b32_e32 v7, 0
	v_mov_b32_e32 v11, 0
	;; [unrolled: 1-line block ×4, first 2 shown]
	v_cmp_gt_i32_e64 s[0:1], s12, v2
	s_and_saveexec_b64 s[6:7], s[0:1]
	s_cbranch_execz .LBB72_9
; %bb.8:
	v_add_u32_e32 v9, s4, v2
	v_mov_b32_e32 v10, 0
	v_lshlrev_b64 v[9:10], 3, v[9:10]
	v_mov_b32_e32 v11, s3
	v_add_co_u32_e64 v9, s[0:1], s2, v9
	v_addc_co_u32_e64 v10, s[0:1], v11, v10, s[0:1]
	global_load_dwordx2 v[11:12], v[9:10], off
	v_add_u32_e32 v2, 0x100, v2
.LBB72_9:
	s_or_b64 exec, exec, s[6:7]
	v_cmp_gt_i32_e64 s[0:1], s12, v2
	s_and_saveexec_b64 s[6:7], s[0:1]
	s_cbranch_execz .LBB72_11
; %bb.10:
	v_add_u32_e32 v7, s4, v2
	v_mov_b32_e32 v8, 0
	v_lshlrev_b64 v[7:8], 3, v[7:8]
	v_mov_b32_e32 v2, s3
	v_add_co_u32_e64 v7, s[0:1], s2, v7
	v_addc_co_u32_e64 v8, s[0:1], v2, v8, s[0:1]
	global_load_dwordx2 v[7:8], v[7:8], off
.LBB72_11:
	s_or_b64 exec, exec, s[6:7]
	s_waitcnt vmcnt(0)
	v_cmp_gt_u64_e64 s[0:1], 64, v[5:6]
	v_lshlrev_b64 v[5:6], v5, s[8:9]
	s_and_b64 s[0:1], vcc, s[0:1]
	v_or_b32_e32 v15, 0x100, v0
	v_cmp_gt_u64_e64 s[2:3], 64, v[3:4]
	v_cndmask_b32_e64 v14, 0, v6, s[0:1]
	v_cndmask_b32_e64 v13, 0, v5, s[0:1]
	v_cmp_gt_i32_e64 s[0:1], s12, v15
	v_lshlrev_b64 v[2:3], v3, s[8:9]
	s_and_b64 s[0:1], s[0:1], s[2:3]
	v_cndmask_b32_e64 v9, 0, v2, s[0:1]
	v_or_b32_e32 v2, 0x200, v0
	v_cmp_gt_u64_e64 s[2:3], 64, v[11:12]
	v_cndmask_b32_e64 v10, 0, v3, s[0:1]
	v_cmp_gt_i32_e64 s[0:1], s12, v2
	v_lshlrev_b64 v[2:3], v11, s[8:9]
	s_and_b64 s[0:1], s[0:1], s[2:3]
	v_cndmask_b32_e64 v5, 0, v2, s[0:1]
	v_or_b32_e32 v2, 0x300, v0
	v_cmp_gt_u64_e64 s[2:3], 64, v[7:8]
	v_cndmask_b32_e64 v6, 0, v3, s[0:1]
	v_cmp_gt_i32_e64 s[0:1], s12, v2
	v_lshlrev_b64 v[2:3], v7, s[8:9]
	s_and_b64 s[0:1], s[0:1], s[2:3]
	v_cndmask_b32_e64 v4, 0, v3, s[0:1]
	v_cndmask_b32_e64 v3, 0, v2, s[0:1]
	s_and_saveexec_b64 s[0:1], vcc
	s_cbranch_execnz .LBB72_17
; %bb.12:
	s_or_b64 exec, exec, s[0:1]
	v_cmp_gt_i32_e32 vcc, s12, v0
	s_and_saveexec_b64 s[0:1], vcc
	s_cbranch_execnz .LBB72_18
.LBB72_13:
	s_or_b64 exec, exec, s[0:1]
	v_cmp_gt_i32_e32 vcc, s12, v0
	s_and_saveexec_b64 s[0:1], vcc
	s_cbranch_execnz .LBB72_19
.LBB72_14:
	s_or_b64 exec, exec, s[0:1]
	v_cmp_gt_i32_e32 vcc, s12, v0
	s_and_saveexec_b64 s[0:1], vcc
	s_cbranch_execz .LBB72_16
.LBB72_15:
	v_add_u32_e32 v0, s4, v0
	v_mov_b32_e32 v1, 0
	v_lshlrev_b64 v[0:1], 3, v[0:1]
	v_mov_b32_e32 v2, s11
	v_add_co_u32_e32 v0, vcc, s10, v0
	v_addc_co_u32_e32 v1, vcc, v2, v1, vcc
	global_store_dwordx2 v[0:1], v[3:4], off
.LBB72_16:
	s_endpgm
.LBB72_17:
	v_mov_b32_e32 v2, 0
	v_lshlrev_b64 v[0:1], 3, v[1:2]
	v_mov_b32_e32 v2, s11
	v_add_co_u32_e32 v0, vcc, s10, v0
	v_addc_co_u32_e32 v1, vcc, v2, v1, vcc
	global_store_dwordx2 v[0:1], v[13:14], off
	v_mov_b32_e32 v0, v15
	s_or_b64 exec, exec, s[0:1]
	v_cmp_gt_i32_e32 vcc, s12, v0
	s_and_saveexec_b64 s[0:1], vcc
	s_cbranch_execz .LBB72_13
.LBB72_18:
	v_add_u32_e32 v1, s4, v0
	v_mov_b32_e32 v2, 0
	v_lshlrev_b64 v[1:2], 3, v[1:2]
	v_mov_b32_e32 v7, s11
	v_add_co_u32_e32 v1, vcc, s10, v1
	v_addc_co_u32_e32 v2, vcc, v7, v2, vcc
	v_add_u32_e32 v0, 0x100, v0
	global_store_dwordx2 v[1:2], v[9:10], off
	s_or_b64 exec, exec, s[0:1]
	v_cmp_gt_i32_e32 vcc, s12, v0
	s_and_saveexec_b64 s[0:1], vcc
	s_cbranch_execz .LBB72_14
.LBB72_19:
	v_add_u32_e32 v1, s4, v0
	v_mov_b32_e32 v2, 0
	v_lshlrev_b64 v[1:2], 3, v[1:2]
	v_mov_b32_e32 v7, s11
	v_add_co_u32_e32 v1, vcc, s10, v1
	v_addc_co_u32_e32 v2, vcc, v7, v2, vcc
	v_add_u32_e32 v0, 0x100, v0
	global_store_dwordx2 v[1:2], v[5:6], off
	s_or_b64 exec, exec, s[0:1]
	v_cmp_gt_i32_e32 vcc, s12, v0
	s_and_saveexec_b64 s[0:1], vcc
	s_cbranch_execnz .LBB72_15
	s_branch .LBB72_16
	.section	.rodata,"a",@progbits
	.p2align	6, 0x0
	.amdhsa_kernel _ZN2at6native29vectorized_elementwise_kernelILi16ENS0_13AUnaryFunctorIlllZZZNS0_18lshift_kernel_cudaERNS_18TensorIteratorBaseEENKUlvE_clEvENKUlvE2_clEvEUlllE_EESt5arrayIPcLm2EEEEviT0_T1_
		.amdhsa_group_segment_fixed_size 0
		.amdhsa_private_segment_fixed_size 0
		.amdhsa_kernarg_size 40
		.amdhsa_user_sgpr_count 6
		.amdhsa_user_sgpr_private_segment_buffer 1
		.amdhsa_user_sgpr_dispatch_ptr 0
		.amdhsa_user_sgpr_queue_ptr 0
		.amdhsa_user_sgpr_kernarg_segment_ptr 1
		.amdhsa_user_sgpr_dispatch_id 0
		.amdhsa_user_sgpr_flat_scratch_init 0
		.amdhsa_user_sgpr_private_segment_size 0
		.amdhsa_uses_dynamic_stack 0
		.amdhsa_system_sgpr_private_segment_wavefront_offset 0
		.amdhsa_system_sgpr_workgroup_id_x 1
		.amdhsa_system_sgpr_workgroup_id_y 0
		.amdhsa_system_sgpr_workgroup_id_z 0
		.amdhsa_system_sgpr_workgroup_info 0
		.amdhsa_system_vgpr_workitem_id 0
		.amdhsa_next_free_vgpr 16
		.amdhsa_next_free_sgpr 13
		.amdhsa_reserve_vcc 1
		.amdhsa_reserve_flat_scratch 0
		.amdhsa_float_round_mode_32 0
		.amdhsa_float_round_mode_16_64 0
		.amdhsa_float_denorm_mode_32 3
		.amdhsa_float_denorm_mode_16_64 3
		.amdhsa_dx10_clamp 1
		.amdhsa_ieee_mode 1
		.amdhsa_fp16_overflow 0
		.amdhsa_exception_fp_ieee_invalid_op 0
		.amdhsa_exception_fp_denorm_src 0
		.amdhsa_exception_fp_ieee_div_zero 0
		.amdhsa_exception_fp_ieee_overflow 0
		.amdhsa_exception_fp_ieee_underflow 0
		.amdhsa_exception_fp_ieee_inexact 0
		.amdhsa_exception_int_div_zero 0
	.end_amdhsa_kernel
	.section	.text._ZN2at6native29vectorized_elementwise_kernelILi16ENS0_13AUnaryFunctorIlllZZZNS0_18lshift_kernel_cudaERNS_18TensorIteratorBaseEENKUlvE_clEvENKUlvE2_clEvEUlllE_EESt5arrayIPcLm2EEEEviT0_T1_,"axG",@progbits,_ZN2at6native29vectorized_elementwise_kernelILi16ENS0_13AUnaryFunctorIlllZZZNS0_18lshift_kernel_cudaERNS_18TensorIteratorBaseEENKUlvE_clEvENKUlvE2_clEvEUlllE_EESt5arrayIPcLm2EEEEviT0_T1_,comdat
.Lfunc_end72:
	.size	_ZN2at6native29vectorized_elementwise_kernelILi16ENS0_13AUnaryFunctorIlllZZZNS0_18lshift_kernel_cudaERNS_18TensorIteratorBaseEENKUlvE_clEvENKUlvE2_clEvEUlllE_EESt5arrayIPcLm2EEEEviT0_T1_, .Lfunc_end72-_ZN2at6native29vectorized_elementwise_kernelILi16ENS0_13AUnaryFunctorIlllZZZNS0_18lshift_kernel_cudaERNS_18TensorIteratorBaseEENKUlvE_clEvENKUlvE2_clEvEUlllE_EESt5arrayIPcLm2EEEEviT0_T1_
                                        ; -- End function
	.set _ZN2at6native29vectorized_elementwise_kernelILi16ENS0_13AUnaryFunctorIlllZZZNS0_18lshift_kernel_cudaERNS_18TensorIteratorBaseEENKUlvE_clEvENKUlvE2_clEvEUlllE_EESt5arrayIPcLm2EEEEviT0_T1_.num_vgpr, 16
	.set _ZN2at6native29vectorized_elementwise_kernelILi16ENS0_13AUnaryFunctorIlllZZZNS0_18lshift_kernel_cudaERNS_18TensorIteratorBaseEENKUlvE_clEvENKUlvE2_clEvEUlllE_EESt5arrayIPcLm2EEEEviT0_T1_.num_agpr, 0
	.set _ZN2at6native29vectorized_elementwise_kernelILi16ENS0_13AUnaryFunctorIlllZZZNS0_18lshift_kernel_cudaERNS_18TensorIteratorBaseEENKUlvE_clEvENKUlvE2_clEvEUlllE_EESt5arrayIPcLm2EEEEviT0_T1_.numbered_sgpr, 13
	.set _ZN2at6native29vectorized_elementwise_kernelILi16ENS0_13AUnaryFunctorIlllZZZNS0_18lshift_kernel_cudaERNS_18TensorIteratorBaseEENKUlvE_clEvENKUlvE2_clEvEUlllE_EESt5arrayIPcLm2EEEEviT0_T1_.num_named_barrier, 0
	.set _ZN2at6native29vectorized_elementwise_kernelILi16ENS0_13AUnaryFunctorIlllZZZNS0_18lshift_kernel_cudaERNS_18TensorIteratorBaseEENKUlvE_clEvENKUlvE2_clEvEUlllE_EESt5arrayIPcLm2EEEEviT0_T1_.private_seg_size, 0
	.set _ZN2at6native29vectorized_elementwise_kernelILi16ENS0_13AUnaryFunctorIlllZZZNS0_18lshift_kernel_cudaERNS_18TensorIteratorBaseEENKUlvE_clEvENKUlvE2_clEvEUlllE_EESt5arrayIPcLm2EEEEviT0_T1_.uses_vcc, 1
	.set _ZN2at6native29vectorized_elementwise_kernelILi16ENS0_13AUnaryFunctorIlllZZZNS0_18lshift_kernel_cudaERNS_18TensorIteratorBaseEENKUlvE_clEvENKUlvE2_clEvEUlllE_EESt5arrayIPcLm2EEEEviT0_T1_.uses_flat_scratch, 0
	.set _ZN2at6native29vectorized_elementwise_kernelILi16ENS0_13AUnaryFunctorIlllZZZNS0_18lshift_kernel_cudaERNS_18TensorIteratorBaseEENKUlvE_clEvENKUlvE2_clEvEUlllE_EESt5arrayIPcLm2EEEEviT0_T1_.has_dyn_sized_stack, 0
	.set _ZN2at6native29vectorized_elementwise_kernelILi16ENS0_13AUnaryFunctorIlllZZZNS0_18lshift_kernel_cudaERNS_18TensorIteratorBaseEENKUlvE_clEvENKUlvE2_clEvEUlllE_EESt5arrayIPcLm2EEEEviT0_T1_.has_recursion, 0
	.set _ZN2at6native29vectorized_elementwise_kernelILi16ENS0_13AUnaryFunctorIlllZZZNS0_18lshift_kernel_cudaERNS_18TensorIteratorBaseEENKUlvE_clEvENKUlvE2_clEvEUlllE_EESt5arrayIPcLm2EEEEviT0_T1_.has_indirect_call, 0
	.section	.AMDGPU.csdata,"",@progbits
; Kernel info:
; codeLenInByte = 988
; TotalNumSgprs: 17
; NumVgprs: 16
; ScratchSize: 0
; MemoryBound: 0
; FloatMode: 240
; IeeeMode: 1
; LDSByteSize: 0 bytes/workgroup (compile time only)
; SGPRBlocks: 2
; VGPRBlocks: 3
; NumSGPRsForWavesPerEU: 17
; NumVGPRsForWavesPerEU: 16
; Occupancy: 10
; WaveLimiterHint : 0
; COMPUTE_PGM_RSRC2:SCRATCH_EN: 0
; COMPUTE_PGM_RSRC2:USER_SGPR: 6
; COMPUTE_PGM_RSRC2:TRAP_HANDLER: 0
; COMPUTE_PGM_RSRC2:TGID_X_EN: 1
; COMPUTE_PGM_RSRC2:TGID_Y_EN: 0
; COMPUTE_PGM_RSRC2:TGID_Z_EN: 0
; COMPUTE_PGM_RSRC2:TIDIG_COMP_CNT: 0
	.section	.text._ZN2at6native29vectorized_elementwise_kernelILi8ENS0_13AUnaryFunctorIlllZZZNS0_18lshift_kernel_cudaERNS_18TensorIteratorBaseEENKUlvE_clEvENKUlvE2_clEvEUlllE_EESt5arrayIPcLm2EEEEviT0_T1_,"axG",@progbits,_ZN2at6native29vectorized_elementwise_kernelILi8ENS0_13AUnaryFunctorIlllZZZNS0_18lshift_kernel_cudaERNS_18TensorIteratorBaseEENKUlvE_clEvENKUlvE2_clEvEUlllE_EESt5arrayIPcLm2EEEEviT0_T1_,comdat
	.globl	_ZN2at6native29vectorized_elementwise_kernelILi8ENS0_13AUnaryFunctorIlllZZZNS0_18lshift_kernel_cudaERNS_18TensorIteratorBaseEENKUlvE_clEvENKUlvE2_clEvEUlllE_EESt5arrayIPcLm2EEEEviT0_T1_ ; -- Begin function _ZN2at6native29vectorized_elementwise_kernelILi8ENS0_13AUnaryFunctorIlllZZZNS0_18lshift_kernel_cudaERNS_18TensorIteratorBaseEENKUlvE_clEvENKUlvE2_clEvEUlllE_EESt5arrayIPcLm2EEEEviT0_T1_
	.p2align	8
	.type	_ZN2at6native29vectorized_elementwise_kernelILi8ENS0_13AUnaryFunctorIlllZZZNS0_18lshift_kernel_cudaERNS_18TensorIteratorBaseEENKUlvE_clEvENKUlvE2_clEvEUlllE_EESt5arrayIPcLm2EEEEviT0_T1_,@function
_ZN2at6native29vectorized_elementwise_kernelILi8ENS0_13AUnaryFunctorIlllZZZNS0_18lshift_kernel_cudaERNS_18TensorIteratorBaseEENKUlvE_clEvENKUlvE2_clEvEUlllE_EESt5arrayIPcLm2EEEEviT0_T1_: ; @_ZN2at6native29vectorized_elementwise_kernelILi8ENS0_13AUnaryFunctorIlllZZZNS0_18lshift_kernel_cudaERNS_18TensorIteratorBaseEENKUlvE_clEvENKUlvE2_clEvEUlllE_EESt5arrayIPcLm2EEEEviT0_T1_
; %bb.0:
	s_load_dword s0, s[4:5], 0x0
	s_load_dwordx4 s[8:11], s[4:5], 0x10
	s_load_dwordx2 s[2:3], s[4:5], 0x20
	s_lshl_b32 s4, s6, 10
	s_waitcnt lgkmcnt(0)
	s_sub_i32 s12, s0, s4
	s_cmpk_gt_i32 s12, 0x3ff
	s_mov_b64 s[0:1], -1
	s_cbranch_scc0 .LBB73_2
; %bb.1:
	s_ashr_i32 s5, s4, 31
	s_lshl_b64 s[0:1], s[4:5], 3
	s_add_u32 s6, s2, s0
	s_addc_u32 s7, s3, s1
	v_lshlrev_b32_e32 v15, 5, v0
	global_load_dwordx4 v[1:4], v15, s[6:7]
	global_load_dwordx4 v[5:8], v15, s[6:7] offset:16
	s_add_u32 s0, s10, s0
	s_addc_u32 s1, s11, s1
	s_waitcnt vmcnt(1)
	v_lshlrev_b64 v[9:10], v1, s[8:9]
	v_cmp_gt_u64_e32 vcc, 64, v[1:2]
	v_lshlrev_b64 v[11:12], v3, s[8:9]
	v_cndmask_b32_e32 v2, 0, v10, vcc
	v_cndmask_b32_e32 v1, 0, v9, vcc
	v_cmp_gt_u64_e32 vcc, 64, v[3:4]
	s_waitcnt vmcnt(0)
	v_lshlrev_b64 v[13:14], v5, s[8:9]
	v_cndmask_b32_e32 v4, 0, v12, vcc
	v_cndmask_b32_e32 v3, 0, v11, vcc
	v_cmp_gt_u64_e32 vcc, 64, v[5:6]
	v_lshlrev_b64 v[9:10], v7, s[8:9]
	v_cndmask_b32_e32 v6, 0, v14, vcc
	v_cndmask_b32_e32 v5, 0, v13, vcc
	v_cmp_gt_u64_e32 vcc, 64, v[7:8]
	v_cndmask_b32_e32 v8, 0, v10, vcc
	v_cndmask_b32_e32 v7, 0, v9, vcc
	global_store_dwordx4 v15, v[1:4], s[0:1]
	global_store_dwordx4 v15, v[5:8], s[0:1] offset:16
	s_mov_b64 s[0:1], 0
.LBB73_2:
	s_andn2_b64 vcc, exec, s[0:1]
	s_cbranch_vccnz .LBB73_16
; %bb.3:
	v_mov_b32_e32 v3, 0
	v_mov_b32_e32 v5, 0
	v_cmp_gt_i32_e32 vcc, s12, v0
	v_mov_b32_e32 v4, 0
	v_or_b32_e32 v1, s4, v0
	v_mov_b32_e32 v6, 0
	v_mov_b32_e32 v2, v0
	s_and_saveexec_b64 s[6:7], vcc
	s_cbranch_execz .LBB73_5
; %bb.4:
	v_mov_b32_e32 v2, 0
	v_lshlrev_b64 v[5:6], 3, v[1:2]
	v_mov_b32_e32 v2, s3
	v_add_co_u32_e64 v5, s[0:1], s2, v5
	v_addc_co_u32_e64 v6, s[0:1], v2, v6, s[0:1]
	global_load_dwordx2 v[5:6], v[5:6], off
	v_or_b32_e32 v2, 0x100, v0
.LBB73_5:
	s_or_b64 exec, exec, s[6:7]
	v_cmp_gt_i32_e64 s[0:1], s12, v2
	s_and_saveexec_b64 s[6:7], s[0:1]
	s_cbranch_execz .LBB73_7
; %bb.6:
	v_add_u32_e32 v3, s4, v2
	v_mov_b32_e32 v4, 0
	v_lshlrev_b64 v[3:4], 3, v[3:4]
	v_mov_b32_e32 v7, s3
	v_add_co_u32_e64 v3, s[0:1], s2, v3
	v_addc_co_u32_e64 v4, s[0:1], v7, v4, s[0:1]
	global_load_dwordx2 v[3:4], v[3:4], off
	v_add_u32_e32 v2, 0x100, v2
.LBB73_7:
	s_or_b64 exec, exec, s[6:7]
	v_mov_b32_e32 v7, 0
	v_mov_b32_e32 v11, 0
	;; [unrolled: 1-line block ×4, first 2 shown]
	v_cmp_gt_i32_e64 s[0:1], s12, v2
	s_and_saveexec_b64 s[6:7], s[0:1]
	s_cbranch_execz .LBB73_9
; %bb.8:
	v_add_u32_e32 v9, s4, v2
	v_mov_b32_e32 v10, 0
	v_lshlrev_b64 v[9:10], 3, v[9:10]
	v_mov_b32_e32 v11, s3
	v_add_co_u32_e64 v9, s[0:1], s2, v9
	v_addc_co_u32_e64 v10, s[0:1], v11, v10, s[0:1]
	global_load_dwordx2 v[11:12], v[9:10], off
	v_add_u32_e32 v2, 0x100, v2
.LBB73_9:
	s_or_b64 exec, exec, s[6:7]
	v_cmp_gt_i32_e64 s[0:1], s12, v2
	s_and_saveexec_b64 s[6:7], s[0:1]
	s_cbranch_execz .LBB73_11
; %bb.10:
	v_add_u32_e32 v7, s4, v2
	v_mov_b32_e32 v8, 0
	v_lshlrev_b64 v[7:8], 3, v[7:8]
	v_mov_b32_e32 v2, s3
	v_add_co_u32_e64 v7, s[0:1], s2, v7
	v_addc_co_u32_e64 v8, s[0:1], v2, v8, s[0:1]
	global_load_dwordx2 v[7:8], v[7:8], off
.LBB73_11:
	s_or_b64 exec, exec, s[6:7]
	s_waitcnt vmcnt(0)
	v_cmp_gt_u64_e64 s[0:1], 64, v[5:6]
	v_lshlrev_b64 v[5:6], v5, s[8:9]
	s_and_b64 s[0:1], vcc, s[0:1]
	v_or_b32_e32 v15, 0x100, v0
	v_cmp_gt_u64_e64 s[2:3], 64, v[3:4]
	v_cndmask_b32_e64 v14, 0, v6, s[0:1]
	v_cndmask_b32_e64 v13, 0, v5, s[0:1]
	v_cmp_gt_i32_e64 s[0:1], s12, v15
	v_lshlrev_b64 v[2:3], v3, s[8:9]
	s_and_b64 s[0:1], s[0:1], s[2:3]
	v_cndmask_b32_e64 v9, 0, v2, s[0:1]
	v_or_b32_e32 v2, 0x200, v0
	v_cmp_gt_u64_e64 s[2:3], 64, v[11:12]
	v_cndmask_b32_e64 v10, 0, v3, s[0:1]
	v_cmp_gt_i32_e64 s[0:1], s12, v2
	v_lshlrev_b64 v[2:3], v11, s[8:9]
	s_and_b64 s[0:1], s[0:1], s[2:3]
	v_cndmask_b32_e64 v5, 0, v2, s[0:1]
	v_or_b32_e32 v2, 0x300, v0
	v_cmp_gt_u64_e64 s[2:3], 64, v[7:8]
	v_cndmask_b32_e64 v6, 0, v3, s[0:1]
	v_cmp_gt_i32_e64 s[0:1], s12, v2
	v_lshlrev_b64 v[2:3], v7, s[8:9]
	s_and_b64 s[0:1], s[0:1], s[2:3]
	v_cndmask_b32_e64 v4, 0, v3, s[0:1]
	v_cndmask_b32_e64 v3, 0, v2, s[0:1]
	s_and_saveexec_b64 s[0:1], vcc
	s_cbranch_execnz .LBB73_17
; %bb.12:
	s_or_b64 exec, exec, s[0:1]
	v_cmp_gt_i32_e32 vcc, s12, v0
	s_and_saveexec_b64 s[0:1], vcc
	s_cbranch_execnz .LBB73_18
.LBB73_13:
	s_or_b64 exec, exec, s[0:1]
	v_cmp_gt_i32_e32 vcc, s12, v0
	s_and_saveexec_b64 s[0:1], vcc
	s_cbranch_execnz .LBB73_19
.LBB73_14:
	s_or_b64 exec, exec, s[0:1]
	v_cmp_gt_i32_e32 vcc, s12, v0
	s_and_saveexec_b64 s[0:1], vcc
	s_cbranch_execz .LBB73_16
.LBB73_15:
	v_add_u32_e32 v0, s4, v0
	v_mov_b32_e32 v1, 0
	v_lshlrev_b64 v[0:1], 3, v[0:1]
	v_mov_b32_e32 v2, s11
	v_add_co_u32_e32 v0, vcc, s10, v0
	v_addc_co_u32_e32 v1, vcc, v2, v1, vcc
	global_store_dwordx2 v[0:1], v[3:4], off
.LBB73_16:
	s_endpgm
.LBB73_17:
	v_mov_b32_e32 v2, 0
	v_lshlrev_b64 v[0:1], 3, v[1:2]
	v_mov_b32_e32 v2, s11
	v_add_co_u32_e32 v0, vcc, s10, v0
	v_addc_co_u32_e32 v1, vcc, v2, v1, vcc
	global_store_dwordx2 v[0:1], v[13:14], off
	v_mov_b32_e32 v0, v15
	s_or_b64 exec, exec, s[0:1]
	v_cmp_gt_i32_e32 vcc, s12, v0
	s_and_saveexec_b64 s[0:1], vcc
	s_cbranch_execz .LBB73_13
.LBB73_18:
	v_add_u32_e32 v1, s4, v0
	v_mov_b32_e32 v2, 0
	v_lshlrev_b64 v[1:2], 3, v[1:2]
	v_mov_b32_e32 v7, s11
	v_add_co_u32_e32 v1, vcc, s10, v1
	v_addc_co_u32_e32 v2, vcc, v7, v2, vcc
	v_add_u32_e32 v0, 0x100, v0
	global_store_dwordx2 v[1:2], v[9:10], off
	s_or_b64 exec, exec, s[0:1]
	v_cmp_gt_i32_e32 vcc, s12, v0
	s_and_saveexec_b64 s[0:1], vcc
	s_cbranch_execz .LBB73_14
.LBB73_19:
	v_add_u32_e32 v1, s4, v0
	v_mov_b32_e32 v2, 0
	v_lshlrev_b64 v[1:2], 3, v[1:2]
	v_mov_b32_e32 v7, s11
	v_add_co_u32_e32 v1, vcc, s10, v1
	v_addc_co_u32_e32 v2, vcc, v7, v2, vcc
	v_add_u32_e32 v0, 0x100, v0
	global_store_dwordx2 v[1:2], v[5:6], off
	s_or_b64 exec, exec, s[0:1]
	v_cmp_gt_i32_e32 vcc, s12, v0
	s_and_saveexec_b64 s[0:1], vcc
	s_cbranch_execnz .LBB73_15
	s_branch .LBB73_16
	.section	.rodata,"a",@progbits
	.p2align	6, 0x0
	.amdhsa_kernel _ZN2at6native29vectorized_elementwise_kernelILi8ENS0_13AUnaryFunctorIlllZZZNS0_18lshift_kernel_cudaERNS_18TensorIteratorBaseEENKUlvE_clEvENKUlvE2_clEvEUlllE_EESt5arrayIPcLm2EEEEviT0_T1_
		.amdhsa_group_segment_fixed_size 0
		.amdhsa_private_segment_fixed_size 0
		.amdhsa_kernarg_size 40
		.amdhsa_user_sgpr_count 6
		.amdhsa_user_sgpr_private_segment_buffer 1
		.amdhsa_user_sgpr_dispatch_ptr 0
		.amdhsa_user_sgpr_queue_ptr 0
		.amdhsa_user_sgpr_kernarg_segment_ptr 1
		.amdhsa_user_sgpr_dispatch_id 0
		.amdhsa_user_sgpr_flat_scratch_init 0
		.amdhsa_user_sgpr_private_segment_size 0
		.amdhsa_uses_dynamic_stack 0
		.amdhsa_system_sgpr_private_segment_wavefront_offset 0
		.amdhsa_system_sgpr_workgroup_id_x 1
		.amdhsa_system_sgpr_workgroup_id_y 0
		.amdhsa_system_sgpr_workgroup_id_z 0
		.amdhsa_system_sgpr_workgroup_info 0
		.amdhsa_system_vgpr_workitem_id 0
		.amdhsa_next_free_vgpr 16
		.amdhsa_next_free_sgpr 13
		.amdhsa_reserve_vcc 1
		.amdhsa_reserve_flat_scratch 0
		.amdhsa_float_round_mode_32 0
		.amdhsa_float_round_mode_16_64 0
		.amdhsa_float_denorm_mode_32 3
		.amdhsa_float_denorm_mode_16_64 3
		.amdhsa_dx10_clamp 1
		.amdhsa_ieee_mode 1
		.amdhsa_fp16_overflow 0
		.amdhsa_exception_fp_ieee_invalid_op 0
		.amdhsa_exception_fp_denorm_src 0
		.amdhsa_exception_fp_ieee_div_zero 0
		.amdhsa_exception_fp_ieee_overflow 0
		.amdhsa_exception_fp_ieee_underflow 0
		.amdhsa_exception_fp_ieee_inexact 0
		.amdhsa_exception_int_div_zero 0
	.end_amdhsa_kernel
	.section	.text._ZN2at6native29vectorized_elementwise_kernelILi8ENS0_13AUnaryFunctorIlllZZZNS0_18lshift_kernel_cudaERNS_18TensorIteratorBaseEENKUlvE_clEvENKUlvE2_clEvEUlllE_EESt5arrayIPcLm2EEEEviT0_T1_,"axG",@progbits,_ZN2at6native29vectorized_elementwise_kernelILi8ENS0_13AUnaryFunctorIlllZZZNS0_18lshift_kernel_cudaERNS_18TensorIteratorBaseEENKUlvE_clEvENKUlvE2_clEvEUlllE_EESt5arrayIPcLm2EEEEviT0_T1_,comdat
.Lfunc_end73:
	.size	_ZN2at6native29vectorized_elementwise_kernelILi8ENS0_13AUnaryFunctorIlllZZZNS0_18lshift_kernel_cudaERNS_18TensorIteratorBaseEENKUlvE_clEvENKUlvE2_clEvEUlllE_EESt5arrayIPcLm2EEEEviT0_T1_, .Lfunc_end73-_ZN2at6native29vectorized_elementwise_kernelILi8ENS0_13AUnaryFunctorIlllZZZNS0_18lshift_kernel_cudaERNS_18TensorIteratorBaseEENKUlvE_clEvENKUlvE2_clEvEUlllE_EESt5arrayIPcLm2EEEEviT0_T1_
                                        ; -- End function
	.set _ZN2at6native29vectorized_elementwise_kernelILi8ENS0_13AUnaryFunctorIlllZZZNS0_18lshift_kernel_cudaERNS_18TensorIteratorBaseEENKUlvE_clEvENKUlvE2_clEvEUlllE_EESt5arrayIPcLm2EEEEviT0_T1_.num_vgpr, 16
	.set _ZN2at6native29vectorized_elementwise_kernelILi8ENS0_13AUnaryFunctorIlllZZZNS0_18lshift_kernel_cudaERNS_18TensorIteratorBaseEENKUlvE_clEvENKUlvE2_clEvEUlllE_EESt5arrayIPcLm2EEEEviT0_T1_.num_agpr, 0
	.set _ZN2at6native29vectorized_elementwise_kernelILi8ENS0_13AUnaryFunctorIlllZZZNS0_18lshift_kernel_cudaERNS_18TensorIteratorBaseEENKUlvE_clEvENKUlvE2_clEvEUlllE_EESt5arrayIPcLm2EEEEviT0_T1_.numbered_sgpr, 13
	.set _ZN2at6native29vectorized_elementwise_kernelILi8ENS0_13AUnaryFunctorIlllZZZNS0_18lshift_kernel_cudaERNS_18TensorIteratorBaseEENKUlvE_clEvENKUlvE2_clEvEUlllE_EESt5arrayIPcLm2EEEEviT0_T1_.num_named_barrier, 0
	.set _ZN2at6native29vectorized_elementwise_kernelILi8ENS0_13AUnaryFunctorIlllZZZNS0_18lshift_kernel_cudaERNS_18TensorIteratorBaseEENKUlvE_clEvENKUlvE2_clEvEUlllE_EESt5arrayIPcLm2EEEEviT0_T1_.private_seg_size, 0
	.set _ZN2at6native29vectorized_elementwise_kernelILi8ENS0_13AUnaryFunctorIlllZZZNS0_18lshift_kernel_cudaERNS_18TensorIteratorBaseEENKUlvE_clEvENKUlvE2_clEvEUlllE_EESt5arrayIPcLm2EEEEviT0_T1_.uses_vcc, 1
	.set _ZN2at6native29vectorized_elementwise_kernelILi8ENS0_13AUnaryFunctorIlllZZZNS0_18lshift_kernel_cudaERNS_18TensorIteratorBaseEENKUlvE_clEvENKUlvE2_clEvEUlllE_EESt5arrayIPcLm2EEEEviT0_T1_.uses_flat_scratch, 0
	.set _ZN2at6native29vectorized_elementwise_kernelILi8ENS0_13AUnaryFunctorIlllZZZNS0_18lshift_kernel_cudaERNS_18TensorIteratorBaseEENKUlvE_clEvENKUlvE2_clEvEUlllE_EESt5arrayIPcLm2EEEEviT0_T1_.has_dyn_sized_stack, 0
	.set _ZN2at6native29vectorized_elementwise_kernelILi8ENS0_13AUnaryFunctorIlllZZZNS0_18lshift_kernel_cudaERNS_18TensorIteratorBaseEENKUlvE_clEvENKUlvE2_clEvEUlllE_EESt5arrayIPcLm2EEEEviT0_T1_.has_recursion, 0
	.set _ZN2at6native29vectorized_elementwise_kernelILi8ENS0_13AUnaryFunctorIlllZZZNS0_18lshift_kernel_cudaERNS_18TensorIteratorBaseEENKUlvE_clEvENKUlvE2_clEvEUlllE_EESt5arrayIPcLm2EEEEviT0_T1_.has_indirect_call, 0
	.section	.AMDGPU.csdata,"",@progbits
; Kernel info:
; codeLenInByte = 988
; TotalNumSgprs: 17
; NumVgprs: 16
; ScratchSize: 0
; MemoryBound: 0
; FloatMode: 240
; IeeeMode: 1
; LDSByteSize: 0 bytes/workgroup (compile time only)
; SGPRBlocks: 2
; VGPRBlocks: 3
; NumSGPRsForWavesPerEU: 17
; NumVGPRsForWavesPerEU: 16
; Occupancy: 10
; WaveLimiterHint : 0
; COMPUTE_PGM_RSRC2:SCRATCH_EN: 0
; COMPUTE_PGM_RSRC2:USER_SGPR: 6
; COMPUTE_PGM_RSRC2:TRAP_HANDLER: 0
; COMPUTE_PGM_RSRC2:TGID_X_EN: 1
; COMPUTE_PGM_RSRC2:TGID_Y_EN: 0
; COMPUTE_PGM_RSRC2:TGID_Z_EN: 0
; COMPUTE_PGM_RSRC2:TIDIG_COMP_CNT: 0
	.section	.text._ZN2at6native29vectorized_elementwise_kernelILi4ENS0_13AUnaryFunctorIlllZZZNS0_18lshift_kernel_cudaERNS_18TensorIteratorBaseEENKUlvE_clEvENKUlvE2_clEvEUlllE_EESt5arrayIPcLm2EEEEviT0_T1_,"axG",@progbits,_ZN2at6native29vectorized_elementwise_kernelILi4ENS0_13AUnaryFunctorIlllZZZNS0_18lshift_kernel_cudaERNS_18TensorIteratorBaseEENKUlvE_clEvENKUlvE2_clEvEUlllE_EESt5arrayIPcLm2EEEEviT0_T1_,comdat
	.globl	_ZN2at6native29vectorized_elementwise_kernelILi4ENS0_13AUnaryFunctorIlllZZZNS0_18lshift_kernel_cudaERNS_18TensorIteratorBaseEENKUlvE_clEvENKUlvE2_clEvEUlllE_EESt5arrayIPcLm2EEEEviT0_T1_ ; -- Begin function _ZN2at6native29vectorized_elementwise_kernelILi4ENS0_13AUnaryFunctorIlllZZZNS0_18lshift_kernel_cudaERNS_18TensorIteratorBaseEENKUlvE_clEvENKUlvE2_clEvEUlllE_EESt5arrayIPcLm2EEEEviT0_T1_
	.p2align	8
	.type	_ZN2at6native29vectorized_elementwise_kernelILi4ENS0_13AUnaryFunctorIlllZZZNS0_18lshift_kernel_cudaERNS_18TensorIteratorBaseEENKUlvE_clEvENKUlvE2_clEvEUlllE_EESt5arrayIPcLm2EEEEviT0_T1_,@function
_ZN2at6native29vectorized_elementwise_kernelILi4ENS0_13AUnaryFunctorIlllZZZNS0_18lshift_kernel_cudaERNS_18TensorIteratorBaseEENKUlvE_clEvENKUlvE2_clEvEUlllE_EESt5arrayIPcLm2EEEEviT0_T1_: ; @_ZN2at6native29vectorized_elementwise_kernelILi4ENS0_13AUnaryFunctorIlllZZZNS0_18lshift_kernel_cudaERNS_18TensorIteratorBaseEENKUlvE_clEvENKUlvE2_clEvEUlllE_EESt5arrayIPcLm2EEEEviT0_T1_
; %bb.0:
	s_load_dword s0, s[4:5], 0x0
	s_load_dwordx4 s[8:11], s[4:5], 0x10
	s_load_dwordx2 s[2:3], s[4:5], 0x20
	s_lshl_b32 s4, s6, 10
	s_waitcnt lgkmcnt(0)
	s_sub_i32 s12, s0, s4
	s_cmpk_gt_i32 s12, 0x3ff
	s_mov_b64 s[0:1], -1
	s_cbranch_scc0 .LBB74_2
; %bb.1:
	s_ashr_i32 s5, s4, 31
	s_lshl_b64 s[0:1], s[4:5], 3
	s_add_u32 s6, s2, s0
	s_addc_u32 s7, s3, s1
	v_lshlrev_b32_e32 v15, 5, v0
	global_load_dwordx4 v[1:4], v15, s[6:7]
	global_load_dwordx4 v[5:8], v15, s[6:7] offset:16
	s_add_u32 s0, s10, s0
	s_addc_u32 s1, s11, s1
	s_waitcnt vmcnt(1)
	v_lshlrev_b64 v[9:10], v1, s[8:9]
	v_cmp_gt_u64_e32 vcc, 64, v[1:2]
	v_lshlrev_b64 v[11:12], v3, s[8:9]
	v_cndmask_b32_e32 v2, 0, v10, vcc
	v_cndmask_b32_e32 v1, 0, v9, vcc
	v_cmp_gt_u64_e32 vcc, 64, v[3:4]
	s_waitcnt vmcnt(0)
	v_lshlrev_b64 v[13:14], v5, s[8:9]
	v_cndmask_b32_e32 v4, 0, v12, vcc
	v_cndmask_b32_e32 v3, 0, v11, vcc
	v_cmp_gt_u64_e32 vcc, 64, v[5:6]
	v_lshlrev_b64 v[9:10], v7, s[8:9]
	v_cndmask_b32_e32 v6, 0, v14, vcc
	v_cndmask_b32_e32 v5, 0, v13, vcc
	v_cmp_gt_u64_e32 vcc, 64, v[7:8]
	v_cndmask_b32_e32 v8, 0, v10, vcc
	v_cndmask_b32_e32 v7, 0, v9, vcc
	global_store_dwordx4 v15, v[1:4], s[0:1]
	global_store_dwordx4 v15, v[5:8], s[0:1] offset:16
	s_mov_b64 s[0:1], 0
.LBB74_2:
	s_andn2_b64 vcc, exec, s[0:1]
	s_cbranch_vccnz .LBB74_16
; %bb.3:
	v_mov_b32_e32 v3, 0
	v_mov_b32_e32 v5, 0
	v_cmp_gt_i32_e32 vcc, s12, v0
	v_mov_b32_e32 v4, 0
	v_or_b32_e32 v1, s4, v0
	v_mov_b32_e32 v6, 0
	v_mov_b32_e32 v2, v0
	s_and_saveexec_b64 s[6:7], vcc
	s_cbranch_execz .LBB74_5
; %bb.4:
	v_mov_b32_e32 v2, 0
	v_lshlrev_b64 v[5:6], 3, v[1:2]
	v_mov_b32_e32 v2, s3
	v_add_co_u32_e64 v5, s[0:1], s2, v5
	v_addc_co_u32_e64 v6, s[0:1], v2, v6, s[0:1]
	global_load_dwordx2 v[5:6], v[5:6], off
	v_or_b32_e32 v2, 0x100, v0
.LBB74_5:
	s_or_b64 exec, exec, s[6:7]
	v_cmp_gt_i32_e64 s[0:1], s12, v2
	s_and_saveexec_b64 s[6:7], s[0:1]
	s_cbranch_execz .LBB74_7
; %bb.6:
	v_add_u32_e32 v3, s4, v2
	v_mov_b32_e32 v4, 0
	v_lshlrev_b64 v[3:4], 3, v[3:4]
	v_mov_b32_e32 v7, s3
	v_add_co_u32_e64 v3, s[0:1], s2, v3
	v_addc_co_u32_e64 v4, s[0:1], v7, v4, s[0:1]
	global_load_dwordx2 v[3:4], v[3:4], off
	v_add_u32_e32 v2, 0x100, v2
.LBB74_7:
	s_or_b64 exec, exec, s[6:7]
	v_mov_b32_e32 v7, 0
	v_mov_b32_e32 v11, 0
	;; [unrolled: 1-line block ×4, first 2 shown]
	v_cmp_gt_i32_e64 s[0:1], s12, v2
	s_and_saveexec_b64 s[6:7], s[0:1]
	s_cbranch_execz .LBB74_9
; %bb.8:
	v_add_u32_e32 v9, s4, v2
	v_mov_b32_e32 v10, 0
	v_lshlrev_b64 v[9:10], 3, v[9:10]
	v_mov_b32_e32 v11, s3
	v_add_co_u32_e64 v9, s[0:1], s2, v9
	v_addc_co_u32_e64 v10, s[0:1], v11, v10, s[0:1]
	global_load_dwordx2 v[11:12], v[9:10], off
	v_add_u32_e32 v2, 0x100, v2
.LBB74_9:
	s_or_b64 exec, exec, s[6:7]
	v_cmp_gt_i32_e64 s[0:1], s12, v2
	s_and_saveexec_b64 s[6:7], s[0:1]
	s_cbranch_execz .LBB74_11
; %bb.10:
	v_add_u32_e32 v7, s4, v2
	v_mov_b32_e32 v8, 0
	v_lshlrev_b64 v[7:8], 3, v[7:8]
	v_mov_b32_e32 v2, s3
	v_add_co_u32_e64 v7, s[0:1], s2, v7
	v_addc_co_u32_e64 v8, s[0:1], v2, v8, s[0:1]
	global_load_dwordx2 v[7:8], v[7:8], off
.LBB74_11:
	s_or_b64 exec, exec, s[6:7]
	s_waitcnt vmcnt(0)
	v_cmp_gt_u64_e64 s[0:1], 64, v[5:6]
	v_lshlrev_b64 v[5:6], v5, s[8:9]
	s_and_b64 s[0:1], vcc, s[0:1]
	v_or_b32_e32 v15, 0x100, v0
	v_cmp_gt_u64_e64 s[2:3], 64, v[3:4]
	v_cndmask_b32_e64 v14, 0, v6, s[0:1]
	v_cndmask_b32_e64 v13, 0, v5, s[0:1]
	v_cmp_gt_i32_e64 s[0:1], s12, v15
	v_lshlrev_b64 v[2:3], v3, s[8:9]
	s_and_b64 s[0:1], s[0:1], s[2:3]
	v_cndmask_b32_e64 v9, 0, v2, s[0:1]
	v_or_b32_e32 v2, 0x200, v0
	v_cmp_gt_u64_e64 s[2:3], 64, v[11:12]
	v_cndmask_b32_e64 v10, 0, v3, s[0:1]
	v_cmp_gt_i32_e64 s[0:1], s12, v2
	v_lshlrev_b64 v[2:3], v11, s[8:9]
	s_and_b64 s[0:1], s[0:1], s[2:3]
	v_cndmask_b32_e64 v5, 0, v2, s[0:1]
	v_or_b32_e32 v2, 0x300, v0
	v_cmp_gt_u64_e64 s[2:3], 64, v[7:8]
	v_cndmask_b32_e64 v6, 0, v3, s[0:1]
	v_cmp_gt_i32_e64 s[0:1], s12, v2
	v_lshlrev_b64 v[2:3], v7, s[8:9]
	s_and_b64 s[0:1], s[0:1], s[2:3]
	v_cndmask_b32_e64 v4, 0, v3, s[0:1]
	v_cndmask_b32_e64 v3, 0, v2, s[0:1]
	s_and_saveexec_b64 s[0:1], vcc
	s_cbranch_execnz .LBB74_17
; %bb.12:
	s_or_b64 exec, exec, s[0:1]
	v_cmp_gt_i32_e32 vcc, s12, v0
	s_and_saveexec_b64 s[0:1], vcc
	s_cbranch_execnz .LBB74_18
.LBB74_13:
	s_or_b64 exec, exec, s[0:1]
	v_cmp_gt_i32_e32 vcc, s12, v0
	s_and_saveexec_b64 s[0:1], vcc
	s_cbranch_execnz .LBB74_19
.LBB74_14:
	s_or_b64 exec, exec, s[0:1]
	v_cmp_gt_i32_e32 vcc, s12, v0
	s_and_saveexec_b64 s[0:1], vcc
	s_cbranch_execz .LBB74_16
.LBB74_15:
	v_add_u32_e32 v0, s4, v0
	v_mov_b32_e32 v1, 0
	v_lshlrev_b64 v[0:1], 3, v[0:1]
	v_mov_b32_e32 v2, s11
	v_add_co_u32_e32 v0, vcc, s10, v0
	v_addc_co_u32_e32 v1, vcc, v2, v1, vcc
	global_store_dwordx2 v[0:1], v[3:4], off
.LBB74_16:
	s_endpgm
.LBB74_17:
	v_mov_b32_e32 v2, 0
	v_lshlrev_b64 v[0:1], 3, v[1:2]
	v_mov_b32_e32 v2, s11
	v_add_co_u32_e32 v0, vcc, s10, v0
	v_addc_co_u32_e32 v1, vcc, v2, v1, vcc
	global_store_dwordx2 v[0:1], v[13:14], off
	v_mov_b32_e32 v0, v15
	s_or_b64 exec, exec, s[0:1]
	v_cmp_gt_i32_e32 vcc, s12, v0
	s_and_saveexec_b64 s[0:1], vcc
	s_cbranch_execz .LBB74_13
.LBB74_18:
	v_add_u32_e32 v1, s4, v0
	v_mov_b32_e32 v2, 0
	v_lshlrev_b64 v[1:2], 3, v[1:2]
	v_mov_b32_e32 v7, s11
	v_add_co_u32_e32 v1, vcc, s10, v1
	v_addc_co_u32_e32 v2, vcc, v7, v2, vcc
	v_add_u32_e32 v0, 0x100, v0
	global_store_dwordx2 v[1:2], v[9:10], off
	s_or_b64 exec, exec, s[0:1]
	v_cmp_gt_i32_e32 vcc, s12, v0
	s_and_saveexec_b64 s[0:1], vcc
	s_cbranch_execz .LBB74_14
.LBB74_19:
	v_add_u32_e32 v1, s4, v0
	v_mov_b32_e32 v2, 0
	v_lshlrev_b64 v[1:2], 3, v[1:2]
	v_mov_b32_e32 v7, s11
	v_add_co_u32_e32 v1, vcc, s10, v1
	v_addc_co_u32_e32 v2, vcc, v7, v2, vcc
	v_add_u32_e32 v0, 0x100, v0
	global_store_dwordx2 v[1:2], v[5:6], off
	s_or_b64 exec, exec, s[0:1]
	v_cmp_gt_i32_e32 vcc, s12, v0
	s_and_saveexec_b64 s[0:1], vcc
	s_cbranch_execnz .LBB74_15
	s_branch .LBB74_16
	.section	.rodata,"a",@progbits
	.p2align	6, 0x0
	.amdhsa_kernel _ZN2at6native29vectorized_elementwise_kernelILi4ENS0_13AUnaryFunctorIlllZZZNS0_18lshift_kernel_cudaERNS_18TensorIteratorBaseEENKUlvE_clEvENKUlvE2_clEvEUlllE_EESt5arrayIPcLm2EEEEviT0_T1_
		.amdhsa_group_segment_fixed_size 0
		.amdhsa_private_segment_fixed_size 0
		.amdhsa_kernarg_size 40
		.amdhsa_user_sgpr_count 6
		.amdhsa_user_sgpr_private_segment_buffer 1
		.amdhsa_user_sgpr_dispatch_ptr 0
		.amdhsa_user_sgpr_queue_ptr 0
		.amdhsa_user_sgpr_kernarg_segment_ptr 1
		.amdhsa_user_sgpr_dispatch_id 0
		.amdhsa_user_sgpr_flat_scratch_init 0
		.amdhsa_user_sgpr_private_segment_size 0
		.amdhsa_uses_dynamic_stack 0
		.amdhsa_system_sgpr_private_segment_wavefront_offset 0
		.amdhsa_system_sgpr_workgroup_id_x 1
		.amdhsa_system_sgpr_workgroup_id_y 0
		.amdhsa_system_sgpr_workgroup_id_z 0
		.amdhsa_system_sgpr_workgroup_info 0
		.amdhsa_system_vgpr_workitem_id 0
		.amdhsa_next_free_vgpr 16
		.amdhsa_next_free_sgpr 13
		.amdhsa_reserve_vcc 1
		.amdhsa_reserve_flat_scratch 0
		.amdhsa_float_round_mode_32 0
		.amdhsa_float_round_mode_16_64 0
		.amdhsa_float_denorm_mode_32 3
		.amdhsa_float_denorm_mode_16_64 3
		.amdhsa_dx10_clamp 1
		.amdhsa_ieee_mode 1
		.amdhsa_fp16_overflow 0
		.amdhsa_exception_fp_ieee_invalid_op 0
		.amdhsa_exception_fp_denorm_src 0
		.amdhsa_exception_fp_ieee_div_zero 0
		.amdhsa_exception_fp_ieee_overflow 0
		.amdhsa_exception_fp_ieee_underflow 0
		.amdhsa_exception_fp_ieee_inexact 0
		.amdhsa_exception_int_div_zero 0
	.end_amdhsa_kernel
	.section	.text._ZN2at6native29vectorized_elementwise_kernelILi4ENS0_13AUnaryFunctorIlllZZZNS0_18lshift_kernel_cudaERNS_18TensorIteratorBaseEENKUlvE_clEvENKUlvE2_clEvEUlllE_EESt5arrayIPcLm2EEEEviT0_T1_,"axG",@progbits,_ZN2at6native29vectorized_elementwise_kernelILi4ENS0_13AUnaryFunctorIlllZZZNS0_18lshift_kernel_cudaERNS_18TensorIteratorBaseEENKUlvE_clEvENKUlvE2_clEvEUlllE_EESt5arrayIPcLm2EEEEviT0_T1_,comdat
.Lfunc_end74:
	.size	_ZN2at6native29vectorized_elementwise_kernelILi4ENS0_13AUnaryFunctorIlllZZZNS0_18lshift_kernel_cudaERNS_18TensorIteratorBaseEENKUlvE_clEvENKUlvE2_clEvEUlllE_EESt5arrayIPcLm2EEEEviT0_T1_, .Lfunc_end74-_ZN2at6native29vectorized_elementwise_kernelILi4ENS0_13AUnaryFunctorIlllZZZNS0_18lshift_kernel_cudaERNS_18TensorIteratorBaseEENKUlvE_clEvENKUlvE2_clEvEUlllE_EESt5arrayIPcLm2EEEEviT0_T1_
                                        ; -- End function
	.set _ZN2at6native29vectorized_elementwise_kernelILi4ENS0_13AUnaryFunctorIlllZZZNS0_18lshift_kernel_cudaERNS_18TensorIteratorBaseEENKUlvE_clEvENKUlvE2_clEvEUlllE_EESt5arrayIPcLm2EEEEviT0_T1_.num_vgpr, 16
	.set _ZN2at6native29vectorized_elementwise_kernelILi4ENS0_13AUnaryFunctorIlllZZZNS0_18lshift_kernel_cudaERNS_18TensorIteratorBaseEENKUlvE_clEvENKUlvE2_clEvEUlllE_EESt5arrayIPcLm2EEEEviT0_T1_.num_agpr, 0
	.set _ZN2at6native29vectorized_elementwise_kernelILi4ENS0_13AUnaryFunctorIlllZZZNS0_18lshift_kernel_cudaERNS_18TensorIteratorBaseEENKUlvE_clEvENKUlvE2_clEvEUlllE_EESt5arrayIPcLm2EEEEviT0_T1_.numbered_sgpr, 13
	.set _ZN2at6native29vectorized_elementwise_kernelILi4ENS0_13AUnaryFunctorIlllZZZNS0_18lshift_kernel_cudaERNS_18TensorIteratorBaseEENKUlvE_clEvENKUlvE2_clEvEUlllE_EESt5arrayIPcLm2EEEEviT0_T1_.num_named_barrier, 0
	.set _ZN2at6native29vectorized_elementwise_kernelILi4ENS0_13AUnaryFunctorIlllZZZNS0_18lshift_kernel_cudaERNS_18TensorIteratorBaseEENKUlvE_clEvENKUlvE2_clEvEUlllE_EESt5arrayIPcLm2EEEEviT0_T1_.private_seg_size, 0
	.set _ZN2at6native29vectorized_elementwise_kernelILi4ENS0_13AUnaryFunctorIlllZZZNS0_18lshift_kernel_cudaERNS_18TensorIteratorBaseEENKUlvE_clEvENKUlvE2_clEvEUlllE_EESt5arrayIPcLm2EEEEviT0_T1_.uses_vcc, 1
	.set _ZN2at6native29vectorized_elementwise_kernelILi4ENS0_13AUnaryFunctorIlllZZZNS0_18lshift_kernel_cudaERNS_18TensorIteratorBaseEENKUlvE_clEvENKUlvE2_clEvEUlllE_EESt5arrayIPcLm2EEEEviT0_T1_.uses_flat_scratch, 0
	.set _ZN2at6native29vectorized_elementwise_kernelILi4ENS0_13AUnaryFunctorIlllZZZNS0_18lshift_kernel_cudaERNS_18TensorIteratorBaseEENKUlvE_clEvENKUlvE2_clEvEUlllE_EESt5arrayIPcLm2EEEEviT0_T1_.has_dyn_sized_stack, 0
	.set _ZN2at6native29vectorized_elementwise_kernelILi4ENS0_13AUnaryFunctorIlllZZZNS0_18lshift_kernel_cudaERNS_18TensorIteratorBaseEENKUlvE_clEvENKUlvE2_clEvEUlllE_EESt5arrayIPcLm2EEEEviT0_T1_.has_recursion, 0
	.set _ZN2at6native29vectorized_elementwise_kernelILi4ENS0_13AUnaryFunctorIlllZZZNS0_18lshift_kernel_cudaERNS_18TensorIteratorBaseEENKUlvE_clEvENKUlvE2_clEvEUlllE_EESt5arrayIPcLm2EEEEviT0_T1_.has_indirect_call, 0
	.section	.AMDGPU.csdata,"",@progbits
; Kernel info:
; codeLenInByte = 988
; TotalNumSgprs: 17
; NumVgprs: 16
; ScratchSize: 0
; MemoryBound: 0
; FloatMode: 240
; IeeeMode: 1
; LDSByteSize: 0 bytes/workgroup (compile time only)
; SGPRBlocks: 2
; VGPRBlocks: 3
; NumSGPRsForWavesPerEU: 17
; NumVGPRsForWavesPerEU: 16
; Occupancy: 10
; WaveLimiterHint : 0
; COMPUTE_PGM_RSRC2:SCRATCH_EN: 0
; COMPUTE_PGM_RSRC2:USER_SGPR: 6
; COMPUTE_PGM_RSRC2:TRAP_HANDLER: 0
; COMPUTE_PGM_RSRC2:TGID_X_EN: 1
; COMPUTE_PGM_RSRC2:TGID_Y_EN: 0
; COMPUTE_PGM_RSRC2:TGID_Z_EN: 0
; COMPUTE_PGM_RSRC2:TIDIG_COMP_CNT: 0
	.section	.text._ZN2at6native29vectorized_elementwise_kernelILi2ENS0_13AUnaryFunctorIlllZZZNS0_18lshift_kernel_cudaERNS_18TensorIteratorBaseEENKUlvE_clEvENKUlvE2_clEvEUlllE_EESt5arrayIPcLm2EEEEviT0_T1_,"axG",@progbits,_ZN2at6native29vectorized_elementwise_kernelILi2ENS0_13AUnaryFunctorIlllZZZNS0_18lshift_kernel_cudaERNS_18TensorIteratorBaseEENKUlvE_clEvENKUlvE2_clEvEUlllE_EESt5arrayIPcLm2EEEEviT0_T1_,comdat
	.globl	_ZN2at6native29vectorized_elementwise_kernelILi2ENS0_13AUnaryFunctorIlllZZZNS0_18lshift_kernel_cudaERNS_18TensorIteratorBaseEENKUlvE_clEvENKUlvE2_clEvEUlllE_EESt5arrayIPcLm2EEEEviT0_T1_ ; -- Begin function _ZN2at6native29vectorized_elementwise_kernelILi2ENS0_13AUnaryFunctorIlllZZZNS0_18lshift_kernel_cudaERNS_18TensorIteratorBaseEENKUlvE_clEvENKUlvE2_clEvEUlllE_EESt5arrayIPcLm2EEEEviT0_T1_
	.p2align	8
	.type	_ZN2at6native29vectorized_elementwise_kernelILi2ENS0_13AUnaryFunctorIlllZZZNS0_18lshift_kernel_cudaERNS_18TensorIteratorBaseEENKUlvE_clEvENKUlvE2_clEvEUlllE_EESt5arrayIPcLm2EEEEviT0_T1_,@function
_ZN2at6native29vectorized_elementwise_kernelILi2ENS0_13AUnaryFunctorIlllZZZNS0_18lshift_kernel_cudaERNS_18TensorIteratorBaseEENKUlvE_clEvENKUlvE2_clEvEUlllE_EESt5arrayIPcLm2EEEEviT0_T1_: ; @_ZN2at6native29vectorized_elementwise_kernelILi2ENS0_13AUnaryFunctorIlllZZZNS0_18lshift_kernel_cudaERNS_18TensorIteratorBaseEENKUlvE_clEvENKUlvE2_clEvEUlllE_EESt5arrayIPcLm2EEEEviT0_T1_
; %bb.0:
	s_load_dword s0, s[4:5], 0x0
	s_load_dwordx4 s[8:11], s[4:5], 0x10
	s_load_dwordx2 s[2:3], s[4:5], 0x20
	s_lshl_b32 s4, s6, 10
	s_waitcnt lgkmcnt(0)
	s_sub_i32 s12, s0, s4
	s_cmpk_gt_i32 s12, 0x3ff
	s_mov_b64 s[0:1], -1
	s_cbranch_scc0 .LBB75_2
; %bb.1:
	s_ashr_i32 s5, s4, 31
	s_lshl_b64 s[0:1], s[4:5], 3
	s_add_u32 s6, s2, s0
	s_addc_u32 s7, s3, s1
	v_lshlrev_b32_e32 v15, 4, v0
	v_mov_b32_e32 v5, s7
	global_load_dwordx4 v[1:4], v15, s[6:7]
	v_add_co_u32_e32 v6, vcc, s6, v15
	v_addc_co_u32_e32 v7, vcc, 0, v5, vcc
	v_add_co_u32_e32 v5, vcc, 0x1000, v6
	v_addc_co_u32_e32 v6, vcc, 0, v7, vcc
	global_load_dwordx4 v[5:8], v[5:6], off
	s_add_u32 s0, s10, s0
	s_addc_u32 s1, s11, s1
	v_mov_b32_e32 v9, s1
	v_add_co_u32_e32 v10, vcc, s0, v15
	v_addc_co_u32_e32 v11, vcc, 0, v9, vcc
	v_add_co_u32_e32 v9, vcc, 0x1000, v10
	v_addc_co_u32_e32 v10, vcc, 0, v11, vcc
	s_waitcnt vmcnt(1)
	v_lshlrev_b64 v[11:12], v1, s[8:9]
	v_cmp_gt_u64_e32 vcc, 64, v[1:2]
	v_lshlrev_b64 v[13:14], v3, s[8:9]
	v_cndmask_b32_e32 v2, 0, v12, vcc
	v_cndmask_b32_e32 v1, 0, v11, vcc
	v_cmp_gt_u64_e32 vcc, 64, v[3:4]
	v_cndmask_b32_e32 v4, 0, v14, vcc
	v_cndmask_b32_e32 v3, 0, v13, vcc
	s_waitcnt vmcnt(0)
	v_lshlrev_b64 v[11:12], v5, s[8:9]
	v_cmp_gt_u64_e32 vcc, 64, v[5:6]
	v_lshlrev_b64 v[13:14], v7, s[8:9]
	global_store_dwordx4 v15, v[1:4], s[0:1]
	s_mov_b64 s[0:1], 0
	v_cndmask_b32_e32 v2, 0, v12, vcc
	v_cndmask_b32_e32 v1, 0, v11, vcc
	v_cmp_gt_u64_e32 vcc, 64, v[7:8]
	v_cndmask_b32_e32 v4, 0, v14, vcc
	v_cndmask_b32_e32 v3, 0, v13, vcc
	global_store_dwordx4 v[9:10], v[1:4], off
.LBB75_2:
	s_andn2_b64 vcc, exec, s[0:1]
	s_cbranch_vccnz .LBB75_16
; %bb.3:
	v_mov_b32_e32 v3, 0
	v_mov_b32_e32 v5, 0
	v_cmp_gt_i32_e32 vcc, s12, v0
	v_mov_b32_e32 v4, 0
	v_or_b32_e32 v1, s4, v0
	v_mov_b32_e32 v6, 0
	v_mov_b32_e32 v2, v0
	s_and_saveexec_b64 s[6:7], vcc
	s_cbranch_execz .LBB75_5
; %bb.4:
	v_mov_b32_e32 v2, 0
	v_lshlrev_b64 v[5:6], 3, v[1:2]
	v_mov_b32_e32 v2, s3
	v_add_co_u32_e64 v5, s[0:1], s2, v5
	v_addc_co_u32_e64 v6, s[0:1], v2, v6, s[0:1]
	global_load_dwordx2 v[5:6], v[5:6], off
	v_or_b32_e32 v2, 0x100, v0
.LBB75_5:
	s_or_b64 exec, exec, s[6:7]
	v_cmp_gt_i32_e64 s[0:1], s12, v2
	s_and_saveexec_b64 s[6:7], s[0:1]
	s_cbranch_execz .LBB75_7
; %bb.6:
	v_add_u32_e32 v3, s4, v2
	v_mov_b32_e32 v4, 0
	v_lshlrev_b64 v[3:4], 3, v[3:4]
	v_mov_b32_e32 v7, s3
	v_add_co_u32_e64 v3, s[0:1], s2, v3
	v_addc_co_u32_e64 v4, s[0:1], v7, v4, s[0:1]
	global_load_dwordx2 v[3:4], v[3:4], off
	v_add_u32_e32 v2, 0x100, v2
.LBB75_7:
	s_or_b64 exec, exec, s[6:7]
	v_mov_b32_e32 v7, 0
	v_mov_b32_e32 v11, 0
	;; [unrolled: 1-line block ×4, first 2 shown]
	v_cmp_gt_i32_e64 s[0:1], s12, v2
	s_and_saveexec_b64 s[6:7], s[0:1]
	s_cbranch_execz .LBB75_9
; %bb.8:
	v_add_u32_e32 v9, s4, v2
	v_mov_b32_e32 v10, 0
	v_lshlrev_b64 v[9:10], 3, v[9:10]
	v_mov_b32_e32 v11, s3
	v_add_co_u32_e64 v9, s[0:1], s2, v9
	v_addc_co_u32_e64 v10, s[0:1], v11, v10, s[0:1]
	global_load_dwordx2 v[11:12], v[9:10], off
	v_add_u32_e32 v2, 0x100, v2
.LBB75_9:
	s_or_b64 exec, exec, s[6:7]
	v_cmp_gt_i32_e64 s[0:1], s12, v2
	s_and_saveexec_b64 s[6:7], s[0:1]
	s_cbranch_execz .LBB75_11
; %bb.10:
	v_add_u32_e32 v7, s4, v2
	v_mov_b32_e32 v8, 0
	v_lshlrev_b64 v[7:8], 3, v[7:8]
	v_mov_b32_e32 v2, s3
	v_add_co_u32_e64 v7, s[0:1], s2, v7
	v_addc_co_u32_e64 v8, s[0:1], v2, v8, s[0:1]
	global_load_dwordx2 v[7:8], v[7:8], off
.LBB75_11:
	s_or_b64 exec, exec, s[6:7]
	s_waitcnt vmcnt(0)
	v_cmp_gt_u64_e64 s[0:1], 64, v[5:6]
	v_lshlrev_b64 v[5:6], v5, s[8:9]
	s_and_b64 s[0:1], vcc, s[0:1]
	v_or_b32_e32 v15, 0x100, v0
	v_cmp_gt_u64_e64 s[2:3], 64, v[3:4]
	v_cndmask_b32_e64 v14, 0, v6, s[0:1]
	v_cndmask_b32_e64 v13, 0, v5, s[0:1]
	v_cmp_gt_i32_e64 s[0:1], s12, v15
	v_lshlrev_b64 v[2:3], v3, s[8:9]
	s_and_b64 s[0:1], s[0:1], s[2:3]
	v_cndmask_b32_e64 v9, 0, v2, s[0:1]
	v_or_b32_e32 v2, 0x200, v0
	v_cmp_gt_u64_e64 s[2:3], 64, v[11:12]
	v_cndmask_b32_e64 v10, 0, v3, s[0:1]
	v_cmp_gt_i32_e64 s[0:1], s12, v2
	v_lshlrev_b64 v[2:3], v11, s[8:9]
	s_and_b64 s[0:1], s[0:1], s[2:3]
	v_cndmask_b32_e64 v5, 0, v2, s[0:1]
	v_or_b32_e32 v2, 0x300, v0
	v_cmp_gt_u64_e64 s[2:3], 64, v[7:8]
	v_cndmask_b32_e64 v6, 0, v3, s[0:1]
	v_cmp_gt_i32_e64 s[0:1], s12, v2
	v_lshlrev_b64 v[2:3], v7, s[8:9]
	s_and_b64 s[0:1], s[0:1], s[2:3]
	v_cndmask_b32_e64 v4, 0, v3, s[0:1]
	v_cndmask_b32_e64 v3, 0, v2, s[0:1]
	s_and_saveexec_b64 s[0:1], vcc
	s_cbranch_execnz .LBB75_17
; %bb.12:
	s_or_b64 exec, exec, s[0:1]
	v_cmp_gt_i32_e32 vcc, s12, v0
	s_and_saveexec_b64 s[0:1], vcc
	s_cbranch_execnz .LBB75_18
.LBB75_13:
	s_or_b64 exec, exec, s[0:1]
	v_cmp_gt_i32_e32 vcc, s12, v0
	s_and_saveexec_b64 s[0:1], vcc
	s_cbranch_execnz .LBB75_19
.LBB75_14:
	s_or_b64 exec, exec, s[0:1]
	v_cmp_gt_i32_e32 vcc, s12, v0
	s_and_saveexec_b64 s[0:1], vcc
	s_cbranch_execz .LBB75_16
.LBB75_15:
	v_add_u32_e32 v0, s4, v0
	v_mov_b32_e32 v1, 0
	v_lshlrev_b64 v[0:1], 3, v[0:1]
	v_mov_b32_e32 v2, s11
	v_add_co_u32_e32 v0, vcc, s10, v0
	v_addc_co_u32_e32 v1, vcc, v2, v1, vcc
	global_store_dwordx2 v[0:1], v[3:4], off
.LBB75_16:
	s_endpgm
.LBB75_17:
	v_mov_b32_e32 v2, 0
	v_lshlrev_b64 v[0:1], 3, v[1:2]
	v_mov_b32_e32 v2, s11
	v_add_co_u32_e32 v0, vcc, s10, v0
	v_addc_co_u32_e32 v1, vcc, v2, v1, vcc
	global_store_dwordx2 v[0:1], v[13:14], off
	v_mov_b32_e32 v0, v15
	s_or_b64 exec, exec, s[0:1]
	v_cmp_gt_i32_e32 vcc, s12, v0
	s_and_saveexec_b64 s[0:1], vcc
	s_cbranch_execz .LBB75_13
.LBB75_18:
	v_add_u32_e32 v1, s4, v0
	v_mov_b32_e32 v2, 0
	v_lshlrev_b64 v[1:2], 3, v[1:2]
	v_mov_b32_e32 v7, s11
	v_add_co_u32_e32 v1, vcc, s10, v1
	v_addc_co_u32_e32 v2, vcc, v7, v2, vcc
	v_add_u32_e32 v0, 0x100, v0
	global_store_dwordx2 v[1:2], v[9:10], off
	s_or_b64 exec, exec, s[0:1]
	v_cmp_gt_i32_e32 vcc, s12, v0
	s_and_saveexec_b64 s[0:1], vcc
	s_cbranch_execz .LBB75_14
.LBB75_19:
	v_add_u32_e32 v1, s4, v0
	v_mov_b32_e32 v2, 0
	v_lshlrev_b64 v[1:2], 3, v[1:2]
	v_mov_b32_e32 v7, s11
	v_add_co_u32_e32 v1, vcc, s10, v1
	v_addc_co_u32_e32 v2, vcc, v7, v2, vcc
	v_add_u32_e32 v0, 0x100, v0
	global_store_dwordx2 v[1:2], v[5:6], off
	s_or_b64 exec, exec, s[0:1]
	v_cmp_gt_i32_e32 vcc, s12, v0
	s_and_saveexec_b64 s[0:1], vcc
	s_cbranch_execnz .LBB75_15
	s_branch .LBB75_16
	.section	.rodata,"a",@progbits
	.p2align	6, 0x0
	.amdhsa_kernel _ZN2at6native29vectorized_elementwise_kernelILi2ENS0_13AUnaryFunctorIlllZZZNS0_18lshift_kernel_cudaERNS_18TensorIteratorBaseEENKUlvE_clEvENKUlvE2_clEvEUlllE_EESt5arrayIPcLm2EEEEviT0_T1_
		.amdhsa_group_segment_fixed_size 0
		.amdhsa_private_segment_fixed_size 0
		.amdhsa_kernarg_size 40
		.amdhsa_user_sgpr_count 6
		.amdhsa_user_sgpr_private_segment_buffer 1
		.amdhsa_user_sgpr_dispatch_ptr 0
		.amdhsa_user_sgpr_queue_ptr 0
		.amdhsa_user_sgpr_kernarg_segment_ptr 1
		.amdhsa_user_sgpr_dispatch_id 0
		.amdhsa_user_sgpr_flat_scratch_init 0
		.amdhsa_user_sgpr_private_segment_size 0
		.amdhsa_uses_dynamic_stack 0
		.amdhsa_system_sgpr_private_segment_wavefront_offset 0
		.amdhsa_system_sgpr_workgroup_id_x 1
		.amdhsa_system_sgpr_workgroup_id_y 0
		.amdhsa_system_sgpr_workgroup_id_z 0
		.amdhsa_system_sgpr_workgroup_info 0
		.amdhsa_system_vgpr_workitem_id 0
		.amdhsa_next_free_vgpr 16
		.amdhsa_next_free_sgpr 13
		.amdhsa_reserve_vcc 1
		.amdhsa_reserve_flat_scratch 0
		.amdhsa_float_round_mode_32 0
		.amdhsa_float_round_mode_16_64 0
		.amdhsa_float_denorm_mode_32 3
		.amdhsa_float_denorm_mode_16_64 3
		.amdhsa_dx10_clamp 1
		.amdhsa_ieee_mode 1
		.amdhsa_fp16_overflow 0
		.amdhsa_exception_fp_ieee_invalid_op 0
		.amdhsa_exception_fp_denorm_src 0
		.amdhsa_exception_fp_ieee_div_zero 0
		.amdhsa_exception_fp_ieee_overflow 0
		.amdhsa_exception_fp_ieee_underflow 0
		.amdhsa_exception_fp_ieee_inexact 0
		.amdhsa_exception_int_div_zero 0
	.end_amdhsa_kernel
	.section	.text._ZN2at6native29vectorized_elementwise_kernelILi2ENS0_13AUnaryFunctorIlllZZZNS0_18lshift_kernel_cudaERNS_18TensorIteratorBaseEENKUlvE_clEvENKUlvE2_clEvEUlllE_EESt5arrayIPcLm2EEEEviT0_T1_,"axG",@progbits,_ZN2at6native29vectorized_elementwise_kernelILi2ENS0_13AUnaryFunctorIlllZZZNS0_18lshift_kernel_cudaERNS_18TensorIteratorBaseEENKUlvE_clEvENKUlvE2_clEvEUlllE_EESt5arrayIPcLm2EEEEviT0_T1_,comdat
.Lfunc_end75:
	.size	_ZN2at6native29vectorized_elementwise_kernelILi2ENS0_13AUnaryFunctorIlllZZZNS0_18lshift_kernel_cudaERNS_18TensorIteratorBaseEENKUlvE_clEvENKUlvE2_clEvEUlllE_EESt5arrayIPcLm2EEEEviT0_T1_, .Lfunc_end75-_ZN2at6native29vectorized_elementwise_kernelILi2ENS0_13AUnaryFunctorIlllZZZNS0_18lshift_kernel_cudaERNS_18TensorIteratorBaseEENKUlvE_clEvENKUlvE2_clEvEUlllE_EESt5arrayIPcLm2EEEEviT0_T1_
                                        ; -- End function
	.set _ZN2at6native29vectorized_elementwise_kernelILi2ENS0_13AUnaryFunctorIlllZZZNS0_18lshift_kernel_cudaERNS_18TensorIteratorBaseEENKUlvE_clEvENKUlvE2_clEvEUlllE_EESt5arrayIPcLm2EEEEviT0_T1_.num_vgpr, 16
	.set _ZN2at6native29vectorized_elementwise_kernelILi2ENS0_13AUnaryFunctorIlllZZZNS0_18lshift_kernel_cudaERNS_18TensorIteratorBaseEENKUlvE_clEvENKUlvE2_clEvEUlllE_EESt5arrayIPcLm2EEEEviT0_T1_.num_agpr, 0
	.set _ZN2at6native29vectorized_elementwise_kernelILi2ENS0_13AUnaryFunctorIlllZZZNS0_18lshift_kernel_cudaERNS_18TensorIteratorBaseEENKUlvE_clEvENKUlvE2_clEvEUlllE_EESt5arrayIPcLm2EEEEviT0_T1_.numbered_sgpr, 13
	.set _ZN2at6native29vectorized_elementwise_kernelILi2ENS0_13AUnaryFunctorIlllZZZNS0_18lshift_kernel_cudaERNS_18TensorIteratorBaseEENKUlvE_clEvENKUlvE2_clEvEUlllE_EESt5arrayIPcLm2EEEEviT0_T1_.num_named_barrier, 0
	.set _ZN2at6native29vectorized_elementwise_kernelILi2ENS0_13AUnaryFunctorIlllZZZNS0_18lshift_kernel_cudaERNS_18TensorIteratorBaseEENKUlvE_clEvENKUlvE2_clEvEUlllE_EESt5arrayIPcLm2EEEEviT0_T1_.private_seg_size, 0
	.set _ZN2at6native29vectorized_elementwise_kernelILi2ENS0_13AUnaryFunctorIlllZZZNS0_18lshift_kernel_cudaERNS_18TensorIteratorBaseEENKUlvE_clEvENKUlvE2_clEvEUlllE_EESt5arrayIPcLm2EEEEviT0_T1_.uses_vcc, 1
	.set _ZN2at6native29vectorized_elementwise_kernelILi2ENS0_13AUnaryFunctorIlllZZZNS0_18lshift_kernel_cudaERNS_18TensorIteratorBaseEENKUlvE_clEvENKUlvE2_clEvEUlllE_EESt5arrayIPcLm2EEEEviT0_T1_.uses_flat_scratch, 0
	.set _ZN2at6native29vectorized_elementwise_kernelILi2ENS0_13AUnaryFunctorIlllZZZNS0_18lshift_kernel_cudaERNS_18TensorIteratorBaseEENKUlvE_clEvENKUlvE2_clEvEUlllE_EESt5arrayIPcLm2EEEEviT0_T1_.has_dyn_sized_stack, 0
	.set _ZN2at6native29vectorized_elementwise_kernelILi2ENS0_13AUnaryFunctorIlllZZZNS0_18lshift_kernel_cudaERNS_18TensorIteratorBaseEENKUlvE_clEvENKUlvE2_clEvEUlllE_EESt5arrayIPcLm2EEEEviT0_T1_.has_recursion, 0
	.set _ZN2at6native29vectorized_elementwise_kernelILi2ENS0_13AUnaryFunctorIlllZZZNS0_18lshift_kernel_cudaERNS_18TensorIteratorBaseEENKUlvE_clEvENKUlvE2_clEvEUlllE_EESt5arrayIPcLm2EEEEviT0_T1_.has_indirect_call, 0
	.section	.AMDGPU.csdata,"",@progbits
; Kernel info:
; codeLenInByte = 1036
; TotalNumSgprs: 17
; NumVgprs: 16
; ScratchSize: 0
; MemoryBound: 0
; FloatMode: 240
; IeeeMode: 1
; LDSByteSize: 0 bytes/workgroup (compile time only)
; SGPRBlocks: 2
; VGPRBlocks: 3
; NumSGPRsForWavesPerEU: 17
; NumVGPRsForWavesPerEU: 16
; Occupancy: 10
; WaveLimiterHint : 1
; COMPUTE_PGM_RSRC2:SCRATCH_EN: 0
; COMPUTE_PGM_RSRC2:USER_SGPR: 6
; COMPUTE_PGM_RSRC2:TRAP_HANDLER: 0
; COMPUTE_PGM_RSRC2:TGID_X_EN: 1
; COMPUTE_PGM_RSRC2:TGID_Y_EN: 0
; COMPUTE_PGM_RSRC2:TGID_Z_EN: 0
; COMPUTE_PGM_RSRC2:TIDIG_COMP_CNT: 0
	.section	.text._ZN2at6native27unrolled_elementwise_kernelINS0_13AUnaryFunctorIlllZZZNS0_18lshift_kernel_cudaERNS_18TensorIteratorBaseEENKUlvE_clEvENKUlvE2_clEvEUlllE_EESt5arrayIPcLm2EELi4E23TrivialOffsetCalculatorILi1EjESD_NS0_6memory15LoadWithoutCastENSE_16StoreWithoutCastEEEviT_T0_T2_T3_T4_T5_,"axG",@progbits,_ZN2at6native27unrolled_elementwise_kernelINS0_13AUnaryFunctorIlllZZZNS0_18lshift_kernel_cudaERNS_18TensorIteratorBaseEENKUlvE_clEvENKUlvE2_clEvEUlllE_EESt5arrayIPcLm2EELi4E23TrivialOffsetCalculatorILi1EjESD_NS0_6memory15LoadWithoutCastENSE_16StoreWithoutCastEEEviT_T0_T2_T3_T4_T5_,comdat
	.globl	_ZN2at6native27unrolled_elementwise_kernelINS0_13AUnaryFunctorIlllZZZNS0_18lshift_kernel_cudaERNS_18TensorIteratorBaseEENKUlvE_clEvENKUlvE2_clEvEUlllE_EESt5arrayIPcLm2EELi4E23TrivialOffsetCalculatorILi1EjESD_NS0_6memory15LoadWithoutCastENSE_16StoreWithoutCastEEEviT_T0_T2_T3_T4_T5_ ; -- Begin function _ZN2at6native27unrolled_elementwise_kernelINS0_13AUnaryFunctorIlllZZZNS0_18lshift_kernel_cudaERNS_18TensorIteratorBaseEENKUlvE_clEvENKUlvE2_clEvEUlllE_EESt5arrayIPcLm2EELi4E23TrivialOffsetCalculatorILi1EjESD_NS0_6memory15LoadWithoutCastENSE_16StoreWithoutCastEEEviT_T0_T2_T3_T4_T5_
	.p2align	8
	.type	_ZN2at6native27unrolled_elementwise_kernelINS0_13AUnaryFunctorIlllZZZNS0_18lshift_kernel_cudaERNS_18TensorIteratorBaseEENKUlvE_clEvENKUlvE2_clEvEUlllE_EESt5arrayIPcLm2EELi4E23TrivialOffsetCalculatorILi1EjESD_NS0_6memory15LoadWithoutCastENSE_16StoreWithoutCastEEEviT_T0_T2_T3_T4_T5_,@function
_ZN2at6native27unrolled_elementwise_kernelINS0_13AUnaryFunctorIlllZZZNS0_18lshift_kernel_cudaERNS_18TensorIteratorBaseEENKUlvE_clEvENKUlvE2_clEvEUlllE_EESt5arrayIPcLm2EELi4E23TrivialOffsetCalculatorILi1EjESD_NS0_6memory15LoadWithoutCastENSE_16StoreWithoutCastEEEviT_T0_T2_T3_T4_T5_: ; @_ZN2at6native27unrolled_elementwise_kernelINS0_13AUnaryFunctorIlllZZZNS0_18lshift_kernel_cudaERNS_18TensorIteratorBaseEENKUlvE_clEvENKUlvE2_clEvEUlllE_EESt5arrayIPcLm2EELi4E23TrivialOffsetCalculatorILi1EjESD_NS0_6memory15LoadWithoutCastENSE_16StoreWithoutCastEEEviT_T0_T2_T3_T4_T5_
; %bb.0:
	s_load_dword s0, s[4:5], 0x0
	s_load_dwordx2 s[2:3], s[4:5], 0x20
	s_lshl_b32 s12, s6, 10
	v_mov_b32_e32 v3, 0
	v_mov_b32_e32 v5, 0
	s_waitcnt lgkmcnt(0)
	s_sub_i32 s13, s0, s12
	v_cmp_gt_i32_e32 vcc, s13, v0
	v_mov_b32_e32 v4, 0
	v_or_b32_e32 v1, s12, v0
	v_mov_b32_e32 v6, 0
	v_mov_b32_e32 v2, v0
	s_and_saveexec_b64 s[6:7], vcc
	s_cbranch_execz .LBB76_2
; %bb.1:
	v_mov_b32_e32 v2, 0
	v_lshlrev_b64 v[5:6], 3, v[1:2]
	v_mov_b32_e32 v2, s3
	v_add_co_u32_e64 v5, s[0:1], s2, v5
	v_addc_co_u32_e64 v6, s[0:1], v2, v6, s[0:1]
	global_load_dwordx2 v[5:6], v[5:6], off
	v_or_b32_e32 v2, 0x100, v0
.LBB76_2:
	s_or_b64 exec, exec, s[6:7]
	s_load_dwordx4 s[8:11], s[4:5], 0x10
	v_cmp_gt_i32_e64 s[0:1], s13, v2
	s_and_saveexec_b64 s[4:5], s[0:1]
	s_cbranch_execz .LBB76_4
; %bb.3:
	v_add_u32_e32 v3, s12, v2
	v_mov_b32_e32 v4, 0
	v_lshlrev_b64 v[3:4], 3, v[3:4]
	v_mov_b32_e32 v7, s3
	v_add_co_u32_e64 v3, s[0:1], s2, v3
	v_addc_co_u32_e64 v4, s[0:1], v7, v4, s[0:1]
	global_load_dwordx2 v[3:4], v[3:4], off
	v_add_u32_e32 v2, 0x100, v2
.LBB76_4:
	s_or_b64 exec, exec, s[4:5]
	v_mov_b32_e32 v7, 0
	v_mov_b32_e32 v11, 0
	;; [unrolled: 1-line block ×4, first 2 shown]
	v_cmp_gt_i32_e64 s[0:1], s13, v2
	s_and_saveexec_b64 s[4:5], s[0:1]
	s_cbranch_execz .LBB76_6
; %bb.5:
	v_add_u32_e32 v9, s12, v2
	v_mov_b32_e32 v10, 0
	v_lshlrev_b64 v[9:10], 3, v[9:10]
	v_mov_b32_e32 v11, s3
	v_add_co_u32_e64 v9, s[0:1], s2, v9
	v_addc_co_u32_e64 v10, s[0:1], v11, v10, s[0:1]
	global_load_dwordx2 v[11:12], v[9:10], off
	v_add_u32_e32 v2, 0x100, v2
.LBB76_6:
	s_or_b64 exec, exec, s[4:5]
	v_cmp_gt_i32_e64 s[0:1], s13, v2
	s_and_saveexec_b64 s[4:5], s[0:1]
	s_cbranch_execz .LBB76_8
; %bb.7:
	v_add_u32_e32 v7, s12, v2
	v_mov_b32_e32 v8, 0
	v_lshlrev_b64 v[7:8], 3, v[7:8]
	v_mov_b32_e32 v2, s3
	v_add_co_u32_e64 v7, s[0:1], s2, v7
	v_addc_co_u32_e64 v8, s[0:1], v2, v8, s[0:1]
	global_load_dwordx2 v[7:8], v[7:8], off
.LBB76_8:
	s_or_b64 exec, exec, s[4:5]
	s_waitcnt vmcnt(0)
	v_cmp_gt_u64_e64 s[0:1], 64, v[5:6]
	s_waitcnt lgkmcnt(0)
	v_lshlrev_b64 v[5:6], v5, s[8:9]
	s_and_b64 s[0:1], vcc, s[0:1]
	v_or_b32_e32 v15, 0x100, v0
	v_cmp_gt_u64_e64 s[2:3], 64, v[3:4]
	v_cndmask_b32_e64 v14, 0, v6, s[0:1]
	v_cndmask_b32_e64 v13, 0, v5, s[0:1]
	v_cmp_gt_i32_e64 s[0:1], s13, v15
	v_lshlrev_b64 v[2:3], v3, s[8:9]
	s_and_b64 s[0:1], s[0:1], s[2:3]
	v_cndmask_b32_e64 v9, 0, v2, s[0:1]
	v_or_b32_e32 v2, 0x200, v0
	v_cmp_gt_u64_e64 s[2:3], 64, v[11:12]
	v_cndmask_b32_e64 v10, 0, v3, s[0:1]
	v_cmp_gt_i32_e64 s[0:1], s13, v2
	v_lshlrev_b64 v[2:3], v11, s[8:9]
	s_and_b64 s[0:1], s[0:1], s[2:3]
	v_cndmask_b32_e64 v5, 0, v2, s[0:1]
	v_or_b32_e32 v2, 0x300, v0
	v_cmp_gt_u64_e64 s[2:3], 64, v[7:8]
	v_cndmask_b32_e64 v6, 0, v3, s[0:1]
	v_cmp_gt_i32_e64 s[0:1], s13, v2
	v_lshlrev_b64 v[2:3], v7, s[8:9]
	s_and_b64 s[0:1], s[0:1], s[2:3]
	v_cndmask_b32_e64 v4, 0, v3, s[0:1]
	v_cndmask_b32_e64 v3, 0, v2, s[0:1]
	s_and_saveexec_b64 s[0:1], vcc
	s_cbranch_execnz .LBB76_13
; %bb.9:
	s_or_b64 exec, exec, s[0:1]
	v_cmp_gt_i32_e32 vcc, s13, v0
	s_and_saveexec_b64 s[0:1], vcc
	s_cbranch_execnz .LBB76_14
.LBB76_10:
	s_or_b64 exec, exec, s[0:1]
	v_cmp_gt_i32_e32 vcc, s13, v0
	s_and_saveexec_b64 s[0:1], vcc
	s_cbranch_execnz .LBB76_15
.LBB76_11:
	s_or_b64 exec, exec, s[0:1]
	v_cmp_gt_i32_e32 vcc, s13, v0
	s_and_saveexec_b64 s[0:1], vcc
	s_cbranch_execnz .LBB76_16
.LBB76_12:
	s_endpgm
.LBB76_13:
	v_mov_b32_e32 v2, 0
	v_lshlrev_b64 v[0:1], 3, v[1:2]
	v_mov_b32_e32 v2, s11
	v_add_co_u32_e32 v0, vcc, s10, v0
	v_addc_co_u32_e32 v1, vcc, v2, v1, vcc
	global_store_dwordx2 v[0:1], v[13:14], off
	v_mov_b32_e32 v0, v15
	s_or_b64 exec, exec, s[0:1]
	v_cmp_gt_i32_e32 vcc, s13, v0
	s_and_saveexec_b64 s[0:1], vcc
	s_cbranch_execz .LBB76_10
.LBB76_14:
	v_add_u32_e32 v2, 0x100, v0
	v_add_u32_e32 v0, s12, v0
	v_mov_b32_e32 v1, 0
	v_lshlrev_b64 v[0:1], 3, v[0:1]
	v_mov_b32_e32 v7, s11
	v_add_co_u32_e32 v0, vcc, s10, v0
	v_addc_co_u32_e32 v1, vcc, v7, v1, vcc
	global_store_dwordx2 v[0:1], v[9:10], off
	v_mov_b32_e32 v0, v2
	s_or_b64 exec, exec, s[0:1]
	v_cmp_gt_i32_e32 vcc, s13, v0
	s_and_saveexec_b64 s[0:1], vcc
	s_cbranch_execz .LBB76_11
.LBB76_15:
	v_add_u32_e32 v2, 0x100, v0
	v_add_u32_e32 v0, s12, v0
	v_mov_b32_e32 v1, 0
	v_lshlrev_b64 v[0:1], 3, v[0:1]
	v_mov_b32_e32 v7, s11
	v_add_co_u32_e32 v0, vcc, s10, v0
	v_addc_co_u32_e32 v1, vcc, v7, v1, vcc
	global_store_dwordx2 v[0:1], v[5:6], off
	v_mov_b32_e32 v0, v2
	s_or_b64 exec, exec, s[0:1]
	v_cmp_gt_i32_e32 vcc, s13, v0
	s_and_saveexec_b64 s[0:1], vcc
	s_cbranch_execz .LBB76_12
.LBB76_16:
	v_add_u32_e32 v0, s12, v0
	v_mov_b32_e32 v1, 0
	v_lshlrev_b64 v[0:1], 3, v[0:1]
	v_mov_b32_e32 v2, s11
	v_add_co_u32_e32 v0, vcc, s10, v0
	v_addc_co_u32_e32 v1, vcc, v2, v1, vcc
	global_store_dwordx2 v[0:1], v[3:4], off
	s_endpgm
	.section	.rodata,"a",@progbits
	.p2align	6, 0x0
	.amdhsa_kernel _ZN2at6native27unrolled_elementwise_kernelINS0_13AUnaryFunctorIlllZZZNS0_18lshift_kernel_cudaERNS_18TensorIteratorBaseEENKUlvE_clEvENKUlvE2_clEvEUlllE_EESt5arrayIPcLm2EELi4E23TrivialOffsetCalculatorILi1EjESD_NS0_6memory15LoadWithoutCastENSE_16StoreWithoutCastEEEviT_T0_T2_T3_T4_T5_
		.amdhsa_group_segment_fixed_size 0
		.amdhsa_private_segment_fixed_size 0
		.amdhsa_kernarg_size 44
		.amdhsa_user_sgpr_count 6
		.amdhsa_user_sgpr_private_segment_buffer 1
		.amdhsa_user_sgpr_dispatch_ptr 0
		.amdhsa_user_sgpr_queue_ptr 0
		.amdhsa_user_sgpr_kernarg_segment_ptr 1
		.amdhsa_user_sgpr_dispatch_id 0
		.amdhsa_user_sgpr_flat_scratch_init 0
		.amdhsa_user_sgpr_private_segment_size 0
		.amdhsa_uses_dynamic_stack 0
		.amdhsa_system_sgpr_private_segment_wavefront_offset 0
		.amdhsa_system_sgpr_workgroup_id_x 1
		.amdhsa_system_sgpr_workgroup_id_y 0
		.amdhsa_system_sgpr_workgroup_id_z 0
		.amdhsa_system_sgpr_workgroup_info 0
		.amdhsa_system_vgpr_workitem_id 0
		.amdhsa_next_free_vgpr 16
		.amdhsa_next_free_sgpr 14
		.amdhsa_reserve_vcc 1
		.amdhsa_reserve_flat_scratch 0
		.amdhsa_float_round_mode_32 0
		.amdhsa_float_round_mode_16_64 0
		.amdhsa_float_denorm_mode_32 3
		.amdhsa_float_denorm_mode_16_64 3
		.amdhsa_dx10_clamp 1
		.amdhsa_ieee_mode 1
		.amdhsa_fp16_overflow 0
		.amdhsa_exception_fp_ieee_invalid_op 0
		.amdhsa_exception_fp_denorm_src 0
		.amdhsa_exception_fp_ieee_div_zero 0
		.amdhsa_exception_fp_ieee_overflow 0
		.amdhsa_exception_fp_ieee_underflow 0
		.amdhsa_exception_fp_ieee_inexact 0
		.amdhsa_exception_int_div_zero 0
	.end_amdhsa_kernel
	.section	.text._ZN2at6native27unrolled_elementwise_kernelINS0_13AUnaryFunctorIlllZZZNS0_18lshift_kernel_cudaERNS_18TensorIteratorBaseEENKUlvE_clEvENKUlvE2_clEvEUlllE_EESt5arrayIPcLm2EELi4E23TrivialOffsetCalculatorILi1EjESD_NS0_6memory15LoadWithoutCastENSE_16StoreWithoutCastEEEviT_T0_T2_T3_T4_T5_,"axG",@progbits,_ZN2at6native27unrolled_elementwise_kernelINS0_13AUnaryFunctorIlllZZZNS0_18lshift_kernel_cudaERNS_18TensorIteratorBaseEENKUlvE_clEvENKUlvE2_clEvEUlllE_EESt5arrayIPcLm2EELi4E23TrivialOffsetCalculatorILi1EjESD_NS0_6memory15LoadWithoutCastENSE_16StoreWithoutCastEEEviT_T0_T2_T3_T4_T5_,comdat
.Lfunc_end76:
	.size	_ZN2at6native27unrolled_elementwise_kernelINS0_13AUnaryFunctorIlllZZZNS0_18lshift_kernel_cudaERNS_18TensorIteratorBaseEENKUlvE_clEvENKUlvE2_clEvEUlllE_EESt5arrayIPcLm2EELi4E23TrivialOffsetCalculatorILi1EjESD_NS0_6memory15LoadWithoutCastENSE_16StoreWithoutCastEEEviT_T0_T2_T3_T4_T5_, .Lfunc_end76-_ZN2at6native27unrolled_elementwise_kernelINS0_13AUnaryFunctorIlllZZZNS0_18lshift_kernel_cudaERNS_18TensorIteratorBaseEENKUlvE_clEvENKUlvE2_clEvEUlllE_EESt5arrayIPcLm2EELi4E23TrivialOffsetCalculatorILi1EjESD_NS0_6memory15LoadWithoutCastENSE_16StoreWithoutCastEEEviT_T0_T2_T3_T4_T5_
                                        ; -- End function
	.set _ZN2at6native27unrolled_elementwise_kernelINS0_13AUnaryFunctorIlllZZZNS0_18lshift_kernel_cudaERNS_18TensorIteratorBaseEENKUlvE_clEvENKUlvE2_clEvEUlllE_EESt5arrayIPcLm2EELi4E23TrivialOffsetCalculatorILi1EjESD_NS0_6memory15LoadWithoutCastENSE_16StoreWithoutCastEEEviT_T0_T2_T3_T4_T5_.num_vgpr, 16
	.set _ZN2at6native27unrolled_elementwise_kernelINS0_13AUnaryFunctorIlllZZZNS0_18lshift_kernel_cudaERNS_18TensorIteratorBaseEENKUlvE_clEvENKUlvE2_clEvEUlllE_EESt5arrayIPcLm2EELi4E23TrivialOffsetCalculatorILi1EjESD_NS0_6memory15LoadWithoutCastENSE_16StoreWithoutCastEEEviT_T0_T2_T3_T4_T5_.num_agpr, 0
	.set _ZN2at6native27unrolled_elementwise_kernelINS0_13AUnaryFunctorIlllZZZNS0_18lshift_kernel_cudaERNS_18TensorIteratorBaseEENKUlvE_clEvENKUlvE2_clEvEUlllE_EESt5arrayIPcLm2EELi4E23TrivialOffsetCalculatorILi1EjESD_NS0_6memory15LoadWithoutCastENSE_16StoreWithoutCastEEEviT_T0_T2_T3_T4_T5_.numbered_sgpr, 14
	.set _ZN2at6native27unrolled_elementwise_kernelINS0_13AUnaryFunctorIlllZZZNS0_18lshift_kernel_cudaERNS_18TensorIteratorBaseEENKUlvE_clEvENKUlvE2_clEvEUlllE_EESt5arrayIPcLm2EELi4E23TrivialOffsetCalculatorILi1EjESD_NS0_6memory15LoadWithoutCastENSE_16StoreWithoutCastEEEviT_T0_T2_T3_T4_T5_.num_named_barrier, 0
	.set _ZN2at6native27unrolled_elementwise_kernelINS0_13AUnaryFunctorIlllZZZNS0_18lshift_kernel_cudaERNS_18TensorIteratorBaseEENKUlvE_clEvENKUlvE2_clEvEUlllE_EESt5arrayIPcLm2EELi4E23TrivialOffsetCalculatorILi1EjESD_NS0_6memory15LoadWithoutCastENSE_16StoreWithoutCastEEEviT_T0_T2_T3_T4_T5_.private_seg_size, 0
	.set _ZN2at6native27unrolled_elementwise_kernelINS0_13AUnaryFunctorIlllZZZNS0_18lshift_kernel_cudaERNS_18TensorIteratorBaseEENKUlvE_clEvENKUlvE2_clEvEUlllE_EESt5arrayIPcLm2EELi4E23TrivialOffsetCalculatorILi1EjESD_NS0_6memory15LoadWithoutCastENSE_16StoreWithoutCastEEEviT_T0_T2_T3_T4_T5_.uses_vcc, 1
	.set _ZN2at6native27unrolled_elementwise_kernelINS0_13AUnaryFunctorIlllZZZNS0_18lshift_kernel_cudaERNS_18TensorIteratorBaseEENKUlvE_clEvENKUlvE2_clEvEUlllE_EESt5arrayIPcLm2EELi4E23TrivialOffsetCalculatorILi1EjESD_NS0_6memory15LoadWithoutCastENSE_16StoreWithoutCastEEEviT_T0_T2_T3_T4_T5_.uses_flat_scratch, 0
	.set _ZN2at6native27unrolled_elementwise_kernelINS0_13AUnaryFunctorIlllZZZNS0_18lshift_kernel_cudaERNS_18TensorIteratorBaseEENKUlvE_clEvENKUlvE2_clEvEUlllE_EESt5arrayIPcLm2EELi4E23TrivialOffsetCalculatorILi1EjESD_NS0_6memory15LoadWithoutCastENSE_16StoreWithoutCastEEEviT_T0_T2_T3_T4_T5_.has_dyn_sized_stack, 0
	.set _ZN2at6native27unrolled_elementwise_kernelINS0_13AUnaryFunctorIlllZZZNS0_18lshift_kernel_cudaERNS_18TensorIteratorBaseEENKUlvE_clEvENKUlvE2_clEvEUlllE_EESt5arrayIPcLm2EELi4E23TrivialOffsetCalculatorILi1EjESD_NS0_6memory15LoadWithoutCastENSE_16StoreWithoutCastEEEviT_T0_T2_T3_T4_T5_.has_recursion, 0
	.set _ZN2at6native27unrolled_elementwise_kernelINS0_13AUnaryFunctorIlllZZZNS0_18lshift_kernel_cudaERNS_18TensorIteratorBaseEENKUlvE_clEvENKUlvE2_clEvEUlllE_EESt5arrayIPcLm2EELi4E23TrivialOffsetCalculatorILi1EjESD_NS0_6memory15LoadWithoutCastENSE_16StoreWithoutCastEEEviT_T0_T2_T3_T4_T5_.has_indirect_call, 0
	.section	.AMDGPU.csdata,"",@progbits
; Kernel info:
; codeLenInByte = 828
; TotalNumSgprs: 18
; NumVgprs: 16
; ScratchSize: 0
; MemoryBound: 0
; FloatMode: 240
; IeeeMode: 1
; LDSByteSize: 0 bytes/workgroup (compile time only)
; SGPRBlocks: 2
; VGPRBlocks: 3
; NumSGPRsForWavesPerEU: 18
; NumVGPRsForWavesPerEU: 16
; Occupancy: 10
; WaveLimiterHint : 0
; COMPUTE_PGM_RSRC2:SCRATCH_EN: 0
; COMPUTE_PGM_RSRC2:USER_SGPR: 6
; COMPUTE_PGM_RSRC2:TRAP_HANDLER: 0
; COMPUTE_PGM_RSRC2:TGID_X_EN: 1
; COMPUTE_PGM_RSRC2:TGID_Y_EN: 0
; COMPUTE_PGM_RSRC2:TGID_Z_EN: 0
; COMPUTE_PGM_RSRC2:TIDIG_COMP_CNT: 0
	.section	.text._ZN2at6native32elementwise_kernel_manual_unrollILi128ELi4EZNS0_22gpu_kernel_impl_nocastINS0_13AUnaryFunctorIlllZZZNS0_18lshift_kernel_cudaERNS_18TensorIteratorBaseEENKUlvE_clEvENKUlvE2_clEvEUlllE_EEEEvS5_RKT_EUlibE_EEviT1_,"axG",@progbits,_ZN2at6native32elementwise_kernel_manual_unrollILi128ELi4EZNS0_22gpu_kernel_impl_nocastINS0_13AUnaryFunctorIlllZZZNS0_18lshift_kernel_cudaERNS_18TensorIteratorBaseEENKUlvE_clEvENKUlvE2_clEvEUlllE_EEEEvS5_RKT_EUlibE_EEviT1_,comdat
	.globl	_ZN2at6native32elementwise_kernel_manual_unrollILi128ELi4EZNS0_22gpu_kernel_impl_nocastINS0_13AUnaryFunctorIlllZZZNS0_18lshift_kernel_cudaERNS_18TensorIteratorBaseEENKUlvE_clEvENKUlvE2_clEvEUlllE_EEEEvS5_RKT_EUlibE_EEviT1_ ; -- Begin function _ZN2at6native32elementwise_kernel_manual_unrollILi128ELi4EZNS0_22gpu_kernel_impl_nocastINS0_13AUnaryFunctorIlllZZZNS0_18lshift_kernel_cudaERNS_18TensorIteratorBaseEENKUlvE_clEvENKUlvE2_clEvEUlllE_EEEEvS5_RKT_EUlibE_EEviT1_
	.p2align	8
	.type	_ZN2at6native32elementwise_kernel_manual_unrollILi128ELi4EZNS0_22gpu_kernel_impl_nocastINS0_13AUnaryFunctorIlllZZZNS0_18lshift_kernel_cudaERNS_18TensorIteratorBaseEENKUlvE_clEvENKUlvE2_clEvEUlllE_EEEEvS5_RKT_EUlibE_EEviT1_,@function
_ZN2at6native32elementwise_kernel_manual_unrollILi128ELi4EZNS0_22gpu_kernel_impl_nocastINS0_13AUnaryFunctorIlllZZZNS0_18lshift_kernel_cudaERNS_18TensorIteratorBaseEENKUlvE_clEvENKUlvE2_clEvEUlllE_EEEEvS5_RKT_EUlibE_EEviT1_: ; @_ZN2at6native32elementwise_kernel_manual_unrollILi128ELi4EZNS0_22gpu_kernel_impl_nocastINS0_13AUnaryFunctorIlllZZZNS0_18lshift_kernel_cudaERNS_18TensorIteratorBaseEENKUlvE_clEvENKUlvE2_clEvEUlllE_EEEEvS5_RKT_EUlibE_EEviT1_
; %bb.0:
	s_load_dword s57, s[4:5], 0x0
	s_load_dword s33, s[4:5], 0x8
	s_add_u32 s34, s4, 8
	s_addc_u32 s35, s5, 0
	v_lshl_or_b32 v7, s6, 9, v0
	v_or_b32_e32 v13, 0x180, v7
	s_waitcnt lgkmcnt(0)
	s_add_i32 s56, s33, -1
	s_cmp_gt_u32 s56, 1
	v_cmp_le_i32_e32 vcc, s57, v13
	s_cselect_b64 s[36:37], -1, 0
	s_and_saveexec_b64 s[0:1], vcc
	s_xor_b64 s[38:39], exec, s[0:1]
	s_cbranch_execz .LBB77_7
; %bb.1:
	s_load_dwordx4 s[24:27], s[34:35], 0x4
	s_load_dwordx2 s[42:43], s[34:35], 0x14
	s_load_dwordx4 s[20:23], s[34:35], 0xc4
	s_load_dwordx4 s[16:19], s[34:35], 0x148
	s_load_dwordx2 s[40:41], s[34:35], 0x160
	s_cmp_lg_u32 s33, 0
	s_cselect_b64 s[48:49], -1, 0
	s_add_u32 s46, s34, 0xc4
	s_addc_u32 s47, s35, 0
	s_min_u32 s58, s56, 15
	s_cmp_gt_u32 s33, 1
	s_cselect_b64 s[44:45], -1, 0
	v_cmp_gt_i32_e32 vcc, s57, v7
	s_and_saveexec_b64 s[50:51], vcc
	s_cbranch_execz .LBB77_14
; %bb.2:
	s_andn2_b64 vcc, exec, s[36:37]
	s_cbranch_vccnz .LBB77_21
; %bb.3:
	s_andn2_b64 vcc, exec, s[48:49]
	s_cbranch_vccnz .LBB77_73
; %bb.4:
	s_add_i32 s60, s58, 1
	s_cmp_eq_u32 s56, 2
	s_cbranch_scc1 .LBB77_75
; %bb.5:
	s_and_b32 s59, s60, 28
	v_mov_b32_e32 v2, 0
	s_mov_b32 s61, 0
	s_mov_b64 s[52:53], s[34:35]
	s_mov_b64 s[54:55], s[46:47]
	v_mov_b32_e32 v0, 0
	v_mov_b32_e32 v1, v7
.LBB77_6:                               ; =>This Inner Loop Header: Depth=1
	s_load_dwordx8 s[8:15], s[52:53], 0x4
	s_load_dwordx4 s[28:31], s[52:53], 0x24
	s_load_dwordx8 s[0:7], s[54:55], 0x0
	s_add_u32 s52, s52, 48
	s_addc_u32 s53, s53, 0
	s_waitcnt lgkmcnt(0)
	v_mul_hi_u32 v3, s9, v1
	s_add_i32 s61, s61, 4
	s_add_u32 s54, s54, 32
	s_addc_u32 s55, s55, 0
	v_add_u32_e32 v3, v1, v3
	v_lshrrev_b32_e32 v3, s10, v3
	v_mul_lo_u32 v4, v3, s8
	v_mul_hi_u32 v5, s12, v3
	s_cmp_lg_u32 s59, s61
	v_sub_u32_e32 v1, v1, v4
	v_add_u32_e32 v4, v3, v5
	v_mul_lo_u32 v5, v1, s0
	v_mul_lo_u32 v6, v1, s1
	v_lshrrev_b32_e32 v1, s13, v4
	v_mul_lo_u32 v4, v1, s11
	v_mul_hi_u32 v8, s15, v1
	v_sub_u32_e32 v3, v3, v4
	v_add_u32_e32 v4, v1, v8
	v_lshrrev_b32_e32 v4, s28, v4
	v_mul_hi_u32 v9, s30, v4
	v_mul_lo_u32 v10, v4, s14
	v_mul_lo_u32 v8, v3, s2
	;; [unrolled: 1-line block ×3, first 2 shown]
	v_sub_u32_e32 v10, v1, v10
	v_add_u32_e32 v1, v4, v9
	v_lshrrev_b32_e32 v1, s31, v1
	v_mul_lo_u32 v9, v1, s29
	v_mul_lo_u32 v11, v10, s4
	;; [unrolled: 1-line block ×3, first 2 shown]
	v_add3_u32 v0, v5, v0, v8
	v_sub_u32_e32 v4, v4, v9
	v_mul_lo_u32 v9, v4, s6
	v_mul_lo_u32 v4, v4, s7
	v_add3_u32 v2, v6, v2, v3
	v_add3_u32 v0, v11, v0, v9
	;; [unrolled: 1-line block ×3, first 2 shown]
	s_cbranch_scc1 .LBB77_6
	s_branch .LBB77_76
.LBB77_7:
	s_andn2_saveexec_b64 s[0:1], s[38:39]
	s_cbranch_execz .LBB77_101
.LBB77_8:
	v_cndmask_b32_e64 v0, 0, 1, s[36:37]
	v_cmp_ne_u32_e64 s[0:1], 1, v0
	s_andn2_b64 vcc, exec, s[36:37]
	s_cbranch_vccnz .LBB77_20
; %bb.9:
	s_cmp_lg_u32 s33, 0
	s_waitcnt lgkmcnt(0)
	s_mov_b32 s26, 0
	s_cbranch_scc0 .LBB77_23
; %bb.10:
	s_min_u32 s27, s56, 15
	s_add_i32 s27, s27, 1
	s_cmp_eq_u32 s56, 2
	s_cbranch_scc1 .LBB77_24
; %bb.11:
	s_and_b32 s26, s27, 28
	s_add_u32 s2, s34, 0xc4
	s_addc_u32 s3, s35, 0
	v_mov_b32_e32 v2, 0
	s_mov_b32 s28, 0
	s_mov_b64 s[24:25], s[34:35]
	v_mov_b32_e32 v0, 0
	v_mov_b32_e32 v1, v7
.LBB77_12:                              ; =>This Inner Loop Header: Depth=1
	s_load_dwordx8 s[12:19], s[24:25], 0x4
	s_load_dwordx4 s[20:23], s[24:25], 0x24
	s_load_dwordx8 s[4:11], s[2:3], 0x0
	s_add_u32 s24, s24, 48
	s_addc_u32 s25, s25, 0
	s_waitcnt lgkmcnt(0)
	v_mul_hi_u32 v3, s13, v1
	s_add_i32 s28, s28, 4
	s_add_u32 s2, s2, 32
	s_addc_u32 s3, s3, 0
	v_add_u32_e32 v3, v1, v3
	v_lshrrev_b32_e32 v3, s14, v3
	v_mul_lo_u32 v4, v3, s12
	v_mul_hi_u32 v5, s16, v3
	s_cmp_lg_u32 s26, s28
	v_sub_u32_e32 v1, v1, v4
	v_add_u32_e32 v4, v3, v5
	v_mul_lo_u32 v5, v1, s4
	v_mul_lo_u32 v6, v1, s5
	v_lshrrev_b32_e32 v1, s17, v4
	v_mul_lo_u32 v4, v1, s15
	v_mul_hi_u32 v8, s19, v1
	v_sub_u32_e32 v3, v3, v4
	v_add_u32_e32 v4, v1, v8
	v_lshrrev_b32_e32 v4, s20, v4
	v_mul_hi_u32 v9, s22, v4
	v_mul_lo_u32 v10, v4, s18
	v_mul_lo_u32 v8, v3, s6
	;; [unrolled: 1-line block ×3, first 2 shown]
	v_sub_u32_e32 v10, v1, v10
	v_add_u32_e32 v1, v4, v9
	v_lshrrev_b32_e32 v1, s23, v1
	v_mul_lo_u32 v9, v1, s21
	v_mul_lo_u32 v11, v10, s8
	;; [unrolled: 1-line block ×3, first 2 shown]
	v_add3_u32 v0, v5, v0, v8
	v_sub_u32_e32 v4, v4, v9
	v_mul_lo_u32 v9, v4, s10
	v_mul_lo_u32 v4, v4, s11
	v_add3_u32 v2, v6, v2, v3
	v_add3_u32 v0, v11, v0, v9
	v_add3_u32 v2, v10, v2, v4
	s_cbranch_scc1 .LBB77_12
; %bb.13:
	s_and_b32 s6, s27, 3
	s_cmp_eq_u32 s6, 0
	s_cbranch_scc0 .LBB77_25
	s_branch .LBB77_27
.LBB77_14:
	s_or_b64 exec, exec, s[50:51]
	v_cmp_gt_i32_e32 vcc, s57, v7
	s_and_saveexec_b64 s[50:51], vcc
	s_cbranch_execz .LBB77_83
.LBB77_15:
	s_andn2_b64 vcc, exec, s[36:37]
	s_cbranch_vccnz .LBB77_22
; %bb.16:
	s_andn2_b64 vcc, exec, s[48:49]
	s_cbranch_vccnz .LBB77_74
; %bb.17:
	s_add_i32 s60, s58, 1
	s_cmp_eq_u32 s56, 2
	s_cbranch_scc1 .LBB77_91
; %bb.18:
	s_and_b32 s59, s60, 28
	v_mov_b32_e32 v2, 0
	s_mov_b32 s61, 0
	s_mov_b64 s[52:53], s[34:35]
	s_mov_b64 s[54:55], s[46:47]
	v_mov_b32_e32 v0, 0
	v_mov_b32_e32 v1, v7
.LBB77_19:                              ; =>This Inner Loop Header: Depth=1
	s_load_dwordx8 s[8:15], s[52:53], 0x4
	s_load_dwordx4 s[28:31], s[52:53], 0x24
	s_load_dwordx8 s[0:7], s[54:55], 0x0
	s_add_u32 s52, s52, 48
	s_addc_u32 s53, s53, 0
	s_waitcnt lgkmcnt(0)
	v_mul_hi_u32 v3, s9, v1
	s_add_i32 s61, s61, 4
	s_add_u32 s54, s54, 32
	s_addc_u32 s55, s55, 0
	v_add_u32_e32 v3, v1, v3
	v_lshrrev_b32_e32 v3, s10, v3
	v_mul_lo_u32 v4, v3, s8
	v_mul_hi_u32 v5, s12, v3
	s_cmp_eq_u32 s59, s61
	v_sub_u32_e32 v1, v1, v4
	v_add_u32_e32 v4, v3, v5
	v_mul_lo_u32 v5, v1, s0
	v_mul_lo_u32 v6, v1, s1
	v_lshrrev_b32_e32 v1, s13, v4
	v_mul_lo_u32 v4, v1, s11
	v_mul_hi_u32 v8, s15, v1
	v_sub_u32_e32 v3, v3, v4
	v_add_u32_e32 v4, v1, v8
	v_lshrrev_b32_e32 v4, s28, v4
	v_mul_hi_u32 v9, s30, v4
	v_mul_lo_u32 v10, v4, s14
	v_mul_lo_u32 v8, v3, s2
	;; [unrolled: 1-line block ×3, first 2 shown]
	v_sub_u32_e32 v10, v1, v10
	v_add_u32_e32 v1, v4, v9
	v_lshrrev_b32_e32 v1, s31, v1
	v_mul_lo_u32 v9, v1, s29
	v_mul_lo_u32 v11, v10, s4
	;; [unrolled: 1-line block ×3, first 2 shown]
	v_add3_u32 v0, v5, v0, v8
	v_sub_u32_e32 v4, v4, v9
	v_mul_lo_u32 v9, v4, s6
	v_mul_lo_u32 v4, v4, s7
	v_add3_u32 v2, v6, v2, v3
	v_add3_u32 v0, v11, v0, v9
	;; [unrolled: 1-line block ×3, first 2 shown]
	s_cbranch_scc0 .LBB77_19
	s_branch .LBB77_92
.LBB77_20:
                                        ; implicit-def: $vgpr0
                                        ; implicit-def: $vgpr2
	s_branch .LBB77_28
.LBB77_21:
                                        ; implicit-def: $vgpr0
                                        ; implicit-def: $vgpr2
	s_branch .LBB77_80
.LBB77_22:
                                        ; implicit-def: $vgpr0
                                        ; implicit-def: $vgpr2
	s_branch .LBB77_96
.LBB77_23:
	v_mov_b32_e32 v0, 0
	v_mov_b32_e32 v2, 0
	s_branch .LBB77_27
.LBB77_24:
	v_mov_b32_e32 v0, 0
	v_mov_b32_e32 v2, 0
	;; [unrolled: 1-line block ×3, first 2 shown]
	s_and_b32 s6, s27, 3
	s_cmp_eq_u32 s6, 0
	s_cbranch_scc1 .LBB77_27
.LBB77_25:
	s_lshl_b32 s2, s26, 3
	s_add_u32 s2, s34, s2
	s_addc_u32 s3, s35, 0
	s_add_u32 s2, s2, 0xc4
	s_addc_u32 s3, s3, 0
	s_mul_i32 s4, s26, 12
	s_add_u32 s4, s34, s4
	s_addc_u32 s5, s35, 0
.LBB77_26:                              ; =>This Inner Loop Header: Depth=1
	s_load_dwordx2 s[8:9], s[4:5], 0x4
	s_load_dword s7, s[4:5], 0xc
	s_load_dwordx2 s[10:11], s[2:3], 0x0
	s_add_u32 s4, s4, 12
	s_addc_u32 s5, s5, 0
	s_waitcnt lgkmcnt(0)
	v_mul_hi_u32 v4, s9, v1
	s_add_u32 s2, s2, 8
	s_addc_u32 s3, s3, 0
	s_add_i32 s6, s6, -1
	v_add_u32_e32 v4, v1, v4
	v_lshrrev_b32_e32 v4, s7, v4
	v_mul_lo_u32 v5, v4, s8
	s_cmp_lg_u32 s6, 0
	v_sub_u32_e32 v5, v1, v5
	v_mad_u64_u32 v[0:1], s[8:9], v5, s10, v[0:1]
	v_mad_u64_u32 v[2:3], s[8:9], v5, s11, v[2:3]
	v_mov_b32_e32 v1, v4
	s_cbranch_scc1 .LBB77_26
.LBB77_27:
	s_cbranch_execnz .LBB77_30
.LBB77_28:
	s_load_dwordx4 s[4:7], s[34:35], 0x4
	s_load_dwordx2 s[2:3], s[34:35], 0xc4
	s_cmp_lt_u32 s33, 2
	s_waitcnt lgkmcnt(0)
	v_mul_hi_u32 v0, s5, v7
	v_add_u32_e32 v0, v7, v0
	v_lshrrev_b32_e32 v1, s6, v0
	v_mul_lo_u32 v0, v1, s4
	v_sub_u32_e32 v2, v7, v0
	v_mul_lo_u32 v0, v2, s2
	v_mul_lo_u32 v2, v2, s3
	s_cbranch_scc1 .LBB77_30
; %bb.29:
	s_load_dwordx4 s[4:7], s[34:35], 0x10
	s_load_dwordx2 s[2:3], s[34:35], 0xcc
	s_waitcnt lgkmcnt(0)
	v_mul_hi_u32 v3, s5, v1
	v_add_u32_e32 v3, v1, v3
	v_lshrrev_b32_e32 v3, s6, v3
	v_mul_lo_u32 v3, v3, s4
	v_sub_u32_e32 v3, v1, v3
	v_mad_u64_u32 v[0:1], s[4:5], v3, s2, v[0:1]
	v_mad_u64_u32 v[2:3], s[2:3], v3, s3, v[2:3]
.LBB77_30:
	s_and_b64 vcc, exec, s[0:1]
	v_add_u32_e32 v1, 0x80, v7
	s_cbranch_vccnz .LBB77_36
; %bb.31:
	s_cmp_lg_u32 s33, 0
	s_waitcnt lgkmcnt(0)
	s_mov_b32 s26, 0
	s_cbranch_scc0 .LBB77_37
; %bb.32:
	s_min_u32 s27, s56, 15
	s_add_i32 s27, s27, 1
	s_cmp_eq_u32 s56, 2
	s_cbranch_scc1 .LBB77_38
; %bb.33:
	s_and_b32 s26, s27, 28
	s_add_u32 s2, s34, 0xc4
	s_addc_u32 s3, s35, 0
	v_mov_b32_e32 v5, 0
	s_mov_b32 s28, 0
	s_mov_b64 s[24:25], s[34:35]
	v_mov_b32_e32 v3, 0
	v_mov_b32_e32 v4, v1
.LBB77_34:                              ; =>This Inner Loop Header: Depth=1
	s_load_dwordx8 s[12:19], s[24:25], 0x4
	s_load_dwordx4 s[20:23], s[24:25], 0x24
	s_load_dwordx8 s[4:11], s[2:3], 0x0
	s_add_u32 s24, s24, 48
	s_addc_u32 s25, s25, 0
	s_waitcnt lgkmcnt(0)
	v_mul_hi_u32 v6, s13, v4
	s_add_i32 s28, s28, 4
	s_add_u32 s2, s2, 32
	s_addc_u32 s3, s3, 0
	v_add_u32_e32 v6, v4, v6
	v_lshrrev_b32_e32 v6, s14, v6
	v_mul_lo_u32 v8, v6, s12
	v_mul_hi_u32 v9, s16, v6
	s_cmp_lg_u32 s26, s28
	v_sub_u32_e32 v4, v4, v8
	v_add_u32_e32 v8, v6, v9
	v_mul_lo_u32 v9, v4, s4
	v_mul_lo_u32 v10, v4, s5
	v_lshrrev_b32_e32 v4, s17, v8
	v_mul_lo_u32 v8, v4, s15
	v_mul_hi_u32 v11, s19, v4
	v_sub_u32_e32 v6, v6, v8
	v_add_u32_e32 v8, v4, v11
	v_lshrrev_b32_e32 v8, s20, v8
	v_mul_hi_u32 v12, s22, v8
	v_mul_lo_u32 v14, v8, s18
	v_mul_lo_u32 v11, v6, s6
	;; [unrolled: 1-line block ×3, first 2 shown]
	v_sub_u32_e32 v14, v4, v14
	v_add_u32_e32 v4, v8, v12
	v_lshrrev_b32_e32 v4, s23, v4
	v_mul_lo_u32 v12, v4, s21
	v_mul_lo_u32 v15, v14, s8
	;; [unrolled: 1-line block ×3, first 2 shown]
	v_add3_u32 v3, v9, v3, v11
	v_sub_u32_e32 v8, v8, v12
	v_mul_lo_u32 v12, v8, s10
	v_mul_lo_u32 v8, v8, s11
	v_add3_u32 v5, v10, v5, v6
	v_add3_u32 v3, v15, v3, v12
	;; [unrolled: 1-line block ×3, first 2 shown]
	s_cbranch_scc1 .LBB77_34
; %bb.35:
	s_and_b32 s6, s27, 3
	s_cmp_eq_u32 s6, 0
	s_cbranch_scc0 .LBB77_39
	s_branch .LBB77_41
.LBB77_36:
                                        ; implicit-def: $vgpr3
                                        ; implicit-def: $vgpr5
	s_branch .LBB77_42
.LBB77_37:
	v_mov_b32_e32 v3, 0
	v_mov_b32_e32 v5, 0
	s_branch .LBB77_41
.LBB77_38:
	v_mov_b32_e32 v3, 0
	v_mov_b32_e32 v5, 0
	;; [unrolled: 1-line block ×3, first 2 shown]
	s_and_b32 s6, s27, 3
	s_cmp_eq_u32 s6, 0
	s_cbranch_scc1 .LBB77_41
.LBB77_39:
	s_lshl_b32 s2, s26, 3
	s_add_u32 s2, s34, s2
	s_addc_u32 s3, s35, 0
	s_add_u32 s2, s2, 0xc4
	s_addc_u32 s3, s3, 0
	s_mul_i32 s4, s26, 12
	s_add_u32 s4, s34, s4
	s_addc_u32 s5, s35, 0
.LBB77_40:                              ; =>This Inner Loop Header: Depth=1
	s_load_dwordx2 s[8:9], s[4:5], 0x4
	s_load_dword s7, s[4:5], 0xc
	s_load_dwordx2 s[10:11], s[2:3], 0x0
	s_add_u32 s4, s4, 12
	s_addc_u32 s5, s5, 0
	s_waitcnt lgkmcnt(0)
	v_mul_hi_u32 v8, s9, v4
	s_add_u32 s2, s2, 8
	s_addc_u32 s3, s3, 0
	s_add_i32 s6, s6, -1
	v_add_u32_e32 v8, v4, v8
	v_lshrrev_b32_e32 v8, s7, v8
	v_mul_lo_u32 v9, v8, s8
	s_cmp_lg_u32 s6, 0
	v_sub_u32_e32 v9, v4, v9
	v_mad_u64_u32 v[3:4], s[8:9], v9, s10, v[3:4]
	v_mad_u64_u32 v[5:6], s[8:9], v9, s11, v[5:6]
	v_mov_b32_e32 v4, v8
	s_cbranch_scc1 .LBB77_40
.LBB77_41:
	s_cbranch_execnz .LBB77_44
.LBB77_42:
	s_load_dwordx4 s[4:7], s[34:35], 0x4
	s_load_dwordx2 s[2:3], s[34:35], 0xc4
	s_cmp_lt_u32 s33, 2
	s_waitcnt lgkmcnt(0)
	v_mul_hi_u32 v3, s5, v1
	v_add_u32_e32 v3, v1, v3
	v_lshrrev_b32_e32 v4, s6, v3
	v_mul_lo_u32 v3, v4, s4
	v_sub_u32_e32 v1, v1, v3
	v_mul_lo_u32 v3, v1, s2
	v_mul_lo_u32 v5, v1, s3
	s_cbranch_scc1 .LBB77_44
; %bb.43:
	s_load_dwordx4 s[4:7], s[34:35], 0x10
	s_load_dwordx2 s[2:3], s[34:35], 0xcc
	s_waitcnt lgkmcnt(0)
	v_mul_hi_u32 v1, s5, v4
	v_add_u32_e32 v1, v4, v1
	v_lshrrev_b32_e32 v1, s6, v1
	v_mul_lo_u32 v1, v1, s4
	v_sub_u32_e32 v1, v4, v1
	v_mad_u64_u32 v[3:4], s[4:5], v1, s2, v[3:4]
	v_mad_u64_u32 v[5:6], s[2:3], v1, s3, v[5:6]
.LBB77_44:
	s_and_b64 vcc, exec, s[0:1]
	v_add_u32_e32 v1, 0x100, v7
	s_cbranch_vccnz .LBB77_50
; %bb.45:
	s_cmp_lg_u32 s33, 0
	s_waitcnt lgkmcnt(0)
	s_mov_b32 s26, 0
	s_cbranch_scc0 .LBB77_51
; %bb.46:
	s_min_u32 s27, s56, 15
	s_add_i32 s27, s27, 1
	s_cmp_eq_u32 s56, 2
	s_cbranch_scc1 .LBB77_52
; %bb.47:
	s_and_b32 s26, s27, 28
	s_add_u32 s2, s34, 0xc4
	s_addc_u32 s3, s35, 0
	v_mov_b32_e32 v8, 0
	s_mov_b32 s28, 0
	s_mov_b64 s[24:25], s[34:35]
	v_mov_b32_e32 v6, 0
	v_mov_b32_e32 v4, v1
.LBB77_48:                              ; =>This Inner Loop Header: Depth=1
	s_load_dwordx8 s[12:19], s[24:25], 0x4
	s_load_dwordx4 s[20:23], s[24:25], 0x24
	s_load_dwordx8 s[4:11], s[2:3], 0x0
	s_add_u32 s24, s24, 48
	s_addc_u32 s25, s25, 0
	s_waitcnt lgkmcnt(0)
	v_mul_hi_u32 v7, s13, v4
	s_add_i32 s28, s28, 4
	s_add_u32 s2, s2, 32
	s_addc_u32 s3, s3, 0
	v_add_u32_e32 v7, v4, v7
	v_lshrrev_b32_e32 v7, s14, v7
	v_mul_lo_u32 v9, v7, s12
	v_mul_hi_u32 v10, s16, v7
	s_cmp_lg_u32 s26, s28
	v_sub_u32_e32 v4, v4, v9
	v_add_u32_e32 v9, v7, v10
	v_mul_lo_u32 v10, v4, s4
	v_mul_lo_u32 v11, v4, s5
	v_lshrrev_b32_e32 v4, s17, v9
	v_mul_lo_u32 v9, v4, s15
	v_mul_hi_u32 v12, s19, v4
	v_sub_u32_e32 v7, v7, v9
	v_add_u32_e32 v9, v4, v12
	v_lshrrev_b32_e32 v9, s20, v9
	v_mul_hi_u32 v14, s22, v9
	v_mul_lo_u32 v15, v9, s18
	v_mul_lo_u32 v12, v7, s6
	;; [unrolled: 1-line block ×3, first 2 shown]
	v_sub_u32_e32 v15, v4, v15
	v_add_u32_e32 v4, v9, v14
	v_lshrrev_b32_e32 v4, s23, v4
	v_mul_lo_u32 v14, v4, s21
	v_mul_lo_u32 v16, v15, s8
	;; [unrolled: 1-line block ×3, first 2 shown]
	v_add3_u32 v6, v10, v6, v12
	v_sub_u32_e32 v9, v9, v14
	v_mul_lo_u32 v14, v9, s10
	v_mul_lo_u32 v9, v9, s11
	v_add3_u32 v7, v11, v8, v7
	v_add3_u32 v6, v16, v6, v14
	;; [unrolled: 1-line block ×3, first 2 shown]
	s_cbranch_scc1 .LBB77_48
; %bb.49:
	s_and_b32 s6, s27, 3
	s_cmp_eq_u32 s6, 0
	s_cbranch_scc0 .LBB77_53
	s_branch .LBB77_55
.LBB77_50:
                                        ; implicit-def: $vgpr6
                                        ; implicit-def: $vgpr8
	s_branch .LBB77_56
.LBB77_51:
	v_mov_b32_e32 v6, 0
	v_mov_b32_e32 v8, 0
	s_branch .LBB77_55
.LBB77_52:
	v_mov_b32_e32 v6, 0
	v_mov_b32_e32 v8, 0
	;; [unrolled: 1-line block ×3, first 2 shown]
	s_and_b32 s6, s27, 3
	s_cmp_eq_u32 s6, 0
	s_cbranch_scc1 .LBB77_55
.LBB77_53:
	s_lshl_b32 s2, s26, 3
	s_add_u32 s2, s34, s2
	s_addc_u32 s3, s35, 0
	s_add_u32 s2, s2, 0xc4
	s_addc_u32 s3, s3, 0
	s_mul_i32 s4, s26, 12
	s_add_u32 s4, s34, s4
	s_addc_u32 s5, s35, 0
.LBB77_54:                              ; =>This Inner Loop Header: Depth=1
	s_load_dwordx2 s[8:9], s[4:5], 0x4
	s_load_dword s7, s[4:5], 0xc
	s_load_dwordx2 s[10:11], s[2:3], 0x0
	s_add_u32 s4, s4, 12
	s_addc_u32 s5, s5, 0
	s_waitcnt lgkmcnt(0)
	v_mul_hi_u32 v7, s9, v4
	s_add_u32 s2, s2, 8
	s_addc_u32 s3, s3, 0
	s_add_i32 s6, s6, -1
	v_add_u32_e32 v7, v4, v7
	v_lshrrev_b32_e32 v10, s7, v7
	v_mul_lo_u32 v7, v10, s8
	s_cmp_lg_u32 s6, 0
	v_sub_u32_e32 v4, v4, v7
	v_mad_u64_u32 v[6:7], s[8:9], v4, s10, v[6:7]
	v_mad_u64_u32 v[8:9], s[8:9], v4, s11, v[8:9]
	v_mov_b32_e32 v4, v10
	s_cbranch_scc1 .LBB77_54
.LBB77_55:
	s_cbranch_execnz .LBB77_58
.LBB77_56:
	s_load_dwordx4 s[4:7], s[34:35], 0x4
	s_load_dwordx2 s[2:3], s[34:35], 0xc4
	s_cmp_lt_u32 s33, 2
	s_waitcnt lgkmcnt(0)
	v_mul_hi_u32 v4, s5, v1
	v_add_u32_e32 v4, v1, v4
	v_lshrrev_b32_e32 v4, s6, v4
	v_mul_lo_u32 v6, v4, s4
	v_sub_u32_e32 v1, v1, v6
	v_mul_lo_u32 v6, v1, s2
	v_mul_lo_u32 v8, v1, s3
	s_cbranch_scc1 .LBB77_58
; %bb.57:
	s_load_dwordx4 s[4:7], s[34:35], 0x10
	s_load_dwordx2 s[2:3], s[34:35], 0xcc
	s_waitcnt lgkmcnt(0)
	v_mul_hi_u32 v1, s5, v4
	v_add_u32_e32 v1, v4, v1
	v_lshrrev_b32_e32 v1, s6, v1
	v_mul_lo_u32 v1, v1, s4
	v_sub_u32_e32 v1, v4, v1
	v_mad_u64_u32 v[6:7], s[4:5], v1, s2, v[6:7]
	v_mad_u64_u32 v[8:9], s[2:3], v1, s3, v[8:9]
.LBB77_58:
	s_and_b64 vcc, exec, s[0:1]
	s_cbranch_vccnz .LBB77_64
; %bb.59:
	s_cmp_lg_u32 s33, 0
	s_waitcnt lgkmcnt(0)
	s_mov_b32 s24, 0
	s_cbranch_scc0 .LBB77_65
; %bb.60:
	s_min_u32 s25, s56, 15
	s_add_i32 s25, s25, 1
	s_cmp_eq_u32 s56, 2
	s_cbranch_scc1 .LBB77_66
; %bb.61:
	s_and_b32 s24, s25, 28
	s_add_u32 s20, s34, 0xc4
	s_addc_u32 s21, s35, 0
	v_mov_b32_e32 v11, 0
	s_mov_b32 s26, 0
	s_mov_b64 s[22:23], s[34:35]
	v_mov_b32_e32 v9, 0
	v_mov_b32_e32 v1, v13
.LBB77_62:                              ; =>This Inner Loop Header: Depth=1
	s_load_dwordx8 s[8:15], s[22:23], 0x4
	s_load_dwordx4 s[16:19], s[22:23], 0x24
	s_load_dwordx8 s[0:7], s[20:21], 0x0
	s_add_u32 s22, s22, 48
	s_addc_u32 s23, s23, 0
	s_waitcnt lgkmcnt(0)
	v_mul_hi_u32 v4, s9, v1
	s_add_i32 s26, s26, 4
	s_add_u32 s20, s20, 32
	s_addc_u32 s21, s21, 0
	v_add_u32_e32 v4, v1, v4
	v_lshrrev_b32_e32 v4, s10, v4
	v_mul_lo_u32 v7, v4, s8
	v_mul_hi_u32 v10, s12, v4
	s_cmp_lg_u32 s24, s26
	v_sub_u32_e32 v1, v1, v7
	v_add_u32_e32 v7, v4, v10
	v_mul_lo_u32 v10, v1, s0
	v_mul_lo_u32 v12, v1, s1
	v_lshrrev_b32_e32 v1, s13, v7
	v_mul_lo_u32 v7, v1, s11
	v_mul_hi_u32 v14, s15, v1
	v_sub_u32_e32 v4, v4, v7
	v_add_u32_e32 v7, v1, v14
	v_lshrrev_b32_e32 v7, s16, v7
	v_mul_hi_u32 v15, s18, v7
	v_mul_lo_u32 v16, v7, s14
	v_mul_lo_u32 v14, v4, s2
	;; [unrolled: 1-line block ×3, first 2 shown]
	v_sub_u32_e32 v16, v1, v16
	v_add_u32_e32 v1, v7, v15
	v_lshrrev_b32_e32 v1, s19, v1
	v_mul_lo_u32 v15, v1, s17
	v_mul_lo_u32 v17, v16, s4
	;; [unrolled: 1-line block ×3, first 2 shown]
	v_add3_u32 v9, v10, v9, v14
	v_sub_u32_e32 v7, v7, v15
	v_mul_lo_u32 v15, v7, s6
	v_mul_lo_u32 v7, v7, s7
	v_add3_u32 v4, v12, v11, v4
	v_add3_u32 v9, v17, v9, v15
	;; [unrolled: 1-line block ×3, first 2 shown]
	s_cbranch_scc1 .LBB77_62
; %bb.63:
	s_and_b32 s4, s25, 3
	s_cmp_eq_u32 s4, 0
	s_cbranch_scc0 .LBB77_67
	s_branch .LBB77_69
.LBB77_64:
                                        ; implicit-def: $vgpr9
                                        ; implicit-def: $vgpr11
	s_branch .LBB77_70
.LBB77_65:
	v_mov_b32_e32 v9, 0
	v_mov_b32_e32 v11, 0
	s_branch .LBB77_69
.LBB77_66:
	v_mov_b32_e32 v9, 0
	v_mov_b32_e32 v11, 0
	v_mov_b32_e32 v1, v13
	s_and_b32 s4, s25, 3
	s_cmp_eq_u32 s4, 0
	s_cbranch_scc1 .LBB77_69
.LBB77_67:
	s_lshl_b32 s0, s24, 3
	s_add_u32 s0, s34, s0
	s_addc_u32 s1, s35, 0
	s_add_u32 s0, s0, 0xc4
	s_addc_u32 s1, s1, 0
	s_mul_i32 s2, s24, 12
	s_add_u32 s2, s34, s2
	s_addc_u32 s3, s35, 0
.LBB77_68:                              ; =>This Inner Loop Header: Depth=1
	s_load_dwordx2 s[6:7], s[2:3], 0x4
	s_load_dword s5, s[2:3], 0xc
	s_load_dwordx2 s[8:9], s[0:1], 0x0
	s_add_u32 s2, s2, 12
	s_addc_u32 s3, s3, 0
	s_waitcnt lgkmcnt(0)
	v_mul_hi_u32 v4, s7, v1
	s_add_u32 s0, s0, 8
	s_addc_u32 s1, s1, 0
	s_add_i32 s4, s4, -1
	v_add_u32_e32 v4, v1, v4
	v_lshrrev_b32_e32 v4, s5, v4
	v_mul_lo_u32 v7, v4, s6
	s_cmp_lg_u32 s4, 0
	v_sub_u32_e32 v1, v1, v7
	v_mad_u64_u32 v[9:10], s[6:7], v1, s8, v[9:10]
	v_mad_u64_u32 v[11:12], s[6:7], v1, s9, v[11:12]
	v_mov_b32_e32 v1, v4
	s_cbranch_scc1 .LBB77_68
.LBB77_69:
	s_cbranch_execnz .LBB77_72
.LBB77_70:
	s_load_dwordx4 s[0:3], s[34:35], 0x4
	s_load_dwordx2 s[4:5], s[34:35], 0xc4
	s_cmp_lt_u32 s33, 2
	s_waitcnt lgkmcnt(0)
	v_mul_hi_u32 v1, s1, v13
	v_add_u32_e32 v1, v13, v1
	v_lshrrev_b32_e32 v1, s2, v1
	v_mul_lo_u32 v4, v1, s0
	v_sub_u32_e32 v4, v13, v4
	v_mul_lo_u32 v9, v4, s4
	v_mul_lo_u32 v11, v4, s5
	s_cbranch_scc1 .LBB77_72
; %bb.71:
	s_load_dwordx4 s[0:3], s[34:35], 0x10
	s_load_dwordx2 s[4:5], s[34:35], 0xcc
	s_waitcnt lgkmcnt(0)
	v_mul_hi_u32 v4, s1, v1
	v_add_u32_e32 v4, v1, v4
	v_lshrrev_b32_e32 v4, s2, v4
	v_mul_lo_u32 v4, v4, s0
	v_sub_u32_e32 v1, v1, v4
	v_mad_u64_u32 v[9:10], s[0:1], v1, s4, v[9:10]
	v_mad_u64_u32 v[11:12], s[0:1], v1, s5, v[11:12]
.LBB77_72:
	s_load_dwordx4 s[0:3], s[34:35], 0x148
	s_load_dwordx2 s[4:5], s[34:35], 0x160
	s_waitcnt lgkmcnt(0)
	global_load_dwordx2 v[12:13], v2, s[2:3]
	global_load_dwordx2 v[14:15], v5, s[2:3]
	;; [unrolled: 1-line block ×4, first 2 shown]
	s_waitcnt vmcnt(3)
	v_lshlrev_b64 v[1:2], v12, s[4:5]
	v_cmp_gt_u64_e32 vcc, 64, v[12:13]
	s_waitcnt vmcnt(2)
	v_lshlrev_b64 v[4:5], v14, s[4:5]
	v_cndmask_b32_e32 v2, 0, v2, vcc
	v_cndmask_b32_e32 v1, 0, v1, vcc
	v_cmp_gt_u64_e32 vcc, 64, v[14:15]
	s_waitcnt vmcnt(1)
	v_lshlrev_b64 v[7:8], v16, s[4:5]
	v_cndmask_b32_e32 v5, 0, v5, vcc
	v_cndmask_b32_e32 v4, 0, v4, vcc
	;; [unrolled: 5-line block ×3, first 2 shown]
	v_cmp_gt_u64_e32 vcc, 64, v[18:19]
	v_cndmask_b32_e32 v11, 0, v11, vcc
	v_cndmask_b32_e32 v10, 0, v10, vcc
	global_store_dwordx2 v0, v[1:2], s[0:1]
	global_store_dwordx2 v3, v[4:5], s[0:1]
	;; [unrolled: 1-line block ×4, first 2 shown]
	s_endpgm
.LBB77_73:
	v_mov_b32_e32 v0, 0
	v_mov_b32_e32 v2, 0
	s_branch .LBB77_79
.LBB77_74:
	v_mov_b32_e32 v0, 0
	v_mov_b32_e32 v2, 0
	s_branch .LBB77_95
.LBB77_75:
	s_mov_b32 s59, 0
	v_mov_b32_e32 v0, 0
	v_mov_b32_e32 v2, 0
	;; [unrolled: 1-line block ×3, first 2 shown]
.LBB77_76:
	s_and_b32 s4, s60, 3
	s_cmp_eq_u32 s4, 0
	s_cbranch_scc1 .LBB77_79
; %bb.77:
	s_lshl_b32 s0, s59, 3
	s_add_u32 s0, s34, s0
	s_addc_u32 s1, s35, 0
	s_add_u32 s0, s0, 0xc4
	s_addc_u32 s1, s1, 0
	s_mul_i32 s2, s59, 12
	s_add_u32 s2, s34, s2
	s_addc_u32 s3, s35, 0
.LBB77_78:                              ; =>This Inner Loop Header: Depth=1
	s_load_dwordx2 s[6:7], s[2:3], 0x4
	s_load_dword s5, s[2:3], 0xc
	s_load_dwordx2 s[8:9], s[0:1], 0x0
	s_add_u32 s2, s2, 12
	s_addc_u32 s3, s3, 0
	s_waitcnt lgkmcnt(0)
	v_mul_hi_u32 v3, s7, v1
	s_add_u32 s0, s0, 8
	s_addc_u32 s1, s1, 0
	s_add_i32 s4, s4, -1
	v_add_u32_e32 v3, v1, v3
	v_lshrrev_b32_e32 v4, s5, v3
	v_mul_lo_u32 v3, v4, s6
	s_cmp_lg_u32 s4, 0
	v_sub_u32_e32 v3, v1, v3
	v_mad_u64_u32 v[0:1], s[6:7], v3, s8, v[0:1]
	v_mad_u64_u32 v[2:3], s[6:7], v3, s9, v[2:3]
	v_mov_b32_e32 v1, v4
	s_cbranch_scc1 .LBB77_78
.LBB77_79:
	s_cbranch_execnz .LBB77_82
.LBB77_80:
	s_waitcnt lgkmcnt(0)
	v_mul_hi_u32 v0, s25, v7
	s_andn2_b64 vcc, exec, s[44:45]
	v_add_u32_e32 v0, v7, v0
	v_lshrrev_b32_e32 v1, s26, v0
	v_mul_lo_u32 v0, v1, s24
	v_sub_u32_e32 v2, v7, v0
	v_mul_lo_u32 v0, v2, s20
	v_mul_lo_u32 v2, v2, s21
	s_cbranch_vccnz .LBB77_82
; %bb.81:
	v_mul_hi_u32 v3, s42, v1
	v_add_u32_e32 v3, v1, v3
	v_lshrrev_b32_e32 v3, s43, v3
	v_mul_lo_u32 v3, v3, s27
	v_sub_u32_e32 v3, v1, v3
	v_mad_u64_u32 v[0:1], s[0:1], v3, s22, v[0:1]
	v_mad_u64_u32 v[2:3], s[0:1], v3, s23, v[2:3]
.LBB77_82:
	s_waitcnt lgkmcnt(0)
	global_load_dwordx2 v[1:2], v2, s[18:19]
	v_add_u32_e32 v7, 0x80, v7
	s_waitcnt vmcnt(0)
	v_lshlrev_b64 v[3:4], v1, s[40:41]
	v_cmp_gt_u64_e32 vcc, 64, v[1:2]
	v_cndmask_b32_e32 v2, 0, v4, vcc
	v_cndmask_b32_e32 v1, 0, v3, vcc
	global_store_dwordx2 v0, v[1:2], s[16:17]
	s_or_b64 exec, exec, s[50:51]
	v_cmp_gt_i32_e32 vcc, s57, v7
	s_and_saveexec_b64 s[50:51], vcc
	s_cbranch_execnz .LBB77_15
.LBB77_83:
	s_or_b64 exec, exec, s[50:51]
	v_cmp_gt_i32_e32 vcc, s57, v7
	s_and_saveexec_b64 s[50:51], vcc
	s_cbranch_execz .LBB77_99
.LBB77_84:
	s_andn2_b64 vcc, exec, s[36:37]
	s_cbranch_vccnz .LBB77_89
; %bb.85:
	s_andn2_b64 vcc, exec, s[48:49]
	s_cbranch_vccnz .LBB77_90
; %bb.86:
	s_add_i32 s60, s58, 1
	s_cmp_eq_u32 s56, 2
	s_cbranch_scc1 .LBB77_102
; %bb.87:
	s_and_b32 s59, s60, 28
	v_mov_b32_e32 v2, 0
	s_mov_b32 s61, 0
	s_mov_b64 s[52:53], s[34:35]
	s_mov_b64 s[54:55], s[46:47]
	v_mov_b32_e32 v0, 0
	v_mov_b32_e32 v1, v7
.LBB77_88:                              ; =>This Inner Loop Header: Depth=1
	s_load_dwordx8 s[8:15], s[52:53], 0x4
	s_load_dwordx4 s[28:31], s[52:53], 0x24
	s_load_dwordx8 s[0:7], s[54:55], 0x0
	s_add_u32 s52, s52, 48
	s_addc_u32 s53, s53, 0
	s_waitcnt lgkmcnt(0)
	v_mul_hi_u32 v3, s9, v1
	s_add_i32 s61, s61, 4
	s_add_u32 s54, s54, 32
	s_addc_u32 s55, s55, 0
	v_add_u32_e32 v3, v1, v3
	v_lshrrev_b32_e32 v3, s10, v3
	v_mul_lo_u32 v4, v3, s8
	v_mul_hi_u32 v5, s12, v3
	s_cmp_eq_u32 s59, s61
	v_sub_u32_e32 v1, v1, v4
	v_add_u32_e32 v4, v3, v5
	v_mul_lo_u32 v5, v1, s0
	v_mul_lo_u32 v6, v1, s1
	v_lshrrev_b32_e32 v1, s13, v4
	v_mul_lo_u32 v4, v1, s11
	v_mul_hi_u32 v8, s15, v1
	v_sub_u32_e32 v3, v3, v4
	v_add_u32_e32 v4, v1, v8
	v_lshrrev_b32_e32 v4, s28, v4
	v_mul_hi_u32 v9, s30, v4
	v_mul_lo_u32 v10, v4, s14
	v_mul_lo_u32 v8, v3, s2
	;; [unrolled: 1-line block ×3, first 2 shown]
	v_sub_u32_e32 v10, v1, v10
	v_add_u32_e32 v1, v4, v9
	v_lshrrev_b32_e32 v1, s31, v1
	v_mul_lo_u32 v9, v1, s29
	v_mul_lo_u32 v11, v10, s4
	;; [unrolled: 1-line block ×3, first 2 shown]
	v_add3_u32 v0, v5, v0, v8
	v_sub_u32_e32 v4, v4, v9
	v_mul_lo_u32 v9, v4, s6
	v_mul_lo_u32 v4, v4, s7
	v_add3_u32 v2, v6, v2, v3
	v_add3_u32 v0, v11, v0, v9
	;; [unrolled: 1-line block ×3, first 2 shown]
	s_cbranch_scc0 .LBB77_88
	s_branch .LBB77_103
.LBB77_89:
                                        ; implicit-def: $vgpr0
                                        ; implicit-def: $vgpr2
	s_branch .LBB77_107
.LBB77_90:
	v_mov_b32_e32 v0, 0
	v_mov_b32_e32 v2, 0
	s_branch .LBB77_106
.LBB77_91:
	s_mov_b32 s59, 0
	v_mov_b32_e32 v0, 0
	v_mov_b32_e32 v2, 0
	;; [unrolled: 1-line block ×3, first 2 shown]
.LBB77_92:
	s_and_b32 s4, s60, 3
	s_cmp_eq_u32 s4, 0
	s_cbranch_scc1 .LBB77_95
; %bb.93:
	s_lshl_b32 s0, s59, 3
	s_add_u32 s0, s34, s0
	s_addc_u32 s1, s35, 0
	s_add_u32 s0, s0, 0xc4
	s_addc_u32 s1, s1, 0
	s_mul_i32 s2, s59, 12
	s_add_u32 s2, s34, s2
	s_addc_u32 s3, s35, 0
.LBB77_94:                              ; =>This Inner Loop Header: Depth=1
	s_load_dwordx2 s[6:7], s[2:3], 0x4
	s_load_dword s5, s[2:3], 0xc
	s_load_dwordx2 s[8:9], s[0:1], 0x0
	s_add_u32 s2, s2, 12
	s_addc_u32 s3, s3, 0
	s_waitcnt lgkmcnt(0)
	v_mul_hi_u32 v3, s7, v1
	s_add_u32 s0, s0, 8
	s_addc_u32 s1, s1, 0
	s_add_i32 s4, s4, -1
	v_add_u32_e32 v3, v1, v3
	v_lshrrev_b32_e32 v4, s5, v3
	v_mul_lo_u32 v3, v4, s6
	s_cmp_lg_u32 s4, 0
	v_sub_u32_e32 v3, v1, v3
	v_mad_u64_u32 v[0:1], s[6:7], v3, s8, v[0:1]
	v_mad_u64_u32 v[2:3], s[6:7], v3, s9, v[2:3]
	v_mov_b32_e32 v1, v4
	s_cbranch_scc1 .LBB77_94
.LBB77_95:
	s_cbranch_execnz .LBB77_98
.LBB77_96:
	s_waitcnt lgkmcnt(0)
	v_mul_hi_u32 v0, s25, v7
	s_andn2_b64 vcc, exec, s[44:45]
	v_add_u32_e32 v0, v7, v0
	v_lshrrev_b32_e32 v1, s26, v0
	v_mul_lo_u32 v0, v1, s24
	v_sub_u32_e32 v2, v7, v0
	v_mul_lo_u32 v0, v2, s20
	v_mul_lo_u32 v2, v2, s21
	s_cbranch_vccnz .LBB77_98
; %bb.97:
	v_mul_hi_u32 v3, s42, v1
	v_add_u32_e32 v3, v1, v3
	v_lshrrev_b32_e32 v3, s43, v3
	v_mul_lo_u32 v3, v3, s27
	v_sub_u32_e32 v3, v1, v3
	v_mad_u64_u32 v[0:1], s[0:1], v3, s22, v[0:1]
	v_mad_u64_u32 v[2:3], s[0:1], v3, s23, v[2:3]
.LBB77_98:
	s_waitcnt lgkmcnt(0)
	global_load_dwordx2 v[1:2], v2, s[18:19]
	v_add_u32_e32 v7, 0x80, v7
	s_waitcnt vmcnt(0)
	v_lshlrev_b64 v[3:4], v1, s[40:41]
	v_cmp_gt_u64_e32 vcc, 64, v[1:2]
	v_cndmask_b32_e32 v2, 0, v4, vcc
	v_cndmask_b32_e32 v1, 0, v3, vcc
	global_store_dwordx2 v0, v[1:2], s[16:17]
	s_or_b64 exec, exec, s[50:51]
	v_cmp_gt_i32_e32 vcc, s57, v7
	s_and_saveexec_b64 s[50:51], vcc
	s_cbranch_execnz .LBB77_84
.LBB77_99:
	s_or_b64 exec, exec, s[50:51]
	v_cmp_gt_i32_e32 vcc, s57, v7
	s_and_saveexec_b64 s[50:51], vcc
	s_cbranch_execnz .LBB77_110
.LBB77_100:
	s_or_b64 exec, exec, s[50:51]
                                        ; implicit-def: $vgpr13
                                        ; implicit-def: $vgpr7
	s_andn2_saveexec_b64 s[0:1], s[38:39]
	s_cbranch_execnz .LBB77_8
.LBB77_101:
	s_endpgm
.LBB77_102:
	s_mov_b32 s59, 0
	v_mov_b32_e32 v0, 0
	v_mov_b32_e32 v2, 0
	;; [unrolled: 1-line block ×3, first 2 shown]
.LBB77_103:
	s_and_b32 s4, s60, 3
	s_cmp_eq_u32 s4, 0
	s_cbranch_scc1 .LBB77_106
; %bb.104:
	s_lshl_b32 s0, s59, 3
	s_add_u32 s0, s34, s0
	s_addc_u32 s1, s35, 0
	s_add_u32 s0, s0, 0xc4
	s_addc_u32 s1, s1, 0
	s_mul_i32 s2, s59, 12
	s_add_u32 s2, s34, s2
	s_addc_u32 s3, s35, 0
.LBB77_105:                             ; =>This Inner Loop Header: Depth=1
	s_load_dwordx2 s[6:7], s[2:3], 0x4
	s_load_dword s5, s[2:3], 0xc
	s_load_dwordx2 s[8:9], s[0:1], 0x0
	s_add_u32 s2, s2, 12
	s_addc_u32 s3, s3, 0
	s_waitcnt lgkmcnt(0)
	v_mul_hi_u32 v3, s7, v1
	s_add_u32 s0, s0, 8
	s_addc_u32 s1, s1, 0
	s_add_i32 s4, s4, -1
	v_add_u32_e32 v3, v1, v3
	v_lshrrev_b32_e32 v4, s5, v3
	v_mul_lo_u32 v3, v4, s6
	s_cmp_lg_u32 s4, 0
	v_sub_u32_e32 v3, v1, v3
	v_mad_u64_u32 v[0:1], s[6:7], v3, s8, v[0:1]
	v_mad_u64_u32 v[2:3], s[6:7], v3, s9, v[2:3]
	v_mov_b32_e32 v1, v4
	s_cbranch_scc1 .LBB77_105
.LBB77_106:
	s_cbranch_execnz .LBB77_109
.LBB77_107:
	s_waitcnt lgkmcnt(0)
	v_mul_hi_u32 v0, s25, v7
	s_andn2_b64 vcc, exec, s[44:45]
	v_add_u32_e32 v0, v7, v0
	v_lshrrev_b32_e32 v1, s26, v0
	v_mul_lo_u32 v0, v1, s24
	v_sub_u32_e32 v2, v7, v0
	v_mul_lo_u32 v0, v2, s20
	v_mul_lo_u32 v2, v2, s21
	s_cbranch_vccnz .LBB77_109
; %bb.108:
	v_mul_hi_u32 v3, s42, v1
	v_add_u32_e32 v3, v1, v3
	v_lshrrev_b32_e32 v3, s43, v3
	v_mul_lo_u32 v3, v3, s27
	v_sub_u32_e32 v3, v1, v3
	v_mad_u64_u32 v[0:1], s[0:1], v3, s22, v[0:1]
	v_mad_u64_u32 v[2:3], s[0:1], v3, s23, v[2:3]
.LBB77_109:
	s_waitcnt lgkmcnt(0)
	global_load_dwordx2 v[1:2], v2, s[18:19]
	v_add_u32_e32 v7, 0x80, v7
	s_waitcnt vmcnt(0)
	v_lshlrev_b64 v[3:4], v1, s[40:41]
	v_cmp_gt_u64_e32 vcc, 64, v[1:2]
	v_cndmask_b32_e32 v2, 0, v4, vcc
	v_cndmask_b32_e32 v1, 0, v3, vcc
	global_store_dwordx2 v0, v[1:2], s[16:17]
	s_or_b64 exec, exec, s[50:51]
	v_cmp_gt_i32_e32 vcc, s57, v7
	s_and_saveexec_b64 s[50:51], vcc
	s_cbranch_execz .LBB77_100
.LBB77_110:
	s_andn2_b64 vcc, exec, s[36:37]
	s_cbranch_vccnz .LBB77_115
; %bb.111:
	s_andn2_b64 vcc, exec, s[48:49]
	s_cbranch_vccnz .LBB77_116
; %bb.112:
	s_add_i32 s58, s58, 1
	s_cmp_eq_u32 s56, 2
	s_cbranch_scc1 .LBB77_117
; %bb.113:
	s_and_b32 s52, s58, 28
	v_mov_b32_e32 v2, 0
	s_mov_b32 s53, 0
	s_mov_b64 s[48:49], s[34:35]
	v_mov_b32_e32 v0, 0
	v_mov_b32_e32 v1, v7
.LBB77_114:                             ; =>This Inner Loop Header: Depth=1
	s_load_dwordx8 s[8:15], s[48:49], 0x4
	s_load_dwordx4 s[28:31], s[48:49], 0x24
	s_load_dwordx8 s[0:7], s[46:47], 0x0
	s_add_u32 s48, s48, 48
	s_addc_u32 s49, s49, 0
	s_waitcnt lgkmcnt(0)
	v_mul_hi_u32 v3, s9, v1
	s_add_i32 s53, s53, 4
	s_add_u32 s46, s46, 32
	s_addc_u32 s47, s47, 0
	v_add_u32_e32 v3, v1, v3
	v_lshrrev_b32_e32 v3, s10, v3
	v_mul_lo_u32 v4, v3, s8
	v_mul_hi_u32 v5, s12, v3
	s_cmp_eq_u32 s52, s53
	v_sub_u32_e32 v1, v1, v4
	v_add_u32_e32 v4, v3, v5
	v_mul_lo_u32 v5, v1, s0
	v_mul_lo_u32 v6, v1, s1
	v_lshrrev_b32_e32 v1, s13, v4
	v_mul_lo_u32 v4, v1, s11
	v_mul_hi_u32 v8, s15, v1
	v_sub_u32_e32 v3, v3, v4
	v_add_u32_e32 v4, v1, v8
	v_lshrrev_b32_e32 v4, s28, v4
	v_mul_hi_u32 v9, s30, v4
	v_mul_lo_u32 v10, v4, s14
	v_mul_lo_u32 v8, v3, s2
	;; [unrolled: 1-line block ×3, first 2 shown]
	v_sub_u32_e32 v10, v1, v10
	v_add_u32_e32 v1, v4, v9
	v_lshrrev_b32_e32 v1, s31, v1
	v_mul_lo_u32 v9, v1, s29
	v_mul_lo_u32 v11, v10, s4
	;; [unrolled: 1-line block ×3, first 2 shown]
	v_add3_u32 v0, v5, v0, v8
	v_sub_u32_e32 v4, v4, v9
	v_mul_lo_u32 v9, v4, s6
	v_mul_lo_u32 v4, v4, s7
	v_add3_u32 v2, v6, v2, v3
	v_add3_u32 v0, v11, v0, v9
	;; [unrolled: 1-line block ×3, first 2 shown]
	s_cbranch_scc0 .LBB77_114
	s_branch .LBB77_118
.LBB77_115:
                                        ; implicit-def: $vgpr0
                                        ; implicit-def: $vgpr2
	s_branch .LBB77_122
.LBB77_116:
	v_mov_b32_e32 v0, 0
	v_mov_b32_e32 v2, 0
	s_branch .LBB77_121
.LBB77_117:
	s_mov_b32 s52, 0
	v_mov_b32_e32 v0, 0
	v_mov_b32_e32 v2, 0
	;; [unrolled: 1-line block ×3, first 2 shown]
.LBB77_118:
	s_and_b32 s4, s58, 3
	s_cmp_eq_u32 s4, 0
	s_cbranch_scc1 .LBB77_121
; %bb.119:
	s_lshl_b32 s0, s52, 3
	s_add_u32 s0, s34, s0
	s_addc_u32 s1, s35, 0
	s_add_u32 s0, s0, 0xc4
	s_addc_u32 s1, s1, 0
	s_mul_i32 s2, s52, 12
	s_add_u32 s2, s34, s2
	s_addc_u32 s3, s35, 0
.LBB77_120:                             ; =>This Inner Loop Header: Depth=1
	s_load_dwordx2 s[6:7], s[2:3], 0x4
	s_load_dword s5, s[2:3], 0xc
	s_load_dwordx2 s[8:9], s[0:1], 0x0
	s_add_u32 s2, s2, 12
	s_addc_u32 s3, s3, 0
	s_waitcnt lgkmcnt(0)
	v_mul_hi_u32 v3, s7, v1
	s_add_u32 s0, s0, 8
	s_addc_u32 s1, s1, 0
	s_add_i32 s4, s4, -1
	v_add_u32_e32 v3, v1, v3
	v_lshrrev_b32_e32 v4, s5, v3
	v_mul_lo_u32 v3, v4, s6
	s_cmp_lg_u32 s4, 0
	v_sub_u32_e32 v3, v1, v3
	v_mad_u64_u32 v[0:1], s[6:7], v3, s8, v[0:1]
	v_mad_u64_u32 v[2:3], s[6:7], v3, s9, v[2:3]
	v_mov_b32_e32 v1, v4
	s_cbranch_scc1 .LBB77_120
.LBB77_121:
	s_cbranch_execnz .LBB77_124
.LBB77_122:
	s_waitcnt lgkmcnt(0)
	v_mul_hi_u32 v0, s25, v7
	s_andn2_b64 vcc, exec, s[44:45]
	v_add_u32_e32 v0, v7, v0
	v_lshrrev_b32_e32 v1, s26, v0
	v_mul_lo_u32 v0, v1, s24
	v_sub_u32_e32 v2, v7, v0
	v_mul_lo_u32 v0, v2, s20
	v_mul_lo_u32 v2, v2, s21
	s_cbranch_vccnz .LBB77_124
; %bb.123:
	v_mul_hi_u32 v3, s42, v1
	v_add_u32_e32 v3, v1, v3
	v_lshrrev_b32_e32 v3, s43, v3
	v_mul_lo_u32 v3, v3, s27
	v_sub_u32_e32 v3, v1, v3
	v_mad_u64_u32 v[0:1], s[0:1], v3, s22, v[0:1]
	v_mad_u64_u32 v[2:3], s[0:1], v3, s23, v[2:3]
.LBB77_124:
	s_waitcnt lgkmcnt(0)
	global_load_dwordx2 v[1:2], v2, s[18:19]
	s_waitcnt vmcnt(0)
	v_lshlrev_b64 v[3:4], v1, s[40:41]
	v_cmp_gt_u64_e32 vcc, 64, v[1:2]
	v_cndmask_b32_e32 v2, 0, v4, vcc
	v_cndmask_b32_e32 v1, 0, v3, vcc
	global_store_dwordx2 v0, v[1:2], s[16:17]
	s_or_b64 exec, exec, s[50:51]
                                        ; implicit-def: $vgpr13
                                        ; implicit-def: $vgpr7
	s_andn2_saveexec_b64 s[0:1], s[38:39]
	s_cbranch_execz .LBB77_101
	s_branch .LBB77_8
	.section	.rodata,"a",@progbits
	.p2align	6, 0x0
	.amdhsa_kernel _ZN2at6native32elementwise_kernel_manual_unrollILi128ELi4EZNS0_22gpu_kernel_impl_nocastINS0_13AUnaryFunctorIlllZZZNS0_18lshift_kernel_cudaERNS_18TensorIteratorBaseEENKUlvE_clEvENKUlvE2_clEvEUlllE_EEEEvS5_RKT_EUlibE_EEviT1_
		.amdhsa_group_segment_fixed_size 0
		.amdhsa_private_segment_fixed_size 0
		.amdhsa_kernarg_size 368
		.amdhsa_user_sgpr_count 6
		.amdhsa_user_sgpr_private_segment_buffer 1
		.amdhsa_user_sgpr_dispatch_ptr 0
		.amdhsa_user_sgpr_queue_ptr 0
		.amdhsa_user_sgpr_kernarg_segment_ptr 1
		.amdhsa_user_sgpr_dispatch_id 0
		.amdhsa_user_sgpr_flat_scratch_init 0
		.amdhsa_user_sgpr_private_segment_size 0
		.amdhsa_uses_dynamic_stack 0
		.amdhsa_system_sgpr_private_segment_wavefront_offset 0
		.amdhsa_system_sgpr_workgroup_id_x 1
		.amdhsa_system_sgpr_workgroup_id_y 0
		.amdhsa_system_sgpr_workgroup_id_z 0
		.amdhsa_system_sgpr_workgroup_info 0
		.amdhsa_system_vgpr_workitem_id 0
		.amdhsa_next_free_vgpr 20
		.amdhsa_next_free_sgpr 62
		.amdhsa_reserve_vcc 1
		.amdhsa_reserve_flat_scratch 0
		.amdhsa_float_round_mode_32 0
		.amdhsa_float_round_mode_16_64 0
		.amdhsa_float_denorm_mode_32 3
		.amdhsa_float_denorm_mode_16_64 3
		.amdhsa_dx10_clamp 1
		.amdhsa_ieee_mode 1
		.amdhsa_fp16_overflow 0
		.amdhsa_exception_fp_ieee_invalid_op 0
		.amdhsa_exception_fp_denorm_src 0
		.amdhsa_exception_fp_ieee_div_zero 0
		.amdhsa_exception_fp_ieee_overflow 0
		.amdhsa_exception_fp_ieee_underflow 0
		.amdhsa_exception_fp_ieee_inexact 0
		.amdhsa_exception_int_div_zero 0
	.end_amdhsa_kernel
	.section	.text._ZN2at6native32elementwise_kernel_manual_unrollILi128ELi4EZNS0_22gpu_kernel_impl_nocastINS0_13AUnaryFunctorIlllZZZNS0_18lshift_kernel_cudaERNS_18TensorIteratorBaseEENKUlvE_clEvENKUlvE2_clEvEUlllE_EEEEvS5_RKT_EUlibE_EEviT1_,"axG",@progbits,_ZN2at6native32elementwise_kernel_manual_unrollILi128ELi4EZNS0_22gpu_kernel_impl_nocastINS0_13AUnaryFunctorIlllZZZNS0_18lshift_kernel_cudaERNS_18TensorIteratorBaseEENKUlvE_clEvENKUlvE2_clEvEUlllE_EEEEvS5_RKT_EUlibE_EEviT1_,comdat
.Lfunc_end77:
	.size	_ZN2at6native32elementwise_kernel_manual_unrollILi128ELi4EZNS0_22gpu_kernel_impl_nocastINS0_13AUnaryFunctorIlllZZZNS0_18lshift_kernel_cudaERNS_18TensorIteratorBaseEENKUlvE_clEvENKUlvE2_clEvEUlllE_EEEEvS5_RKT_EUlibE_EEviT1_, .Lfunc_end77-_ZN2at6native32elementwise_kernel_manual_unrollILi128ELi4EZNS0_22gpu_kernel_impl_nocastINS0_13AUnaryFunctorIlllZZZNS0_18lshift_kernel_cudaERNS_18TensorIteratorBaseEENKUlvE_clEvENKUlvE2_clEvEUlllE_EEEEvS5_RKT_EUlibE_EEviT1_
                                        ; -- End function
	.set _ZN2at6native32elementwise_kernel_manual_unrollILi128ELi4EZNS0_22gpu_kernel_impl_nocastINS0_13AUnaryFunctorIlllZZZNS0_18lshift_kernel_cudaERNS_18TensorIteratorBaseEENKUlvE_clEvENKUlvE2_clEvEUlllE_EEEEvS5_RKT_EUlibE_EEviT1_.num_vgpr, 20
	.set _ZN2at6native32elementwise_kernel_manual_unrollILi128ELi4EZNS0_22gpu_kernel_impl_nocastINS0_13AUnaryFunctorIlllZZZNS0_18lshift_kernel_cudaERNS_18TensorIteratorBaseEENKUlvE_clEvENKUlvE2_clEvEUlllE_EEEEvS5_RKT_EUlibE_EEviT1_.num_agpr, 0
	.set _ZN2at6native32elementwise_kernel_manual_unrollILi128ELi4EZNS0_22gpu_kernel_impl_nocastINS0_13AUnaryFunctorIlllZZZNS0_18lshift_kernel_cudaERNS_18TensorIteratorBaseEENKUlvE_clEvENKUlvE2_clEvEUlllE_EEEEvS5_RKT_EUlibE_EEviT1_.numbered_sgpr, 62
	.set _ZN2at6native32elementwise_kernel_manual_unrollILi128ELi4EZNS0_22gpu_kernel_impl_nocastINS0_13AUnaryFunctorIlllZZZNS0_18lshift_kernel_cudaERNS_18TensorIteratorBaseEENKUlvE_clEvENKUlvE2_clEvEUlllE_EEEEvS5_RKT_EUlibE_EEviT1_.num_named_barrier, 0
	.set _ZN2at6native32elementwise_kernel_manual_unrollILi128ELi4EZNS0_22gpu_kernel_impl_nocastINS0_13AUnaryFunctorIlllZZZNS0_18lshift_kernel_cudaERNS_18TensorIteratorBaseEENKUlvE_clEvENKUlvE2_clEvEUlllE_EEEEvS5_RKT_EUlibE_EEviT1_.private_seg_size, 0
	.set _ZN2at6native32elementwise_kernel_manual_unrollILi128ELi4EZNS0_22gpu_kernel_impl_nocastINS0_13AUnaryFunctorIlllZZZNS0_18lshift_kernel_cudaERNS_18TensorIteratorBaseEENKUlvE_clEvENKUlvE2_clEvEUlllE_EEEEvS5_RKT_EUlibE_EEviT1_.uses_vcc, 1
	.set _ZN2at6native32elementwise_kernel_manual_unrollILi128ELi4EZNS0_22gpu_kernel_impl_nocastINS0_13AUnaryFunctorIlllZZZNS0_18lshift_kernel_cudaERNS_18TensorIteratorBaseEENKUlvE_clEvENKUlvE2_clEvEUlllE_EEEEvS5_RKT_EUlibE_EEviT1_.uses_flat_scratch, 0
	.set _ZN2at6native32elementwise_kernel_manual_unrollILi128ELi4EZNS0_22gpu_kernel_impl_nocastINS0_13AUnaryFunctorIlllZZZNS0_18lshift_kernel_cudaERNS_18TensorIteratorBaseEENKUlvE_clEvENKUlvE2_clEvEUlllE_EEEEvS5_RKT_EUlibE_EEviT1_.has_dyn_sized_stack, 0
	.set _ZN2at6native32elementwise_kernel_manual_unrollILi128ELi4EZNS0_22gpu_kernel_impl_nocastINS0_13AUnaryFunctorIlllZZZNS0_18lshift_kernel_cudaERNS_18TensorIteratorBaseEENKUlvE_clEvENKUlvE2_clEvEUlllE_EEEEvS5_RKT_EUlibE_EEviT1_.has_recursion, 0
	.set _ZN2at6native32elementwise_kernel_manual_unrollILi128ELi4EZNS0_22gpu_kernel_impl_nocastINS0_13AUnaryFunctorIlllZZZNS0_18lshift_kernel_cudaERNS_18TensorIteratorBaseEENKUlvE_clEvENKUlvE2_clEvEUlllE_EEEEvS5_RKT_EUlibE_EEviT1_.has_indirect_call, 0
	.section	.AMDGPU.csdata,"",@progbits
; Kernel info:
; codeLenInByte = 5856
; TotalNumSgprs: 66
; NumVgprs: 20
; ScratchSize: 0
; MemoryBound: 0
; FloatMode: 240
; IeeeMode: 1
; LDSByteSize: 0 bytes/workgroup (compile time only)
; SGPRBlocks: 8
; VGPRBlocks: 4
; NumSGPRsForWavesPerEU: 66
; NumVGPRsForWavesPerEU: 20
; Occupancy: 10
; WaveLimiterHint : 1
; COMPUTE_PGM_RSRC2:SCRATCH_EN: 0
; COMPUTE_PGM_RSRC2:USER_SGPR: 6
; COMPUTE_PGM_RSRC2:TRAP_HANDLER: 0
; COMPUTE_PGM_RSRC2:TGID_X_EN: 1
; COMPUTE_PGM_RSRC2:TGID_Y_EN: 0
; COMPUTE_PGM_RSRC2:TGID_Z_EN: 0
; COMPUTE_PGM_RSRC2:TIDIG_COMP_CNT: 0
	.section	.text._ZN2at6native32elementwise_kernel_manual_unrollILi128ELi4EZNS0_15gpu_kernel_implINS0_13AUnaryFunctorIlllZZZNS0_18lshift_kernel_cudaERNS_18TensorIteratorBaseEENKUlvE_clEvENKUlvE2_clEvEUlllE_EEEEvS5_RKT_EUlibE_EEviT1_,"axG",@progbits,_ZN2at6native32elementwise_kernel_manual_unrollILi128ELi4EZNS0_15gpu_kernel_implINS0_13AUnaryFunctorIlllZZZNS0_18lshift_kernel_cudaERNS_18TensorIteratorBaseEENKUlvE_clEvENKUlvE2_clEvEUlllE_EEEEvS5_RKT_EUlibE_EEviT1_,comdat
	.globl	_ZN2at6native32elementwise_kernel_manual_unrollILi128ELi4EZNS0_15gpu_kernel_implINS0_13AUnaryFunctorIlllZZZNS0_18lshift_kernel_cudaERNS_18TensorIteratorBaseEENKUlvE_clEvENKUlvE2_clEvEUlllE_EEEEvS5_RKT_EUlibE_EEviT1_ ; -- Begin function _ZN2at6native32elementwise_kernel_manual_unrollILi128ELi4EZNS0_15gpu_kernel_implINS0_13AUnaryFunctorIlllZZZNS0_18lshift_kernel_cudaERNS_18TensorIteratorBaseEENKUlvE_clEvENKUlvE2_clEvEUlllE_EEEEvS5_RKT_EUlibE_EEviT1_
	.p2align	8
	.type	_ZN2at6native32elementwise_kernel_manual_unrollILi128ELi4EZNS0_15gpu_kernel_implINS0_13AUnaryFunctorIlllZZZNS0_18lshift_kernel_cudaERNS_18TensorIteratorBaseEENKUlvE_clEvENKUlvE2_clEvEUlllE_EEEEvS5_RKT_EUlibE_EEviT1_,@function
_ZN2at6native32elementwise_kernel_manual_unrollILi128ELi4EZNS0_15gpu_kernel_implINS0_13AUnaryFunctorIlllZZZNS0_18lshift_kernel_cudaERNS_18TensorIteratorBaseEENKUlvE_clEvENKUlvE2_clEvEUlllE_EEEEvS5_RKT_EUlibE_EEviT1_: ; @_ZN2at6native32elementwise_kernel_manual_unrollILi128ELi4EZNS0_15gpu_kernel_implINS0_13AUnaryFunctorIlllZZZNS0_18lshift_kernel_cudaERNS_18TensorIteratorBaseEENKUlvE_clEvENKUlvE2_clEvEUlllE_EEEEvS5_RKT_EUlibE_EEviT1_
; %bb.0:
	s_load_dword s33, s[4:5], 0x30
	s_load_dwordx2 s[12:13], s[4:5], 0x18
	s_load_dwordx2 s[2:3], s[4:5], 0x28
	s_load_dword s40, s[4:5], 0x0
	s_load_dwordx4 s[8:11], s[4:5], 0x8
	v_lshl_or_b32 v10, s6, 9, v0
	v_or_b32_e32 v0, 0x180, v10
	s_waitcnt lgkmcnt(0)
	s_bfe_u32 s44, s33, 0x80008
	v_cmp_le_i32_e32 vcc, s40, v0
	s_mov_b64 s[4:5], 0
	s_mov_b64 s[14:15], 0
	s_and_saveexec_b64 s[0:1], vcc
	s_xor_b64 s[6:7], exec, s[0:1]
	s_cbranch_execz .LBB78_1011
; %bb.1:
	v_cmp_gt_i32_e32 vcc, s40, v10
	s_mov_b64 s[20:21], -1
	s_mov_b64 s[22:23], 0
	s_mov_b64 s[16:17], 0
	s_and_saveexec_b64 s[18:19], vcc
	s_cbranch_execz .LBB78_248
; %bb.2:
	v_mul_lo_u32 v0, v10, s13
	v_mov_b32_e32 v1, s11
	s_and_b32 s20, 0xffff, s44
	s_cmp_lt_i32 s20, 11
	v_ashrrev_i32_e32 v2, 31, v0
	v_add_co_u32_e32 v0, vcc, s10, v0
	v_addc_co_u32_e32 v1, vcc, v1, v2, vcc
	s_cbranch_scc1 .LBB78_9
; %bb.3:
	s_cmp_gt_i32 s20, 25
	s_cbranch_scc0 .LBB78_18
; %bb.4:
	s_cmp_gt_i32 s20, 28
	s_cbranch_scc0 .LBB78_22
	;; [unrolled: 3-line block ×4, first 2 shown]
; %bb.7:
	s_cmp_eq_u32 s20, 46
	s_cbranch_scc0 .LBB78_28
; %bb.8:
	global_load_dword v2, v[0:1], off
	s_mov_b32 s0, 0x2f800000
	s_mov_b32 s1, 0xcf800000
	s_waitcnt vmcnt(0)
	v_lshlrev_b32_e32 v2, 16, v2
	v_trunc_f32_e32 v2, v2
	v_mul_f32_e64 v3, |v2|, s0
	v_floor_f32_e32 v3, v3
	v_fma_f32 v4, v3, s1, |v2|
	v_cvt_u32_f32_e32 v4, v4
	v_cvt_u32_f32_e32 v3, v3
	v_ashrrev_i32_e32 v5, 31, v2
	s_mov_b64 s[0:1], -1
	v_xor_b32_e32 v2, v4, v5
	v_xor_b32_e32 v3, v3, v5
	v_sub_co_u32_e32 v2, vcc, v2, v5
	v_subb_co_u32_e32 v3, vcc, v3, v5, vcc
	s_branch .LBB78_30
.LBB78_9:
                                        ; implicit-def: $vgpr2_vgpr3
	s_mov_b64 s[0:1], 0
	s_cbranch_execnz .LBB78_199
.LBB78_10:
	s_andn2_b64 vcc, exec, s[0:1]
	s_cbranch_vccnz .LBB78_246
.LBB78_11:
	v_mul_lo_u32 v4, v10, s12
	s_waitcnt vmcnt(0)
	v_lshlrev_b64 v[0:1], v2, s[2:3]
	v_cmp_gt_u64_e32 vcc, 64, v[2:3]
	v_mov_b32_e32 v5, s9
	v_cndmask_b32_e32 v1, 0, v1, vcc
	v_cndmask_b32_e32 v0, 0, v0, vcc
	v_ashrrev_i32_e32 v3, 31, v4
	s_and_b32 s26, s33, 0xff
	v_add_co_u32_e32 v2, vcc, s8, v4
	s_cmp_lt_i32 s26, 11
	v_addc_co_u32_e32 v3, vcc, v5, v3, vcc
	s_cbranch_scc1 .LBB78_19
; %bb.12:
	s_and_b32 s27, 0xffff, s26
	s_cmp_gt_i32 s27, 25
	s_cbranch_scc0 .LBB78_23
; %bb.13:
	s_cmp_gt_i32 s27, 28
	s_cbranch_scc0 .LBB78_25
; %bb.14:
	;; [unrolled: 3-line block ×4, first 2 shown]
	s_mov_b64 s[20:21], 0
	s_mov_b64 s[0:1], -1
	s_cmp_eq_u32 s27, 46
	s_mov_b64 s[14:15], 0
	s_cbranch_scc0 .LBB78_34
; %bb.17:
	v_xor_b32_e32 v5, v0, v1
	v_ffbh_i32_e32 v4, v1
	v_ashrrev_i32_e32 v5, 31, v5
	v_add_u32_e32 v4, -1, v4
	v_add_u32_e32 v5, 32, v5
	v_min_u32_e32 v6, v4, v5
	v_lshlrev_b64 v[4:5], v6, v[0:1]
	s_movk_i32 s0, 0x7fff
	v_min_u32_e32 v4, 1, v4
	v_or_b32_e32 v4, v5, v4
	v_cvt_f32_i32_e32 v4, v4
	v_sub_u32_e32 v5, 32, v6
	s_mov_b64 s[14:15], -1
	v_ldexp_f32 v4, v4, v5
	v_bfe_u32 v5, v4, 16, 1
	v_add3_u32 v4, v4, v5, s0
	v_lshrrev_b32_e32 v4, 16, v4
	global_store_dword v[2:3], v4, off
	s_mov_b64 s[0:1], 0
	s_branch .LBB78_34
.LBB78_18:
	s_mov_b64 s[0:1], 0
                                        ; implicit-def: $vgpr2_vgpr3
	s_cbranch_execnz .LBB78_168
	s_branch .LBB78_198
.LBB78_19:
	s_mov_b64 s[0:1], 0
	s_mov_b64 s[14:15], 0
	s_cbranch_execnz .LBB78_103
.LBB78_20:
	s_andn2_b64 vcc, exec, s[14:15]
	s_cbranch_vccnz .LBB78_141
.LBB78_21:
	v_add_u32_e32 v10, 0x80, v10
	s_mov_b64 s[20:21], -1
	s_branch .LBB78_247
.LBB78_22:
	s_mov_b64 s[14:15], -1
	s_mov_b64 s[0:1], 0
                                        ; implicit-def: $vgpr2_vgpr3
	s_branch .LBB78_149
.LBB78_23:
	s_mov_b64 s[20:21], -1
	s_mov_b64 s[0:1], 0
	s_mov_b64 s[14:15], 0
	s_branch .LBB78_61
.LBB78_24:
	s_mov_b64 s[14:15], -1
	s_mov_b64 s[0:1], 0
                                        ; implicit-def: $vgpr2_vgpr3
	s_branch .LBB78_144
.LBB78_25:
	s_mov_b64 s[20:21], -1
	s_mov_b64 s[0:1], 0
	s_mov_b64 s[14:15], 0
	s_branch .LBB78_44
.LBB78_26:
	s_mov_b64 s[14:15], -1
	s_branch .LBB78_29
.LBB78_27:
	s_mov_b64 s[20:21], -1
	s_mov_b64 s[0:1], 0
	s_mov_b64 s[14:15], 0
	s_branch .LBB78_40
.LBB78_28:
	s_mov_b64 s[16:17], -1
.LBB78_29:
	s_mov_b64 s[0:1], 0
                                        ; implicit-def: $vgpr2_vgpr3
.LBB78_30:
	s_and_b64 vcc, exec, s[14:15]
	s_cbranch_vccz .LBB78_143
; %bb.31:
	s_cmp_eq_u32 s20, 44
	s_cbranch_scc0 .LBB78_142
; %bb.32:
	global_load_ubyte v2, v[0:1], off
	s_mov_b32 s0, 0x2f800000
	s_mov_b32 s1, 0xcf800000
	s_mov_b64 s[16:17], 0
	s_waitcnt vmcnt(0)
	v_lshlrev_b32_e32 v3, 23, v2
	v_trunc_f32_e32 v3, v3
	v_mul_f32_e64 v4, |v3|, s0
	v_floor_f32_e32 v4, v4
	v_fma_f32 v5, v4, s1, |v3|
	v_cvt_u32_f32_e32 v5, v5
	v_cvt_u32_f32_e32 v4, v4
	v_ashrrev_i32_e32 v3, 31, v3
	s_mov_b64 s[0:1], -1
	v_xor_b32_e32 v5, v5, v3
	v_xor_b32_e32 v4, v4, v3
	v_sub_co_u32_e32 v5, vcc, v5, v3
	v_subb_co_u32_e32 v3, vcc, v4, v3, vcc
	v_cmp_ne_u32_e32 vcc, 0, v2
	v_cndmask_b32_e32 v3, 0, v3, vcc
	v_cndmask_b32_e32 v2, 0, v5, vcc
	s_branch .LBB78_143
.LBB78_33:
	s_mov_b64 s[20:21], -1
	s_mov_b64 s[0:1], 0
	s_mov_b64 s[14:15], 0
.LBB78_34:
	s_and_b64 vcc, exec, s[20:21]
	s_cbranch_vccz .LBB78_39
; %bb.35:
	s_cmp_eq_u32 s27, 44
	s_mov_b64 s[0:1], -1
	s_cbranch_scc0 .LBB78_39
; %bb.36:
	v_xor_b32_e32 v5, v0, v1
	v_ffbh_i32_e32 v4, v1
	v_ashrrev_i32_e32 v5, 31, v5
	v_add_u32_e32 v4, -1, v4
	v_add_u32_e32 v5, 32, v5
	v_min_u32_e32 v6, v4, v5
	v_lshlrev_b64 v[4:5], v6, v[0:1]
	s_movk_i32 s0, 0xff
	v_min_u32_e32 v4, 1, v4
	v_or_b32_e32 v4, v5, v4
	v_cvt_f32_i32_e32 v4, v4
	v_sub_u32_e32 v5, 32, v6
	v_mov_b32_e32 v6, 0xff
	v_ldexp_f32 v4, v4, v5
	v_bfe_u32 v5, v4, 23, 8
	v_cmp_ne_u32_e32 vcc, s0, v5
	s_and_saveexec_b64 s[14:15], vcc
; %bb.37:
	s_mov_b32 s0, 0x3fffff
	v_lshrrev_b32_e32 v6, 23, v4
	v_and_b32_e32 v7, 0x400000, v4
	v_and_or_b32 v4, v4, s0, v5
	v_cmp_ne_u32_e32 vcc, 0, v7
	v_cmp_ne_u32_e64 s[0:1], 0, v4
	s_and_b64 s[0:1], vcc, s[0:1]
	v_cndmask_b32_e64 v4, 0, 1, s[0:1]
	v_add_u32_e32 v6, v6, v4
; %bb.38:
	s_or_b64 exec, exec, s[14:15]
	s_mov_b64 s[14:15], -1
	s_mov_b64 s[0:1], 0
	global_store_byte v[2:3], v6, off
.LBB78_39:
	s_mov_b64 s[20:21], 0
.LBB78_40:
	s_and_b64 vcc, exec, s[20:21]
	s_cbranch_vccz .LBB78_43
; %bb.41:
	s_cmp_eq_u32 s27, 29
	s_mov_b64 s[0:1], -1
	s_cbranch_scc0 .LBB78_43
; %bb.42:
	global_store_dwordx2 v[2:3], v[0:1], off
	s_mov_b64 s[14:15], -1
	s_mov_b64 s[0:1], 0
.LBB78_43:
	s_mov_b64 s[20:21], 0
.LBB78_44:
	s_and_b64 vcc, exec, s[20:21]
	s_cbranch_vccz .LBB78_60
; %bb.45:
	s_cmp_lt_i32 s27, 27
	s_mov_b64 s[14:15], -1
	s_cbranch_scc1 .LBB78_51
; %bb.46:
	s_cmp_gt_i32 s27, 27
	s_cbranch_scc0 .LBB78_48
; %bb.47:
	s_mov_b64 s[14:15], 0
	global_store_dword v[2:3], v0, off
.LBB78_48:
	s_andn2_b64 vcc, exec, s[14:15]
	s_cbranch_vccnz .LBB78_50
; %bb.49:
	global_store_short v[2:3], v0, off
.LBB78_50:
	s_mov_b64 s[14:15], 0
.LBB78_51:
	s_andn2_b64 vcc, exec, s[14:15]
	s_cbranch_vccnz .LBB78_59
; %bb.52:
	v_xor_b32_e32 v5, v0, v1
	v_ffbh_i32_e32 v4, v1
	v_ashrrev_i32_e32 v5, 31, v5
	v_add_u32_e32 v4, -1, v4
	v_add_u32_e32 v5, 32, v5
	v_min_u32_e32 v6, v4, v5
	v_lshlrev_b64 v[4:5], v6, v[0:1]
	s_mov_b32 s14, 0x43800000
	v_min_u32_e32 v4, 1, v4
	v_or_b32_e32 v4, v5, v4
	v_cvt_f32_i32_e32 v4, v4
	v_sub_u32_e32 v5, 32, v6
	v_mov_b32_e32 v6, 0x80
	v_ldexp_f32 v4, v4, v5
	v_and_b32_e32 v5, 0x7fffffff, v4
	v_cmp_gt_u32_e32 vcc, s14, v5
	s_and_saveexec_b64 s[14:15], vcc
	s_cbranch_execz .LBB78_58
; %bb.53:
	s_mov_b32 s20, 0x3bffffff
	v_cmp_lt_u32_e32 vcc, s20, v5
	s_mov_b64 s[20:21], 0
                                        ; implicit-def: $vgpr5
	s_and_saveexec_b64 s[24:25], vcc
	s_xor_b64 s[24:25], exec, s[24:25]
	s_cbranch_execz .LBB78_275
; %bb.54:
	v_bfe_u32 v5, v4, 20, 1
	s_mov_b32 s28, 0x487ffff
	v_add3_u32 v5, v4, v5, s28
	s_mov_b64 s[20:21], exec
	v_lshrrev_b32_e32 v5, 20, v5
	s_andn2_saveexec_b64 s[24:25], s[24:25]
	s_cbranch_execnz .LBB78_276
.LBB78_55:
	s_or_b64 exec, exec, s[24:25]
	v_mov_b32_e32 v6, 0
	s_and_saveexec_b64 s[24:25], s[20:21]
.LBB78_56:
	v_lshrrev_b32_e32 v4, 24, v4
	s_movk_i32 s20, 0x80
	v_and_or_b32 v6, v4, s20, v5
.LBB78_57:
	s_or_b64 exec, exec, s[24:25]
.LBB78_58:
	s_or_b64 exec, exec, s[14:15]
	global_store_byte v[2:3], v6, off
.LBB78_59:
	s_mov_b64 s[14:15], -1
.LBB78_60:
	s_mov_b64 s[20:21], 0
.LBB78_61:
	s_and_b64 vcc, exec, s[20:21]
	s_cbranch_vccz .LBB78_102
; %bb.62:
	s_cmp_gt_i32 s27, 22
	s_mov_b64 s[20:21], -1
	s_cbranch_scc0 .LBB78_94
; %bb.63:
	s_cmp_lt_i32 s27, 24
	s_mov_b64 s[14:15], -1
	s_cbranch_scc1 .LBB78_83
; %bb.64:
	s_cmp_gt_i32 s27, 24
	s_cbranch_scc0 .LBB78_72
; %bb.65:
	v_xor_b32_e32 v5, v0, v1
	v_ffbh_i32_e32 v4, v1
	v_ashrrev_i32_e32 v5, 31, v5
	v_add_u32_e32 v4, -1, v4
	v_add_u32_e32 v5, 32, v5
	v_min_u32_e32 v6, v4, v5
	v_lshlrev_b64 v[4:5], v6, v[0:1]
	s_mov_b32 s14, 0x47800000
	v_min_u32_e32 v4, 1, v4
	v_or_b32_e32 v4, v5, v4
	v_cvt_f32_i32_e32 v4, v4
	v_sub_u32_e32 v5, 32, v6
	v_mov_b32_e32 v6, 0x80
	v_ldexp_f32 v4, v4, v5
	v_and_b32_e32 v5, 0x7fffffff, v4
	v_cmp_gt_u32_e32 vcc, s14, v5
	s_and_saveexec_b64 s[14:15], vcc
	s_cbranch_execz .LBB78_71
; %bb.66:
	s_mov_b32 s20, 0x37ffffff
	v_cmp_lt_u32_e32 vcc, s20, v5
	s_mov_b64 s[20:21], 0
                                        ; implicit-def: $vgpr5
	s_and_saveexec_b64 s[24:25], vcc
	s_xor_b64 s[24:25], exec, s[24:25]
	s_cbranch_execz .LBB78_279
; %bb.67:
	v_bfe_u32 v5, v4, 21, 1
	s_mov_b32 s28, 0x88fffff
	v_add3_u32 v5, v4, v5, s28
	s_mov_b64 s[20:21], exec
	v_lshrrev_b32_e32 v5, 21, v5
	s_andn2_saveexec_b64 s[24:25], s[24:25]
	s_cbranch_execnz .LBB78_280
.LBB78_68:
	s_or_b64 exec, exec, s[24:25]
	v_mov_b32_e32 v6, 0
	s_and_saveexec_b64 s[24:25], s[20:21]
.LBB78_69:
	v_lshrrev_b32_e32 v4, 24, v4
	s_movk_i32 s20, 0x80
	v_and_or_b32 v6, v4, s20, v5
.LBB78_70:
	s_or_b64 exec, exec, s[24:25]
.LBB78_71:
	s_or_b64 exec, exec, s[14:15]
	s_mov_b64 s[14:15], 0
	global_store_byte v[2:3], v6, off
.LBB78_72:
	s_and_b64 vcc, exec, s[14:15]
	s_cbranch_vccz .LBB78_82
; %bb.73:
	v_xor_b32_e32 v5, v0, v1
	v_ffbh_i32_e32 v4, v1
	v_ashrrev_i32_e32 v5, 31, v5
	v_add_u32_e32 v4, -1, v4
	v_add_u32_e32 v5, 32, v5
	v_min_u32_e32 v6, v4, v5
	v_lshlrev_b64 v[4:5], v6, v[0:1]
	s_mov_b32 s14, 0x43f00000
	v_min_u32_e32 v4, 1, v4
	v_or_b32_e32 v4, v5, v4
	v_cvt_f32_i32_e32 v4, v4
	v_sub_u32_e32 v5, 32, v6
	v_ldexp_f32 v4, v4, v5
	v_and_b32_e32 v6, 0x7fffffff, v4
	v_cmp_gt_u32_e32 vcc, s14, v6
                                        ; implicit-def: $vgpr5
	s_and_saveexec_b64 s[14:15], vcc
	s_xor_b64 s[14:15], exec, s[14:15]
	s_cbranch_execz .LBB78_79
; %bb.74:
	s_mov_b32 s20, 0x3c7fffff
	v_cmp_lt_u32_e32 vcc, s20, v6
                                        ; implicit-def: $vgpr5
	s_and_saveexec_b64 s[20:21], vcc
	s_xor_b64 s[20:21], exec, s[20:21]
; %bb.75:
	v_bfe_u32 v5, v4, 20, 1
	s_mov_b32 s24, 0x407ffff
	v_add3_u32 v5, v4, v5, s24
	v_lshrrev_b32_e32 v6, 20, v5
	v_and_b32_e32 v5, 0xff00000, v5
	s_mov_b32 s24, 0x7f00000
	v_mov_b32_e32 v7, 0x7e
	v_cmp_ne_u32_e32 vcc, s24, v5
	v_cndmask_b32_e32 v5, v7, v6, vcc
; %bb.76:
	s_andn2_saveexec_b64 s[20:21], s[20:21]
; %bb.77:
	s_mov_b32 s24, 0x46800000
	v_add_f32_e64 v5, |v4|, s24
; %bb.78:
	s_or_b64 exec, exec, s[20:21]
                                        ; implicit-def: $vgpr6
.LBB78_79:
	s_andn2_saveexec_b64 s[14:15], s[14:15]
; %bb.80:
	s_mov_b32 s20, 0x7f800000
	v_mov_b32_e32 v5, 0x7e
	v_mov_b32_e32 v7, 0x7f
	v_cmp_lt_u32_e32 vcc, s20, v6
	v_cndmask_b32_e32 v5, v5, v7, vcc
; %bb.81:
	s_or_b64 exec, exec, s[14:15]
	v_lshrrev_b32_e32 v4, 24, v4
	s_movk_i32 s14, 0x80
	v_and_or_b32 v4, v4, s14, v5
	global_store_byte v[2:3], v4, off
.LBB78_82:
	s_mov_b64 s[14:15], 0
.LBB78_83:
	s_andn2_b64 vcc, exec, s[14:15]
	s_cbranch_vccnz .LBB78_93
; %bb.84:
	v_xor_b32_e32 v5, v0, v1
	v_ffbh_i32_e32 v4, v1
	v_ashrrev_i32_e32 v5, 31, v5
	v_add_u32_e32 v4, -1, v4
	v_add_u32_e32 v5, 32, v5
	v_min_u32_e32 v6, v4, v5
	v_lshlrev_b64 v[4:5], v6, v[0:1]
	s_mov_b32 s14, 0x47800000
	v_min_u32_e32 v4, 1, v4
	v_or_b32_e32 v4, v5, v4
	v_cvt_f32_i32_e32 v4, v4
	v_sub_u32_e32 v5, 32, v6
	v_ldexp_f32 v4, v4, v5
	v_and_b32_e32 v6, 0x7fffffff, v4
	v_cmp_gt_u32_e32 vcc, s14, v6
                                        ; implicit-def: $vgpr5
	s_and_saveexec_b64 s[14:15], vcc
	s_xor_b64 s[14:15], exec, s[14:15]
	s_cbranch_execz .LBB78_90
; %bb.85:
	s_mov_b32 s20, 0x387fffff
	v_cmp_lt_u32_e32 vcc, s20, v6
                                        ; implicit-def: $vgpr5
	s_and_saveexec_b64 s[20:21], vcc
	s_xor_b64 s[20:21], exec, s[20:21]
; %bb.86:
	v_bfe_u32 v5, v4, 21, 1
	s_mov_b32 s24, 0x80fffff
	v_add3_u32 v5, v4, v5, s24
	v_lshrrev_b32_e32 v5, 21, v5
; %bb.87:
	s_andn2_saveexec_b64 s[20:21], s[20:21]
; %bb.88:
	s_mov_b32 s24, 0x43000000
	v_add_f32_e64 v5, |v4|, s24
; %bb.89:
	s_or_b64 exec, exec, s[20:21]
                                        ; implicit-def: $vgpr6
.LBB78_90:
	s_andn2_saveexec_b64 s[14:15], s[14:15]
; %bb.91:
	s_mov_b32 s20, 0x7f800000
	v_mov_b32_e32 v5, 0x7c
	v_mov_b32_e32 v7, 0x7f
	v_cmp_lt_u32_e32 vcc, s20, v6
	v_cndmask_b32_e32 v5, v5, v7, vcc
; %bb.92:
	s_or_b64 exec, exec, s[14:15]
	v_lshrrev_b32_e32 v4, 24, v4
	s_movk_i32 s14, 0x80
	v_and_or_b32 v4, v4, s14, v5
	global_store_byte v[2:3], v4, off
.LBB78_93:
	s_mov_b64 s[20:21], 0
	s_mov_b64 s[14:15], -1
.LBB78_94:
	s_andn2_b64 vcc, exec, s[20:21]
	s_cbranch_vccnz .LBB78_102
; %bb.95:
	s_cmp_gt_i32 s27, 14
	s_mov_b64 s[20:21], -1
	s_cbranch_scc0 .LBB78_99
; %bb.96:
	s_cmp_eq_u32 s27, 15
	s_mov_b64 s[0:1], -1
	s_cbranch_scc0 .LBB78_98
; %bb.97:
	v_xor_b32_e32 v5, v0, v1
	v_ffbh_i32_e32 v4, v1
	v_ashrrev_i32_e32 v5, 31, v5
	v_add_u32_e32 v4, -1, v4
	v_add_u32_e32 v5, 32, v5
	v_min_u32_e32 v6, v4, v5
	v_lshlrev_b64 v[4:5], v6, v[0:1]
	s_movk_i32 s0, 0x7fff
	v_min_u32_e32 v4, 1, v4
	v_or_b32_e32 v4, v5, v4
	v_cvt_f32_i32_e32 v4, v4
	v_sub_u32_e32 v5, 32, v6
	s_mov_b64 s[14:15], -1
	v_ldexp_f32 v4, v4, v5
	v_bfe_u32 v5, v4, 16, 1
	v_add3_u32 v4, v4, v5, s0
	global_store_short_d16_hi v[2:3], v4, off
	s_mov_b64 s[0:1], 0
.LBB78_98:
	s_mov_b64 s[20:21], 0
.LBB78_99:
	s_and_b64 vcc, exec, s[20:21]
	s_cbranch_vccz .LBB78_102
; %bb.100:
	s_cmp_eq_u32 s27, 11
	s_mov_b64 s[0:1], -1
	s_cbranch_scc0 .LBB78_102
; %bb.101:
	v_cmp_ne_u64_e32 vcc, 0, v[0:1]
	s_mov_b64 s[0:1], 0
	v_cndmask_b32_e64 v4, 0, 1, vcc
	s_mov_b64 s[14:15], -1
	global_store_byte v[2:3], v4, off
.LBB78_102:
	s_branch .LBB78_20
.LBB78_103:
	s_and_b32 s20, 0xffff, s26
	s_cmp_lt_i32 s20, 5
	s_mov_b64 s[14:15], -1
	s_cbranch_scc1 .LBB78_124
; %bb.104:
	s_cmp_lt_i32 s20, 8
	s_cbranch_scc1 .LBB78_114
; %bb.105:
	s_cmp_lt_i32 s20, 9
	s_cbranch_scc1 .LBB78_111
; %bb.106:
	s_cmp_gt_i32 s20, 9
	s_cbranch_scc0 .LBB78_108
; %bb.107:
	v_cvt_f64_i32_e32 v[4:5], v1
	v_cvt_f64_u32_e32 v[6:7], v0
	s_mov_b64 s[14:15], 0
	v_ldexp_f64 v[4:5], v[4:5], 32
	v_add_f64 v[4:5], v[4:5], v[6:7]
	v_mov_b32_e32 v6, 0
	v_mov_b32_e32 v7, v6
	global_store_dwordx4 v[2:3], v[4:7], off
.LBB78_108:
	s_andn2_b64 vcc, exec, s[14:15]
	s_cbranch_vccnz .LBB78_110
; %bb.109:
	v_xor_b32_e32 v5, v0, v1
	v_ffbh_i32_e32 v4, v1
	v_ashrrev_i32_e32 v5, 31, v5
	v_add_u32_e32 v4, -1, v4
	v_add_u32_e32 v5, 32, v5
	v_min_u32_e32 v6, v4, v5
	v_lshlrev_b64 v[4:5], v6, v[0:1]
	v_min_u32_e32 v4, 1, v4
	v_or_b32_e32 v4, v5, v4
	v_cvt_f32_i32_e32 v4, v4
	v_sub_u32_e32 v5, 32, v6
	v_ldexp_f32 v4, v4, v5
	v_mov_b32_e32 v5, 0
	global_store_dwordx2 v[2:3], v[4:5], off
.LBB78_110:
	s_mov_b64 s[14:15], 0
.LBB78_111:
	s_andn2_b64 vcc, exec, s[14:15]
	s_cbranch_vccnz .LBB78_113
; %bb.112:
	v_xor_b32_e32 v5, v0, v1
	v_ffbh_i32_e32 v4, v1
	v_ashrrev_i32_e32 v5, 31, v5
	v_add_u32_e32 v4, -1, v4
	v_add_u32_e32 v5, 32, v5
	v_min_u32_e32 v6, v4, v5
	v_lshlrev_b64 v[4:5], v6, v[0:1]
	v_min_u32_e32 v4, 1, v4
	v_or_b32_e32 v4, v5, v4
	v_cvt_f32_i32_e32 v4, v4
	v_sub_u32_e32 v5, 32, v6
	v_ldexp_f32 v4, v4, v5
	v_cvt_f16_f32_e32 v4, v4
	global_store_dword v[2:3], v4, off
.LBB78_113:
	s_mov_b64 s[14:15], 0
.LBB78_114:
	s_andn2_b64 vcc, exec, s[14:15]
	s_cbranch_vccnz .LBB78_123
; %bb.115:
	s_cmp_lt_i32 s20, 6
	s_mov_b64 s[14:15], -1
	s_cbranch_scc1 .LBB78_121
; %bb.116:
	s_cmp_gt_i32 s20, 6
	s_cbranch_scc0 .LBB78_118
; %bb.117:
	v_cvt_f64_i32_e32 v[4:5], v1
	v_cvt_f64_u32_e32 v[6:7], v0
	s_mov_b64 s[14:15], 0
	v_ldexp_f64 v[4:5], v[4:5], 32
	v_add_f64 v[4:5], v[4:5], v[6:7]
	global_store_dwordx2 v[2:3], v[4:5], off
.LBB78_118:
	s_andn2_b64 vcc, exec, s[14:15]
	s_cbranch_vccnz .LBB78_120
; %bb.119:
	v_xor_b32_e32 v5, v0, v1
	v_ffbh_i32_e32 v4, v1
	v_ashrrev_i32_e32 v5, 31, v5
	v_add_u32_e32 v4, -1, v4
	v_add_u32_e32 v5, 32, v5
	v_min_u32_e32 v6, v4, v5
	v_lshlrev_b64 v[4:5], v6, v[0:1]
	v_min_u32_e32 v4, 1, v4
	v_or_b32_e32 v4, v5, v4
	v_cvt_f32_i32_e32 v4, v4
	v_sub_u32_e32 v5, 32, v6
	v_ldexp_f32 v4, v4, v5
	global_store_dword v[2:3], v4, off
.LBB78_120:
	s_mov_b64 s[14:15], 0
.LBB78_121:
	s_andn2_b64 vcc, exec, s[14:15]
	s_cbranch_vccnz .LBB78_123
; %bb.122:
	v_xor_b32_e32 v5, v0, v1
	v_ffbh_i32_e32 v4, v1
	v_ashrrev_i32_e32 v5, 31, v5
	v_add_u32_e32 v4, -1, v4
	v_add_u32_e32 v5, 32, v5
	v_min_u32_e32 v6, v4, v5
	v_lshlrev_b64 v[4:5], v6, v[0:1]
	v_min_u32_e32 v4, 1, v4
	v_or_b32_e32 v4, v5, v4
	v_cvt_f32_i32_e32 v4, v4
	v_sub_u32_e32 v5, 32, v6
	v_ldexp_f32 v4, v4, v5
	v_cvt_f16_f32_e32 v4, v4
	global_store_short v[2:3], v4, off
.LBB78_123:
	s_mov_b64 s[14:15], 0
.LBB78_124:
	s_andn2_b64 vcc, exec, s[14:15]
	s_cbranch_vccnz .LBB78_140
; %bb.125:
	s_cmp_lt_i32 s20, 2
	s_mov_b64 s[14:15], -1
	s_cbranch_scc1 .LBB78_135
; %bb.126:
	s_cmp_lt_i32 s20, 3
	s_cbranch_scc1 .LBB78_132
; %bb.127:
	s_cmp_gt_i32 s20, 3
	s_cbranch_scc0 .LBB78_129
; %bb.128:
	global_store_dwordx2 v[2:3], v[0:1], off
	s_mov_b64 s[14:15], 0
.LBB78_129:
	s_andn2_b64 vcc, exec, s[14:15]
	s_cbranch_vccnz .LBB78_131
; %bb.130:
	global_store_dword v[2:3], v0, off
.LBB78_131:
	s_mov_b64 s[14:15], 0
.LBB78_132:
	s_andn2_b64 vcc, exec, s[14:15]
	s_cbranch_vccnz .LBB78_134
; %bb.133:
	global_store_short v[2:3], v0, off
.LBB78_134:
	s_mov_b64 s[14:15], 0
.LBB78_135:
	s_andn2_b64 vcc, exec, s[14:15]
	s_cbranch_vccnz .LBB78_140
; %bb.136:
	s_cmp_gt_i32 s20, 0
	s_mov_b64 s[14:15], -1
	s_cbranch_scc0 .LBB78_138
; %bb.137:
	global_store_byte v[2:3], v0, off
	s_mov_b64 s[14:15], 0
.LBB78_138:
	s_andn2_b64 vcc, exec, s[14:15]
	s_cbranch_vccnz .LBB78_140
; %bb.139:
	global_store_byte v[2:3], v0, off
.LBB78_140:
	s_branch .LBB78_21
.LBB78_141:
	s_mov_b64 s[20:21], 0
                                        ; implicit-def: $vgpr10
	s_branch .LBB78_247
.LBB78_142:
	s_mov_b64 s[16:17], -1
                                        ; implicit-def: $vgpr2_vgpr3
.LBB78_143:
	s_mov_b64 s[14:15], 0
.LBB78_144:
	s_and_b64 vcc, exec, s[14:15]
	s_cbranch_vccz .LBB78_148
; %bb.145:
	s_cmp_eq_u32 s20, 29
	s_cbranch_scc0 .LBB78_147
; %bb.146:
	global_load_dwordx2 v[2:3], v[0:1], off
	s_mov_b64 s[0:1], -1
	s_mov_b64 s[16:17], 0
	s_branch .LBB78_148
.LBB78_147:
	s_mov_b64 s[16:17], -1
                                        ; implicit-def: $vgpr2_vgpr3
.LBB78_148:
	s_mov_b64 s[14:15], 0
.LBB78_149:
	s_and_b64 vcc, exec, s[14:15]
	s_cbranch_vccz .LBB78_167
; %bb.150:
	s_cmp_lt_i32 s20, 27
	s_cbranch_scc1 .LBB78_153
; %bb.151:
	s_cmp_gt_i32 s20, 27
	s_cbranch_scc0 .LBB78_154
; %bb.152:
	global_load_dword v2, v[0:1], off
	s_waitcnt vmcnt(1)
	v_mov_b32_e32 v3, 0
	s_mov_b64 s[0:1], 0
	s_branch .LBB78_155
.LBB78_153:
	s_mov_b64 s[0:1], -1
                                        ; implicit-def: $vgpr2_vgpr3
	s_branch .LBB78_158
.LBB78_154:
	s_mov_b64 s[0:1], -1
                                        ; implicit-def: $vgpr2_vgpr3
.LBB78_155:
	s_andn2_b64 vcc, exec, s[0:1]
	s_cbranch_vccnz .LBB78_157
; %bb.156:
	global_load_ushort v2, v[0:1], off
	s_mov_b32 s0, 0
	s_waitcnt vmcnt(1)
	v_mov_b32_e32 v3, s0
	s_waitcnt vmcnt(0)
	v_and_b32_e32 v2, 0xffff, v2
.LBB78_157:
	s_mov_b64 s[0:1], 0
.LBB78_158:
	s_andn2_b64 vcc, exec, s[0:1]
	s_cbranch_vccnz .LBB78_166
; %bb.159:
	global_load_ubyte v4, v[0:1], off
	s_movk_i32 s0, 0x7f
	s_mov_b64 s[14:15], 0
	s_waitcnt vmcnt(0)
	v_cmp_lt_i16_e32 vcc, s0, v4
	s_and_saveexec_b64 s[0:1], vcc
	s_xor_b64 s[0:1], exec, s[0:1]
; %bb.160:
	s_movk_i32 s14, 0x80
	v_cmp_ne_u16_e32 vcc, s14, v4
	s_and_b64 s[14:15], vcc, exec
; %bb.161:
	s_andn2_saveexec_b64 s[0:1], s[0:1]
; %bb.162:
	v_cmp_ne_u16_e32 vcc, 0, v4
	s_andn2_b64 s[14:15], s[14:15], exec
	s_and_b64 s[24:25], vcc, exec
	s_or_b64 s[14:15], s[14:15], s[24:25]
; %bb.163:
	s_or_b64 exec, exec, s[0:1]
	v_mov_b32_e32 v2, 0
	v_mov_b32_e32 v3, 0
	s_and_saveexec_b64 s[0:1], s[14:15]
	s_cbranch_execz .LBB78_165
; %bb.164:
	v_and_b32_e32 v3, 0xffff, v4
	v_lshlrev_b32_e32 v2, 24, v4
	v_and_b32_e32 v4, 7, v3
	v_ffbh_u32_e32 v6, v4
	v_min_u32_e32 v6, 32, v6
	v_subrev_u32_e32 v7, 28, v6
	v_bfe_u32 v5, v3, 3, 4
	v_lshlrev_b32_e32 v3, v7, v3
	v_sub_u32_e32 v6, 29, v6
	v_and_b32_e32 v3, 7, v3
	v_cmp_eq_u32_e32 vcc, 0, v5
	v_cndmask_b32_e32 v5, v5, v6, vcc
	v_cndmask_b32_e32 v3, v4, v3, vcc
	v_mov_b32_e32 v4, 0x3b800000
	v_lshlrev_b32_e32 v3, 20, v3
	v_and_b32_e32 v2, 0x80000000, v2
	v_lshl_add_u32 v4, v5, 23, v4
	v_or3_b32 v2, v2, v4, v3
	v_trunc_f32_e32 v2, v2
	s_mov_b32 s14, 0x2f800000
	v_mul_f32_e64 v3, |v2|, s14
	v_floor_f32_e32 v3, v3
	s_mov_b32 s14, 0xcf800000
	v_fma_f32 v4, v3, s14, |v2|
	v_cvt_u32_f32_e32 v4, v4
	v_cvt_u32_f32_e32 v3, v3
	v_ashrrev_i32_e32 v5, 31, v2
	v_xor_b32_e32 v2, v4, v5
	v_xor_b32_e32 v3, v3, v5
	v_sub_co_u32_e32 v2, vcc, v2, v5
	v_subb_co_u32_e32 v3, vcc, v3, v5, vcc
.LBB78_165:
	s_or_b64 exec, exec, s[0:1]
.LBB78_166:
	s_mov_b64 s[0:1], -1
.LBB78_167:
	s_branch .LBB78_198
.LBB78_168:
	s_cmp_gt_i32 s20, 22
	s_cbranch_scc0 .LBB78_178
; %bb.169:
	s_cmp_lt_i32 s20, 24
	s_cbranch_scc1 .LBB78_179
; %bb.170:
	s_cmp_gt_i32 s20, 24
	s_cbranch_scc0 .LBB78_180
; %bb.171:
	global_load_ubyte v4, v[0:1], off
	s_movk_i32 s0, 0x7f
	s_mov_b64 s[14:15], 0
	s_waitcnt vmcnt(0)
	v_cmp_lt_i16_e32 vcc, s0, v4
	s_and_saveexec_b64 s[0:1], vcc
	s_xor_b64 s[0:1], exec, s[0:1]
; %bb.172:
	s_movk_i32 s14, 0x80
	v_cmp_ne_u16_e32 vcc, s14, v4
	s_and_b64 s[14:15], vcc, exec
; %bb.173:
	s_andn2_saveexec_b64 s[0:1], s[0:1]
; %bb.174:
	v_cmp_ne_u16_e32 vcc, 0, v4
	s_andn2_b64 s[14:15], s[14:15], exec
	s_and_b64 s[24:25], vcc, exec
	s_or_b64 s[14:15], s[14:15], s[24:25]
; %bb.175:
	s_or_b64 exec, exec, s[0:1]
	v_mov_b32_e32 v2, 0
	v_mov_b32_e32 v3, 0
	s_and_saveexec_b64 s[0:1], s[14:15]
	s_cbranch_execz .LBB78_177
; %bb.176:
	v_and_b32_e32 v3, 0xffff, v4
	v_lshlrev_b32_e32 v2, 24, v4
	v_and_b32_e32 v4, 3, v3
	v_ffbh_u32_e32 v6, v4
	v_min_u32_e32 v6, 32, v6
	v_subrev_u32_e32 v7, 29, v6
	v_bfe_u32 v5, v3, 2, 5
	v_lshlrev_b32_e32 v3, v7, v3
	v_sub_u32_e32 v6, 30, v6
	v_and_b32_e32 v3, 3, v3
	v_cmp_eq_u32_e32 vcc, 0, v5
	v_cndmask_b32_e32 v5, v5, v6, vcc
	v_cndmask_b32_e32 v3, v4, v3, vcc
	v_mov_b32_e32 v4, 0x37800000
	v_lshlrev_b32_e32 v3, 21, v3
	v_and_b32_e32 v2, 0x80000000, v2
	v_lshl_add_u32 v4, v5, 23, v4
	v_or3_b32 v2, v2, v4, v3
	v_trunc_f32_e32 v2, v2
	s_mov_b32 s14, 0x2f800000
	v_mul_f32_e64 v3, |v2|, s14
	v_floor_f32_e32 v3, v3
	s_mov_b32 s14, 0xcf800000
	v_fma_f32 v4, v3, s14, |v2|
	v_cvt_u32_f32_e32 v4, v4
	v_cvt_u32_f32_e32 v3, v3
	v_ashrrev_i32_e32 v5, 31, v2
	v_xor_b32_e32 v2, v4, v5
	v_xor_b32_e32 v3, v3, v5
	v_sub_co_u32_e32 v2, vcc, v2, v5
	v_subb_co_u32_e32 v3, vcc, v3, v5, vcc
.LBB78_177:
	s_or_b64 exec, exec, s[0:1]
	s_mov_b64 s[0:1], 0
	s_branch .LBB78_181
.LBB78_178:
	s_mov_b64 s[14:15], -1
                                        ; implicit-def: $vgpr2_vgpr3
	s_branch .LBB78_187
.LBB78_179:
	s_mov_b64 s[0:1], -1
                                        ; implicit-def: $vgpr2_vgpr3
	s_branch .LBB78_184
.LBB78_180:
	s_mov_b64 s[0:1], -1
                                        ; implicit-def: $vgpr2_vgpr3
.LBB78_181:
	s_and_b64 vcc, exec, s[0:1]
	s_cbranch_vccz .LBB78_183
; %bb.182:
	global_load_ubyte v2, v[0:1], off
	s_mov_b32 s0, 0x7f800000
	s_brev_b32 s1, 1
	s_mov_b32 s14, 0x2f800000
	s_mov_b32 s15, 0xcf800000
	s_waitcnt vmcnt(0)
	v_lshlrev_b32_e32 v2, 24, v2
	v_and_b32_e32 v3, 0x7f000000, v2
	v_ffbh_u32_e32 v4, v3
	v_min_u32_e32 v4, 32, v4
	v_sub_u32_e64 v4, v4, 4 clamp
	v_lshlrev_b32_e32 v6, v4, v3
	v_lshlrev_b32_e32 v4, 23, v4
	v_lshrrev_b32_e32 v6, 4, v6
	v_add_u32_e32 v5, 0x1000000, v3
	v_sub_u32_e32 v4, v6, v4
	v_ashrrev_i32_e32 v5, 8, v5
	v_add_u32_e32 v4, 0x3c000000, v4
	v_and_or_b32 v4, v5, s0, v4
	v_cmp_ne_u32_e32 vcc, 0, v3
	v_cndmask_b32_e32 v3, 0, v4, vcc
	v_and_or_b32 v2, v2, s1, v3
	v_trunc_f32_e32 v2, v2
	v_mul_f32_e64 v3, |v2|, s14
	v_floor_f32_e32 v3, v3
	v_fma_f32 v4, v3, s15, |v2|
	v_cvt_u32_f32_e32 v4, v4
	v_cvt_u32_f32_e32 v3, v3
	v_ashrrev_i32_e32 v5, 31, v2
	v_xor_b32_e32 v2, v4, v5
	v_xor_b32_e32 v3, v3, v5
	v_sub_co_u32_e32 v2, vcc, v2, v5
	v_subb_co_u32_e32 v3, vcc, v3, v5, vcc
.LBB78_183:
	s_mov_b64 s[0:1], 0
.LBB78_184:
	s_andn2_b64 vcc, exec, s[0:1]
	s_cbranch_vccnz .LBB78_186
; %bb.185:
	global_load_ubyte v2, v[0:1], off
	s_movk_i32 s0, 0x7f00
	s_brev_b32 s1, 16
	s_brev_b32 s14, 1
	s_mov_b32 s15, 0x2f800000
	s_mov_b32 s21, 0xcf800000
	s_waitcnt vmcnt(0)
	v_lshlrev_b16_e32 v3, 8, v2
	v_lshlrev_b32_e32 v2, 25, v2
	v_lshrrev_b32_e32 v4, 4, v2
	v_and_or_b32 v5, v3, s0, 0.5
	v_or_b32_e32 v4, 0x70000000, v4
	v_add_f32_e32 v5, -0.5, v5
	v_mul_f32_e32 v4, 0x7800000, v4
	v_cmp_gt_u32_e32 vcc, s1, v2
	v_bfe_i32 v3, v3, 0, 16
	v_cndmask_b32_e32 v2, v4, v5, vcc
	v_and_or_b32 v2, v3, s14, v2
	v_trunc_f32_e32 v2, v2
	v_mul_f32_e64 v3, |v2|, s15
	v_floor_f32_e32 v3, v3
	v_fma_f32 v4, v3, s21, |v2|
	v_cvt_u32_f32_e32 v4, v4
	v_cvt_u32_f32_e32 v3, v3
	v_ashrrev_i32_e32 v5, 31, v2
	v_xor_b32_e32 v2, v4, v5
	v_xor_b32_e32 v3, v3, v5
	v_sub_co_u32_e32 v2, vcc, v2, v5
	v_subb_co_u32_e32 v3, vcc, v3, v5, vcc
.LBB78_186:
	s_mov_b64 s[14:15], 0
	s_mov_b64 s[0:1], -1
.LBB78_187:
	s_andn2_b64 vcc, exec, s[14:15]
	s_cbranch_vccnz .LBB78_198
; %bb.188:
	s_cmp_gt_i32 s20, 14
	s_cbranch_scc0 .LBB78_191
; %bb.189:
	s_cmp_eq_u32 s20, 15
	s_cbranch_scc0 .LBB78_192
; %bb.190:
	global_load_ushort v2, v[0:1], off
	s_mov_b32 s0, 0x2f800000
	s_mov_b32 s1, 0xcf800000
	s_mov_b64 s[16:17], 0
	s_waitcnt vmcnt(0)
	v_lshlrev_b32_e32 v2, 16, v2
	v_trunc_f32_e32 v2, v2
	v_mul_f32_e64 v3, |v2|, s0
	v_floor_f32_e32 v3, v3
	v_fma_f32 v4, v3, s1, |v2|
	v_cvt_u32_f32_e32 v4, v4
	v_cvt_u32_f32_e32 v3, v3
	v_ashrrev_i32_e32 v5, 31, v2
	s_mov_b64 s[0:1], -1
	v_xor_b32_e32 v2, v4, v5
	v_xor_b32_e32 v3, v3, v5
	v_sub_co_u32_e32 v2, vcc, v2, v5
	v_subb_co_u32_e32 v3, vcc, v3, v5, vcc
	s_branch .LBB78_193
.LBB78_191:
	s_mov_b64 s[14:15], -1
                                        ; implicit-def: $vgpr2_vgpr3
	s_branch .LBB78_194
.LBB78_192:
	s_mov_b64 s[16:17], -1
                                        ; implicit-def: $vgpr2_vgpr3
.LBB78_193:
	s_mov_b64 s[14:15], 0
.LBB78_194:
	s_and_b64 vcc, exec, s[14:15]
	s_cbranch_vccz .LBB78_198
; %bb.195:
	s_cmp_eq_u32 s20, 11
	s_cbranch_scc0 .LBB78_197
; %bb.196:
	global_load_ubyte v2, v[0:1], off
	s_mov_b32 s14, 0
	s_mov_b64 s[0:1], -1
	s_waitcnt vmcnt(1)
	v_mov_b32_e32 v3, s14
	s_mov_b64 s[16:17], 0
	s_waitcnt vmcnt(0)
	v_cmp_ne_u16_e32 vcc, 0, v2
	v_cndmask_b32_e64 v2, 0, 1, vcc
	s_branch .LBB78_198
.LBB78_197:
	s_mov_b64 s[16:17], -1
                                        ; implicit-def: $vgpr2_vgpr3
.LBB78_198:
	s_branch .LBB78_10
.LBB78_199:
	s_cmp_lt_i32 s20, 5
	s_cbranch_scc1 .LBB78_204
; %bb.200:
	s_cmp_lt_i32 s20, 8
	s_cbranch_scc1 .LBB78_205
; %bb.201:
	;; [unrolled: 3-line block ×3, first 2 shown]
	s_cmp_gt_i32 s20, 9
	s_cbranch_scc0 .LBB78_207
; %bb.203:
	global_load_dwordx2 v[2:3], v[0:1], off
	s_movk_i32 s0, 0xffe0
	s_waitcnt vmcnt(0)
	v_trunc_f64_e32 v[2:3], v[2:3]
	v_ldexp_f64 v[4:5], v[2:3], s0
	s_mov_b32 s0, 0
	s_mov_b32 s1, 0xc1f00000
	v_floor_f64_e32 v[4:5], v[4:5]
	v_fma_f64 v[6:7], v[4:5], s[0:1], v[2:3]
	v_cvt_i32_f64_e32 v3, v[4:5]
	s_mov_b64 s[0:1], 0
	v_cvt_u32_f64_e32 v2, v[6:7]
	s_branch .LBB78_208
.LBB78_204:
                                        ; implicit-def: $vgpr2_vgpr3
	s_branch .LBB78_226
.LBB78_205:
	s_mov_b64 s[0:1], -1
                                        ; implicit-def: $vgpr2_vgpr3
	s_branch .LBB78_214
.LBB78_206:
	s_mov_b64 s[0:1], -1
                                        ; implicit-def: $vgpr2_vgpr3
	s_branch .LBB78_211
.LBB78_207:
	s_mov_b64 s[0:1], -1
                                        ; implicit-def: $vgpr2_vgpr3
.LBB78_208:
	s_andn2_b64 vcc, exec, s[0:1]
	s_cbranch_vccnz .LBB78_210
; %bb.209:
	global_load_dword v2, v[0:1], off
	s_mov_b32 s0, 0x2f800000
	s_mov_b32 s1, 0xcf800000
	s_waitcnt vmcnt(0)
	v_trunc_f32_e32 v2, v2
	v_mul_f32_e64 v3, |v2|, s0
	v_floor_f32_e32 v3, v3
	v_cvt_u32_f32_e32 v4, v3
	v_fma_f32 v3, v3, s1, |v2|
	v_cvt_u32_f32_e32 v3, v3
	v_ashrrev_i32_e32 v5, 31, v2
	v_xor_b32_e32 v4, v4, v5
	v_xor_b32_e32 v2, v3, v5
	v_sub_co_u32_e32 v2, vcc, v2, v5
	v_subb_co_u32_e32 v3, vcc, v4, v5, vcc
.LBB78_210:
	s_mov_b64 s[0:1], 0
.LBB78_211:
	s_andn2_b64 vcc, exec, s[0:1]
	s_cbranch_vccnz .LBB78_213
; %bb.212:
	global_load_dword v2, v[0:1], off
	s_waitcnt vmcnt(0)
	v_cvt_f32_f16_e32 v2, v2
	v_cvt_i32_f32_e32 v2, v2
	v_ashrrev_i32_e32 v3, 31, v2
.LBB78_213:
	s_mov_b64 s[0:1], 0
.LBB78_214:
	s_andn2_b64 vcc, exec, s[0:1]
	s_cbranch_vccnz .LBB78_225
; %bb.215:
	s_cmp_lt_i32 s20, 6
	s_cbranch_scc1 .LBB78_218
; %bb.216:
	s_cmp_gt_i32 s20, 6
	s_cbranch_scc0 .LBB78_219
; %bb.217:
	global_load_dwordx2 v[2:3], v[0:1], off
	s_movk_i32 s0, 0xffe0
	s_waitcnt vmcnt(0)
	v_trunc_f64_e32 v[2:3], v[2:3]
	v_ldexp_f64 v[4:5], v[2:3], s0
	s_mov_b32 s0, 0
	s_mov_b32 s1, 0xc1f00000
	v_floor_f64_e32 v[4:5], v[4:5]
	v_fma_f64 v[6:7], v[4:5], s[0:1], v[2:3]
	v_cvt_i32_f64_e32 v3, v[4:5]
	s_mov_b64 s[0:1], 0
	v_cvt_u32_f64_e32 v2, v[6:7]
	s_branch .LBB78_220
.LBB78_218:
	s_mov_b64 s[0:1], -1
                                        ; implicit-def: $vgpr2_vgpr3
	s_branch .LBB78_223
.LBB78_219:
	s_mov_b64 s[0:1], -1
                                        ; implicit-def: $vgpr2_vgpr3
.LBB78_220:
	s_andn2_b64 vcc, exec, s[0:1]
	s_cbranch_vccnz .LBB78_222
; %bb.221:
	global_load_dword v2, v[0:1], off
	s_mov_b32 s0, 0x2f800000
	s_mov_b32 s1, 0xcf800000
	s_waitcnt vmcnt(0)
	v_trunc_f32_e32 v2, v2
	v_mul_f32_e64 v3, |v2|, s0
	v_floor_f32_e32 v3, v3
	v_cvt_u32_f32_e32 v4, v3
	v_fma_f32 v3, v3, s1, |v2|
	v_cvt_u32_f32_e32 v3, v3
	v_ashrrev_i32_e32 v5, 31, v2
	v_xor_b32_e32 v4, v4, v5
	v_xor_b32_e32 v2, v3, v5
	v_sub_co_u32_e32 v2, vcc, v2, v5
	v_subb_co_u32_e32 v3, vcc, v4, v5, vcc
.LBB78_222:
	s_mov_b64 s[0:1], 0
.LBB78_223:
	s_andn2_b64 vcc, exec, s[0:1]
	s_cbranch_vccnz .LBB78_225
; %bb.224:
	global_load_ushort v2, v[0:1], off
	s_waitcnt vmcnt(0)
	v_cvt_f32_f16_e32 v2, v2
	v_cvt_i32_f32_e32 v2, v2
	v_ashrrev_i32_e32 v3, 31, v2
.LBB78_225:
	s_cbranch_execnz .LBB78_245
.LBB78_226:
	s_cmp_lt_i32 s20, 2
	s_cbranch_scc1 .LBB78_230
; %bb.227:
	s_cmp_lt_i32 s20, 3
	s_cbranch_scc1 .LBB78_231
; %bb.228:
	s_cmp_gt_i32 s20, 3
	s_cbranch_scc0 .LBB78_232
; %bb.229:
	global_load_dwordx2 v[2:3], v[0:1], off
	s_mov_b64 s[0:1], 0
	s_branch .LBB78_233
.LBB78_230:
	s_mov_b64 s[0:1], -1
                                        ; implicit-def: $vgpr2_vgpr3
	s_branch .LBB78_239
.LBB78_231:
	s_mov_b64 s[0:1], -1
                                        ; implicit-def: $vgpr2_vgpr3
	s_branch .LBB78_236
.LBB78_232:
	s_mov_b64 s[0:1], -1
                                        ; implicit-def: $vgpr2_vgpr3
.LBB78_233:
	s_andn2_b64 vcc, exec, s[0:1]
	s_cbranch_vccnz .LBB78_235
; %bb.234:
	global_load_dword v2, v[0:1], off
	s_waitcnt vmcnt(0)
	v_ashrrev_i32_e32 v3, 31, v2
.LBB78_235:
	s_mov_b64 s[0:1], 0
.LBB78_236:
	s_andn2_b64 vcc, exec, s[0:1]
	s_cbranch_vccnz .LBB78_238
; %bb.237:
	global_load_ushort v2, v[0:1], off
	s_waitcnt vmcnt(0)
	v_bfe_i32 v2, v2, 0, 16
	v_ashrrev_i32_e32 v3, 31, v2
.LBB78_238:
	s_mov_b64 s[0:1], 0
.LBB78_239:
	s_andn2_b64 vcc, exec, s[0:1]
	s_cbranch_vccnz .LBB78_245
; %bb.240:
	s_cmp_gt_i32 s20, 0
	s_cbranch_scc0 .LBB78_242
; %bb.241:
	global_load_sbyte v2, v[0:1], off
	s_mov_b64 s[0:1], 0
	s_waitcnt vmcnt(0)
	v_bfe_i32 v2, v2, 0, 16
	v_ashrrev_i32_e32 v3, 31, v2
	s_branch .LBB78_243
.LBB78_242:
	s_mov_b64 s[0:1], -1
                                        ; implicit-def: $vgpr2_vgpr3
.LBB78_243:
	s_andn2_b64 vcc, exec, s[0:1]
	s_cbranch_vccnz .LBB78_245
; %bb.244:
	global_load_ubyte v0, v[0:1], off
	s_mov_b32 s0, 0
	s_waitcnt vmcnt(1)
	v_mov_b32_e32 v3, s0
	s_waitcnt vmcnt(0)
	v_and_b32_e32 v2, 0xffff, v0
.LBB78_245:
	s_branch .LBB78_11
.LBB78_246:
	s_mov_b64 s[0:1], 0
                                        ; implicit-def: $vgpr10
	s_mov_b64 s[20:21], 0
.LBB78_247:
	s_and_b64 s[14:15], s[0:1], exec
	s_and_b64 s[16:17], s[16:17], exec
	s_orn2_b64 s[20:21], s[20:21], exec
.LBB78_248:
	s_or_b64 exec, exec, s[18:19]
	s_mov_b64 s[24:25], 0
	s_mov_b64 s[0:1], 0
                                        ; implicit-def: $vgpr0_vgpr1
                                        ; implicit-def: $vgpr4_vgpr5
	s_and_saveexec_b64 s[18:19], s[20:21]
	s_cbranch_execz .LBB78_257
; %bb.249:
	v_cmp_gt_i32_e32 vcc, s40, v10
	s_mov_b64 s[0:1], -1
	s_mov_b64 s[20:21], s[16:17]
	s_mov_b64 s[22:23], s[14:15]
	s_and_saveexec_b64 s[24:25], vcc
	s_cbranch_execz .LBB78_505
; %bb.250:
	v_mul_lo_u32 v0, v10, s13
	v_mov_b32_e32 v1, s11
	s_and_b32 s26, 0xffff, s44
	s_cmp_lt_i32 s26, 11
	s_waitcnt vmcnt(0)
	v_ashrrev_i32_e32 v2, 31, v0
	v_add_co_u32_e32 v0, vcc, s10, v0
	v_addc_co_u32_e32 v1, vcc, v1, v2, vcc
	s_cbranch_scc1 .LBB78_260
; %bb.251:
	s_cmp_gt_i32 s26, 25
	s_cbranch_scc0 .LBB78_269
; %bb.252:
	s_cmp_gt_i32 s26, 28
	s_cbranch_scc0 .LBB78_271
	;; [unrolled: 3-line block ×4, first 2 shown]
; %bb.255:
	s_cmp_eq_u32 s26, 46
	s_mov_b64 s[22:23], 0
	s_cbranch_scc0 .LBB78_281
; %bb.256:
	global_load_dword v2, v[0:1], off
	s_mov_b32 s0, 0x2f800000
	s_mov_b32 s1, 0xcf800000
	s_mov_b64 s[20:21], 0
	s_waitcnt vmcnt(0)
	v_lshlrev_b32_e32 v2, 16, v2
	v_trunc_f32_e32 v2, v2
	v_mul_f32_e64 v3, |v2|, s0
	v_floor_f32_e32 v3, v3
	v_fma_f32 v4, v3, s1, |v2|
	v_cvt_u32_f32_e32 v4, v4
	v_cvt_u32_f32_e32 v3, v3
	v_ashrrev_i32_e32 v5, 31, v2
	s_mov_b64 s[0:1], -1
	v_xor_b32_e32 v2, v4, v5
	v_xor_b32_e32 v3, v3, v5
	v_sub_co_u32_e32 v2, vcc, v2, v5
	v_subb_co_u32_e32 v3, vcc, v3, v5, vcc
	s_branch .LBB78_282
.LBB78_257:
	s_or_b64 exec, exec, s[18:19]
	s_mov_b64 s[18:19], 0
	s_and_saveexec_b64 s[20:21], s[16:17]
	s_cbranch_execnz .LBB78_843
.LBB78_258:
	s_or_b64 exec, exec, s[20:21]
	s_and_saveexec_b64 s[16:17], s[22:23]
	s_xor_b64 s[16:17], exec, s[16:17]
	s_cbranch_execz .LBB78_844
.LBB78_259:
	global_load_ubyte v2, v[0:1], off
	s_mov_b32 s20, 0
	s_waitcnt vmcnt(1)
	v_mov_b32_e32 v5, s20
	s_or_b64 s[0:1], s[0:1], exec
	s_waitcnt vmcnt(0)
	v_cmp_ne_u16_e32 vcc, 0, v2
	v_cndmask_b32_e64 v4, 0, 1, vcc
	s_or_b64 exec, exec, s[16:17]
	s_and_saveexec_b64 s[16:17], s[24:25]
	s_cbranch_execz .LBB78_890
	s_branch .LBB78_845
.LBB78_260:
	s_mov_b64 s[0:1], 0
                                        ; implicit-def: $vgpr2_vgpr3
	s_mov_b64 s[20:21], s[16:17]
	s_cbranch_execnz .LBB78_455
.LBB78_261:
	s_andn2_b64 vcc, exec, s[0:1]
	s_cbranch_vccnz .LBB78_503
.LBB78_262:
	v_mul_lo_u32 v4, v10, s12
	s_waitcnt vmcnt(0)
	v_lshlrev_b64 v[0:1], v2, s[2:3]
	v_cmp_gt_u64_e32 vcc, 64, v[2:3]
	v_mov_b32_e32 v5, s9
	v_cndmask_b32_e32 v1, 0, v1, vcc
	v_cndmask_b32_e32 v0, 0, v0, vcc
	v_ashrrev_i32_e32 v3, 31, v4
	s_and_b32 s30, s33, 0xff
	v_add_co_u32_e32 v2, vcc, s8, v4
	s_cmp_lt_i32 s30, 11
	v_addc_co_u32_e32 v3, vcc, v5, v3, vcc
	s_cbranch_scc1 .LBB78_270
; %bb.263:
	s_and_b32 s31, 0xffff, s30
	s_cmp_gt_i32 s31, 25
	s_cbranch_scc0 .LBB78_272
; %bb.264:
	s_cmp_gt_i32 s31, 28
	s_cbranch_scc0 .LBB78_274
; %bb.265:
	;; [unrolled: 3-line block ×4, first 2 shown]
	s_mov_b64 s[26:27], 0
	s_mov_b64 s[0:1], -1
	s_cmp_eq_u32 s31, 46
	s_mov_b64 s[22:23], 0
	s_cbranch_scc0 .LBB78_286
; %bb.268:
	v_xor_b32_e32 v5, v0, v1
	v_ffbh_i32_e32 v4, v1
	v_ashrrev_i32_e32 v5, 31, v5
	v_add_u32_e32 v4, -1, v4
	v_add_u32_e32 v5, 32, v5
	v_min_u32_e32 v6, v4, v5
	v_lshlrev_b64 v[4:5], v6, v[0:1]
	s_movk_i32 s0, 0x7fff
	v_min_u32_e32 v4, 1, v4
	v_or_b32_e32 v4, v5, v4
	v_cvt_f32_i32_e32 v4, v4
	v_sub_u32_e32 v5, 32, v6
	s_mov_b64 s[22:23], -1
	v_ldexp_f32 v4, v4, v5
	v_bfe_u32 v5, v4, 16, 1
	v_add3_u32 v4, v4, v5, s0
	v_lshrrev_b32_e32 v4, 16, v4
	global_store_dword v[2:3], v4, off
	s_mov_b64 s[0:1], 0
	s_branch .LBB78_286
.LBB78_269:
	s_mov_b64 s[22:23], -1
	s_mov_b64 s[0:1], 0
	s_mov_b64 s[20:21], s[16:17]
                                        ; implicit-def: $vgpr2_vgpr3
	s_branch .LBB78_423
.LBB78_270:
	s_mov_b64 s[26:27], -1
	s_mov_b64 s[22:23], 0
	s_mov_b64 s[0:1], s[14:15]
	s_branch .LBB78_355
.LBB78_271:
	s_mov_b64 s[22:23], -1
	s_mov_b64 s[0:1], 0
	s_mov_b64 s[20:21], s[16:17]
                                        ; implicit-def: $vgpr2_vgpr3
	s_branch .LBB78_404
.LBB78_272:
	s_mov_b64 s[26:27], -1
	s_mov_b64 s[22:23], 0
	s_mov_b64 s[0:1], s[14:15]
	s_branch .LBB78_313
.LBB78_273:
	s_mov_b64 s[22:23], -1
	s_mov_b64 s[0:1], 0
	s_mov_b64 s[20:21], s[16:17]
                                        ; implicit-def: $vgpr2_vgpr3
	s_branch .LBB78_399
.LBB78_274:
	s_mov_b64 s[26:27], -1
	s_mov_b64 s[22:23], 0
	s_mov_b64 s[0:1], s[14:15]
	s_branch .LBB78_296
.LBB78_275:
	s_andn2_saveexec_b64 s[24:25], s[24:25]
	s_cbranch_execz .LBB78_55
.LBB78_276:
	s_mov_b32 s28, 0x46000000
	v_add_f32_e64 v5, |v4|, s28
	v_and_b32_e32 v5, 0xff, v5
	v_cmp_ne_u32_e32 vcc, 0, v5
	s_andn2_b64 s[20:21], s[20:21], exec
	s_and_b64 s[28:29], vcc, exec
	s_or_b64 s[20:21], s[20:21], s[28:29]
	s_or_b64 exec, exec, s[24:25]
	v_mov_b32_e32 v6, 0
	s_and_saveexec_b64 s[24:25], s[20:21]
	s_cbranch_execnz .LBB78_56
	s_branch .LBB78_57
.LBB78_277:
	s_mov_b64 s[22:23], -1
	s_mov_b64 s[0:1], 0
	s_mov_b64 s[20:21], s[16:17]
                                        ; implicit-def: $vgpr2_vgpr3
	s_branch .LBB78_282
.LBB78_278:
	s_mov_b64 s[26:27], -1
	s_mov_b64 s[22:23], 0
	s_mov_b64 s[0:1], s[14:15]
	s_branch .LBB78_292
.LBB78_279:
	s_andn2_saveexec_b64 s[24:25], s[24:25]
	s_cbranch_execz .LBB78_68
.LBB78_280:
	s_mov_b32 s28, 0x42800000
	v_add_f32_e64 v5, |v4|, s28
	v_and_b32_e32 v5, 0xff, v5
	v_cmp_ne_u32_e32 vcc, 0, v5
	s_andn2_b64 s[20:21], s[20:21], exec
	s_and_b64 s[28:29], vcc, exec
	s_or_b64 s[20:21], s[20:21], s[28:29]
	s_or_b64 exec, exec, s[24:25]
	v_mov_b32_e32 v6, 0
	s_and_saveexec_b64 s[24:25], s[20:21]
	s_cbranch_execnz .LBB78_69
	s_branch .LBB78_70
.LBB78_281:
	s_mov_b64 s[20:21], -1
                                        ; implicit-def: $vgpr2_vgpr3
	s_mov_b64 s[0:1], 0
.LBB78_282:
	s_and_b64 vcc, exec, s[22:23]
	s_cbranch_vccz .LBB78_398
; %bb.283:
	s_cmp_eq_u32 s26, 44
	s_cbranch_scc0 .LBB78_397
; %bb.284:
	global_load_ubyte v2, v[0:1], off
	s_mov_b32 s0, 0x2f800000
	s_mov_b32 s1, 0xcf800000
	s_mov_b64 s[20:21], 0
	s_waitcnt vmcnt(0)
	v_lshlrev_b32_e32 v3, 23, v2
	v_trunc_f32_e32 v3, v3
	v_mul_f32_e64 v4, |v3|, s0
	v_floor_f32_e32 v4, v4
	v_fma_f32 v5, v4, s1, |v3|
	v_cvt_u32_f32_e32 v5, v5
	v_cvt_u32_f32_e32 v4, v4
	v_ashrrev_i32_e32 v3, 31, v3
	s_mov_b64 s[0:1], -1
	v_xor_b32_e32 v5, v5, v3
	v_xor_b32_e32 v4, v4, v3
	v_sub_co_u32_e32 v5, vcc, v5, v3
	v_subb_co_u32_e32 v3, vcc, v4, v3, vcc
	v_cmp_ne_u32_e32 vcc, 0, v2
	v_cndmask_b32_e32 v3, 0, v3, vcc
	v_cndmask_b32_e32 v2, 0, v5, vcc
	s_branch .LBB78_398
.LBB78_285:
	s_mov_b64 s[26:27], -1
	s_mov_b64 s[22:23], 0
	s_mov_b64 s[0:1], s[14:15]
.LBB78_286:
	s_and_b64 vcc, exec, s[26:27]
	s_cbranch_vccz .LBB78_291
; %bb.287:
	s_cmp_eq_u32 s31, 44
	s_mov_b64 s[0:1], -1
	s_cbranch_scc0 .LBB78_291
; %bb.288:
	v_xor_b32_e32 v5, v0, v1
	v_ffbh_i32_e32 v4, v1
	v_ashrrev_i32_e32 v5, 31, v5
	v_add_u32_e32 v4, -1, v4
	v_add_u32_e32 v5, 32, v5
	v_min_u32_e32 v6, v4, v5
	v_lshlrev_b64 v[4:5], v6, v[0:1]
	s_movk_i32 s0, 0xff
	v_min_u32_e32 v4, 1, v4
	v_or_b32_e32 v4, v5, v4
	v_cvt_f32_i32_e32 v4, v4
	v_sub_u32_e32 v5, 32, v6
	v_mov_b32_e32 v6, 0xff
	v_ldexp_f32 v4, v4, v5
	v_bfe_u32 v5, v4, 23, 8
	v_cmp_ne_u32_e32 vcc, s0, v5
	s_and_saveexec_b64 s[22:23], vcc
; %bb.289:
	s_mov_b32 s0, 0x3fffff
	v_lshrrev_b32_e32 v6, 23, v4
	v_and_b32_e32 v7, 0x400000, v4
	v_and_or_b32 v4, v4, s0, v5
	v_cmp_ne_u32_e32 vcc, 0, v7
	v_cmp_ne_u32_e64 s[0:1], 0, v4
	s_and_b64 s[0:1], vcc, s[0:1]
	v_cndmask_b32_e64 v4, 0, 1, s[0:1]
	v_add_u32_e32 v6, v6, v4
; %bb.290:
	s_or_b64 exec, exec, s[22:23]
	s_mov_b64 s[22:23], -1
	s_mov_b64 s[0:1], 0
	global_store_byte v[2:3], v6, off
.LBB78_291:
	s_mov_b64 s[26:27], 0
.LBB78_292:
	s_and_b64 vcc, exec, s[26:27]
	s_cbranch_vccz .LBB78_295
; %bb.293:
	s_cmp_eq_u32 s31, 29
	s_mov_b64 s[0:1], -1
	s_cbranch_scc0 .LBB78_295
; %bb.294:
	global_store_dwordx2 v[2:3], v[0:1], off
	s_mov_b64 s[22:23], -1
	s_mov_b64 s[0:1], 0
.LBB78_295:
	s_mov_b64 s[26:27], 0
.LBB78_296:
	s_and_b64 vcc, exec, s[26:27]
	s_cbranch_vccz .LBB78_312
; %bb.297:
	s_cmp_lt_i32 s31, 27
	s_mov_b64 s[22:23], -1
	s_cbranch_scc1 .LBB78_303
; %bb.298:
	s_cmp_gt_i32 s31, 27
	s_cbranch_scc0 .LBB78_300
; %bb.299:
	s_mov_b64 s[22:23], 0
	global_store_dword v[2:3], v0, off
.LBB78_300:
	s_andn2_b64 vcc, exec, s[22:23]
	s_cbranch_vccnz .LBB78_302
; %bb.301:
	global_store_short v[2:3], v0, off
.LBB78_302:
	s_mov_b64 s[22:23], 0
.LBB78_303:
	s_andn2_b64 vcc, exec, s[22:23]
	s_cbranch_vccnz .LBB78_311
; %bb.304:
	v_xor_b32_e32 v5, v0, v1
	v_ffbh_i32_e32 v4, v1
	v_ashrrev_i32_e32 v5, 31, v5
	v_add_u32_e32 v4, -1, v4
	v_add_u32_e32 v5, 32, v5
	v_min_u32_e32 v6, v4, v5
	v_lshlrev_b64 v[4:5], v6, v[0:1]
	s_mov_b32 s22, 0x43800000
	v_min_u32_e32 v4, 1, v4
	v_or_b32_e32 v4, v5, v4
	v_cvt_f32_i32_e32 v4, v4
	v_sub_u32_e32 v5, 32, v6
	v_mov_b32_e32 v6, 0x80
	v_ldexp_f32 v4, v4, v5
	v_and_b32_e32 v5, 0x7fffffff, v4
	v_cmp_gt_u32_e32 vcc, s22, v5
	s_and_saveexec_b64 s[22:23], vcc
	s_cbranch_execz .LBB78_310
; %bb.305:
	s_mov_b32 s26, 0x3bffffff
	v_cmp_lt_u32_e32 vcc, s26, v5
	s_mov_b64 s[26:27], 0
                                        ; implicit-def: $vgpr5
	s_and_saveexec_b64 s[28:29], vcc
	s_xor_b64 s[28:29], exec, s[28:29]
	s_cbranch_execz .LBB78_518
; %bb.306:
	v_bfe_u32 v5, v4, 20, 1
	s_mov_b32 s34, 0x487ffff
	v_add3_u32 v5, v4, v5, s34
	s_mov_b64 s[26:27], exec
	v_lshrrev_b32_e32 v5, 20, v5
	s_andn2_saveexec_b64 s[28:29], s[28:29]
	s_cbranch_execnz .LBB78_519
.LBB78_307:
	s_or_b64 exec, exec, s[28:29]
	v_mov_b32_e32 v6, 0
	s_and_saveexec_b64 s[28:29], s[26:27]
.LBB78_308:
	v_lshrrev_b32_e32 v4, 24, v4
	s_movk_i32 s26, 0x80
	v_and_or_b32 v6, v4, s26, v5
.LBB78_309:
	s_or_b64 exec, exec, s[28:29]
.LBB78_310:
	s_or_b64 exec, exec, s[22:23]
	global_store_byte v[2:3], v6, off
.LBB78_311:
	s_mov_b64 s[22:23], -1
.LBB78_312:
	s_mov_b64 s[26:27], 0
.LBB78_313:
	s_and_b64 vcc, exec, s[26:27]
	s_cbranch_vccz .LBB78_354
; %bb.314:
	s_cmp_gt_i32 s31, 22
	s_mov_b64 s[26:27], -1
	s_cbranch_scc0 .LBB78_346
; %bb.315:
	s_cmp_lt_i32 s31, 24
	s_mov_b64 s[22:23], -1
	s_cbranch_scc1 .LBB78_335
; %bb.316:
	s_cmp_gt_i32 s31, 24
	s_cbranch_scc0 .LBB78_324
; %bb.317:
	v_xor_b32_e32 v5, v0, v1
	v_ffbh_i32_e32 v4, v1
	v_ashrrev_i32_e32 v5, 31, v5
	v_add_u32_e32 v4, -1, v4
	v_add_u32_e32 v5, 32, v5
	v_min_u32_e32 v6, v4, v5
	v_lshlrev_b64 v[4:5], v6, v[0:1]
	s_mov_b32 s22, 0x47800000
	v_min_u32_e32 v4, 1, v4
	v_or_b32_e32 v4, v5, v4
	v_cvt_f32_i32_e32 v4, v4
	v_sub_u32_e32 v5, 32, v6
	v_mov_b32_e32 v6, 0x80
	v_ldexp_f32 v4, v4, v5
	v_and_b32_e32 v5, 0x7fffffff, v4
	v_cmp_gt_u32_e32 vcc, s22, v5
	s_and_saveexec_b64 s[22:23], vcc
	s_cbranch_execz .LBB78_323
; %bb.318:
	s_mov_b32 s26, 0x37ffffff
	v_cmp_lt_u32_e32 vcc, s26, v5
	s_mov_b64 s[26:27], 0
                                        ; implicit-def: $vgpr5
	s_and_saveexec_b64 s[28:29], vcc
	s_xor_b64 s[28:29], exec, s[28:29]
	s_cbranch_execz .LBB78_521
; %bb.319:
	v_bfe_u32 v5, v4, 21, 1
	s_mov_b32 s34, 0x88fffff
	v_add3_u32 v5, v4, v5, s34
	s_mov_b64 s[26:27], exec
	v_lshrrev_b32_e32 v5, 21, v5
	s_andn2_saveexec_b64 s[28:29], s[28:29]
	s_cbranch_execnz .LBB78_522
.LBB78_320:
	s_or_b64 exec, exec, s[28:29]
	v_mov_b32_e32 v6, 0
	s_and_saveexec_b64 s[28:29], s[26:27]
.LBB78_321:
	v_lshrrev_b32_e32 v4, 24, v4
	s_movk_i32 s26, 0x80
	v_and_or_b32 v6, v4, s26, v5
.LBB78_322:
	s_or_b64 exec, exec, s[28:29]
.LBB78_323:
	s_or_b64 exec, exec, s[22:23]
	s_mov_b64 s[22:23], 0
	global_store_byte v[2:3], v6, off
.LBB78_324:
	s_and_b64 vcc, exec, s[22:23]
	s_cbranch_vccz .LBB78_334
; %bb.325:
	v_xor_b32_e32 v5, v0, v1
	v_ffbh_i32_e32 v4, v1
	v_ashrrev_i32_e32 v5, 31, v5
	v_add_u32_e32 v4, -1, v4
	v_add_u32_e32 v5, 32, v5
	v_min_u32_e32 v6, v4, v5
	v_lshlrev_b64 v[4:5], v6, v[0:1]
	s_mov_b32 s22, 0x43f00000
	v_min_u32_e32 v4, 1, v4
	v_or_b32_e32 v4, v5, v4
	v_cvt_f32_i32_e32 v4, v4
	v_sub_u32_e32 v5, 32, v6
	v_ldexp_f32 v4, v4, v5
	v_and_b32_e32 v6, 0x7fffffff, v4
	v_cmp_gt_u32_e32 vcc, s22, v6
                                        ; implicit-def: $vgpr5
	s_and_saveexec_b64 s[22:23], vcc
	s_xor_b64 s[22:23], exec, s[22:23]
	s_cbranch_execz .LBB78_331
; %bb.326:
	s_mov_b32 s26, 0x3c7fffff
	v_cmp_lt_u32_e32 vcc, s26, v6
                                        ; implicit-def: $vgpr5
	s_and_saveexec_b64 s[26:27], vcc
	s_xor_b64 s[26:27], exec, s[26:27]
; %bb.327:
	v_bfe_u32 v5, v4, 20, 1
	s_mov_b32 s28, 0x407ffff
	v_add3_u32 v5, v4, v5, s28
	v_lshrrev_b32_e32 v6, 20, v5
	v_and_b32_e32 v5, 0xff00000, v5
	s_mov_b32 s28, 0x7f00000
	v_mov_b32_e32 v7, 0x7e
	v_cmp_ne_u32_e32 vcc, s28, v5
	v_cndmask_b32_e32 v5, v7, v6, vcc
; %bb.328:
	s_andn2_saveexec_b64 s[26:27], s[26:27]
; %bb.329:
	s_mov_b32 s28, 0x46800000
	v_add_f32_e64 v5, |v4|, s28
; %bb.330:
	s_or_b64 exec, exec, s[26:27]
                                        ; implicit-def: $vgpr6
.LBB78_331:
	s_andn2_saveexec_b64 s[22:23], s[22:23]
; %bb.332:
	s_mov_b32 s26, 0x7f800000
	v_mov_b32_e32 v5, 0x7e
	v_mov_b32_e32 v7, 0x7f
	v_cmp_lt_u32_e32 vcc, s26, v6
	v_cndmask_b32_e32 v5, v5, v7, vcc
; %bb.333:
	s_or_b64 exec, exec, s[22:23]
	v_lshrrev_b32_e32 v4, 24, v4
	s_movk_i32 s22, 0x80
	v_and_or_b32 v4, v4, s22, v5
	global_store_byte v[2:3], v4, off
.LBB78_334:
	s_mov_b64 s[22:23], 0
.LBB78_335:
	s_andn2_b64 vcc, exec, s[22:23]
	s_cbranch_vccnz .LBB78_345
; %bb.336:
	v_xor_b32_e32 v5, v0, v1
	v_ffbh_i32_e32 v4, v1
	v_ashrrev_i32_e32 v5, 31, v5
	v_add_u32_e32 v4, -1, v4
	v_add_u32_e32 v5, 32, v5
	v_min_u32_e32 v6, v4, v5
	v_lshlrev_b64 v[4:5], v6, v[0:1]
	s_mov_b32 s22, 0x47800000
	v_min_u32_e32 v4, 1, v4
	v_or_b32_e32 v4, v5, v4
	v_cvt_f32_i32_e32 v4, v4
	v_sub_u32_e32 v5, 32, v6
	v_ldexp_f32 v4, v4, v5
	v_and_b32_e32 v6, 0x7fffffff, v4
	v_cmp_gt_u32_e32 vcc, s22, v6
                                        ; implicit-def: $vgpr5
	s_and_saveexec_b64 s[22:23], vcc
	s_xor_b64 s[22:23], exec, s[22:23]
	s_cbranch_execz .LBB78_342
; %bb.337:
	s_mov_b32 s26, 0x387fffff
	v_cmp_lt_u32_e32 vcc, s26, v6
                                        ; implicit-def: $vgpr5
	s_and_saveexec_b64 s[26:27], vcc
	s_xor_b64 s[26:27], exec, s[26:27]
; %bb.338:
	v_bfe_u32 v5, v4, 21, 1
	s_mov_b32 s28, 0x80fffff
	v_add3_u32 v5, v4, v5, s28
	v_lshrrev_b32_e32 v5, 21, v5
; %bb.339:
	s_andn2_saveexec_b64 s[26:27], s[26:27]
; %bb.340:
	s_mov_b32 s28, 0x43000000
	v_add_f32_e64 v5, |v4|, s28
; %bb.341:
	s_or_b64 exec, exec, s[26:27]
                                        ; implicit-def: $vgpr6
.LBB78_342:
	s_andn2_saveexec_b64 s[22:23], s[22:23]
; %bb.343:
	s_mov_b32 s26, 0x7f800000
	v_mov_b32_e32 v5, 0x7c
	v_mov_b32_e32 v7, 0x7f
	v_cmp_lt_u32_e32 vcc, s26, v6
	v_cndmask_b32_e32 v5, v5, v7, vcc
; %bb.344:
	s_or_b64 exec, exec, s[22:23]
	v_lshrrev_b32_e32 v4, 24, v4
	s_movk_i32 s22, 0x80
	v_and_or_b32 v4, v4, s22, v5
	global_store_byte v[2:3], v4, off
.LBB78_345:
	s_mov_b64 s[26:27], 0
	s_mov_b64 s[22:23], -1
.LBB78_346:
	s_andn2_b64 vcc, exec, s[26:27]
	s_cbranch_vccnz .LBB78_354
; %bb.347:
	s_cmp_gt_i32 s31, 14
	s_mov_b64 s[26:27], -1
	s_cbranch_scc0 .LBB78_351
; %bb.348:
	s_cmp_eq_u32 s31, 15
	s_mov_b64 s[0:1], -1
	s_cbranch_scc0 .LBB78_350
; %bb.349:
	v_xor_b32_e32 v5, v0, v1
	v_ffbh_i32_e32 v4, v1
	v_ashrrev_i32_e32 v5, 31, v5
	v_add_u32_e32 v4, -1, v4
	v_add_u32_e32 v5, 32, v5
	v_min_u32_e32 v6, v4, v5
	v_lshlrev_b64 v[4:5], v6, v[0:1]
	s_movk_i32 s0, 0x7fff
	v_min_u32_e32 v4, 1, v4
	v_or_b32_e32 v4, v5, v4
	v_cvt_f32_i32_e32 v4, v4
	v_sub_u32_e32 v5, 32, v6
	s_mov_b64 s[22:23], -1
	v_ldexp_f32 v4, v4, v5
	v_bfe_u32 v5, v4, 16, 1
	v_add3_u32 v4, v4, v5, s0
	global_store_short_d16_hi v[2:3], v4, off
	s_mov_b64 s[0:1], 0
.LBB78_350:
	s_mov_b64 s[26:27], 0
.LBB78_351:
	s_and_b64 vcc, exec, s[26:27]
	s_cbranch_vccz .LBB78_354
; %bb.352:
	s_cmp_eq_u32 s31, 11
	s_mov_b64 s[0:1], -1
	s_cbranch_scc0 .LBB78_354
; %bb.353:
	v_cmp_ne_u64_e32 vcc, 0, v[0:1]
	s_mov_b64 s[0:1], 0
	v_cndmask_b32_e64 v4, 0, 1, vcc
	s_mov_b64 s[22:23], -1
	global_store_byte v[2:3], v4, off
.LBB78_354:
	s_mov_b64 s[26:27], 0
.LBB78_355:
	s_and_b64 vcc, exec, s[26:27]
	s_cbranch_vccz .LBB78_394
; %bb.356:
	s_and_b32 s26, 0xffff, s30
	s_cmp_lt_i32 s26, 5
	s_mov_b64 s[22:23], -1
	s_cbranch_scc1 .LBB78_377
; %bb.357:
	s_cmp_lt_i32 s26, 8
	s_cbranch_scc1 .LBB78_367
; %bb.358:
	s_cmp_lt_i32 s26, 9
	s_cbranch_scc1 .LBB78_364
; %bb.359:
	s_cmp_gt_i32 s26, 9
	s_cbranch_scc0 .LBB78_361
; %bb.360:
	v_cvt_f64_i32_e32 v[4:5], v1
	v_cvt_f64_u32_e32 v[6:7], v0
	s_mov_b64 s[22:23], 0
	v_ldexp_f64 v[4:5], v[4:5], 32
	v_add_f64 v[4:5], v[4:5], v[6:7]
	v_mov_b32_e32 v6, 0
	v_mov_b32_e32 v7, v6
	global_store_dwordx4 v[2:3], v[4:7], off
.LBB78_361:
	s_andn2_b64 vcc, exec, s[22:23]
	s_cbranch_vccnz .LBB78_363
; %bb.362:
	v_xor_b32_e32 v5, v0, v1
	v_ffbh_i32_e32 v4, v1
	v_ashrrev_i32_e32 v5, 31, v5
	v_add_u32_e32 v4, -1, v4
	v_add_u32_e32 v5, 32, v5
	v_min_u32_e32 v6, v4, v5
	v_lshlrev_b64 v[4:5], v6, v[0:1]
	v_min_u32_e32 v4, 1, v4
	v_or_b32_e32 v4, v5, v4
	v_cvt_f32_i32_e32 v4, v4
	v_sub_u32_e32 v5, 32, v6
	v_ldexp_f32 v4, v4, v5
	v_mov_b32_e32 v5, 0
	global_store_dwordx2 v[2:3], v[4:5], off
.LBB78_363:
	s_mov_b64 s[22:23], 0
.LBB78_364:
	s_andn2_b64 vcc, exec, s[22:23]
	s_cbranch_vccnz .LBB78_366
; %bb.365:
	v_xor_b32_e32 v5, v0, v1
	v_ffbh_i32_e32 v4, v1
	v_ashrrev_i32_e32 v5, 31, v5
	v_add_u32_e32 v4, -1, v4
	v_add_u32_e32 v5, 32, v5
	v_min_u32_e32 v6, v4, v5
	v_lshlrev_b64 v[4:5], v6, v[0:1]
	v_min_u32_e32 v4, 1, v4
	v_or_b32_e32 v4, v5, v4
	v_cvt_f32_i32_e32 v4, v4
	v_sub_u32_e32 v5, 32, v6
	v_ldexp_f32 v4, v4, v5
	v_cvt_f16_f32_e32 v4, v4
	global_store_dword v[2:3], v4, off
.LBB78_366:
	s_mov_b64 s[22:23], 0
.LBB78_367:
	s_andn2_b64 vcc, exec, s[22:23]
	s_cbranch_vccnz .LBB78_376
; %bb.368:
	s_cmp_lt_i32 s26, 6
	s_mov_b64 s[22:23], -1
	s_cbranch_scc1 .LBB78_374
; %bb.369:
	s_cmp_gt_i32 s26, 6
	s_cbranch_scc0 .LBB78_371
; %bb.370:
	v_cvt_f64_i32_e32 v[4:5], v1
	v_cvt_f64_u32_e32 v[6:7], v0
	s_mov_b64 s[22:23], 0
	v_ldexp_f64 v[4:5], v[4:5], 32
	v_add_f64 v[4:5], v[4:5], v[6:7]
	global_store_dwordx2 v[2:3], v[4:5], off
.LBB78_371:
	s_andn2_b64 vcc, exec, s[22:23]
	s_cbranch_vccnz .LBB78_373
; %bb.372:
	v_xor_b32_e32 v5, v0, v1
	v_ffbh_i32_e32 v4, v1
	v_ashrrev_i32_e32 v5, 31, v5
	v_add_u32_e32 v4, -1, v4
	v_add_u32_e32 v5, 32, v5
	v_min_u32_e32 v6, v4, v5
	v_lshlrev_b64 v[4:5], v6, v[0:1]
	v_min_u32_e32 v4, 1, v4
	v_or_b32_e32 v4, v5, v4
	v_cvt_f32_i32_e32 v4, v4
	v_sub_u32_e32 v5, 32, v6
	v_ldexp_f32 v4, v4, v5
	global_store_dword v[2:3], v4, off
.LBB78_373:
	s_mov_b64 s[22:23], 0
.LBB78_374:
	s_andn2_b64 vcc, exec, s[22:23]
	s_cbranch_vccnz .LBB78_376
; %bb.375:
	v_xor_b32_e32 v5, v0, v1
	v_ffbh_i32_e32 v4, v1
	v_ashrrev_i32_e32 v5, 31, v5
	v_add_u32_e32 v4, -1, v4
	v_add_u32_e32 v5, 32, v5
	v_min_u32_e32 v6, v4, v5
	v_lshlrev_b64 v[4:5], v6, v[0:1]
	v_min_u32_e32 v4, 1, v4
	v_or_b32_e32 v4, v5, v4
	v_cvt_f32_i32_e32 v4, v4
	v_sub_u32_e32 v5, 32, v6
	v_ldexp_f32 v4, v4, v5
	v_cvt_f16_f32_e32 v4, v4
	global_store_short v[2:3], v4, off
.LBB78_376:
	s_mov_b64 s[22:23], 0
.LBB78_377:
	s_andn2_b64 vcc, exec, s[22:23]
	s_cbranch_vccnz .LBB78_393
; %bb.378:
	s_cmp_lt_i32 s26, 2
	s_mov_b64 s[22:23], -1
	s_cbranch_scc1 .LBB78_388
; %bb.379:
	s_cmp_lt_i32 s26, 3
	s_cbranch_scc1 .LBB78_385
; %bb.380:
	s_cmp_gt_i32 s26, 3
	s_cbranch_scc0 .LBB78_382
; %bb.381:
	s_mov_b64 s[22:23], 0
	global_store_dwordx2 v[2:3], v[0:1], off
.LBB78_382:
	s_andn2_b64 vcc, exec, s[22:23]
	s_cbranch_vccnz .LBB78_384
; %bb.383:
	global_store_dword v[2:3], v0, off
.LBB78_384:
	s_mov_b64 s[22:23], 0
.LBB78_385:
	s_andn2_b64 vcc, exec, s[22:23]
	s_cbranch_vccnz .LBB78_387
; %bb.386:
	global_store_short v[2:3], v0, off
.LBB78_387:
	s_mov_b64 s[22:23], 0
.LBB78_388:
	s_andn2_b64 vcc, exec, s[22:23]
	s_cbranch_vccnz .LBB78_393
; %bb.389:
	s_cmp_gt_i32 s26, 0
	s_mov_b64 s[22:23], -1
	s_cbranch_scc0 .LBB78_391
; %bb.390:
	s_mov_b64 s[22:23], 0
	global_store_byte v[2:3], v0, off
.LBB78_391:
	s_andn2_b64 vcc, exec, s[22:23]
	s_cbranch_vccnz .LBB78_393
; %bb.392:
	global_store_byte v[2:3], v0, off
.LBB78_393:
	s_mov_b64 s[22:23], -1
.LBB78_394:
	s_andn2_b64 vcc, exec, s[22:23]
	s_cbranch_vccnz .LBB78_396
; %bb.395:
	v_add_u32_e32 v10, 0x80, v10
	s_mov_b64 s[26:27], -1
	s_branch .LBB78_504
.LBB78_396:
	s_mov_b64 s[26:27], 0
                                        ; implicit-def: $vgpr10
	s_branch .LBB78_504
.LBB78_397:
	s_mov_b64 s[20:21], -1
                                        ; implicit-def: $vgpr2_vgpr3
.LBB78_398:
	s_mov_b64 s[22:23], 0
.LBB78_399:
	s_and_b64 vcc, exec, s[22:23]
	s_cbranch_vccz .LBB78_403
; %bb.400:
	s_cmp_eq_u32 s26, 29
	s_cbranch_scc0 .LBB78_402
; %bb.401:
	global_load_dwordx2 v[2:3], v[0:1], off
	s_mov_b64 s[0:1], -1
	s_mov_b64 s[20:21], 0
	s_branch .LBB78_403
.LBB78_402:
	s_mov_b64 s[20:21], -1
                                        ; implicit-def: $vgpr2_vgpr3
.LBB78_403:
	s_mov_b64 s[22:23], 0
.LBB78_404:
	s_and_b64 vcc, exec, s[22:23]
	s_cbranch_vccz .LBB78_422
; %bb.405:
	s_cmp_lt_i32 s26, 27
	s_cbranch_scc1 .LBB78_408
; %bb.406:
	s_cmp_gt_i32 s26, 27
	s_cbranch_scc0 .LBB78_409
; %bb.407:
	global_load_dword v2, v[0:1], off
	s_waitcnt vmcnt(1)
	v_mov_b32_e32 v3, 0
	s_mov_b64 s[0:1], 0
	s_branch .LBB78_410
.LBB78_408:
	s_mov_b64 s[0:1], -1
                                        ; implicit-def: $vgpr2_vgpr3
	s_branch .LBB78_413
.LBB78_409:
	s_mov_b64 s[0:1], -1
                                        ; implicit-def: $vgpr2_vgpr3
.LBB78_410:
	s_andn2_b64 vcc, exec, s[0:1]
	s_cbranch_vccnz .LBB78_412
; %bb.411:
	global_load_ushort v2, v[0:1], off
	s_mov_b32 s0, 0
	s_waitcnt vmcnt(1)
	v_mov_b32_e32 v3, s0
	s_waitcnt vmcnt(0)
	v_and_b32_e32 v2, 0xffff, v2
.LBB78_412:
	s_mov_b64 s[0:1], 0
.LBB78_413:
	s_andn2_b64 vcc, exec, s[0:1]
	s_cbranch_vccnz .LBB78_421
; %bb.414:
	global_load_ubyte v4, v[0:1], off
	s_movk_i32 s0, 0x7f
	s_mov_b64 s[22:23], 0
	s_waitcnt vmcnt(0)
	v_cmp_lt_i16_e32 vcc, s0, v4
	s_and_saveexec_b64 s[0:1], vcc
	s_xor_b64 s[0:1], exec, s[0:1]
; %bb.415:
	s_movk_i32 s22, 0x80
	v_cmp_ne_u16_e32 vcc, s22, v4
	s_and_b64 s[22:23], vcc, exec
; %bb.416:
	s_andn2_saveexec_b64 s[0:1], s[0:1]
; %bb.417:
	v_cmp_ne_u16_e32 vcc, 0, v4
	s_andn2_b64 s[22:23], s[22:23], exec
	s_and_b64 s[28:29], vcc, exec
	s_or_b64 s[22:23], s[22:23], s[28:29]
; %bb.418:
	s_or_b64 exec, exec, s[0:1]
	v_mov_b32_e32 v2, 0
	v_mov_b32_e32 v3, 0
	s_and_saveexec_b64 s[0:1], s[22:23]
	s_cbranch_execz .LBB78_420
; %bb.419:
	v_and_b32_e32 v3, 0xffff, v4
	v_lshlrev_b32_e32 v2, 24, v4
	v_and_b32_e32 v4, 7, v3
	v_ffbh_u32_e32 v6, v4
	v_min_u32_e32 v6, 32, v6
	v_subrev_u32_e32 v7, 28, v6
	v_bfe_u32 v5, v3, 3, 4
	v_lshlrev_b32_e32 v3, v7, v3
	v_sub_u32_e32 v6, 29, v6
	v_and_b32_e32 v3, 7, v3
	v_cmp_eq_u32_e32 vcc, 0, v5
	v_cndmask_b32_e32 v5, v5, v6, vcc
	v_cndmask_b32_e32 v3, v4, v3, vcc
	v_mov_b32_e32 v4, 0x3b800000
	v_lshlrev_b32_e32 v3, 20, v3
	v_and_b32_e32 v2, 0x80000000, v2
	v_lshl_add_u32 v4, v5, 23, v4
	v_or3_b32 v2, v2, v4, v3
	v_trunc_f32_e32 v2, v2
	s_mov_b32 s22, 0x2f800000
	v_mul_f32_e64 v3, |v2|, s22
	v_floor_f32_e32 v3, v3
	s_mov_b32 s22, 0xcf800000
	v_fma_f32 v4, v3, s22, |v2|
	v_cvt_u32_f32_e32 v4, v4
	v_cvt_u32_f32_e32 v3, v3
	v_ashrrev_i32_e32 v5, 31, v2
	v_xor_b32_e32 v2, v4, v5
	v_xor_b32_e32 v3, v3, v5
	v_sub_co_u32_e32 v2, vcc, v2, v5
	v_subb_co_u32_e32 v3, vcc, v3, v5, vcc
.LBB78_420:
	s_or_b64 exec, exec, s[0:1]
.LBB78_421:
	s_mov_b64 s[0:1], -1
.LBB78_422:
	s_mov_b64 s[22:23], 0
.LBB78_423:
	s_and_b64 vcc, exec, s[22:23]
	s_cbranch_vccz .LBB78_454
; %bb.424:
	s_cmp_gt_i32 s26, 22
	s_cbranch_scc0 .LBB78_434
; %bb.425:
	s_cmp_lt_i32 s26, 24
	s_cbranch_scc1 .LBB78_435
; %bb.426:
	s_cmp_gt_i32 s26, 24
	s_cbranch_scc0 .LBB78_436
; %bb.427:
	global_load_ubyte v4, v[0:1], off
	s_movk_i32 s0, 0x7f
	s_mov_b64 s[22:23], 0
	s_waitcnt vmcnt(0)
	v_cmp_lt_i16_e32 vcc, s0, v4
	s_and_saveexec_b64 s[0:1], vcc
	s_xor_b64 s[0:1], exec, s[0:1]
; %bb.428:
	s_movk_i32 s22, 0x80
	v_cmp_ne_u16_e32 vcc, s22, v4
	s_and_b64 s[22:23], vcc, exec
; %bb.429:
	s_andn2_saveexec_b64 s[0:1], s[0:1]
; %bb.430:
	v_cmp_ne_u16_e32 vcc, 0, v4
	s_andn2_b64 s[22:23], s[22:23], exec
	s_and_b64 s[28:29], vcc, exec
	s_or_b64 s[22:23], s[22:23], s[28:29]
; %bb.431:
	s_or_b64 exec, exec, s[0:1]
	v_mov_b32_e32 v2, 0
	v_mov_b32_e32 v3, 0
	s_and_saveexec_b64 s[0:1], s[22:23]
	s_cbranch_execz .LBB78_433
; %bb.432:
	v_and_b32_e32 v3, 0xffff, v4
	v_lshlrev_b32_e32 v2, 24, v4
	v_and_b32_e32 v4, 3, v3
	v_ffbh_u32_e32 v6, v4
	v_min_u32_e32 v6, 32, v6
	v_subrev_u32_e32 v7, 29, v6
	v_bfe_u32 v5, v3, 2, 5
	v_lshlrev_b32_e32 v3, v7, v3
	v_sub_u32_e32 v6, 30, v6
	v_and_b32_e32 v3, 3, v3
	v_cmp_eq_u32_e32 vcc, 0, v5
	v_cndmask_b32_e32 v5, v5, v6, vcc
	v_cndmask_b32_e32 v3, v4, v3, vcc
	v_mov_b32_e32 v4, 0x37800000
	v_lshlrev_b32_e32 v3, 21, v3
	v_and_b32_e32 v2, 0x80000000, v2
	v_lshl_add_u32 v4, v5, 23, v4
	v_or3_b32 v2, v2, v4, v3
	v_trunc_f32_e32 v2, v2
	s_mov_b32 s22, 0x2f800000
	v_mul_f32_e64 v3, |v2|, s22
	v_floor_f32_e32 v3, v3
	s_mov_b32 s22, 0xcf800000
	v_fma_f32 v4, v3, s22, |v2|
	v_cvt_u32_f32_e32 v4, v4
	v_cvt_u32_f32_e32 v3, v3
	v_ashrrev_i32_e32 v5, 31, v2
	v_xor_b32_e32 v2, v4, v5
	v_xor_b32_e32 v3, v3, v5
	v_sub_co_u32_e32 v2, vcc, v2, v5
	v_subb_co_u32_e32 v3, vcc, v3, v5, vcc
.LBB78_433:
	s_or_b64 exec, exec, s[0:1]
	s_mov_b64 s[0:1], 0
	s_branch .LBB78_437
.LBB78_434:
	s_mov_b64 s[22:23], -1
                                        ; implicit-def: $vgpr2_vgpr3
	s_branch .LBB78_443
.LBB78_435:
	s_mov_b64 s[0:1], -1
                                        ; implicit-def: $vgpr2_vgpr3
	s_branch .LBB78_440
.LBB78_436:
	s_mov_b64 s[0:1], -1
                                        ; implicit-def: $vgpr2_vgpr3
.LBB78_437:
	s_and_b64 vcc, exec, s[0:1]
	s_cbranch_vccz .LBB78_439
; %bb.438:
	global_load_ubyte v2, v[0:1], off
	s_mov_b32 s0, 0x7f800000
	s_brev_b32 s1, 1
	s_mov_b32 s22, 0x2f800000
	s_mov_b32 s23, 0xcf800000
	s_waitcnt vmcnt(0)
	v_lshlrev_b32_e32 v2, 24, v2
	v_and_b32_e32 v3, 0x7f000000, v2
	v_ffbh_u32_e32 v4, v3
	v_min_u32_e32 v4, 32, v4
	v_sub_u32_e64 v4, v4, 4 clamp
	v_lshlrev_b32_e32 v6, v4, v3
	v_lshlrev_b32_e32 v4, 23, v4
	v_lshrrev_b32_e32 v6, 4, v6
	v_add_u32_e32 v5, 0x1000000, v3
	v_sub_u32_e32 v4, v6, v4
	v_ashrrev_i32_e32 v5, 8, v5
	v_add_u32_e32 v4, 0x3c000000, v4
	v_and_or_b32 v4, v5, s0, v4
	v_cmp_ne_u32_e32 vcc, 0, v3
	v_cndmask_b32_e32 v3, 0, v4, vcc
	v_and_or_b32 v2, v2, s1, v3
	v_trunc_f32_e32 v2, v2
	v_mul_f32_e64 v3, |v2|, s22
	v_floor_f32_e32 v3, v3
	v_fma_f32 v4, v3, s23, |v2|
	v_cvt_u32_f32_e32 v4, v4
	v_cvt_u32_f32_e32 v3, v3
	v_ashrrev_i32_e32 v5, 31, v2
	v_xor_b32_e32 v2, v4, v5
	v_xor_b32_e32 v3, v3, v5
	v_sub_co_u32_e32 v2, vcc, v2, v5
	v_subb_co_u32_e32 v3, vcc, v3, v5, vcc
.LBB78_439:
	s_mov_b64 s[0:1], 0
.LBB78_440:
	s_andn2_b64 vcc, exec, s[0:1]
	s_cbranch_vccnz .LBB78_442
; %bb.441:
	global_load_ubyte v2, v[0:1], off
	s_movk_i32 s0, 0x7f00
	s_brev_b32 s1, 16
	s_brev_b32 s22, 1
	s_mov_b32 s23, 0x2f800000
	s_mov_b32 s27, 0xcf800000
	s_waitcnt vmcnt(0)
	v_lshlrev_b16_e32 v3, 8, v2
	v_lshlrev_b32_e32 v2, 25, v2
	v_lshrrev_b32_e32 v4, 4, v2
	v_and_or_b32 v5, v3, s0, 0.5
	v_or_b32_e32 v4, 0x70000000, v4
	v_add_f32_e32 v5, -0.5, v5
	v_mul_f32_e32 v4, 0x7800000, v4
	v_cmp_gt_u32_e32 vcc, s1, v2
	v_bfe_i32 v3, v3, 0, 16
	v_cndmask_b32_e32 v2, v4, v5, vcc
	v_and_or_b32 v2, v3, s22, v2
	v_trunc_f32_e32 v2, v2
	v_mul_f32_e64 v3, |v2|, s23
	v_floor_f32_e32 v3, v3
	v_fma_f32 v4, v3, s27, |v2|
	v_cvt_u32_f32_e32 v4, v4
	v_cvt_u32_f32_e32 v3, v3
	v_ashrrev_i32_e32 v5, 31, v2
	v_xor_b32_e32 v2, v4, v5
	v_xor_b32_e32 v3, v3, v5
	v_sub_co_u32_e32 v2, vcc, v2, v5
	v_subb_co_u32_e32 v3, vcc, v3, v5, vcc
.LBB78_442:
	s_mov_b64 s[22:23], 0
	s_mov_b64 s[0:1], -1
.LBB78_443:
	s_andn2_b64 vcc, exec, s[22:23]
	s_cbranch_vccnz .LBB78_454
; %bb.444:
	s_cmp_gt_i32 s26, 14
	s_cbranch_scc0 .LBB78_447
; %bb.445:
	s_cmp_eq_u32 s26, 15
	s_cbranch_scc0 .LBB78_448
; %bb.446:
	global_load_ushort v2, v[0:1], off
	s_mov_b32 s0, 0x2f800000
	s_mov_b32 s1, 0xcf800000
	s_mov_b64 s[20:21], 0
	s_waitcnt vmcnt(0)
	v_lshlrev_b32_e32 v2, 16, v2
	v_trunc_f32_e32 v2, v2
	v_mul_f32_e64 v3, |v2|, s0
	v_floor_f32_e32 v3, v3
	v_fma_f32 v4, v3, s1, |v2|
	v_cvt_u32_f32_e32 v4, v4
	v_cvt_u32_f32_e32 v3, v3
	v_ashrrev_i32_e32 v5, 31, v2
	s_mov_b64 s[0:1], -1
	v_xor_b32_e32 v2, v4, v5
	v_xor_b32_e32 v3, v3, v5
	v_sub_co_u32_e32 v2, vcc, v2, v5
	v_subb_co_u32_e32 v3, vcc, v3, v5, vcc
	s_branch .LBB78_449
.LBB78_447:
	s_mov_b64 s[22:23], -1
                                        ; implicit-def: $vgpr2_vgpr3
	s_branch .LBB78_450
.LBB78_448:
	s_mov_b64 s[20:21], -1
                                        ; implicit-def: $vgpr2_vgpr3
.LBB78_449:
	s_mov_b64 s[22:23], 0
.LBB78_450:
	s_and_b64 vcc, exec, s[22:23]
	s_cbranch_vccz .LBB78_454
; %bb.451:
	s_cmp_eq_u32 s26, 11
	s_cbranch_scc0 .LBB78_453
; %bb.452:
	global_load_ubyte v2, v[0:1], off
	s_mov_b32 s20, 0
	s_mov_b64 s[0:1], -1
	s_waitcnt vmcnt(1)
	v_mov_b32_e32 v3, s20
	s_mov_b64 s[20:21], 0
	s_waitcnt vmcnt(0)
	v_cmp_ne_u16_e32 vcc, 0, v2
	v_cndmask_b32_e64 v2, 0, 1, vcc
	s_branch .LBB78_454
.LBB78_453:
	s_mov_b64 s[20:21], -1
                                        ; implicit-def: $vgpr2_vgpr3
.LBB78_454:
	s_branch .LBB78_261
.LBB78_455:
	s_cmp_lt_i32 s26, 5
	s_cbranch_scc1 .LBB78_460
; %bb.456:
	s_cmp_lt_i32 s26, 8
	s_cbranch_scc1 .LBB78_461
; %bb.457:
	;; [unrolled: 3-line block ×3, first 2 shown]
	s_cmp_gt_i32 s26, 9
	s_cbranch_scc0 .LBB78_463
; %bb.459:
	global_load_dwordx2 v[2:3], v[0:1], off
	s_movk_i32 s0, 0xffe0
	s_waitcnt vmcnt(0)
	v_trunc_f64_e32 v[2:3], v[2:3]
	v_ldexp_f64 v[4:5], v[2:3], s0
	s_mov_b32 s0, 0
	s_mov_b32 s1, 0xc1f00000
	v_floor_f64_e32 v[4:5], v[4:5]
	v_fma_f64 v[6:7], v[4:5], s[0:1], v[2:3]
	v_cvt_i32_f64_e32 v3, v[4:5]
	s_mov_b64 s[0:1], 0
	v_cvt_u32_f64_e32 v2, v[6:7]
	s_branch .LBB78_464
.LBB78_460:
	s_mov_b64 s[0:1], -1
                                        ; implicit-def: $vgpr2_vgpr3
	s_branch .LBB78_482
.LBB78_461:
	s_mov_b64 s[0:1], -1
                                        ; implicit-def: $vgpr2_vgpr3
	s_branch .LBB78_470
.LBB78_462:
	s_mov_b64 s[0:1], -1
                                        ; implicit-def: $vgpr2_vgpr3
	s_branch .LBB78_467
.LBB78_463:
	s_mov_b64 s[0:1], -1
                                        ; implicit-def: $vgpr2_vgpr3
.LBB78_464:
	s_andn2_b64 vcc, exec, s[0:1]
	s_cbranch_vccnz .LBB78_466
; %bb.465:
	global_load_dword v2, v[0:1], off
	s_mov_b32 s0, 0x2f800000
	s_mov_b32 s1, 0xcf800000
	s_waitcnt vmcnt(0)
	v_trunc_f32_e32 v2, v2
	v_mul_f32_e64 v3, |v2|, s0
	v_floor_f32_e32 v3, v3
	v_cvt_u32_f32_e32 v4, v3
	v_fma_f32 v3, v3, s1, |v2|
	v_cvt_u32_f32_e32 v3, v3
	v_ashrrev_i32_e32 v5, 31, v2
	v_xor_b32_e32 v4, v4, v5
	v_xor_b32_e32 v2, v3, v5
	v_sub_co_u32_e32 v2, vcc, v2, v5
	v_subb_co_u32_e32 v3, vcc, v4, v5, vcc
.LBB78_466:
	s_mov_b64 s[0:1], 0
.LBB78_467:
	s_andn2_b64 vcc, exec, s[0:1]
	s_cbranch_vccnz .LBB78_469
; %bb.468:
	global_load_dword v2, v[0:1], off
	s_waitcnt vmcnt(0)
	v_cvt_f32_f16_e32 v2, v2
	v_cvt_i32_f32_e32 v2, v2
	v_ashrrev_i32_e32 v3, 31, v2
.LBB78_469:
	s_mov_b64 s[0:1], 0
.LBB78_470:
	s_andn2_b64 vcc, exec, s[0:1]
	s_cbranch_vccnz .LBB78_481
; %bb.471:
	s_cmp_lt_i32 s26, 6
	s_cbranch_scc1 .LBB78_474
; %bb.472:
	s_cmp_gt_i32 s26, 6
	s_cbranch_scc0 .LBB78_475
; %bb.473:
	global_load_dwordx2 v[2:3], v[0:1], off
	s_movk_i32 s0, 0xffe0
	s_waitcnt vmcnt(0)
	v_trunc_f64_e32 v[2:3], v[2:3]
	v_ldexp_f64 v[4:5], v[2:3], s0
	s_mov_b32 s0, 0
	s_mov_b32 s1, 0xc1f00000
	v_floor_f64_e32 v[4:5], v[4:5]
	v_fma_f64 v[6:7], v[4:5], s[0:1], v[2:3]
	v_cvt_i32_f64_e32 v3, v[4:5]
	s_mov_b64 s[0:1], 0
	v_cvt_u32_f64_e32 v2, v[6:7]
	s_branch .LBB78_476
.LBB78_474:
	s_mov_b64 s[0:1], -1
                                        ; implicit-def: $vgpr2_vgpr3
	s_branch .LBB78_479
.LBB78_475:
	s_mov_b64 s[0:1], -1
                                        ; implicit-def: $vgpr2_vgpr3
.LBB78_476:
	s_andn2_b64 vcc, exec, s[0:1]
	s_cbranch_vccnz .LBB78_478
; %bb.477:
	global_load_dword v2, v[0:1], off
	s_mov_b32 s0, 0x2f800000
	s_mov_b32 s1, 0xcf800000
	s_waitcnt vmcnt(0)
	v_trunc_f32_e32 v2, v2
	v_mul_f32_e64 v3, |v2|, s0
	v_floor_f32_e32 v3, v3
	v_cvt_u32_f32_e32 v4, v3
	v_fma_f32 v3, v3, s1, |v2|
	v_cvt_u32_f32_e32 v3, v3
	v_ashrrev_i32_e32 v5, 31, v2
	v_xor_b32_e32 v4, v4, v5
	v_xor_b32_e32 v2, v3, v5
	v_sub_co_u32_e32 v2, vcc, v2, v5
	v_subb_co_u32_e32 v3, vcc, v4, v5, vcc
.LBB78_478:
	s_mov_b64 s[0:1], 0
.LBB78_479:
	s_andn2_b64 vcc, exec, s[0:1]
	s_cbranch_vccnz .LBB78_481
; %bb.480:
	global_load_ushort v2, v[0:1], off
	s_waitcnt vmcnt(0)
	v_cvt_f32_f16_e32 v2, v2
	v_cvt_i32_f32_e32 v2, v2
	v_ashrrev_i32_e32 v3, 31, v2
.LBB78_481:
	s_mov_b64 s[0:1], 0
.LBB78_482:
	s_andn2_b64 vcc, exec, s[0:1]
	s_cbranch_vccnz .LBB78_502
; %bb.483:
	s_cmp_lt_i32 s26, 2
	s_cbranch_scc1 .LBB78_487
; %bb.484:
	s_cmp_lt_i32 s26, 3
	s_cbranch_scc1 .LBB78_488
; %bb.485:
	s_cmp_gt_i32 s26, 3
	s_cbranch_scc0 .LBB78_489
; %bb.486:
	global_load_dwordx2 v[2:3], v[0:1], off
	s_mov_b64 s[0:1], 0
	s_branch .LBB78_490
.LBB78_487:
	s_mov_b64 s[0:1], -1
                                        ; implicit-def: $vgpr2_vgpr3
	s_branch .LBB78_496
.LBB78_488:
	s_mov_b64 s[0:1], -1
                                        ; implicit-def: $vgpr2_vgpr3
	s_branch .LBB78_493
.LBB78_489:
	s_mov_b64 s[0:1], -1
                                        ; implicit-def: $vgpr2_vgpr3
.LBB78_490:
	s_andn2_b64 vcc, exec, s[0:1]
	s_cbranch_vccnz .LBB78_492
; %bb.491:
	global_load_dword v2, v[0:1], off
	s_waitcnt vmcnt(0)
	v_ashrrev_i32_e32 v3, 31, v2
.LBB78_492:
	s_mov_b64 s[0:1], 0
.LBB78_493:
	s_andn2_b64 vcc, exec, s[0:1]
	s_cbranch_vccnz .LBB78_495
; %bb.494:
	global_load_ushort v2, v[0:1], off
	s_waitcnt vmcnt(0)
	v_bfe_i32 v2, v2, 0, 16
	v_ashrrev_i32_e32 v3, 31, v2
.LBB78_495:
	s_mov_b64 s[0:1], 0
.LBB78_496:
	s_andn2_b64 vcc, exec, s[0:1]
	s_cbranch_vccnz .LBB78_502
; %bb.497:
	s_cmp_gt_i32 s26, 0
	s_cbranch_scc0 .LBB78_499
; %bb.498:
	global_load_sbyte v2, v[0:1], off
	s_mov_b64 s[0:1], 0
	s_waitcnt vmcnt(0)
	v_bfe_i32 v2, v2, 0, 16
	v_ashrrev_i32_e32 v3, 31, v2
	s_branch .LBB78_500
.LBB78_499:
	s_mov_b64 s[0:1], -1
                                        ; implicit-def: $vgpr2_vgpr3
.LBB78_500:
	s_andn2_b64 vcc, exec, s[0:1]
	s_cbranch_vccnz .LBB78_502
; %bb.501:
	global_load_ubyte v0, v[0:1], off
	s_mov_b32 s0, 0
	s_waitcnt vmcnt(1)
	v_mov_b32_e32 v3, s0
	s_waitcnt vmcnt(0)
	v_and_b32_e32 v2, 0xffff, v0
.LBB78_502:
	s_branch .LBB78_262
.LBB78_503:
	s_mov_b64 s[26:27], 0
                                        ; implicit-def: $vgpr10
	s_mov_b64 s[0:1], s[14:15]
.LBB78_504:
	s_andn2_b64 s[22:23], s[14:15], exec
	s_and_b64 s[0:1], s[0:1], exec
	s_or_b64 s[22:23], s[22:23], s[0:1]
	s_andn2_b64 s[0:1], s[16:17], exec
	s_and_b64 s[20:21], s[20:21], exec
	s_or_b64 s[20:21], s[0:1], s[20:21]
	s_orn2_b64 s[0:1], s[26:27], exec
.LBB78_505:
	s_or_b64 exec, exec, s[24:25]
	s_mov_b64 s[26:27], 0
	s_mov_b64 s[28:29], 0
	;; [unrolled: 1-line block ×3, first 2 shown]
                                        ; implicit-def: $vgpr0_vgpr1
                                        ; implicit-def: $vgpr4_vgpr5
	s_and_saveexec_b64 s[24:25], s[0:1]
	s_cbranch_execz .LBB78_842
; %bb.506:
	v_cmp_gt_i32_e32 vcc, s40, v10
	s_mov_b64 s[36:37], -1
	s_mov_b64 s[0:1], s[20:21]
	s_mov_b64 s[30:31], s[22:23]
	s_and_saveexec_b64 s[26:27], vcc
	s_cbranch_execz .LBB78_760
; %bb.507:
	v_mul_lo_u32 v0, v10, s13
	v_mov_b32_e32 v1, s11
	s_and_b32 s34, 0xffff, s44
	s_cmp_lt_i32 s34, 11
	s_waitcnt vmcnt(0)
	v_ashrrev_i32_e32 v2, 31, v0
	v_add_co_u32_e32 v0, vcc, s10, v0
	v_addc_co_u32_e32 v1, vcc, v1, v2, vcc
	s_cbranch_scc1 .LBB78_514
; %bb.508:
	s_cmp_gt_i32 s34, 25
	s_cbranch_scc0 .LBB78_515
; %bb.509:
	s_cmp_gt_i32 s34, 28
	s_cbranch_scc0 .LBB78_516
; %bb.510:
	s_cmp_gt_i32 s34, 43
	s_cbranch_scc0 .LBB78_517
; %bb.511:
	s_cmp_gt_i32 s34, 45
	s_cbranch_scc0 .LBB78_520
; %bb.512:
	s_cmp_eq_u32 s34, 46
	s_mov_b64 s[30:31], 0
	s_cbranch_scc0 .LBB78_523
; %bb.513:
	global_load_dword v2, v[0:1], off
	s_mov_b32 s0, 0x2f800000
	s_mov_b32 s1, 0xcf800000
	s_waitcnt vmcnt(0)
	v_lshlrev_b32_e32 v2, 16, v2
	v_trunc_f32_e32 v2, v2
	v_mul_f32_e64 v3, |v2|, s0
	v_floor_f32_e32 v3, v3
	v_fma_f32 v4, v3, s1, |v2|
	v_cvt_u32_f32_e32 v4, v4
	v_cvt_u32_f32_e32 v3, v3
	v_ashrrev_i32_e32 v5, 31, v2
	s_mov_b64 s[0:1], -1
	v_xor_b32_e32 v2, v4, v5
	v_xor_b32_e32 v3, v3, v5
	v_sub_co_u32_e32 v2, vcc, v2, v5
	v_subb_co_u32_e32 v3, vcc, v3, v5, vcc
	s_branch .LBB78_524
.LBB78_514:
	s_mov_b64 s[30:31], -1
	s_mov_b64 s[0:1], 0
                                        ; implicit-def: $vgpr2_vgpr3
	s_mov_b64 s[28:29], s[20:21]
	s_branch .LBB78_585
.LBB78_515:
	s_mov_b64 s[30:31], -1
	s_mov_b64 s[0:1], 0
	s_mov_b64 s[28:29], s[20:21]
                                        ; implicit-def: $vgpr2_vgpr3
	s_branch .LBB78_553
.LBB78_516:
	s_mov_b64 s[30:31], -1
	s_mov_b64 s[0:1], 0
	s_mov_b64 s[28:29], s[20:21]
                                        ; implicit-def: $vgpr2_vgpr3
	s_branch .LBB78_534
.LBB78_517:
	s_mov_b64 s[30:31], -1
	s_mov_b64 s[0:1], 0
	s_mov_b64 s[28:29], s[20:21]
                                        ; implicit-def: $vgpr2_vgpr3
	s_branch .LBB78_529
.LBB78_518:
	s_andn2_saveexec_b64 s[28:29], s[28:29]
	s_cbranch_execz .LBB78_307
.LBB78_519:
	s_mov_b32 s34, 0x46000000
	v_add_f32_e64 v5, |v4|, s34
	v_and_b32_e32 v5, 0xff, v5
	v_cmp_ne_u32_e32 vcc, 0, v5
	s_andn2_b64 s[26:27], s[26:27], exec
	s_and_b64 s[34:35], vcc, exec
	s_or_b64 s[26:27], s[26:27], s[34:35]
	s_or_b64 exec, exec, s[28:29]
	v_mov_b32_e32 v6, 0
	s_and_saveexec_b64 s[28:29], s[26:27]
	s_cbranch_execnz .LBB78_308
	s_branch .LBB78_309
.LBB78_520:
	s_mov_b64 s[30:31], -1
	s_mov_b64 s[0:1], 0
	s_mov_b64 s[28:29], s[20:21]
                                        ; implicit-def: $vgpr2_vgpr3
	s_branch .LBB78_524
.LBB78_521:
	s_andn2_saveexec_b64 s[28:29], s[28:29]
	s_cbranch_execz .LBB78_320
.LBB78_522:
	s_mov_b32 s34, 0x42800000
	v_add_f32_e64 v5, |v4|, s34
	v_and_b32_e32 v5, 0xff, v5
	v_cmp_ne_u32_e32 vcc, 0, v5
	s_andn2_b64 s[26:27], s[26:27], exec
	s_and_b64 s[34:35], vcc, exec
	s_or_b64 s[26:27], s[26:27], s[34:35]
	s_or_b64 exec, exec, s[28:29]
	v_mov_b32_e32 v6, 0
	s_and_saveexec_b64 s[28:29], s[26:27]
	s_cbranch_execnz .LBB78_321
	s_branch .LBB78_322
.LBB78_523:
	s_mov_b64 s[28:29], -1
                                        ; implicit-def: $vgpr2_vgpr3
	s_mov_b64 s[0:1], 0
.LBB78_524:
	s_and_b64 vcc, exec, s[30:31]
	s_cbranch_vccz .LBB78_528
; %bb.525:
	s_cmp_eq_u32 s34, 44
	s_cbranch_scc0 .LBB78_527
; %bb.526:
	global_load_ubyte v2, v[0:1], off
	s_mov_b32 s0, 0x2f800000
	s_mov_b32 s1, 0xcf800000
	s_mov_b64 s[28:29], 0
	s_waitcnt vmcnt(0)
	v_lshlrev_b32_e32 v3, 23, v2
	v_trunc_f32_e32 v3, v3
	v_mul_f32_e64 v4, |v3|, s0
	v_floor_f32_e32 v4, v4
	v_fma_f32 v5, v4, s1, |v3|
	v_cvt_u32_f32_e32 v5, v5
	v_cvt_u32_f32_e32 v4, v4
	v_ashrrev_i32_e32 v3, 31, v3
	s_mov_b64 s[0:1], -1
	v_xor_b32_e32 v5, v5, v3
	v_xor_b32_e32 v4, v4, v3
	v_sub_co_u32_e32 v5, vcc, v5, v3
	v_subb_co_u32_e32 v3, vcc, v4, v3, vcc
	v_cmp_ne_u32_e32 vcc, 0, v2
	v_cndmask_b32_e32 v3, 0, v3, vcc
	v_cndmask_b32_e32 v2, 0, v5, vcc
	s_branch .LBB78_528
.LBB78_527:
	s_mov_b64 s[28:29], -1
                                        ; implicit-def: $vgpr2_vgpr3
.LBB78_528:
	s_mov_b64 s[30:31], 0
.LBB78_529:
	s_and_b64 vcc, exec, s[30:31]
	s_cbranch_vccz .LBB78_533
; %bb.530:
	s_cmp_eq_u32 s34, 29
	s_cbranch_scc0 .LBB78_532
; %bb.531:
	global_load_dwordx2 v[2:3], v[0:1], off
	s_mov_b64 s[0:1], -1
	s_mov_b64 s[28:29], 0
	s_branch .LBB78_533
.LBB78_532:
	s_mov_b64 s[28:29], -1
                                        ; implicit-def: $vgpr2_vgpr3
.LBB78_533:
	s_mov_b64 s[30:31], 0
.LBB78_534:
	s_and_b64 vcc, exec, s[30:31]
	s_cbranch_vccz .LBB78_552
; %bb.535:
	s_cmp_lt_i32 s34, 27
	s_cbranch_scc1 .LBB78_538
; %bb.536:
	s_cmp_gt_i32 s34, 27
	s_cbranch_scc0 .LBB78_539
; %bb.537:
	global_load_dword v2, v[0:1], off
	s_waitcnt vmcnt(1)
	v_mov_b32_e32 v3, 0
	s_mov_b64 s[0:1], 0
	s_branch .LBB78_540
.LBB78_538:
	s_mov_b64 s[0:1], -1
                                        ; implicit-def: $vgpr2_vgpr3
	s_branch .LBB78_543
.LBB78_539:
	s_mov_b64 s[0:1], -1
                                        ; implicit-def: $vgpr2_vgpr3
.LBB78_540:
	s_andn2_b64 vcc, exec, s[0:1]
	s_cbranch_vccnz .LBB78_542
; %bb.541:
	global_load_ushort v2, v[0:1], off
	s_mov_b32 s0, 0
	s_waitcnt vmcnt(1)
	v_mov_b32_e32 v3, s0
	s_waitcnt vmcnt(0)
	v_and_b32_e32 v2, 0xffff, v2
.LBB78_542:
	s_mov_b64 s[0:1], 0
.LBB78_543:
	s_andn2_b64 vcc, exec, s[0:1]
	s_cbranch_vccnz .LBB78_551
; %bb.544:
	global_load_ubyte v4, v[0:1], off
	s_movk_i32 s0, 0x7f
	s_mov_b64 s[30:31], 0
	s_waitcnt vmcnt(0)
	v_cmp_lt_i16_e32 vcc, s0, v4
	s_and_saveexec_b64 s[0:1], vcc
	s_xor_b64 s[0:1], exec, s[0:1]
; %bb.545:
	s_movk_i32 s30, 0x80
	v_cmp_ne_u16_e32 vcc, s30, v4
	s_and_b64 s[30:31], vcc, exec
; %bb.546:
	s_andn2_saveexec_b64 s[0:1], s[0:1]
; %bb.547:
	v_cmp_ne_u16_e32 vcc, 0, v4
	s_andn2_b64 s[30:31], s[30:31], exec
	s_and_b64 s[36:37], vcc, exec
	s_or_b64 s[30:31], s[30:31], s[36:37]
; %bb.548:
	s_or_b64 exec, exec, s[0:1]
	v_mov_b32_e32 v2, 0
	v_mov_b32_e32 v3, 0
	s_and_saveexec_b64 s[0:1], s[30:31]
	s_cbranch_execz .LBB78_550
; %bb.549:
	v_and_b32_e32 v3, 0xffff, v4
	v_lshlrev_b32_e32 v2, 24, v4
	v_and_b32_e32 v4, 7, v3
	v_ffbh_u32_e32 v6, v4
	v_min_u32_e32 v6, 32, v6
	v_subrev_u32_e32 v7, 28, v6
	v_bfe_u32 v5, v3, 3, 4
	v_lshlrev_b32_e32 v3, v7, v3
	v_sub_u32_e32 v6, 29, v6
	v_and_b32_e32 v3, 7, v3
	v_cmp_eq_u32_e32 vcc, 0, v5
	v_cndmask_b32_e32 v5, v5, v6, vcc
	v_cndmask_b32_e32 v3, v4, v3, vcc
	v_mov_b32_e32 v4, 0x3b800000
	v_lshlrev_b32_e32 v3, 20, v3
	v_and_b32_e32 v2, 0x80000000, v2
	v_lshl_add_u32 v4, v5, 23, v4
	v_or3_b32 v2, v2, v4, v3
	v_trunc_f32_e32 v2, v2
	s_mov_b32 s30, 0x2f800000
	v_mul_f32_e64 v3, |v2|, s30
	v_floor_f32_e32 v3, v3
	s_mov_b32 s30, 0xcf800000
	v_fma_f32 v4, v3, s30, |v2|
	v_cvt_u32_f32_e32 v4, v4
	v_cvt_u32_f32_e32 v3, v3
	v_ashrrev_i32_e32 v5, 31, v2
	v_xor_b32_e32 v2, v4, v5
	v_xor_b32_e32 v3, v3, v5
	v_sub_co_u32_e32 v2, vcc, v2, v5
	v_subb_co_u32_e32 v3, vcc, v3, v5, vcc
.LBB78_550:
	s_or_b64 exec, exec, s[0:1]
.LBB78_551:
	s_mov_b64 s[0:1], -1
.LBB78_552:
	s_mov_b64 s[30:31], 0
.LBB78_553:
	s_and_b64 vcc, exec, s[30:31]
	s_cbranch_vccz .LBB78_584
; %bb.554:
	s_cmp_gt_i32 s34, 22
	s_cbranch_scc0 .LBB78_564
; %bb.555:
	s_cmp_lt_i32 s34, 24
	s_cbranch_scc1 .LBB78_565
; %bb.556:
	s_cmp_gt_i32 s34, 24
	s_cbranch_scc0 .LBB78_566
; %bb.557:
	global_load_ubyte v4, v[0:1], off
	s_movk_i32 s0, 0x7f
	s_mov_b64 s[30:31], 0
	s_waitcnt vmcnt(0)
	v_cmp_lt_i16_e32 vcc, s0, v4
	s_and_saveexec_b64 s[0:1], vcc
	s_xor_b64 s[0:1], exec, s[0:1]
; %bb.558:
	s_movk_i32 s30, 0x80
	v_cmp_ne_u16_e32 vcc, s30, v4
	s_and_b64 s[30:31], vcc, exec
; %bb.559:
	s_andn2_saveexec_b64 s[0:1], s[0:1]
; %bb.560:
	v_cmp_ne_u16_e32 vcc, 0, v4
	s_andn2_b64 s[30:31], s[30:31], exec
	s_and_b64 s[36:37], vcc, exec
	s_or_b64 s[30:31], s[30:31], s[36:37]
; %bb.561:
	s_or_b64 exec, exec, s[0:1]
	v_mov_b32_e32 v2, 0
	v_mov_b32_e32 v3, 0
	s_and_saveexec_b64 s[0:1], s[30:31]
	s_cbranch_execz .LBB78_563
; %bb.562:
	v_and_b32_e32 v3, 0xffff, v4
	v_lshlrev_b32_e32 v2, 24, v4
	v_and_b32_e32 v4, 3, v3
	v_ffbh_u32_e32 v6, v4
	v_min_u32_e32 v6, 32, v6
	v_subrev_u32_e32 v7, 29, v6
	v_bfe_u32 v5, v3, 2, 5
	v_lshlrev_b32_e32 v3, v7, v3
	v_sub_u32_e32 v6, 30, v6
	v_and_b32_e32 v3, 3, v3
	v_cmp_eq_u32_e32 vcc, 0, v5
	v_cndmask_b32_e32 v5, v5, v6, vcc
	v_cndmask_b32_e32 v3, v4, v3, vcc
	v_mov_b32_e32 v4, 0x37800000
	v_lshlrev_b32_e32 v3, 21, v3
	v_and_b32_e32 v2, 0x80000000, v2
	v_lshl_add_u32 v4, v5, 23, v4
	v_or3_b32 v2, v2, v4, v3
	v_trunc_f32_e32 v2, v2
	s_mov_b32 s30, 0x2f800000
	v_mul_f32_e64 v3, |v2|, s30
	v_floor_f32_e32 v3, v3
	s_mov_b32 s30, 0xcf800000
	v_fma_f32 v4, v3, s30, |v2|
	v_cvt_u32_f32_e32 v4, v4
	v_cvt_u32_f32_e32 v3, v3
	v_ashrrev_i32_e32 v5, 31, v2
	v_xor_b32_e32 v2, v4, v5
	v_xor_b32_e32 v3, v3, v5
	v_sub_co_u32_e32 v2, vcc, v2, v5
	v_subb_co_u32_e32 v3, vcc, v3, v5, vcc
.LBB78_563:
	s_or_b64 exec, exec, s[0:1]
	s_mov_b64 s[0:1], 0
	s_branch .LBB78_567
.LBB78_564:
	s_mov_b64 s[30:31], -1
                                        ; implicit-def: $vgpr2_vgpr3
	s_branch .LBB78_573
.LBB78_565:
	s_mov_b64 s[0:1], -1
                                        ; implicit-def: $vgpr2_vgpr3
	s_branch .LBB78_570
.LBB78_566:
	s_mov_b64 s[0:1], -1
                                        ; implicit-def: $vgpr2_vgpr3
.LBB78_567:
	s_and_b64 vcc, exec, s[0:1]
	s_cbranch_vccz .LBB78_569
; %bb.568:
	global_load_ubyte v2, v[0:1], off
	s_mov_b32 s0, 0x7f800000
	s_brev_b32 s1, 1
	s_mov_b32 s30, 0x2f800000
	s_mov_b32 s31, 0xcf800000
	s_waitcnt vmcnt(0)
	v_lshlrev_b32_e32 v2, 24, v2
	v_and_b32_e32 v3, 0x7f000000, v2
	v_ffbh_u32_e32 v4, v3
	v_min_u32_e32 v4, 32, v4
	v_sub_u32_e64 v4, v4, 4 clamp
	v_lshlrev_b32_e32 v6, v4, v3
	v_lshlrev_b32_e32 v4, 23, v4
	v_lshrrev_b32_e32 v6, 4, v6
	v_add_u32_e32 v5, 0x1000000, v3
	v_sub_u32_e32 v4, v6, v4
	v_ashrrev_i32_e32 v5, 8, v5
	v_add_u32_e32 v4, 0x3c000000, v4
	v_and_or_b32 v4, v5, s0, v4
	v_cmp_ne_u32_e32 vcc, 0, v3
	v_cndmask_b32_e32 v3, 0, v4, vcc
	v_and_or_b32 v2, v2, s1, v3
	v_trunc_f32_e32 v2, v2
	v_mul_f32_e64 v3, |v2|, s30
	v_floor_f32_e32 v3, v3
	v_fma_f32 v4, v3, s31, |v2|
	v_cvt_u32_f32_e32 v4, v4
	v_cvt_u32_f32_e32 v3, v3
	v_ashrrev_i32_e32 v5, 31, v2
	v_xor_b32_e32 v2, v4, v5
	v_xor_b32_e32 v3, v3, v5
	v_sub_co_u32_e32 v2, vcc, v2, v5
	v_subb_co_u32_e32 v3, vcc, v3, v5, vcc
.LBB78_569:
	s_mov_b64 s[0:1], 0
.LBB78_570:
	s_andn2_b64 vcc, exec, s[0:1]
	s_cbranch_vccnz .LBB78_572
; %bb.571:
	global_load_ubyte v2, v[0:1], off
	s_movk_i32 s0, 0x7f00
	s_brev_b32 s1, 16
	s_brev_b32 s30, 1
	s_mov_b32 s31, 0x2f800000
	s_mov_b32 s35, 0xcf800000
	s_waitcnt vmcnt(0)
	v_lshlrev_b16_e32 v3, 8, v2
	v_lshlrev_b32_e32 v2, 25, v2
	v_lshrrev_b32_e32 v4, 4, v2
	v_and_or_b32 v5, v3, s0, 0.5
	v_or_b32_e32 v4, 0x70000000, v4
	v_add_f32_e32 v5, -0.5, v5
	v_mul_f32_e32 v4, 0x7800000, v4
	v_cmp_gt_u32_e32 vcc, s1, v2
	v_bfe_i32 v3, v3, 0, 16
	v_cndmask_b32_e32 v2, v4, v5, vcc
	v_and_or_b32 v2, v3, s30, v2
	v_trunc_f32_e32 v2, v2
	v_mul_f32_e64 v3, |v2|, s31
	v_floor_f32_e32 v3, v3
	v_fma_f32 v4, v3, s35, |v2|
	v_cvt_u32_f32_e32 v4, v4
	v_cvt_u32_f32_e32 v3, v3
	v_ashrrev_i32_e32 v5, 31, v2
	v_xor_b32_e32 v2, v4, v5
	v_xor_b32_e32 v3, v3, v5
	v_sub_co_u32_e32 v2, vcc, v2, v5
	v_subb_co_u32_e32 v3, vcc, v3, v5, vcc
.LBB78_572:
	s_mov_b64 s[30:31], 0
	s_mov_b64 s[0:1], -1
.LBB78_573:
	s_andn2_b64 vcc, exec, s[30:31]
	s_cbranch_vccnz .LBB78_584
; %bb.574:
	s_cmp_gt_i32 s34, 14
	s_cbranch_scc0 .LBB78_577
; %bb.575:
	s_cmp_eq_u32 s34, 15
	s_cbranch_scc0 .LBB78_578
; %bb.576:
	global_load_ushort v2, v[0:1], off
	s_mov_b32 s0, 0x2f800000
	s_mov_b32 s1, 0xcf800000
	s_mov_b64 s[28:29], 0
	s_waitcnt vmcnt(0)
	v_lshlrev_b32_e32 v2, 16, v2
	v_trunc_f32_e32 v2, v2
	v_mul_f32_e64 v3, |v2|, s0
	v_floor_f32_e32 v3, v3
	v_fma_f32 v4, v3, s1, |v2|
	v_cvt_u32_f32_e32 v4, v4
	v_cvt_u32_f32_e32 v3, v3
	v_ashrrev_i32_e32 v5, 31, v2
	s_mov_b64 s[0:1], -1
	v_xor_b32_e32 v2, v4, v5
	v_xor_b32_e32 v3, v3, v5
	v_sub_co_u32_e32 v2, vcc, v2, v5
	v_subb_co_u32_e32 v3, vcc, v3, v5, vcc
	s_branch .LBB78_579
.LBB78_577:
	s_mov_b64 s[30:31], -1
                                        ; implicit-def: $vgpr2_vgpr3
	s_branch .LBB78_580
.LBB78_578:
	s_mov_b64 s[28:29], -1
                                        ; implicit-def: $vgpr2_vgpr3
.LBB78_579:
	s_mov_b64 s[30:31], 0
.LBB78_580:
	s_and_b64 vcc, exec, s[30:31]
	s_cbranch_vccz .LBB78_584
; %bb.581:
	s_cmp_eq_u32 s34, 11
	s_cbranch_scc0 .LBB78_583
; %bb.582:
	global_load_ubyte v2, v[0:1], off
	s_mov_b32 s28, 0
	s_mov_b64 s[0:1], -1
	s_waitcnt vmcnt(1)
	v_mov_b32_e32 v3, s28
	s_mov_b64 s[28:29], 0
	s_waitcnt vmcnt(0)
	v_cmp_ne_u16_e32 vcc, 0, v2
	v_cndmask_b32_e64 v2, 0, 1, vcc
	s_branch .LBB78_584
.LBB78_583:
	s_mov_b64 s[28:29], -1
                                        ; implicit-def: $vgpr2_vgpr3
.LBB78_584:
	s_mov_b64 s[30:31], 0
.LBB78_585:
	s_and_b64 vcc, exec, s[30:31]
	s_cbranch_vccz .LBB78_634
; %bb.586:
	s_cmp_lt_i32 s34, 5
	s_cbranch_scc1 .LBB78_591
; %bb.587:
	s_cmp_lt_i32 s34, 8
	s_cbranch_scc1 .LBB78_592
	;; [unrolled: 3-line block ×3, first 2 shown]
; %bb.589:
	s_cmp_gt_i32 s34, 9
	s_cbranch_scc0 .LBB78_594
; %bb.590:
	global_load_dwordx2 v[2:3], v[0:1], off
	s_movk_i32 s0, 0xffe0
	s_waitcnt vmcnt(0)
	v_trunc_f64_e32 v[2:3], v[2:3]
	v_ldexp_f64 v[4:5], v[2:3], s0
	s_mov_b32 s0, 0
	s_mov_b32 s1, 0xc1f00000
	v_floor_f64_e32 v[4:5], v[4:5]
	v_fma_f64 v[6:7], v[4:5], s[0:1], v[2:3]
	v_cvt_i32_f64_e32 v3, v[4:5]
	s_mov_b64 s[0:1], 0
	v_cvt_u32_f64_e32 v2, v[6:7]
	s_branch .LBB78_595
.LBB78_591:
	s_mov_b64 s[0:1], -1
                                        ; implicit-def: $vgpr2_vgpr3
	s_branch .LBB78_613
.LBB78_592:
	s_mov_b64 s[0:1], -1
                                        ; implicit-def: $vgpr2_vgpr3
	s_branch .LBB78_601
.LBB78_593:
	s_mov_b64 s[0:1], -1
                                        ; implicit-def: $vgpr2_vgpr3
	s_branch .LBB78_598
.LBB78_594:
	s_mov_b64 s[0:1], -1
                                        ; implicit-def: $vgpr2_vgpr3
.LBB78_595:
	s_andn2_b64 vcc, exec, s[0:1]
	s_cbranch_vccnz .LBB78_597
; %bb.596:
	global_load_dword v2, v[0:1], off
	s_mov_b32 s0, 0x2f800000
	s_mov_b32 s1, 0xcf800000
	s_waitcnt vmcnt(0)
	v_trunc_f32_e32 v2, v2
	v_mul_f32_e64 v3, |v2|, s0
	v_floor_f32_e32 v3, v3
	v_cvt_u32_f32_e32 v4, v3
	v_fma_f32 v3, v3, s1, |v2|
	v_cvt_u32_f32_e32 v3, v3
	v_ashrrev_i32_e32 v5, 31, v2
	v_xor_b32_e32 v4, v4, v5
	v_xor_b32_e32 v2, v3, v5
	v_sub_co_u32_e32 v2, vcc, v2, v5
	v_subb_co_u32_e32 v3, vcc, v4, v5, vcc
.LBB78_597:
	s_mov_b64 s[0:1], 0
.LBB78_598:
	s_andn2_b64 vcc, exec, s[0:1]
	s_cbranch_vccnz .LBB78_600
; %bb.599:
	global_load_dword v2, v[0:1], off
	s_waitcnt vmcnt(0)
	v_cvt_f32_f16_e32 v2, v2
	v_cvt_i32_f32_e32 v2, v2
	v_ashrrev_i32_e32 v3, 31, v2
.LBB78_600:
	s_mov_b64 s[0:1], 0
.LBB78_601:
	s_andn2_b64 vcc, exec, s[0:1]
	s_cbranch_vccnz .LBB78_612
; %bb.602:
	s_cmp_lt_i32 s34, 6
	s_cbranch_scc1 .LBB78_605
; %bb.603:
	s_cmp_gt_i32 s34, 6
	s_cbranch_scc0 .LBB78_606
; %bb.604:
	global_load_dwordx2 v[2:3], v[0:1], off
	s_movk_i32 s0, 0xffe0
	s_waitcnt vmcnt(0)
	v_trunc_f64_e32 v[2:3], v[2:3]
	v_ldexp_f64 v[4:5], v[2:3], s0
	s_mov_b32 s0, 0
	s_mov_b32 s1, 0xc1f00000
	v_floor_f64_e32 v[4:5], v[4:5]
	v_fma_f64 v[6:7], v[4:5], s[0:1], v[2:3]
	v_cvt_i32_f64_e32 v3, v[4:5]
	s_mov_b64 s[0:1], 0
	v_cvt_u32_f64_e32 v2, v[6:7]
	s_branch .LBB78_607
.LBB78_605:
	s_mov_b64 s[0:1], -1
                                        ; implicit-def: $vgpr2_vgpr3
	s_branch .LBB78_610
.LBB78_606:
	s_mov_b64 s[0:1], -1
                                        ; implicit-def: $vgpr2_vgpr3
.LBB78_607:
	s_andn2_b64 vcc, exec, s[0:1]
	s_cbranch_vccnz .LBB78_609
; %bb.608:
	global_load_dword v2, v[0:1], off
	s_mov_b32 s0, 0x2f800000
	s_mov_b32 s1, 0xcf800000
	s_waitcnt vmcnt(0)
	v_trunc_f32_e32 v2, v2
	v_mul_f32_e64 v3, |v2|, s0
	v_floor_f32_e32 v3, v3
	v_cvt_u32_f32_e32 v4, v3
	v_fma_f32 v3, v3, s1, |v2|
	v_cvt_u32_f32_e32 v3, v3
	v_ashrrev_i32_e32 v5, 31, v2
	v_xor_b32_e32 v4, v4, v5
	v_xor_b32_e32 v2, v3, v5
	v_sub_co_u32_e32 v2, vcc, v2, v5
	v_subb_co_u32_e32 v3, vcc, v4, v5, vcc
.LBB78_609:
	s_mov_b64 s[0:1], 0
.LBB78_610:
	s_andn2_b64 vcc, exec, s[0:1]
	s_cbranch_vccnz .LBB78_612
; %bb.611:
	global_load_ushort v2, v[0:1], off
	s_waitcnt vmcnt(0)
	v_cvt_f32_f16_e32 v2, v2
	v_cvt_i32_f32_e32 v2, v2
	v_ashrrev_i32_e32 v3, 31, v2
.LBB78_612:
	s_mov_b64 s[0:1], 0
.LBB78_613:
	s_andn2_b64 vcc, exec, s[0:1]
	s_cbranch_vccnz .LBB78_633
; %bb.614:
	s_cmp_lt_i32 s34, 2
	s_cbranch_scc1 .LBB78_618
; %bb.615:
	s_cmp_lt_i32 s34, 3
	s_cbranch_scc1 .LBB78_619
; %bb.616:
	s_cmp_gt_i32 s34, 3
	s_cbranch_scc0 .LBB78_620
; %bb.617:
	global_load_dwordx2 v[2:3], v[0:1], off
	s_mov_b64 s[0:1], 0
	s_branch .LBB78_621
.LBB78_618:
	s_mov_b64 s[0:1], -1
                                        ; implicit-def: $vgpr2_vgpr3
	s_branch .LBB78_627
.LBB78_619:
	s_mov_b64 s[0:1], -1
                                        ; implicit-def: $vgpr2_vgpr3
	s_branch .LBB78_624
.LBB78_620:
	s_mov_b64 s[0:1], -1
                                        ; implicit-def: $vgpr2_vgpr3
.LBB78_621:
	s_andn2_b64 vcc, exec, s[0:1]
	s_cbranch_vccnz .LBB78_623
; %bb.622:
	global_load_dword v2, v[0:1], off
	s_waitcnt vmcnt(0)
	v_ashrrev_i32_e32 v3, 31, v2
.LBB78_623:
	s_mov_b64 s[0:1], 0
.LBB78_624:
	s_andn2_b64 vcc, exec, s[0:1]
	s_cbranch_vccnz .LBB78_626
; %bb.625:
	global_load_ushort v2, v[0:1], off
	s_waitcnt vmcnt(0)
	v_bfe_i32 v2, v2, 0, 16
	v_ashrrev_i32_e32 v3, 31, v2
.LBB78_626:
	s_mov_b64 s[0:1], 0
.LBB78_627:
	s_andn2_b64 vcc, exec, s[0:1]
	s_cbranch_vccnz .LBB78_633
; %bb.628:
	s_cmp_gt_i32 s34, 0
	s_cbranch_scc0 .LBB78_630
; %bb.629:
	global_load_sbyte v2, v[0:1], off
	s_mov_b64 s[0:1], 0
	s_waitcnt vmcnt(0)
	v_bfe_i32 v2, v2, 0, 16
	v_ashrrev_i32_e32 v3, 31, v2
	s_branch .LBB78_631
.LBB78_630:
	s_mov_b64 s[0:1], -1
                                        ; implicit-def: $vgpr2_vgpr3
.LBB78_631:
	s_andn2_b64 vcc, exec, s[0:1]
	s_cbranch_vccnz .LBB78_633
; %bb.632:
	global_load_ubyte v0, v[0:1], off
	s_mov_b32 s0, 0
	s_waitcnt vmcnt(1)
	v_mov_b32_e32 v3, s0
	s_waitcnt vmcnt(0)
	v_and_b32_e32 v2, 0xffff, v0
.LBB78_633:
	s_mov_b64 s[0:1], -1
.LBB78_634:
	s_andn2_b64 vcc, exec, s[0:1]
	s_cbranch_vccnz .LBB78_642
; %bb.635:
	v_mul_lo_u32 v4, v10, s12
	s_waitcnt vmcnt(0)
	v_lshlrev_b64 v[0:1], v2, s[2:3]
	v_cmp_gt_u64_e32 vcc, 64, v[2:3]
	v_mov_b32_e32 v5, s9
	v_cndmask_b32_e32 v1, 0, v1, vcc
	v_cndmask_b32_e32 v0, 0, v0, vcc
	v_ashrrev_i32_e32 v3, 31, v4
	s_and_b32 s38, s33, 0xff
	v_add_co_u32_e32 v2, vcc, s8, v4
	s_cmp_lt_i32 s38, 11
	v_addc_co_u32_e32 v3, vcc, v5, v3, vcc
	s_cbranch_scc1 .LBB78_643
; %bb.636:
	s_and_b32 s39, 0xffff, s38
	s_cmp_gt_i32 s39, 25
	s_cbranch_scc0 .LBB78_644
; %bb.637:
	s_cmp_gt_i32 s39, 28
	s_cbranch_scc0 .LBB78_645
; %bb.638:
	;; [unrolled: 3-line block ×4, first 2 shown]
	s_mov_b64 s[34:35], 0
	s_mov_b64 s[0:1], -1
	s_cmp_eq_u32 s39, 46
	s_mov_b64 s[30:31], 0
	s_cbranch_scc0 .LBB78_648
; %bb.641:
	v_xor_b32_e32 v5, v0, v1
	v_ffbh_i32_e32 v4, v1
	v_ashrrev_i32_e32 v5, 31, v5
	v_add_u32_e32 v4, -1, v4
	v_add_u32_e32 v5, 32, v5
	v_min_u32_e32 v6, v4, v5
	v_lshlrev_b64 v[4:5], v6, v[0:1]
	s_movk_i32 s0, 0x7fff
	v_min_u32_e32 v4, 1, v4
	v_or_b32_e32 v4, v5, v4
	v_cvt_f32_i32_e32 v4, v4
	v_sub_u32_e32 v5, 32, v6
	s_mov_b64 s[30:31], -1
	v_ldexp_f32 v4, v4, v5
	v_bfe_u32 v5, v4, 16, 1
	v_add3_u32 v4, v4, v5, s0
	v_lshrrev_b32_e32 v4, 16, v4
	global_store_dword v[2:3], v4, off
	s_mov_b64 s[0:1], 0
	s_branch .LBB78_648
.LBB78_642:
	s_mov_b64 s[34:35], 0
                                        ; implicit-def: $vgpr10
	s_mov_b64 s[0:1], s[22:23]
	s_branch .LBB78_759
.LBB78_643:
	s_mov_b64 s[34:35], -1
	s_mov_b64 s[30:31], 0
	s_mov_b64 s[0:1], s[22:23]
	s_branch .LBB78_717
.LBB78_644:
	s_mov_b64 s[34:35], -1
	s_mov_b64 s[30:31], 0
	s_mov_b64 s[0:1], s[22:23]
	s_branch .LBB78_675
.LBB78_645:
	s_mov_b64 s[34:35], -1
	s_mov_b64 s[30:31], 0
	s_mov_b64 s[0:1], s[22:23]
	s_branch .LBB78_658
.LBB78_646:
	s_mov_b64 s[34:35], -1
	s_mov_b64 s[30:31], 0
	s_mov_b64 s[0:1], s[22:23]
	s_branch .LBB78_654
.LBB78_647:
	s_mov_b64 s[34:35], -1
	s_mov_b64 s[30:31], 0
	s_mov_b64 s[0:1], s[22:23]
.LBB78_648:
	s_and_b64 vcc, exec, s[34:35]
	s_cbranch_vccz .LBB78_653
; %bb.649:
	s_cmp_eq_u32 s39, 44
	s_mov_b64 s[0:1], -1
	s_cbranch_scc0 .LBB78_653
; %bb.650:
	v_xor_b32_e32 v5, v0, v1
	v_ffbh_i32_e32 v4, v1
	v_ashrrev_i32_e32 v5, 31, v5
	v_add_u32_e32 v4, -1, v4
	v_add_u32_e32 v5, 32, v5
	v_min_u32_e32 v6, v4, v5
	v_lshlrev_b64 v[4:5], v6, v[0:1]
	s_movk_i32 s0, 0xff
	v_min_u32_e32 v4, 1, v4
	v_or_b32_e32 v4, v5, v4
	v_cvt_f32_i32_e32 v4, v4
	v_sub_u32_e32 v5, 32, v6
	v_mov_b32_e32 v6, 0xff
	v_ldexp_f32 v4, v4, v5
	v_bfe_u32 v5, v4, 23, 8
	v_cmp_ne_u32_e32 vcc, s0, v5
	s_and_saveexec_b64 s[30:31], vcc
; %bb.651:
	s_mov_b32 s0, 0x3fffff
	v_lshrrev_b32_e32 v6, 23, v4
	v_and_b32_e32 v7, 0x400000, v4
	v_and_or_b32 v4, v4, s0, v5
	v_cmp_ne_u32_e32 vcc, 0, v7
	v_cmp_ne_u32_e64 s[0:1], 0, v4
	s_and_b64 s[0:1], vcc, s[0:1]
	v_cndmask_b32_e64 v4, 0, 1, s[0:1]
	v_add_u32_e32 v6, v6, v4
; %bb.652:
	s_or_b64 exec, exec, s[30:31]
	s_mov_b64 s[30:31], -1
	s_mov_b64 s[0:1], 0
	global_store_byte v[2:3], v6, off
.LBB78_653:
	s_mov_b64 s[34:35], 0
.LBB78_654:
	s_and_b64 vcc, exec, s[34:35]
	s_cbranch_vccz .LBB78_657
; %bb.655:
	s_cmp_eq_u32 s39, 29
	s_mov_b64 s[0:1], -1
	s_cbranch_scc0 .LBB78_657
; %bb.656:
	global_store_dwordx2 v[2:3], v[0:1], off
	s_mov_b64 s[30:31], -1
	s_mov_b64 s[0:1], 0
.LBB78_657:
	s_mov_b64 s[34:35], 0
.LBB78_658:
	s_and_b64 vcc, exec, s[34:35]
	s_cbranch_vccz .LBB78_674
; %bb.659:
	s_cmp_lt_i32 s39, 27
	s_mov_b64 s[30:31], -1
	s_cbranch_scc1 .LBB78_665
; %bb.660:
	s_cmp_gt_i32 s39, 27
	s_cbranch_scc0 .LBB78_662
; %bb.661:
	s_mov_b64 s[30:31], 0
	global_store_dword v[2:3], v0, off
.LBB78_662:
	s_andn2_b64 vcc, exec, s[30:31]
	s_cbranch_vccnz .LBB78_664
; %bb.663:
	global_store_short v[2:3], v0, off
.LBB78_664:
	s_mov_b64 s[30:31], 0
.LBB78_665:
	s_andn2_b64 vcc, exec, s[30:31]
	s_cbranch_vccnz .LBB78_673
; %bb.666:
	v_xor_b32_e32 v5, v0, v1
	v_ffbh_i32_e32 v4, v1
	v_ashrrev_i32_e32 v5, 31, v5
	v_add_u32_e32 v4, -1, v4
	v_add_u32_e32 v5, 32, v5
	v_min_u32_e32 v6, v4, v5
	v_lshlrev_b64 v[4:5], v6, v[0:1]
	s_mov_b32 s30, 0x43800000
	v_min_u32_e32 v4, 1, v4
	v_or_b32_e32 v4, v5, v4
	v_cvt_f32_i32_e32 v4, v4
	v_sub_u32_e32 v5, 32, v6
	v_mov_b32_e32 v6, 0x80
	v_ldexp_f32 v4, v4, v5
	v_and_b32_e32 v5, 0x7fffffff, v4
	v_cmp_gt_u32_e32 vcc, s30, v5
	s_and_saveexec_b64 s[30:31], vcc
	s_cbranch_execz .LBB78_672
; %bb.667:
	s_mov_b32 s34, 0x3bffffff
	v_cmp_lt_u32_e32 vcc, s34, v5
	s_mov_b64 s[34:35], 0
                                        ; implicit-def: $vgpr5
	s_and_saveexec_b64 s[36:37], vcc
	s_xor_b64 s[36:37], exec, s[36:37]
	s_cbranch_execz .LBB78_773
; %bb.668:
	v_bfe_u32 v5, v4, 20, 1
	s_mov_b32 s41, 0x487ffff
	v_add3_u32 v5, v4, v5, s41
	s_mov_b64 s[34:35], exec
	v_lshrrev_b32_e32 v5, 20, v5
	s_andn2_saveexec_b64 s[36:37], s[36:37]
	s_cbranch_execnz .LBB78_774
.LBB78_669:
	s_or_b64 exec, exec, s[36:37]
	v_mov_b32_e32 v6, 0
	s_and_saveexec_b64 s[36:37], s[34:35]
.LBB78_670:
	v_lshrrev_b32_e32 v4, 24, v4
	s_movk_i32 s34, 0x80
	v_and_or_b32 v6, v4, s34, v5
.LBB78_671:
	s_or_b64 exec, exec, s[36:37]
.LBB78_672:
	s_or_b64 exec, exec, s[30:31]
	global_store_byte v[2:3], v6, off
.LBB78_673:
	s_mov_b64 s[30:31], -1
.LBB78_674:
	s_mov_b64 s[34:35], 0
.LBB78_675:
	s_and_b64 vcc, exec, s[34:35]
	s_cbranch_vccz .LBB78_716
; %bb.676:
	s_cmp_gt_i32 s39, 22
	s_mov_b64 s[34:35], -1
	s_cbranch_scc0 .LBB78_708
; %bb.677:
	s_cmp_lt_i32 s39, 24
	s_mov_b64 s[30:31], -1
	s_cbranch_scc1 .LBB78_697
; %bb.678:
	s_cmp_gt_i32 s39, 24
	s_cbranch_scc0 .LBB78_686
; %bb.679:
	v_xor_b32_e32 v5, v0, v1
	v_ffbh_i32_e32 v4, v1
	v_ashrrev_i32_e32 v5, 31, v5
	v_add_u32_e32 v4, -1, v4
	v_add_u32_e32 v5, 32, v5
	v_min_u32_e32 v6, v4, v5
	v_lshlrev_b64 v[4:5], v6, v[0:1]
	s_mov_b32 s30, 0x47800000
	v_min_u32_e32 v4, 1, v4
	v_or_b32_e32 v4, v5, v4
	v_cvt_f32_i32_e32 v4, v4
	v_sub_u32_e32 v5, 32, v6
	v_mov_b32_e32 v6, 0x80
	v_ldexp_f32 v4, v4, v5
	v_and_b32_e32 v5, 0x7fffffff, v4
	v_cmp_gt_u32_e32 vcc, s30, v5
	s_and_saveexec_b64 s[30:31], vcc
	s_cbranch_execz .LBB78_685
; %bb.680:
	s_mov_b32 s34, 0x37ffffff
	v_cmp_lt_u32_e32 vcc, s34, v5
	s_mov_b64 s[34:35], 0
                                        ; implicit-def: $vgpr5
	s_and_saveexec_b64 s[36:37], vcc
	s_xor_b64 s[36:37], exec, s[36:37]
	s_cbranch_execz .LBB78_776
; %bb.681:
	v_bfe_u32 v5, v4, 21, 1
	s_mov_b32 s41, 0x88fffff
	v_add3_u32 v5, v4, v5, s41
	s_mov_b64 s[34:35], exec
	v_lshrrev_b32_e32 v5, 21, v5
	s_andn2_saveexec_b64 s[36:37], s[36:37]
	s_cbranch_execnz .LBB78_777
.LBB78_682:
	s_or_b64 exec, exec, s[36:37]
	v_mov_b32_e32 v6, 0
	s_and_saveexec_b64 s[36:37], s[34:35]
.LBB78_683:
	v_lshrrev_b32_e32 v4, 24, v4
	s_movk_i32 s34, 0x80
	v_and_or_b32 v6, v4, s34, v5
.LBB78_684:
	s_or_b64 exec, exec, s[36:37]
.LBB78_685:
	s_or_b64 exec, exec, s[30:31]
	s_mov_b64 s[30:31], 0
	global_store_byte v[2:3], v6, off
.LBB78_686:
	s_and_b64 vcc, exec, s[30:31]
	s_cbranch_vccz .LBB78_696
; %bb.687:
	v_xor_b32_e32 v5, v0, v1
	v_ffbh_i32_e32 v4, v1
	v_ashrrev_i32_e32 v5, 31, v5
	v_add_u32_e32 v4, -1, v4
	v_add_u32_e32 v5, 32, v5
	v_min_u32_e32 v6, v4, v5
	v_lshlrev_b64 v[4:5], v6, v[0:1]
	s_mov_b32 s30, 0x43f00000
	v_min_u32_e32 v4, 1, v4
	v_or_b32_e32 v4, v5, v4
	v_cvt_f32_i32_e32 v4, v4
	v_sub_u32_e32 v5, 32, v6
	v_ldexp_f32 v4, v4, v5
	v_and_b32_e32 v6, 0x7fffffff, v4
	v_cmp_gt_u32_e32 vcc, s30, v6
                                        ; implicit-def: $vgpr5
	s_and_saveexec_b64 s[30:31], vcc
	s_xor_b64 s[30:31], exec, s[30:31]
	s_cbranch_execz .LBB78_693
; %bb.688:
	s_mov_b32 s34, 0x3c7fffff
	v_cmp_lt_u32_e32 vcc, s34, v6
                                        ; implicit-def: $vgpr5
	s_and_saveexec_b64 s[34:35], vcc
	s_xor_b64 s[34:35], exec, s[34:35]
; %bb.689:
	v_bfe_u32 v5, v4, 20, 1
	s_mov_b32 s36, 0x407ffff
	v_add3_u32 v5, v4, v5, s36
	v_lshrrev_b32_e32 v6, 20, v5
	v_and_b32_e32 v5, 0xff00000, v5
	s_mov_b32 s36, 0x7f00000
	v_mov_b32_e32 v7, 0x7e
	v_cmp_ne_u32_e32 vcc, s36, v5
	v_cndmask_b32_e32 v5, v7, v6, vcc
; %bb.690:
	s_andn2_saveexec_b64 s[34:35], s[34:35]
; %bb.691:
	s_mov_b32 s36, 0x46800000
	v_add_f32_e64 v5, |v4|, s36
; %bb.692:
	s_or_b64 exec, exec, s[34:35]
                                        ; implicit-def: $vgpr6
.LBB78_693:
	s_andn2_saveexec_b64 s[30:31], s[30:31]
; %bb.694:
	s_mov_b32 s34, 0x7f800000
	v_mov_b32_e32 v5, 0x7e
	v_mov_b32_e32 v7, 0x7f
	v_cmp_lt_u32_e32 vcc, s34, v6
	v_cndmask_b32_e32 v5, v5, v7, vcc
; %bb.695:
	s_or_b64 exec, exec, s[30:31]
	v_lshrrev_b32_e32 v4, 24, v4
	s_movk_i32 s30, 0x80
	v_and_or_b32 v4, v4, s30, v5
	global_store_byte v[2:3], v4, off
.LBB78_696:
	s_mov_b64 s[30:31], 0
.LBB78_697:
	s_andn2_b64 vcc, exec, s[30:31]
	s_cbranch_vccnz .LBB78_707
; %bb.698:
	v_xor_b32_e32 v5, v0, v1
	v_ffbh_i32_e32 v4, v1
	v_ashrrev_i32_e32 v5, 31, v5
	v_add_u32_e32 v4, -1, v4
	v_add_u32_e32 v5, 32, v5
	v_min_u32_e32 v6, v4, v5
	v_lshlrev_b64 v[4:5], v6, v[0:1]
	s_mov_b32 s30, 0x47800000
	v_min_u32_e32 v4, 1, v4
	v_or_b32_e32 v4, v5, v4
	v_cvt_f32_i32_e32 v4, v4
	v_sub_u32_e32 v5, 32, v6
	v_ldexp_f32 v4, v4, v5
	v_and_b32_e32 v6, 0x7fffffff, v4
	v_cmp_gt_u32_e32 vcc, s30, v6
                                        ; implicit-def: $vgpr5
	s_and_saveexec_b64 s[30:31], vcc
	s_xor_b64 s[30:31], exec, s[30:31]
	s_cbranch_execz .LBB78_704
; %bb.699:
	s_mov_b32 s34, 0x387fffff
	v_cmp_lt_u32_e32 vcc, s34, v6
                                        ; implicit-def: $vgpr5
	s_and_saveexec_b64 s[34:35], vcc
	s_xor_b64 s[34:35], exec, s[34:35]
; %bb.700:
	v_bfe_u32 v5, v4, 21, 1
	s_mov_b32 s36, 0x80fffff
	v_add3_u32 v5, v4, v5, s36
	v_lshrrev_b32_e32 v5, 21, v5
; %bb.701:
	s_andn2_saveexec_b64 s[34:35], s[34:35]
; %bb.702:
	s_mov_b32 s36, 0x43000000
	v_add_f32_e64 v5, |v4|, s36
; %bb.703:
	s_or_b64 exec, exec, s[34:35]
                                        ; implicit-def: $vgpr6
.LBB78_704:
	s_andn2_saveexec_b64 s[30:31], s[30:31]
; %bb.705:
	s_mov_b32 s34, 0x7f800000
	v_mov_b32_e32 v5, 0x7c
	v_mov_b32_e32 v7, 0x7f
	v_cmp_lt_u32_e32 vcc, s34, v6
	v_cndmask_b32_e32 v5, v5, v7, vcc
; %bb.706:
	s_or_b64 exec, exec, s[30:31]
	v_lshrrev_b32_e32 v4, 24, v4
	s_movk_i32 s30, 0x80
	v_and_or_b32 v4, v4, s30, v5
	global_store_byte v[2:3], v4, off
.LBB78_707:
	s_mov_b64 s[34:35], 0
	s_mov_b64 s[30:31], -1
.LBB78_708:
	s_andn2_b64 vcc, exec, s[34:35]
	s_cbranch_vccnz .LBB78_716
; %bb.709:
	s_cmp_gt_i32 s39, 14
	s_mov_b64 s[34:35], -1
	s_cbranch_scc0 .LBB78_713
; %bb.710:
	s_cmp_eq_u32 s39, 15
	s_mov_b64 s[0:1], -1
	s_cbranch_scc0 .LBB78_712
; %bb.711:
	v_xor_b32_e32 v5, v0, v1
	v_ffbh_i32_e32 v4, v1
	v_ashrrev_i32_e32 v5, 31, v5
	v_add_u32_e32 v4, -1, v4
	v_add_u32_e32 v5, 32, v5
	v_min_u32_e32 v6, v4, v5
	v_lshlrev_b64 v[4:5], v6, v[0:1]
	s_movk_i32 s0, 0x7fff
	v_min_u32_e32 v4, 1, v4
	v_or_b32_e32 v4, v5, v4
	v_cvt_f32_i32_e32 v4, v4
	v_sub_u32_e32 v5, 32, v6
	s_mov_b64 s[30:31], -1
	v_ldexp_f32 v4, v4, v5
	v_bfe_u32 v5, v4, 16, 1
	v_add3_u32 v4, v4, v5, s0
	global_store_short_d16_hi v[2:3], v4, off
	s_mov_b64 s[0:1], 0
.LBB78_712:
	s_mov_b64 s[34:35], 0
.LBB78_713:
	s_and_b64 vcc, exec, s[34:35]
	s_cbranch_vccz .LBB78_716
; %bb.714:
	s_cmp_eq_u32 s39, 11
	s_mov_b64 s[0:1], -1
	s_cbranch_scc0 .LBB78_716
; %bb.715:
	v_cmp_ne_u64_e32 vcc, 0, v[0:1]
	s_mov_b64 s[0:1], 0
	v_cndmask_b32_e64 v4, 0, 1, vcc
	s_mov_b64 s[30:31], -1
	global_store_byte v[2:3], v4, off
.LBB78_716:
	s_mov_b64 s[34:35], 0
.LBB78_717:
	s_and_b64 vcc, exec, s[34:35]
	s_cbranch_vccz .LBB78_756
; %bb.718:
	s_and_b32 s34, 0xffff, s38
	s_cmp_lt_i32 s34, 5
	s_mov_b64 s[30:31], -1
	s_cbranch_scc1 .LBB78_739
; %bb.719:
	s_cmp_lt_i32 s34, 8
	s_cbranch_scc1 .LBB78_729
; %bb.720:
	s_cmp_lt_i32 s34, 9
	s_cbranch_scc1 .LBB78_726
; %bb.721:
	s_cmp_gt_i32 s34, 9
	s_cbranch_scc0 .LBB78_723
; %bb.722:
	v_cvt_f64_i32_e32 v[4:5], v1
	v_cvt_f64_u32_e32 v[6:7], v0
	s_mov_b64 s[30:31], 0
	v_ldexp_f64 v[4:5], v[4:5], 32
	v_add_f64 v[4:5], v[4:5], v[6:7]
	v_mov_b32_e32 v6, 0
	v_mov_b32_e32 v7, v6
	global_store_dwordx4 v[2:3], v[4:7], off
.LBB78_723:
	s_andn2_b64 vcc, exec, s[30:31]
	s_cbranch_vccnz .LBB78_725
; %bb.724:
	v_xor_b32_e32 v5, v0, v1
	v_ffbh_i32_e32 v4, v1
	v_ashrrev_i32_e32 v5, 31, v5
	v_add_u32_e32 v4, -1, v4
	v_add_u32_e32 v5, 32, v5
	v_min_u32_e32 v6, v4, v5
	v_lshlrev_b64 v[4:5], v6, v[0:1]
	v_min_u32_e32 v4, 1, v4
	v_or_b32_e32 v4, v5, v4
	v_cvt_f32_i32_e32 v4, v4
	v_sub_u32_e32 v5, 32, v6
	v_ldexp_f32 v4, v4, v5
	v_mov_b32_e32 v5, 0
	global_store_dwordx2 v[2:3], v[4:5], off
.LBB78_725:
	s_mov_b64 s[30:31], 0
.LBB78_726:
	s_andn2_b64 vcc, exec, s[30:31]
	s_cbranch_vccnz .LBB78_728
; %bb.727:
	v_xor_b32_e32 v5, v0, v1
	v_ffbh_i32_e32 v4, v1
	v_ashrrev_i32_e32 v5, 31, v5
	v_add_u32_e32 v4, -1, v4
	v_add_u32_e32 v5, 32, v5
	v_min_u32_e32 v6, v4, v5
	v_lshlrev_b64 v[4:5], v6, v[0:1]
	v_min_u32_e32 v4, 1, v4
	v_or_b32_e32 v4, v5, v4
	v_cvt_f32_i32_e32 v4, v4
	v_sub_u32_e32 v5, 32, v6
	v_ldexp_f32 v4, v4, v5
	v_cvt_f16_f32_e32 v4, v4
	global_store_dword v[2:3], v4, off
.LBB78_728:
	s_mov_b64 s[30:31], 0
.LBB78_729:
	s_andn2_b64 vcc, exec, s[30:31]
	s_cbranch_vccnz .LBB78_738
; %bb.730:
	s_cmp_lt_i32 s34, 6
	s_mov_b64 s[30:31], -1
	s_cbranch_scc1 .LBB78_736
; %bb.731:
	s_cmp_gt_i32 s34, 6
	s_cbranch_scc0 .LBB78_733
; %bb.732:
	v_cvt_f64_i32_e32 v[4:5], v1
	v_cvt_f64_u32_e32 v[6:7], v0
	s_mov_b64 s[30:31], 0
	v_ldexp_f64 v[4:5], v[4:5], 32
	v_add_f64 v[4:5], v[4:5], v[6:7]
	global_store_dwordx2 v[2:3], v[4:5], off
.LBB78_733:
	s_andn2_b64 vcc, exec, s[30:31]
	s_cbranch_vccnz .LBB78_735
; %bb.734:
	v_xor_b32_e32 v5, v0, v1
	v_ffbh_i32_e32 v4, v1
	v_ashrrev_i32_e32 v5, 31, v5
	v_add_u32_e32 v4, -1, v4
	v_add_u32_e32 v5, 32, v5
	v_min_u32_e32 v6, v4, v5
	v_lshlrev_b64 v[4:5], v6, v[0:1]
	v_min_u32_e32 v4, 1, v4
	v_or_b32_e32 v4, v5, v4
	v_cvt_f32_i32_e32 v4, v4
	v_sub_u32_e32 v5, 32, v6
	v_ldexp_f32 v4, v4, v5
	global_store_dword v[2:3], v4, off
.LBB78_735:
	s_mov_b64 s[30:31], 0
.LBB78_736:
	s_andn2_b64 vcc, exec, s[30:31]
	s_cbranch_vccnz .LBB78_738
; %bb.737:
	v_xor_b32_e32 v5, v0, v1
	v_ffbh_i32_e32 v4, v1
	v_ashrrev_i32_e32 v5, 31, v5
	v_add_u32_e32 v4, -1, v4
	v_add_u32_e32 v5, 32, v5
	v_min_u32_e32 v6, v4, v5
	v_lshlrev_b64 v[4:5], v6, v[0:1]
	v_min_u32_e32 v4, 1, v4
	v_or_b32_e32 v4, v5, v4
	v_cvt_f32_i32_e32 v4, v4
	v_sub_u32_e32 v5, 32, v6
	v_ldexp_f32 v4, v4, v5
	v_cvt_f16_f32_e32 v4, v4
	global_store_short v[2:3], v4, off
.LBB78_738:
	s_mov_b64 s[30:31], 0
.LBB78_739:
	s_andn2_b64 vcc, exec, s[30:31]
	s_cbranch_vccnz .LBB78_755
; %bb.740:
	s_cmp_lt_i32 s34, 2
	s_mov_b64 s[30:31], -1
	s_cbranch_scc1 .LBB78_750
; %bb.741:
	s_cmp_lt_i32 s34, 3
	s_cbranch_scc1 .LBB78_747
; %bb.742:
	s_cmp_gt_i32 s34, 3
	s_cbranch_scc0 .LBB78_744
; %bb.743:
	s_mov_b64 s[30:31], 0
	global_store_dwordx2 v[2:3], v[0:1], off
.LBB78_744:
	s_andn2_b64 vcc, exec, s[30:31]
	s_cbranch_vccnz .LBB78_746
; %bb.745:
	global_store_dword v[2:3], v0, off
.LBB78_746:
	s_mov_b64 s[30:31], 0
.LBB78_747:
	s_andn2_b64 vcc, exec, s[30:31]
	s_cbranch_vccnz .LBB78_749
; %bb.748:
	global_store_short v[2:3], v0, off
.LBB78_749:
	s_mov_b64 s[30:31], 0
.LBB78_750:
	s_andn2_b64 vcc, exec, s[30:31]
	s_cbranch_vccnz .LBB78_755
; %bb.751:
	s_cmp_gt_i32 s34, 0
	s_mov_b64 s[30:31], -1
	s_cbranch_scc0 .LBB78_753
; %bb.752:
	s_mov_b64 s[30:31], 0
	global_store_byte v[2:3], v0, off
.LBB78_753:
	s_andn2_b64 vcc, exec, s[30:31]
	s_cbranch_vccnz .LBB78_755
; %bb.754:
	global_store_byte v[2:3], v0, off
.LBB78_755:
	s_mov_b64 s[30:31], -1
.LBB78_756:
	s_andn2_b64 vcc, exec, s[30:31]
	s_cbranch_vccnz .LBB78_758
; %bb.757:
	v_add_u32_e32 v10, 0x80, v10
	s_mov_b64 s[34:35], -1
	s_branch .LBB78_759
.LBB78_758:
	s_mov_b64 s[34:35], 0
                                        ; implicit-def: $vgpr10
.LBB78_759:
	s_andn2_b64 s[30:31], s[22:23], exec
	s_and_b64 s[0:1], s[0:1], exec
	s_or_b64 s[30:31], s[30:31], s[0:1]
	s_andn2_b64 s[0:1], s[20:21], exec
	s_and_b64 s[28:29], s[28:29], exec
	s_or_b64 s[0:1], s[0:1], s[28:29]
	s_orn2_b64 s[36:37], s[34:35], exec
.LBB78_760:
	s_or_b64 exec, exec, s[26:27]
	s_mov_b64 s[34:35], 0
	s_mov_b64 s[28:29], 0
	;; [unrolled: 1-line block ×3, first 2 shown]
                                        ; implicit-def: $vgpr0_vgpr1
                                        ; implicit-def: $vgpr4_vgpr5
	s_and_saveexec_b64 s[26:27], s[36:37]
	s_cbranch_execz .LBB78_841
; %bb.761:
	v_cmp_gt_i32_e32 vcc, s40, v10
	s_mov_b64 s[36:37], 0
	s_mov_b64 s[40:41], s[0:1]
	;; [unrolled: 1-line block ×3, first 2 shown]
                                        ; implicit-def: $vgpr0_vgpr1
                                        ; implicit-def: $vgpr4_vgpr5
	s_and_saveexec_b64 s[28:29], vcc
	s_cbranch_execz .LBB78_840
; %bb.762:
	v_mul_lo_u32 v0, v10, s13
	v_mov_b32_e32 v1, s11
	s_and_b32 s42, 0xffff, s44
	s_cmp_lt_i32 s42, 11
	s_waitcnt vmcnt(0)
	v_ashrrev_i32_e32 v2, 31, v0
	v_add_co_u32_e32 v0, vcc, s10, v0
	v_addc_co_u32_e32 v1, vcc, v1, v2, vcc
	s_cbranch_scc1 .LBB78_769
; %bb.763:
	s_cmp_gt_i32 s42, 25
	s_cbranch_scc0 .LBB78_770
; %bb.764:
	s_cmp_gt_i32 s42, 28
	s_cbranch_scc0 .LBB78_771
	;; [unrolled: 3-line block ×4, first 2 shown]
; %bb.767:
	s_cmp_eq_u32 s42, 46
	s_mov_b64 s[40:41], 0
	s_cbranch_scc0 .LBB78_778
; %bb.768:
	global_load_dword v2, v[0:1], off
	s_mov_b32 s34, 0x2f800000
	s_mov_b32 s35, 0xcf800000
	s_mov_b64 s[38:39], -1
	s_waitcnt vmcnt(0)
	v_lshlrev_b32_e32 v2, 16, v2
	v_trunc_f32_e32 v2, v2
	v_mul_f32_e64 v3, |v2|, s34
	v_floor_f32_e32 v3, v3
	v_fma_f32 v4, v3, s35, |v2|
	v_cvt_u32_f32_e32 v4, v4
	v_cvt_u32_f32_e32 v3, v3
	v_ashrrev_i32_e32 v2, 31, v2
	s_mov_b64 s[34:35], 0
	v_xor_b32_e32 v4, v4, v2
	v_xor_b32_e32 v3, v3, v2
	v_sub_co_u32_e32 v4, vcc, v4, v2
	v_subb_co_u32_e32 v5, vcc, v3, v2, vcc
	s_branch .LBB78_780
.LBB78_769:
	s_mov_b64 s[40:41], -1
                                        ; implicit-def: $vgpr4_vgpr5
	s_mov_b64 s[34:35], s[0:1]
	s_branch .LBB78_839
.LBB78_770:
	s_mov_b64 s[40:41], -1
	s_mov_b64 s[34:35], s[0:1]
                                        ; implicit-def: $vgpr4_vgpr5
	s_branch .LBB78_809
.LBB78_771:
	s_mov_b64 s[40:41], -1
	s_mov_b64 s[34:35], s[0:1]
                                        ; implicit-def: $vgpr4_vgpr5
	s_branch .LBB78_790
.LBB78_772:
	s_mov_b64 s[40:41], -1
	s_mov_b64 s[34:35], s[0:1]
                                        ; implicit-def: $vgpr4_vgpr5
	s_branch .LBB78_785
.LBB78_773:
	s_andn2_saveexec_b64 s[36:37], s[36:37]
	s_cbranch_execz .LBB78_669
.LBB78_774:
	s_mov_b32 s41, 0x46000000
	v_add_f32_e64 v5, |v4|, s41
	v_and_b32_e32 v5, 0xff, v5
	v_cmp_ne_u32_e32 vcc, 0, v5
	s_andn2_b64 s[34:35], s[34:35], exec
	s_and_b64 s[42:43], vcc, exec
	s_or_b64 s[34:35], s[34:35], s[42:43]
	s_or_b64 exec, exec, s[36:37]
	v_mov_b32_e32 v6, 0
	s_and_saveexec_b64 s[36:37], s[34:35]
	s_cbranch_execnz .LBB78_670
	s_branch .LBB78_671
.LBB78_775:
	s_mov_b64 s[40:41], -1
	s_mov_b64 s[34:35], s[0:1]
	s_branch .LBB78_779
.LBB78_776:
	s_andn2_saveexec_b64 s[36:37], s[36:37]
	s_cbranch_execz .LBB78_682
.LBB78_777:
	s_mov_b32 s41, 0x42800000
	v_add_f32_e64 v5, |v4|, s41
	v_and_b32_e32 v5, 0xff, v5
	v_cmp_ne_u32_e32 vcc, 0, v5
	s_andn2_b64 s[34:35], s[34:35], exec
	s_and_b64 s[42:43], vcc, exec
	s_or_b64 s[34:35], s[34:35], s[42:43]
	s_or_b64 exec, exec, s[36:37]
	v_mov_b32_e32 v6, 0
	s_and_saveexec_b64 s[36:37], s[34:35]
	s_cbranch_execnz .LBB78_683
	s_branch .LBB78_684
.LBB78_778:
	s_mov_b64 s[34:35], -1
.LBB78_779:
                                        ; implicit-def: $vgpr4_vgpr5
.LBB78_780:
	s_and_b64 vcc, exec, s[40:41]
	s_cbranch_vccz .LBB78_784
; %bb.781:
	s_cmp_eq_u32 s42, 44
	s_cbranch_scc0 .LBB78_783
; %bb.782:
	global_load_ubyte v2, v[0:1], off
	s_mov_b32 s34, 0x2f800000
	s_mov_b32 s35, 0xcf800000
	s_mov_b64 s[38:39], -1
	s_waitcnt vmcnt(0)
	v_lshlrev_b32_e32 v3, 23, v2
	v_trunc_f32_e32 v3, v3
	v_mul_f32_e64 v4, |v3|, s34
	v_floor_f32_e32 v4, v4
	v_fma_f32 v5, v4, s35, |v3|
	v_cvt_u32_f32_e32 v5, v5
	v_cvt_u32_f32_e32 v4, v4
	v_ashrrev_i32_e32 v3, 31, v3
	s_mov_b64 s[34:35], 0
	v_xor_b32_e32 v5, v5, v3
	v_xor_b32_e32 v4, v4, v3
	v_sub_co_u32_e32 v6, vcc, v5, v3
	v_subb_co_u32_e32 v3, vcc, v4, v3, vcc
	v_cmp_ne_u32_e32 vcc, 0, v2
	v_cndmask_b32_e32 v5, 0, v3, vcc
	v_cndmask_b32_e32 v4, 0, v6, vcc
	s_branch .LBB78_784
.LBB78_783:
	s_mov_b64 s[34:35], -1
                                        ; implicit-def: $vgpr4_vgpr5
.LBB78_784:
	s_mov_b64 s[40:41], 0
.LBB78_785:
	s_and_b64 vcc, exec, s[40:41]
	s_cbranch_vccz .LBB78_789
; %bb.786:
	s_cmp_eq_u32 s42, 29
	s_cbranch_scc0 .LBB78_788
; %bb.787:
	global_load_dwordx2 v[4:5], v[0:1], off
	s_mov_b64 s[34:35], 0
	s_mov_b64 s[38:39], -1
	s_branch .LBB78_789
.LBB78_788:
	s_mov_b64 s[34:35], -1
                                        ; implicit-def: $vgpr4_vgpr5
.LBB78_789:
	s_mov_b64 s[40:41], 0
.LBB78_790:
	s_and_b64 vcc, exec, s[40:41]
	s_cbranch_vccz .LBB78_808
; %bb.791:
	s_cmp_lt_i32 s42, 27
	s_cbranch_scc1 .LBB78_794
; %bb.792:
	s_cmp_gt_i32 s42, 27
	s_cbranch_scc0 .LBB78_795
; %bb.793:
	global_load_dword v4, v[0:1], off
	s_waitcnt vmcnt(1)
	v_mov_b32_e32 v5, 0
	s_mov_b64 s[38:39], 0
	s_branch .LBB78_796
.LBB78_794:
	s_mov_b64 s[38:39], -1
                                        ; implicit-def: $vgpr4_vgpr5
	s_branch .LBB78_799
.LBB78_795:
	s_mov_b64 s[38:39], -1
                                        ; implicit-def: $vgpr4_vgpr5
.LBB78_796:
	s_andn2_b64 vcc, exec, s[38:39]
	s_cbranch_vccnz .LBB78_798
; %bb.797:
	global_load_ushort v2, v[0:1], off
	s_mov_b32 s38, 0
	s_waitcnt vmcnt(1)
	v_mov_b32_e32 v5, s38
	s_waitcnt vmcnt(0)
	v_and_b32_e32 v4, 0xffff, v2
.LBB78_798:
	s_mov_b64 s[38:39], 0
.LBB78_799:
	s_andn2_b64 vcc, exec, s[38:39]
	s_cbranch_vccnz .LBB78_807
; %bb.800:
	global_load_ubyte v2, v[0:1], off
	s_movk_i32 s38, 0x7f
	s_mov_b64 s[40:41], 0
	s_waitcnt vmcnt(0)
	v_cmp_lt_i16_e32 vcc, s38, v2
	s_and_saveexec_b64 s[38:39], vcc
	s_xor_b64 s[38:39], exec, s[38:39]
; %bb.801:
	s_movk_i32 s40, 0x80
	v_cmp_ne_u16_e32 vcc, s40, v2
	s_and_b64 s[40:41], vcc, exec
; %bb.802:
	s_andn2_saveexec_b64 s[38:39], s[38:39]
; %bb.803:
	v_cmp_ne_u16_e32 vcc, 0, v2
	s_andn2_b64 s[40:41], s[40:41], exec
	s_and_b64 s[46:47], vcc, exec
	s_or_b64 s[40:41], s[40:41], s[46:47]
; %bb.804:
	s_or_b64 exec, exec, s[38:39]
	v_mov_b32_e32 v4, 0
	v_mov_b32_e32 v5, 0
	s_and_saveexec_b64 s[38:39], s[40:41]
	s_cbranch_execz .LBB78_806
; %bb.805:
	v_lshlrev_b32_e32 v3, 24, v2
	v_and_b32_e32 v2, 0xffff, v2
	v_and_b32_e32 v4, 7, v2
	v_ffbh_u32_e32 v6, v4
	v_min_u32_e32 v6, 32, v6
	v_subrev_u32_e32 v7, 28, v6
	v_bfe_u32 v5, v2, 3, 4
	v_lshlrev_b32_e32 v2, v7, v2
	v_sub_u32_e32 v6, 29, v6
	v_and_b32_e32 v2, 7, v2
	v_cmp_eq_u32_e32 vcc, 0, v5
	v_cndmask_b32_e32 v5, v5, v6, vcc
	v_cndmask_b32_e32 v2, v4, v2, vcc
	v_mov_b32_e32 v4, 0x3b800000
	v_lshlrev_b32_e32 v2, 20, v2
	v_and_b32_e32 v3, 0x80000000, v3
	v_lshl_add_u32 v4, v5, 23, v4
	v_or3_b32 v2, v3, v4, v2
	v_trunc_f32_e32 v2, v2
	s_mov_b32 s40, 0x2f800000
	v_mul_f32_e64 v3, |v2|, s40
	v_floor_f32_e32 v3, v3
	s_mov_b32 s40, 0xcf800000
	v_fma_f32 v4, v3, s40, |v2|
	v_cvt_u32_f32_e32 v4, v4
	v_cvt_u32_f32_e32 v3, v3
	v_ashrrev_i32_e32 v2, 31, v2
	v_xor_b32_e32 v4, v4, v2
	v_xor_b32_e32 v3, v3, v2
	v_sub_co_u32_e32 v4, vcc, v4, v2
	v_subb_co_u32_e32 v5, vcc, v3, v2, vcc
.LBB78_806:
	s_or_b64 exec, exec, s[38:39]
.LBB78_807:
	s_mov_b64 s[38:39], -1
.LBB78_808:
	s_mov_b64 s[40:41], 0
.LBB78_809:
	s_and_b64 vcc, exec, s[40:41]
	s_cbranch_vccz .LBB78_838
; %bb.810:
	s_cmp_gt_i32 s42, 22
	s_cbranch_scc0 .LBB78_820
; %bb.811:
	s_cmp_lt_i32 s42, 24
	s_cbranch_scc1 .LBB78_821
; %bb.812:
	s_cmp_gt_i32 s42, 24
	s_cbranch_scc0 .LBB78_822
; %bb.813:
	global_load_ubyte v2, v[0:1], off
	s_movk_i32 s36, 0x7f
	s_mov_b64 s[38:39], 0
	s_waitcnt vmcnt(0)
	v_cmp_lt_i16_e32 vcc, s36, v2
	s_and_saveexec_b64 s[36:37], vcc
	s_xor_b64 s[36:37], exec, s[36:37]
; %bb.814:
	s_movk_i32 s38, 0x80
	v_cmp_ne_u16_e32 vcc, s38, v2
	s_and_b64 s[38:39], vcc, exec
; %bb.815:
	s_andn2_saveexec_b64 s[36:37], s[36:37]
; %bb.816:
	v_cmp_ne_u16_e32 vcc, 0, v2
	s_andn2_b64 s[38:39], s[38:39], exec
	s_and_b64 s[40:41], vcc, exec
	s_or_b64 s[38:39], s[38:39], s[40:41]
; %bb.817:
	s_or_b64 exec, exec, s[36:37]
	v_mov_b32_e32 v4, 0
	v_mov_b32_e32 v5, 0
	s_and_saveexec_b64 s[36:37], s[38:39]
	s_cbranch_execz .LBB78_819
; %bb.818:
	v_lshlrev_b32_e32 v3, 24, v2
	v_and_b32_e32 v2, 0xffff, v2
	v_and_b32_e32 v4, 3, v2
	v_ffbh_u32_e32 v6, v4
	v_min_u32_e32 v6, 32, v6
	v_subrev_u32_e32 v7, 29, v6
	v_bfe_u32 v5, v2, 2, 5
	v_lshlrev_b32_e32 v2, v7, v2
	v_sub_u32_e32 v6, 30, v6
	v_and_b32_e32 v2, 3, v2
	v_cmp_eq_u32_e32 vcc, 0, v5
	v_cndmask_b32_e32 v5, v5, v6, vcc
	v_cndmask_b32_e32 v2, v4, v2, vcc
	v_mov_b32_e32 v4, 0x37800000
	v_lshlrev_b32_e32 v2, 21, v2
	v_and_b32_e32 v3, 0x80000000, v3
	v_lshl_add_u32 v4, v5, 23, v4
	v_or3_b32 v2, v3, v4, v2
	v_trunc_f32_e32 v2, v2
	s_mov_b32 s38, 0x2f800000
	v_mul_f32_e64 v3, |v2|, s38
	v_floor_f32_e32 v3, v3
	s_mov_b32 s38, 0xcf800000
	v_fma_f32 v4, v3, s38, |v2|
	v_cvt_u32_f32_e32 v4, v4
	v_cvt_u32_f32_e32 v3, v3
	v_ashrrev_i32_e32 v2, 31, v2
	v_xor_b32_e32 v4, v4, v2
	v_xor_b32_e32 v3, v3, v2
	v_sub_co_u32_e32 v4, vcc, v4, v2
	v_subb_co_u32_e32 v5, vcc, v3, v2, vcc
.LBB78_819:
	s_or_b64 exec, exec, s[36:37]
	s_mov_b64 s[36:37], 0
	s_branch .LBB78_823
.LBB78_820:
	s_mov_b64 s[36:37], -1
                                        ; implicit-def: $vgpr4_vgpr5
	s_branch .LBB78_829
.LBB78_821:
	s_mov_b64 s[36:37], -1
                                        ; implicit-def: $vgpr4_vgpr5
	s_branch .LBB78_826
.LBB78_822:
	s_mov_b64 s[36:37], -1
                                        ; implicit-def: $vgpr4_vgpr5
.LBB78_823:
	s_and_b64 vcc, exec, s[36:37]
	s_cbranch_vccz .LBB78_825
; %bb.824:
	global_load_ubyte v2, v[0:1], off
	s_mov_b32 s36, 0x7f800000
	s_brev_b32 s37, 1
	s_mov_b32 s38, 0x2f800000
	s_mov_b32 s39, 0xcf800000
	s_waitcnt vmcnt(0)
	v_lshlrev_b32_e32 v2, 24, v2
	v_and_b32_e32 v3, 0x7f000000, v2
	v_ffbh_u32_e32 v4, v3
	v_min_u32_e32 v4, 32, v4
	v_sub_u32_e64 v4, v4, 4 clamp
	v_lshlrev_b32_e32 v6, v4, v3
	v_lshlrev_b32_e32 v4, 23, v4
	v_lshrrev_b32_e32 v6, 4, v6
	v_add_u32_e32 v5, 0x1000000, v3
	v_sub_u32_e32 v4, v6, v4
	v_ashrrev_i32_e32 v5, 8, v5
	v_add_u32_e32 v4, 0x3c000000, v4
	v_and_or_b32 v4, v5, s36, v4
	v_cmp_ne_u32_e32 vcc, 0, v3
	v_cndmask_b32_e32 v3, 0, v4, vcc
	v_and_or_b32 v2, v2, s37, v3
	v_trunc_f32_e32 v2, v2
	v_mul_f32_e64 v3, |v2|, s38
	v_floor_f32_e32 v3, v3
	v_fma_f32 v4, v3, s39, |v2|
	v_cvt_u32_f32_e32 v4, v4
	v_cvt_u32_f32_e32 v3, v3
	v_ashrrev_i32_e32 v2, 31, v2
	v_xor_b32_e32 v4, v4, v2
	v_xor_b32_e32 v3, v3, v2
	v_sub_co_u32_e32 v4, vcc, v4, v2
	v_subb_co_u32_e32 v5, vcc, v3, v2, vcc
.LBB78_825:
	s_mov_b64 s[36:37], 0
.LBB78_826:
	s_andn2_b64 vcc, exec, s[36:37]
	s_cbranch_vccnz .LBB78_828
; %bb.827:
	global_load_ubyte v2, v[0:1], off
	s_movk_i32 s36, 0x7f00
	s_brev_b32 s37, 16
	s_brev_b32 s38, 1
	s_mov_b32 s39, 0x2f800000
	s_mov_b32 s40, 0xcf800000
	s_waitcnt vmcnt(0)
	v_lshlrev_b16_e32 v3, 8, v2
	v_lshlrev_b32_e32 v2, 25, v2
	v_lshrrev_b32_e32 v4, 4, v2
	v_and_or_b32 v5, v3, s36, 0.5
	v_or_b32_e32 v4, 0x70000000, v4
	v_add_f32_e32 v5, -0.5, v5
	v_mul_f32_e32 v4, 0x7800000, v4
	v_cmp_gt_u32_e32 vcc, s37, v2
	v_bfe_i32 v3, v3, 0, 16
	v_cndmask_b32_e32 v2, v4, v5, vcc
	v_and_or_b32 v2, v3, s38, v2
	v_trunc_f32_e32 v2, v2
	v_mul_f32_e64 v3, |v2|, s39
	v_floor_f32_e32 v3, v3
	v_fma_f32 v4, v3, s40, |v2|
	v_cvt_u32_f32_e32 v4, v4
	v_cvt_u32_f32_e32 v3, v3
	v_ashrrev_i32_e32 v2, 31, v2
	v_xor_b32_e32 v4, v4, v2
	v_xor_b32_e32 v3, v3, v2
	v_sub_co_u32_e32 v4, vcc, v4, v2
	v_subb_co_u32_e32 v5, vcc, v3, v2, vcc
.LBB78_828:
	s_mov_b64 s[36:37], 0
	s_mov_b64 s[38:39], -1
.LBB78_829:
	s_andn2_b64 vcc, exec, s[36:37]
	s_mov_b64 s[36:37], 0
	s_cbranch_vccnz .LBB78_838
; %bb.830:
	s_cmp_gt_i32 s42, 14
	s_cbranch_scc0 .LBB78_833
; %bb.831:
	s_cmp_eq_u32 s42, 15
	s_cbranch_scc0 .LBB78_834
; %bb.832:
	global_load_ushort v2, v[0:1], off
	s_mov_b32 s34, 0x2f800000
	s_mov_b32 s35, 0xcf800000
	s_mov_b64 s[38:39], -1
	s_waitcnt vmcnt(0)
	v_lshlrev_b32_e32 v2, 16, v2
	v_trunc_f32_e32 v2, v2
	v_mul_f32_e64 v3, |v2|, s34
	v_floor_f32_e32 v3, v3
	v_fma_f32 v4, v3, s35, |v2|
	v_cvt_u32_f32_e32 v4, v4
	v_cvt_u32_f32_e32 v3, v3
	v_ashrrev_i32_e32 v2, 31, v2
	s_mov_b64 s[34:35], 0
	v_xor_b32_e32 v4, v4, v2
	v_xor_b32_e32 v3, v3, v2
	v_sub_co_u32_e32 v4, vcc, v4, v2
	v_subb_co_u32_e32 v5, vcc, v3, v2, vcc
	s_branch .LBB78_835
.LBB78_833:
	s_mov_b64 s[40:41], -1
                                        ; implicit-def: $vgpr4_vgpr5
	s_branch .LBB78_836
.LBB78_834:
	s_mov_b64 s[34:35], -1
                                        ; implicit-def: $vgpr4_vgpr5
.LBB78_835:
	s_mov_b64 s[40:41], 0
.LBB78_836:
	s_and_b64 vcc, exec, s[40:41]
	s_cbranch_vccz .LBB78_838
; %bb.837:
	s_cmp_lg_u32 s42, 11
	s_cselect_b64 s[40:41], -1, 0
	s_andn2_b64 s[34:35], s[34:35], exec
	s_and_b64 s[40:41], s[40:41], exec
	s_mov_b64 s[36:37], -1
	s_or_b64 s[34:35], s[34:35], s[40:41]
.LBB78_838:
	s_mov_b64 s[40:41], 0
.LBB78_839:
	s_and_b64 s[42:43], s[40:41], exec
	s_andn2_b64 s[40:41], s[0:1], exec
	s_and_b64 s[34:35], s[34:35], exec
	s_and_b64 s[38:39], s[38:39], exec
	;; [unrolled: 1-line block ×3, first 2 shown]
	s_or_b64 s[40:41], s[40:41], s[34:35]
.LBB78_840:
	s_or_b64 exec, exec, s[28:29]
	s_and_b64 s[34:35], s[36:37], exec
	s_andn2_b64 s[0:1], s[0:1], exec
	s_and_b64 s[36:37], s[40:41], exec
	s_and_b64 s[38:39], s[38:39], exec
	;; [unrolled: 1-line block ×3, first 2 shown]
	s_or_b64 s[0:1], s[0:1], s[36:37]
.LBB78_841:
	s_or_b64 exec, exec, s[26:27]
	s_andn2_b64 s[22:23], s[22:23], exec
	s_and_b64 s[26:27], s[30:31], exec
	s_andn2_b64 s[20:21], s[20:21], exec
	s_and_b64 s[0:1], s[0:1], exec
	s_or_b64 s[22:23], s[22:23], s[26:27]
	s_and_b64 s[30:31], s[38:39], exec
	s_and_b64 s[28:29], s[28:29], exec
	;; [unrolled: 1-line block ×3, first 2 shown]
	s_or_b64 s[20:21], s[20:21], s[0:1]
.LBB78_842:
	s_or_b64 exec, exec, s[24:25]
	s_andn2_b64 s[0:1], s[14:15], exec
	s_and_b64 s[14:15], s[22:23], exec
	s_andn2_b64 s[16:17], s[16:17], exec
	s_and_b64 s[20:21], s[20:21], exec
	s_or_b64 s[14:15], s[0:1], s[14:15]
	s_and_b64 s[0:1], s[30:31], exec
	s_and_b64 s[24:25], s[28:29], exec
	;; [unrolled: 1-line block ×3, first 2 shown]
	s_or_b64 s[16:17], s[16:17], s[20:21]
	s_or_b64 exec, exec, s[18:19]
	s_mov_b64 s[18:19], 0
	s_and_saveexec_b64 s[20:21], s[16:17]
	s_cbranch_execz .LBB78_258
.LBB78_843:
	s_mov_b64 s[18:19], exec
	s_andn2_b64 s[22:23], s[22:23], exec
	s_trap 2
	s_or_b64 exec, exec, s[20:21]
	s_and_saveexec_b64 s[16:17], s[22:23]
	s_xor_b64 s[16:17], exec, s[16:17]
	s_cbranch_execnz .LBB78_259
.LBB78_844:
	s_or_b64 exec, exec, s[16:17]
	s_and_saveexec_b64 s[16:17], s[24:25]
	s_cbranch_execz .LBB78_890
.LBB78_845:
	s_sext_i32_i16 s20, s44
	s_cmp_lt_i32 s20, 5
	s_cbranch_scc1 .LBB78_850
; %bb.846:
	s_cmp_lt_i32 s20, 8
	s_cbranch_scc1 .LBB78_851
; %bb.847:
	;; [unrolled: 3-line block ×3, first 2 shown]
	s_cmp_gt_i32 s20, 9
	s_cbranch_scc0 .LBB78_853
; %bb.849:
	global_load_dwordx2 v[2:3], v[0:1], off
	s_movk_i32 s20, 0xffe0
	s_waitcnt vmcnt(0)
	v_trunc_f64_e32 v[2:3], v[2:3]
	v_ldexp_f64 v[4:5], v[2:3], s20
	s_mov_b32 s20, 0
	s_mov_b32 s21, 0xc1f00000
	v_floor_f64_e32 v[4:5], v[4:5]
	v_fma_f64 v[2:3], v[4:5], s[20:21], v[2:3]
	v_cvt_i32_f64_e32 v5, v[4:5]
	s_mov_b64 s[20:21], 0
	v_cvt_u32_f64_e32 v4, v[2:3]
	s_branch .LBB78_854
.LBB78_850:
                                        ; implicit-def: $vgpr4_vgpr5
	s_branch .LBB78_871
.LBB78_851:
                                        ; implicit-def: $vgpr4_vgpr5
	s_branch .LBB78_860
.LBB78_852:
	s_mov_b64 s[20:21], -1
                                        ; implicit-def: $vgpr4_vgpr5
	s_branch .LBB78_857
.LBB78_853:
	s_mov_b64 s[20:21], -1
                                        ; implicit-def: $vgpr4_vgpr5
.LBB78_854:
	s_andn2_b64 vcc, exec, s[20:21]
	s_cbranch_vccnz .LBB78_856
; %bb.855:
	global_load_dword v2, v[0:1], off
	s_mov_b32 s20, 0x2f800000
	s_mov_b32 s21, 0xcf800000
	s_waitcnt vmcnt(0)
	v_trunc_f32_e32 v2, v2
	v_mul_f32_e64 v3, |v2|, s20
	v_floor_f32_e32 v3, v3
	v_cvt_u32_f32_e32 v4, v3
	v_fma_f32 v3, v3, s21, |v2|
	v_cvt_u32_f32_e32 v3, v3
	v_ashrrev_i32_e32 v2, 31, v2
	v_xor_b32_e32 v5, v4, v2
	v_xor_b32_e32 v3, v3, v2
	v_sub_co_u32_e32 v4, vcc, v3, v2
	v_subb_co_u32_e32 v5, vcc, v5, v2, vcc
.LBB78_856:
	s_mov_b64 s[20:21], 0
.LBB78_857:
	s_andn2_b64 vcc, exec, s[20:21]
	s_cbranch_vccnz .LBB78_859
; %bb.858:
	global_load_dword v2, v[0:1], off
	s_waitcnt vmcnt(0)
	v_cvt_f32_f16_e32 v2, v2
	v_cvt_i32_f32_e32 v4, v2
	v_ashrrev_i32_e32 v5, 31, v4
.LBB78_859:
	s_cbranch_execnz .LBB78_870
.LBB78_860:
	s_sext_i32_i16 s20, s44
	s_cmp_lt_i32 s20, 6
	s_cbranch_scc1 .LBB78_863
; %bb.861:
	s_cmp_gt_i32 s20, 6
	s_cbranch_scc0 .LBB78_864
; %bb.862:
	global_load_dwordx2 v[2:3], v[0:1], off
	s_movk_i32 s20, 0xffe0
	s_waitcnt vmcnt(0)
	v_trunc_f64_e32 v[2:3], v[2:3]
	v_ldexp_f64 v[4:5], v[2:3], s20
	s_mov_b32 s20, 0
	s_mov_b32 s21, 0xc1f00000
	v_floor_f64_e32 v[4:5], v[4:5]
	v_fma_f64 v[2:3], v[4:5], s[20:21], v[2:3]
	v_cvt_i32_f64_e32 v5, v[4:5]
	s_mov_b64 s[20:21], 0
	v_cvt_u32_f64_e32 v4, v[2:3]
	s_branch .LBB78_865
.LBB78_863:
	s_mov_b64 s[20:21], -1
                                        ; implicit-def: $vgpr4_vgpr5
	s_branch .LBB78_868
.LBB78_864:
	s_mov_b64 s[20:21], -1
                                        ; implicit-def: $vgpr4_vgpr5
.LBB78_865:
	s_andn2_b64 vcc, exec, s[20:21]
	s_cbranch_vccnz .LBB78_867
; %bb.866:
	global_load_dword v2, v[0:1], off
	s_mov_b32 s20, 0x2f800000
	s_mov_b32 s21, 0xcf800000
	s_waitcnt vmcnt(0)
	v_trunc_f32_e32 v2, v2
	v_mul_f32_e64 v3, |v2|, s20
	v_floor_f32_e32 v3, v3
	v_cvt_u32_f32_e32 v4, v3
	v_fma_f32 v3, v3, s21, |v2|
	v_cvt_u32_f32_e32 v3, v3
	v_ashrrev_i32_e32 v2, 31, v2
	v_xor_b32_e32 v5, v4, v2
	v_xor_b32_e32 v3, v3, v2
	v_sub_co_u32_e32 v4, vcc, v3, v2
	v_subb_co_u32_e32 v5, vcc, v5, v2, vcc
.LBB78_867:
	s_mov_b64 s[20:21], 0
.LBB78_868:
	s_andn2_b64 vcc, exec, s[20:21]
	s_cbranch_vccnz .LBB78_870
; %bb.869:
	global_load_ushort v2, v[0:1], off
	s_waitcnt vmcnt(0)
	v_cvt_f32_f16_e32 v2, v2
	v_cvt_i32_f32_e32 v4, v2
	v_ashrrev_i32_e32 v5, 31, v4
.LBB78_870:
	s_cbranch_execnz .LBB78_889
.LBB78_871:
	s_sext_i32_i16 s20, s44
	s_cmp_lt_i32 s20, 2
	s_cbranch_scc1 .LBB78_875
; %bb.872:
	s_cmp_lt_i32 s20, 3
	s_cbranch_scc1 .LBB78_876
; %bb.873:
	s_cmp_gt_i32 s20, 3
	s_cbranch_scc0 .LBB78_877
; %bb.874:
	global_load_dwordx2 v[4:5], v[0:1], off
	s_mov_b64 s[20:21], 0
	s_branch .LBB78_878
.LBB78_875:
                                        ; implicit-def: $vgpr4_vgpr5
	s_branch .LBB78_884
.LBB78_876:
	s_mov_b64 s[20:21], -1
                                        ; implicit-def: $vgpr4_vgpr5
	s_branch .LBB78_881
.LBB78_877:
	s_mov_b64 s[20:21], -1
                                        ; implicit-def: $vgpr4_vgpr5
.LBB78_878:
	s_andn2_b64 vcc, exec, s[20:21]
	s_cbranch_vccnz .LBB78_880
; %bb.879:
	global_load_dword v4, v[0:1], off
	s_waitcnt vmcnt(0)
	v_ashrrev_i32_e32 v5, 31, v4
.LBB78_880:
	s_mov_b64 s[20:21], 0
.LBB78_881:
	s_andn2_b64 vcc, exec, s[20:21]
	s_cbranch_vccnz .LBB78_883
; %bb.882:
	global_load_ushort v2, v[0:1], off
	s_waitcnt vmcnt(0)
	v_bfe_i32 v4, v2, 0, 16
	v_ashrrev_i32_e32 v5, 31, v4
.LBB78_883:
	s_cbranch_execnz .LBB78_889
.LBB78_884:
	s_sext_i32_i16 s20, s44
	s_cmp_gt_i32 s20, 0
	s_cbranch_scc0 .LBB78_886
; %bb.885:
	global_load_sbyte v2, v[0:1], off
	s_mov_b64 s[20:21], 0
	s_waitcnt vmcnt(0)
	v_bfe_i32 v4, v2, 0, 16
	v_ashrrev_i32_e32 v5, 31, v4
	s_branch .LBB78_887
.LBB78_886:
	s_mov_b64 s[20:21], -1
                                        ; implicit-def: $vgpr4_vgpr5
.LBB78_887:
	s_andn2_b64 vcc, exec, s[20:21]
	s_cbranch_vccnz .LBB78_889
; %bb.888:
	global_load_ubyte v0, v[0:1], off
	s_mov_b32 s20, 0
	s_waitcnt vmcnt(1)
	v_mov_b32_e32 v5, s20
	s_waitcnt vmcnt(0)
	v_and_b32_e32 v4, 0xffff, v0
.LBB78_889:
	s_or_b64 s[0:1], s[0:1], exec
.LBB78_890:
	s_or_b64 exec, exec, s[16:17]
	s_mov_b64 s[22:23], 0
	s_mov_b64 s[20:21], 0
                                        ; implicit-def: $sgpr28
                                        ; implicit-def: $vgpr2_vgpr3
                                        ; implicit-def: $vgpr0_vgpr1
	s_and_saveexec_b64 s[16:17], s[0:1]
	s_cbranch_execz .LBB78_898
; %bb.891:
	s_waitcnt vmcnt(0)
	v_mul_lo_u32 v2, v10, s12
	v_lshlrev_b64 v[0:1], v4, s[2:3]
	v_cmp_gt_u64_e32 vcc, 64, v[4:5]
	v_mov_b32_e32 v4, s9
	v_cndmask_b32_e32 v1, 0, v1, vcc
	v_cndmask_b32_e32 v0, 0, v0, vcc
	v_ashrrev_i32_e32 v3, 31, v2
	s_and_b32 s28, s33, 0xff
	v_add_co_u32_e32 v2, vcc, s8, v2
	s_cmp_lt_i32 s28, 11
	v_addc_co_u32_e32 v3, vcc, v4, v3, vcc
	s_cbranch_scc1 .LBB78_901
; %bb.892:
	s_and_b32 s29, 0xffff, s28
	s_mov_b64 s[22:23], -1
	s_cmp_gt_i32 s29, 25
	s_mov_b64 s[0:1], s[14:15]
	s_cbranch_scc0 .LBB78_929
; %bb.893:
	s_mov_b64 s[20:21], -1
	s_cmp_gt_i32 s29, 28
	s_mov_b64 s[0:1], s[14:15]
	s_cbranch_scc0 .LBB78_913
; %bb.894:
	s_cmp_gt_i32 s29, 43
	s_mov_b64 s[0:1], s[14:15]
	s_cbranch_scc0 .LBB78_909
; %bb.895:
	;; [unrolled: 4-line block ×3, first 2 shown]
	s_cmp_eq_u32 s29, 46
	s_mov_b64 s[0:1], -1
	s_cbranch_scc0 .LBB78_902
; %bb.897:
	v_xor_b32_e32 v5, v0, v1
	v_ffbh_i32_e32 v4, v1
	v_ashrrev_i32_e32 v5, 31, v5
	v_add_u32_e32 v4, -1, v4
	v_add_u32_e32 v5, 32, v5
	v_min_u32_e32 v6, v4, v5
	v_lshlrev_b64 v[4:5], v6, v[0:1]
	s_movk_i32 s0, 0x7fff
	v_min_u32_e32 v4, 1, v4
	v_or_b32_e32 v4, v5, v4
	v_cvt_f32_i32_e32 v4, v4
	v_sub_u32_e32 v5, 32, v6
	s_mov_b64 s[20:21], 0
	v_ldexp_f32 v4, v4, v5
	v_bfe_u32 v5, v4, 16, 1
	v_add3_u32 v4, v4, v5, s0
	v_lshrrev_b32_e32 v4, 16, v4
	global_store_dword v[2:3], v4, off
	s_mov_b64 s[0:1], 0
	s_branch .LBB78_903
.LBB78_898:
	s_or_b64 exec, exec, s[16:17]
	s_and_saveexec_b64 s[0:1], s[14:15]
	s_cbranch_execnz .LBB78_971
.LBB78_899:
	s_or_b64 exec, exec, s[0:1]
	s_and_saveexec_b64 s[0:1], s[22:23]
	s_xor_b64 s[0:1], exec, s[0:1]
	s_cbranch_execz .LBB78_972
.LBB78_900:
	v_cmp_ne_u64_e32 vcc, 0, v[0:1]
	s_waitcnt vmcnt(0)
	v_cndmask_b32_e64 v4, 0, 1, vcc
	global_store_byte v[2:3], v4, off
	s_or_b64 exec, exec, s[0:1]
	s_and_saveexec_b64 s[0:1], s[20:21]
	s_xor_b64 s[0:1], exec, s[0:1]
	s_cbranch_execz .LBB78_1010
	s_branch .LBB78_973
.LBB78_901:
	s_mov_b64 s[20:21], -1
	s_mov_b64 s[0:1], s[14:15]
	s_branch .LBB78_970
.LBB78_902:
	s_mov_b64 s[20:21], 0
.LBB78_903:
	s_and_b64 vcc, exec, s[20:21]
	s_cbranch_vccz .LBB78_908
; %bb.904:
	s_cmp_eq_u32 s29, 44
	s_mov_b64 s[0:1], -1
	s_cbranch_scc0 .LBB78_908
; %bb.905:
	v_xor_b32_e32 v5, v0, v1
	v_ffbh_i32_e32 v4, v1
	v_ashrrev_i32_e32 v5, 31, v5
	v_add_u32_e32 v4, -1, v4
	v_add_u32_e32 v5, 32, v5
	v_min_u32_e32 v6, v4, v5
	v_lshlrev_b64 v[4:5], v6, v[0:1]
	s_movk_i32 s0, 0xff
	v_min_u32_e32 v4, 1, v4
	v_or_b32_e32 v4, v5, v4
	v_cvt_f32_i32_e32 v4, v4
	v_sub_u32_e32 v5, 32, v6
	v_mov_b32_e32 v6, 0xff
	v_ldexp_f32 v4, v4, v5
	v_bfe_u32 v5, v4, 23, 8
	v_cmp_ne_u32_e32 vcc, s0, v5
	s_and_saveexec_b64 s[20:21], vcc
; %bb.906:
	s_mov_b32 s0, 0x3fffff
	v_lshrrev_b32_e32 v6, 23, v4
	v_and_b32_e32 v7, 0x400000, v4
	v_and_or_b32 v4, v4, s0, v5
	v_cmp_ne_u32_e32 vcc, 0, v7
	v_cmp_ne_u32_e64 s[0:1], 0, v4
	s_and_b64 s[0:1], vcc, s[0:1]
	v_cndmask_b32_e64 v4, 0, 1, s[0:1]
	v_add_u32_e32 v6, v6, v4
; %bb.907:
	s_or_b64 exec, exec, s[20:21]
	s_mov_b64 s[0:1], 0
	global_store_byte v[2:3], v6, off
.LBB78_908:
	s_mov_b64 s[20:21], 0
.LBB78_909:
	s_and_b64 vcc, exec, s[20:21]
	s_cbranch_vccz .LBB78_912
; %bb.910:
	s_cmp_eq_u32 s29, 29
	s_mov_b64 s[0:1], -1
	s_cbranch_scc0 .LBB78_912
; %bb.911:
	global_store_dwordx2 v[2:3], v[0:1], off
	s_mov_b64 s[0:1], 0
.LBB78_912:
	s_mov_b64 s[20:21], 0
.LBB78_913:
	s_and_b64 vcc, exec, s[20:21]
	s_cbranch_vccz .LBB78_928
; %bb.914:
	s_cmp_lt_i32 s29, 27
	s_mov_b64 s[20:21], -1
	s_cbranch_scc1 .LBB78_920
; %bb.915:
	s_cmp_gt_i32 s29, 27
	s_cbranch_scc0 .LBB78_917
; %bb.916:
	s_mov_b64 s[20:21], 0
	global_store_dword v[2:3], v0, off
.LBB78_917:
	s_andn2_b64 vcc, exec, s[20:21]
	s_cbranch_vccnz .LBB78_919
; %bb.918:
	global_store_short v[2:3], v0, off
.LBB78_919:
	s_mov_b64 s[20:21], 0
.LBB78_920:
	s_andn2_b64 vcc, exec, s[20:21]
	s_cbranch_vccnz .LBB78_928
; %bb.921:
	v_xor_b32_e32 v5, v0, v1
	v_ffbh_i32_e32 v4, v1
	v_ashrrev_i32_e32 v5, 31, v5
	v_add_u32_e32 v4, -1, v4
	v_add_u32_e32 v5, 32, v5
	v_min_u32_e32 v6, v4, v5
	v_lshlrev_b64 v[4:5], v6, v[0:1]
	s_mov_b32 s20, 0x43800000
	v_min_u32_e32 v4, 1, v4
	v_or_b32_e32 v4, v5, v4
	v_cvt_f32_i32_e32 v4, v4
	v_sub_u32_e32 v5, 32, v6
	v_mov_b32_e32 v6, 0x80
	v_ldexp_f32 v4, v4, v5
	v_and_b32_e32 v5, 0x7fffffff, v4
	v_cmp_gt_u32_e32 vcc, s20, v5
	s_and_saveexec_b64 s[20:21], vcc
	s_cbranch_execz .LBB78_927
; %bb.922:
	s_mov_b32 s22, 0x3bffffff
	v_cmp_lt_u32_e32 vcc, s22, v5
	s_mov_b64 s[22:23], 0
                                        ; implicit-def: $vgpr5
	s_and_saveexec_b64 s[24:25], vcc
	s_xor_b64 s[24:25], exec, s[24:25]
	s_cbranch_execz .LBB78_1025
; %bb.923:
	v_bfe_u32 v5, v4, 20, 1
	s_mov_b32 s26, 0x487ffff
	v_add3_u32 v5, v4, v5, s26
	s_mov_b64 s[22:23], exec
	v_lshrrev_b32_e32 v5, 20, v5
	s_andn2_saveexec_b64 s[24:25], s[24:25]
	s_cbranch_execnz .LBB78_1026
.LBB78_924:
	s_or_b64 exec, exec, s[24:25]
	v_mov_b32_e32 v6, 0
	s_and_saveexec_b64 s[24:25], s[22:23]
.LBB78_925:
	v_lshrrev_b32_e32 v4, 24, v4
	s_movk_i32 s22, 0x80
	v_and_or_b32 v6, v4, s22, v5
.LBB78_926:
	s_or_b64 exec, exec, s[24:25]
.LBB78_927:
	s_or_b64 exec, exec, s[20:21]
	global_store_byte v[2:3], v6, off
.LBB78_928:
	s_mov_b64 s[22:23], 0
.LBB78_929:
	s_mov_b64 s[20:21], 0
	s_and_b64 vcc, exec, s[22:23]
	s_cbranch_vccz .LBB78_969
; %bb.930:
	s_cmp_gt_i32 s29, 22
	s_mov_b64 s[22:23], -1
	s_cbranch_scc0 .LBB78_962
; %bb.931:
	s_cmp_lt_i32 s29, 24
	s_cbranch_scc1 .LBB78_951
; %bb.932:
	s_cmp_gt_i32 s29, 24
	s_cbranch_scc0 .LBB78_940
; %bb.933:
	v_xor_b32_e32 v5, v0, v1
	v_ffbh_i32_e32 v4, v1
	v_ashrrev_i32_e32 v5, 31, v5
	v_add_u32_e32 v4, -1, v4
	v_add_u32_e32 v5, 32, v5
	v_min_u32_e32 v6, v4, v5
	v_lshlrev_b64 v[4:5], v6, v[0:1]
	s_mov_b32 s22, 0x47800000
	v_min_u32_e32 v4, 1, v4
	v_or_b32_e32 v4, v5, v4
	v_cvt_f32_i32_e32 v4, v4
	v_sub_u32_e32 v5, 32, v6
	v_mov_b32_e32 v6, 0x80
	v_ldexp_f32 v4, v4, v5
	v_and_b32_e32 v5, 0x7fffffff, v4
	v_cmp_gt_u32_e32 vcc, s22, v5
	s_and_saveexec_b64 s[22:23], vcc
	s_cbranch_execz .LBB78_939
; %bb.934:
	s_mov_b32 s24, 0x37ffffff
	v_cmp_lt_u32_e32 vcc, s24, v5
	s_mov_b64 s[24:25], 0
                                        ; implicit-def: $vgpr5
	s_and_saveexec_b64 s[26:27], vcc
	s_xor_b64 s[26:27], exec, s[26:27]
	s_cbranch_execz .LBB78_1145
; %bb.935:
	v_bfe_u32 v5, v4, 21, 1
	s_mov_b32 s30, 0x88fffff
	v_add3_u32 v5, v4, v5, s30
	s_mov_b64 s[24:25], exec
	v_lshrrev_b32_e32 v5, 21, v5
	s_andn2_saveexec_b64 s[26:27], s[26:27]
	s_cbranch_execnz .LBB78_1146
.LBB78_936:
	s_or_b64 exec, exec, s[26:27]
	v_mov_b32_e32 v6, 0
	s_and_saveexec_b64 s[26:27], s[24:25]
.LBB78_937:
	v_lshrrev_b32_e32 v4, 24, v4
	s_movk_i32 s24, 0x80
	v_and_or_b32 v6, v4, s24, v5
.LBB78_938:
	s_or_b64 exec, exec, s[26:27]
.LBB78_939:
	s_or_b64 exec, exec, s[22:23]
	s_mov_b64 s[22:23], 0
	global_store_byte v[2:3], v6, off
.LBB78_940:
	s_and_b64 vcc, exec, s[22:23]
	s_cbranch_vccz .LBB78_950
; %bb.941:
	v_xor_b32_e32 v5, v0, v1
	v_ffbh_i32_e32 v4, v1
	v_ashrrev_i32_e32 v5, 31, v5
	v_add_u32_e32 v4, -1, v4
	v_add_u32_e32 v5, 32, v5
	v_min_u32_e32 v6, v4, v5
	v_lshlrev_b64 v[4:5], v6, v[0:1]
	s_mov_b32 s22, 0x43f00000
	v_min_u32_e32 v4, 1, v4
	v_or_b32_e32 v4, v5, v4
	v_cvt_f32_i32_e32 v4, v4
	v_sub_u32_e32 v5, 32, v6
	v_ldexp_f32 v4, v4, v5
	v_and_b32_e32 v6, 0x7fffffff, v4
	v_cmp_gt_u32_e32 vcc, s22, v6
                                        ; implicit-def: $vgpr5
	s_and_saveexec_b64 s[22:23], vcc
	s_xor_b64 s[22:23], exec, s[22:23]
	s_cbranch_execz .LBB78_947
; %bb.942:
	s_mov_b32 s24, 0x3c7fffff
	v_cmp_lt_u32_e32 vcc, s24, v6
                                        ; implicit-def: $vgpr5
	s_and_saveexec_b64 s[24:25], vcc
	s_xor_b64 s[24:25], exec, s[24:25]
; %bb.943:
	v_bfe_u32 v5, v4, 20, 1
	s_mov_b32 s26, 0x407ffff
	v_add3_u32 v5, v4, v5, s26
	v_lshrrev_b32_e32 v6, 20, v5
	v_and_b32_e32 v5, 0xff00000, v5
	s_mov_b32 s26, 0x7f00000
	v_mov_b32_e32 v7, 0x7e
	v_cmp_ne_u32_e32 vcc, s26, v5
	v_cndmask_b32_e32 v5, v7, v6, vcc
; %bb.944:
	s_andn2_saveexec_b64 s[24:25], s[24:25]
; %bb.945:
	s_mov_b32 s26, 0x46800000
	v_add_f32_e64 v5, |v4|, s26
; %bb.946:
	s_or_b64 exec, exec, s[24:25]
                                        ; implicit-def: $vgpr6
.LBB78_947:
	s_andn2_saveexec_b64 s[22:23], s[22:23]
; %bb.948:
	s_mov_b32 s24, 0x7f800000
	v_mov_b32_e32 v5, 0x7e
	v_mov_b32_e32 v7, 0x7f
	v_cmp_lt_u32_e32 vcc, s24, v6
	v_cndmask_b32_e32 v5, v5, v7, vcc
; %bb.949:
	s_or_b64 exec, exec, s[22:23]
	v_lshrrev_b32_e32 v4, 24, v4
	s_movk_i32 s22, 0x80
	v_and_or_b32 v4, v4, s22, v5
	global_store_byte v[2:3], v4, off
.LBB78_950:
	s_mov_b64 s[22:23], 0
.LBB78_951:
	s_andn2_b64 vcc, exec, s[22:23]
	s_cbranch_vccnz .LBB78_961
; %bb.952:
	v_xor_b32_e32 v5, v0, v1
	v_ffbh_i32_e32 v4, v1
	v_ashrrev_i32_e32 v5, 31, v5
	v_add_u32_e32 v4, -1, v4
	v_add_u32_e32 v5, 32, v5
	v_min_u32_e32 v6, v4, v5
	v_lshlrev_b64 v[4:5], v6, v[0:1]
	s_mov_b32 s22, 0x47800000
	v_min_u32_e32 v4, 1, v4
	v_or_b32_e32 v4, v5, v4
	v_cvt_f32_i32_e32 v4, v4
	v_sub_u32_e32 v5, 32, v6
	v_ldexp_f32 v4, v4, v5
	v_and_b32_e32 v6, 0x7fffffff, v4
	v_cmp_gt_u32_e32 vcc, s22, v6
                                        ; implicit-def: $vgpr5
	s_and_saveexec_b64 s[22:23], vcc
	s_xor_b64 s[22:23], exec, s[22:23]
	s_cbranch_execz .LBB78_958
; %bb.953:
	s_mov_b32 s24, 0x387fffff
	v_cmp_lt_u32_e32 vcc, s24, v6
                                        ; implicit-def: $vgpr5
	s_and_saveexec_b64 s[24:25], vcc
	s_xor_b64 s[24:25], exec, s[24:25]
; %bb.954:
	v_bfe_u32 v5, v4, 21, 1
	s_mov_b32 s26, 0x80fffff
	v_add3_u32 v5, v4, v5, s26
	v_lshrrev_b32_e32 v5, 21, v5
; %bb.955:
	s_andn2_saveexec_b64 s[24:25], s[24:25]
; %bb.956:
	s_mov_b32 s26, 0x43000000
	v_add_f32_e64 v5, |v4|, s26
; %bb.957:
	s_or_b64 exec, exec, s[24:25]
                                        ; implicit-def: $vgpr6
.LBB78_958:
	s_andn2_saveexec_b64 s[22:23], s[22:23]
; %bb.959:
	s_mov_b32 s24, 0x7f800000
	v_mov_b32_e32 v5, 0x7c
	v_mov_b32_e32 v7, 0x7f
	v_cmp_lt_u32_e32 vcc, s24, v6
	v_cndmask_b32_e32 v5, v5, v7, vcc
; %bb.960:
	s_or_b64 exec, exec, s[22:23]
	v_lshrrev_b32_e32 v4, 24, v4
	s_movk_i32 s22, 0x80
	v_and_or_b32 v4, v4, s22, v5
	global_store_byte v[2:3], v4, off
.LBB78_961:
	s_mov_b64 s[22:23], 0
.LBB78_962:
	s_andn2_b64 vcc, exec, s[22:23]
	s_mov_b64 s[22:23], 0
	s_cbranch_vccnz .LBB78_970
; %bb.963:
	s_cmp_gt_i32 s29, 14
	s_mov_b64 s[24:25], -1
	s_cbranch_scc0 .LBB78_967
; %bb.964:
	s_cmp_eq_u32 s29, 15
	s_mov_b64 s[0:1], -1
	s_cbranch_scc0 .LBB78_966
; %bb.965:
	v_xor_b32_e32 v5, v0, v1
	v_ffbh_i32_e32 v4, v1
	v_ashrrev_i32_e32 v5, 31, v5
	v_add_u32_e32 v4, -1, v4
	v_add_u32_e32 v5, 32, v5
	v_min_u32_e32 v6, v4, v5
	v_lshlrev_b64 v[4:5], v6, v[0:1]
	s_movk_i32 s0, 0x7fff
	v_min_u32_e32 v4, 1, v4
	v_or_b32_e32 v4, v5, v4
	v_cvt_f32_i32_e32 v4, v4
	v_sub_u32_e32 v5, 32, v6
	v_ldexp_f32 v4, v4, v5
	v_bfe_u32 v5, v4, 16, 1
	v_add3_u32 v4, v4, v5, s0
	global_store_short_d16_hi v[2:3], v4, off
	s_mov_b64 s[0:1], 0
.LBB78_966:
	s_mov_b64 s[24:25], 0
.LBB78_967:
	s_and_b64 vcc, exec, s[24:25]
	s_cbranch_vccz .LBB78_970
; %bb.968:
	s_cmp_lg_u32 s29, 11
	s_cselect_b64 s[24:25], -1, 0
	s_andn2_b64 s[0:1], s[0:1], exec
	s_and_b64 s[24:25], s[24:25], exec
	s_mov_b64 s[22:23], -1
	s_or_b64 s[0:1], s[0:1], s[24:25]
	s_branch .LBB78_970
.LBB78_969:
	s_mov_b64 s[22:23], 0
.LBB78_970:
	s_andn2_b64 s[14:15], s[14:15], exec
	s_and_b64 s[0:1], s[0:1], exec
	s_and_b64 s[20:21], s[20:21], exec
	;; [unrolled: 1-line block ×3, first 2 shown]
	s_or_b64 s[14:15], s[14:15], s[0:1]
	s_or_b64 exec, exec, s[16:17]
	s_and_saveexec_b64 s[0:1], s[14:15]
	s_cbranch_execz .LBB78_899
.LBB78_971:
	s_or_b64 s[18:19], s[18:19], exec
	s_andn2_b64 s[22:23], s[22:23], exec
	s_trap 2
	s_or_b64 exec, exec, s[0:1]
	s_and_saveexec_b64 s[0:1], s[22:23]
	s_xor_b64 s[0:1], exec, s[0:1]
	s_cbranch_execnz .LBB78_900
.LBB78_972:
	s_or_b64 exec, exec, s[0:1]
	s_and_saveexec_b64 s[0:1], s[20:21]
	s_xor_b64 s[0:1], exec, s[0:1]
	s_cbranch_execz .LBB78_1010
.LBB78_973:
	s_sext_i32_i16 s16, s28
	s_cmp_lt_i32 s16, 5
	s_mov_b64 s[14:15], -1
	s_cbranch_scc1 .LBB78_994
; %bb.974:
	s_cmp_lt_i32 s16, 8
	s_cbranch_scc1 .LBB78_984
; %bb.975:
	s_cmp_lt_i32 s16, 9
	s_cbranch_scc1 .LBB78_981
; %bb.976:
	s_cmp_gt_i32 s16, 9
	s_cbranch_scc0 .LBB78_978
; %bb.977:
	s_waitcnt vmcnt(0)
	v_cvt_f64_i32_e32 v[4:5], v1
	v_cvt_f64_u32_e32 v[6:7], v0
	s_mov_b64 s[14:15], 0
	v_ldexp_f64 v[4:5], v[4:5], 32
	v_add_f64 v[4:5], v[4:5], v[6:7]
	v_mov_b32_e32 v6, 0
	v_mov_b32_e32 v7, v6
	global_store_dwordx4 v[2:3], v[4:7], off
.LBB78_978:
	s_andn2_b64 vcc, exec, s[14:15]
	s_cbranch_vccnz .LBB78_980
; %bb.979:
	s_waitcnt vmcnt(0)
	v_xor_b32_e32 v5, v0, v1
	v_ffbh_i32_e32 v4, v1
	v_ashrrev_i32_e32 v5, 31, v5
	v_add_u32_e32 v4, -1, v4
	v_add_u32_e32 v5, 32, v5
	v_min_u32_e32 v6, v4, v5
	v_lshlrev_b64 v[4:5], v6, v[0:1]
	v_min_u32_e32 v4, 1, v4
	v_or_b32_e32 v4, v5, v4
	v_cvt_f32_i32_e32 v4, v4
	v_sub_u32_e32 v5, 32, v6
	v_ldexp_f32 v4, v4, v5
	v_mov_b32_e32 v5, 0
	global_store_dwordx2 v[2:3], v[4:5], off
.LBB78_980:
	s_mov_b64 s[14:15], 0
.LBB78_981:
	s_andn2_b64 vcc, exec, s[14:15]
	s_cbranch_vccnz .LBB78_983
; %bb.982:
	s_waitcnt vmcnt(0)
	v_xor_b32_e32 v5, v0, v1
	v_ffbh_i32_e32 v4, v1
	v_ashrrev_i32_e32 v5, 31, v5
	v_add_u32_e32 v4, -1, v4
	v_add_u32_e32 v5, 32, v5
	v_min_u32_e32 v6, v4, v5
	v_lshlrev_b64 v[4:5], v6, v[0:1]
	v_min_u32_e32 v4, 1, v4
	v_or_b32_e32 v4, v5, v4
	v_cvt_f32_i32_e32 v4, v4
	v_sub_u32_e32 v5, 32, v6
	v_ldexp_f32 v4, v4, v5
	v_cvt_f16_f32_e32 v4, v4
	global_store_dword v[2:3], v4, off
.LBB78_983:
	s_mov_b64 s[14:15], 0
.LBB78_984:
	s_andn2_b64 vcc, exec, s[14:15]
	s_cbranch_vccnz .LBB78_993
; %bb.985:
	s_sext_i32_i16 s16, s28
	s_cmp_lt_i32 s16, 6
	s_mov_b64 s[14:15], -1
	s_cbranch_scc1 .LBB78_991
; %bb.986:
	s_cmp_gt_i32 s16, 6
	s_cbranch_scc0 .LBB78_988
; %bb.987:
	s_waitcnt vmcnt(0)
	v_cvt_f64_i32_e32 v[4:5], v1
	v_cvt_f64_u32_e32 v[6:7], v0
	s_mov_b64 s[14:15], 0
	v_ldexp_f64 v[4:5], v[4:5], 32
	v_add_f64 v[4:5], v[4:5], v[6:7]
	global_store_dwordx2 v[2:3], v[4:5], off
.LBB78_988:
	s_andn2_b64 vcc, exec, s[14:15]
	s_cbranch_vccnz .LBB78_990
; %bb.989:
	s_waitcnt vmcnt(0)
	v_xor_b32_e32 v5, v0, v1
	v_ffbh_i32_e32 v4, v1
	v_ashrrev_i32_e32 v5, 31, v5
	v_add_u32_e32 v4, -1, v4
	v_add_u32_e32 v5, 32, v5
	v_min_u32_e32 v6, v4, v5
	v_lshlrev_b64 v[4:5], v6, v[0:1]
	v_min_u32_e32 v4, 1, v4
	v_or_b32_e32 v4, v5, v4
	v_cvt_f32_i32_e32 v4, v4
	v_sub_u32_e32 v5, 32, v6
	v_ldexp_f32 v4, v4, v5
	global_store_dword v[2:3], v4, off
.LBB78_990:
	s_mov_b64 s[14:15], 0
.LBB78_991:
	s_andn2_b64 vcc, exec, s[14:15]
	s_cbranch_vccnz .LBB78_993
; %bb.992:
	s_waitcnt vmcnt(0)
	v_xor_b32_e32 v5, v0, v1
	v_ffbh_i32_e32 v4, v1
	v_ashrrev_i32_e32 v5, 31, v5
	v_add_u32_e32 v4, -1, v4
	v_add_u32_e32 v5, 32, v5
	v_min_u32_e32 v6, v4, v5
	v_lshlrev_b64 v[4:5], v6, v[0:1]
	v_min_u32_e32 v4, 1, v4
	v_or_b32_e32 v4, v5, v4
	v_cvt_f32_i32_e32 v4, v4
	v_sub_u32_e32 v5, 32, v6
	v_ldexp_f32 v4, v4, v5
	v_cvt_f16_f32_e32 v4, v4
	global_store_short v[2:3], v4, off
.LBB78_993:
	s_mov_b64 s[14:15], 0
.LBB78_994:
	s_andn2_b64 vcc, exec, s[14:15]
	s_cbranch_vccnz .LBB78_1010
; %bb.995:
	s_sext_i32_i16 s16, s28
	s_cmp_lt_i32 s16, 2
	s_mov_b64 s[14:15], -1
	s_cbranch_scc1 .LBB78_1005
; %bb.996:
	s_cmp_lt_i32 s16, 3
	s_cbranch_scc1 .LBB78_1002
; %bb.997:
	s_cmp_gt_i32 s16, 3
	s_cbranch_scc0 .LBB78_999
; %bb.998:
	s_mov_b64 s[14:15], 0
	s_waitcnt vmcnt(0)
	global_store_dwordx2 v[2:3], v[0:1], off
.LBB78_999:
	s_andn2_b64 vcc, exec, s[14:15]
	s_cbranch_vccnz .LBB78_1001
; %bb.1000:
	s_waitcnt vmcnt(0)
	global_store_dword v[2:3], v0, off
.LBB78_1001:
	s_mov_b64 s[14:15], 0
.LBB78_1002:
	s_andn2_b64 vcc, exec, s[14:15]
	s_cbranch_vccnz .LBB78_1004
; %bb.1003:
	s_waitcnt vmcnt(0)
	global_store_short v[2:3], v0, off
.LBB78_1004:
	s_mov_b64 s[14:15], 0
.LBB78_1005:
	s_andn2_b64 vcc, exec, s[14:15]
	s_cbranch_vccnz .LBB78_1010
; %bb.1006:
	s_sext_i32_i16 s14, s28
	s_cmp_gt_i32 s14, 0
	s_mov_b64 s[14:15], -1
	s_cbranch_scc0 .LBB78_1008
; %bb.1007:
	s_mov_b64 s[14:15], 0
	s_waitcnt vmcnt(0)
	global_store_byte v[2:3], v0, off
.LBB78_1008:
	s_andn2_b64 vcc, exec, s[14:15]
	s_cbranch_vccnz .LBB78_1010
; %bb.1009:
	s_waitcnt vmcnt(0)
	global_store_byte v[2:3], v0, off
.LBB78_1010:
	s_or_b64 exec, exec, s[0:1]
	s_and_b64 s[14:15], s[18:19], exec
                                        ; implicit-def: $vgpr10
.LBB78_1011:
	s_or_saveexec_b64 s[6:7], s[6:7]
	s_mov_b64 s[0:1], 0
                                        ; implicit-def: $sgpr22
                                        ; implicit-def: $vgpr2_vgpr3
                                        ; implicit-def: $vgpr0_vgpr1
	s_xor_b64 exec, exec, s[6:7]
	s_cbranch_execz .LBB78_1942
; %bb.1012:
	s_waitcnt vmcnt(0)
	v_mul_lo_u32 v4, s13, v10
	v_mov_b32_e32 v0, s11
	s_and_b32 s22, 0xffff, s44
	s_cmp_lt_i32 s22, 11
	v_ashrrev_i32_e32 v1, 31, v4
	v_add_co_u32_e32 v2, vcc, s10, v4
	v_addc_co_u32_e32 v3, vcc, v0, v1, vcc
	s_cbranch_scc1 .LBB78_1019
; %bb.1013:
	s_cmp_gt_i32 s22, 25
	s_cbranch_scc0 .LBB78_1021
; %bb.1014:
	s_cmp_gt_i32 s22, 28
	s_cbranch_scc0 .LBB78_1022
	;; [unrolled: 3-line block ×4, first 2 shown]
; %bb.1017:
	s_cmp_eq_u32 s22, 46
	s_mov_b64 s[16:17], 0
	s_cbranch_scc0 .LBB78_1027
; %bb.1018:
	global_load_dword v0, v[2:3], off
	s_mov_b32 s0, 0x2f800000
	s_mov_b32 s1, 0xcf800000
	s_mov_b64 s[18:19], -1
	s_waitcnt vmcnt(0)
	v_lshlrev_b32_e32 v0, 16, v0
	v_trunc_f32_e32 v0, v0
	v_mul_f32_e64 v1, |v0|, s0
	v_floor_f32_e32 v1, v1
	v_fma_f32 v5, v1, s1, |v0|
	v_cvt_u32_f32_e32 v5, v5
	v_cvt_u32_f32_e32 v1, v1
	v_ashrrev_i32_e32 v6, 31, v0
	s_mov_b64 s[0:1], 0
	v_xor_b32_e32 v0, v5, v6
	v_xor_b32_e32 v1, v1, v6
	v_sub_co_u32_e32 v0, vcc, v0, v6
	v_subb_co_u32_e32 v1, vcc, v1, v6, vcc
	s_branch .LBB78_1028
.LBB78_1019:
	s_mov_b64 s[18:19], 0
                                        ; implicit-def: $vgpr0_vgpr1
	s_mov_b64 s[16:17], s[14:15]
	s_cbranch_execnz .LBB78_1086
.LBB78_1020:
	s_andn2_b64 vcc, exec, s[18:19]
	s_cbranch_vccz .LBB78_1131
	s_branch .LBB78_1940
.LBB78_1021:
	s_mov_b64 s[18:19], 0
                                        ; implicit-def: $vgpr0_vgpr1
	s_cbranch_execnz .LBB78_1055
	s_branch .LBB78_1082
.LBB78_1022:
	s_mov_b64 s[18:19], 0
                                        ; implicit-def: $vgpr0_vgpr1
	s_cbranch_execz .LBB78_1054
	s_branch .LBB78_1037
.LBB78_1023:
	s_mov_b64 s[18:19], 0
                                        ; implicit-def: $vgpr0_vgpr1
	s_cbranch_execnz .LBB78_1033
	s_branch .LBB78_1036
.LBB78_1024:
	s_mov_b64 s[16:17], -1
	s_mov_b64 s[18:19], 0
                                        ; implicit-def: $vgpr0_vgpr1
	s_branch .LBB78_1028
.LBB78_1025:
	s_andn2_saveexec_b64 s[24:25], s[24:25]
	s_cbranch_execz .LBB78_924
.LBB78_1026:
	s_mov_b32 s26, 0x46000000
	v_add_f32_e64 v5, |v4|, s26
	v_and_b32_e32 v5, 0xff, v5
	v_cmp_ne_u32_e32 vcc, 0, v5
	s_andn2_b64 s[22:23], s[22:23], exec
	s_and_b64 s[26:27], vcc, exec
	s_or_b64 s[22:23], s[22:23], s[26:27]
	s_or_b64 exec, exec, s[24:25]
	v_mov_b32_e32 v6, 0
	s_and_saveexec_b64 s[24:25], s[22:23]
	s_cbranch_execnz .LBB78_925
	s_branch .LBB78_926
.LBB78_1027:
	s_mov_b64 s[0:1], -1
                                        ; implicit-def: $vgpr0_vgpr1
	s_mov_b64 s[18:19], 0
.LBB78_1028:
	s_and_b64 vcc, exec, s[16:17]
	s_cbranch_vccz .LBB78_1031
; %bb.1029:
	s_cmp_eq_u32 s22, 44
	s_cbranch_scc0 .LBB78_1032
; %bb.1030:
	global_load_ubyte v0, v[2:3], off
	s_mov_b32 s0, 0x2f800000
	s_mov_b32 s1, 0xcf800000
	s_mov_b64 s[18:19], -1
	s_waitcnt vmcnt(0)
	v_lshlrev_b32_e32 v1, 23, v0
	v_trunc_f32_e32 v1, v1
	v_mul_f32_e64 v5, |v1|, s0
	v_floor_f32_e32 v5, v5
	v_fma_f32 v6, v5, s1, |v1|
	v_cvt_u32_f32_e32 v6, v6
	v_cvt_u32_f32_e32 v5, v5
	v_ashrrev_i32_e32 v1, 31, v1
	s_mov_b64 s[0:1], 0
	v_xor_b32_e32 v6, v6, v1
	v_xor_b32_e32 v5, v5, v1
	v_sub_co_u32_e32 v6, vcc, v6, v1
	v_subb_co_u32_e32 v1, vcc, v5, v1, vcc
	v_cmp_ne_u32_e32 vcc, 0, v0
	v_cndmask_b32_e32 v1, 0, v1, vcc
	v_cndmask_b32_e32 v0, 0, v6, vcc
.LBB78_1031:
	s_branch .LBB78_1036
.LBB78_1032:
	s_mov_b64 s[0:1], -1
                                        ; implicit-def: $vgpr0_vgpr1
	s_branch .LBB78_1036
.LBB78_1033:
	s_cmp_eq_u32 s22, 29
	s_cbranch_scc0 .LBB78_1035
; %bb.1034:
	global_load_dwordx2 v[0:1], v[2:3], off
	s_mov_b64 s[0:1], 0
	s_mov_b64 s[18:19], -1
	s_branch .LBB78_1036
.LBB78_1035:
	s_mov_b64 s[0:1], -1
                                        ; implicit-def: $vgpr0_vgpr1
.LBB78_1036:
	s_branch .LBB78_1054
.LBB78_1037:
	s_cmp_lt_i32 s22, 27
	s_cbranch_scc1 .LBB78_1040
; %bb.1038:
	s_cmp_gt_i32 s22, 27
	s_cbranch_scc0 .LBB78_1041
; %bb.1039:
	global_load_dword v0, v[2:3], off
	s_waitcnt vmcnt(1)
	v_mov_b32_e32 v1, 0
	s_mov_b64 s[16:17], 0
	s_branch .LBB78_1042
.LBB78_1040:
	s_mov_b64 s[16:17], -1
                                        ; implicit-def: $vgpr0_vgpr1
	s_branch .LBB78_1045
.LBB78_1041:
	s_mov_b64 s[16:17], -1
                                        ; implicit-def: $vgpr0_vgpr1
.LBB78_1042:
	s_andn2_b64 vcc, exec, s[16:17]
	s_cbranch_vccnz .LBB78_1044
; %bb.1043:
	global_load_ushort v0, v[2:3], off
	s_mov_b32 s16, 0
	s_waitcnt vmcnt(1)
	v_mov_b32_e32 v1, s16
	s_waitcnt vmcnt(0)
	v_and_b32_e32 v0, 0xffff, v0
.LBB78_1044:
	s_mov_b64 s[16:17], 0
.LBB78_1045:
	s_andn2_b64 vcc, exec, s[16:17]
	s_cbranch_vccnz .LBB78_1053
; %bb.1046:
	global_load_ubyte v5, v[2:3], off
	s_movk_i32 s16, 0x7f
	s_mov_b64 s[18:19], 0
	s_waitcnt vmcnt(0)
	v_cmp_lt_i16_e32 vcc, s16, v5
	s_and_saveexec_b64 s[16:17], vcc
	s_xor_b64 s[16:17], exec, s[16:17]
; %bb.1047:
	s_movk_i32 s18, 0x80
	v_cmp_ne_u16_e32 vcc, s18, v5
	s_and_b64 s[18:19], vcc, exec
; %bb.1048:
	s_andn2_saveexec_b64 s[16:17], s[16:17]
; %bb.1049:
	v_cmp_ne_u16_e32 vcc, 0, v5
	s_andn2_b64 s[18:19], s[18:19], exec
	s_and_b64 s[20:21], vcc, exec
	s_or_b64 s[18:19], s[18:19], s[20:21]
; %bb.1050:
	s_or_b64 exec, exec, s[16:17]
	v_mov_b32_e32 v0, 0
	v_mov_b32_e32 v1, 0
	s_and_saveexec_b64 s[16:17], s[18:19]
	s_cbranch_execz .LBB78_1052
; %bb.1051:
	v_and_b32_e32 v1, 0xffff, v5
	v_lshlrev_b32_e32 v0, 24, v5
	v_and_b32_e32 v5, 7, v1
	v_ffbh_u32_e32 v7, v5
	v_min_u32_e32 v7, 32, v7
	v_subrev_u32_e32 v8, 28, v7
	v_bfe_u32 v6, v1, 3, 4
	v_lshlrev_b32_e32 v1, v8, v1
	v_sub_u32_e32 v7, 29, v7
	v_and_b32_e32 v1, 7, v1
	v_cmp_eq_u32_e32 vcc, 0, v6
	v_cndmask_b32_e32 v6, v6, v7, vcc
	v_cndmask_b32_e32 v1, v5, v1, vcc
	v_mov_b32_e32 v5, 0x3b800000
	v_lshlrev_b32_e32 v1, 20, v1
	v_and_b32_e32 v0, 0x80000000, v0
	v_lshl_add_u32 v5, v6, 23, v5
	v_or3_b32 v0, v0, v5, v1
	v_trunc_f32_e32 v0, v0
	s_mov_b32 s18, 0x2f800000
	v_mul_f32_e64 v1, |v0|, s18
	v_floor_f32_e32 v1, v1
	s_mov_b32 s18, 0xcf800000
	v_fma_f32 v5, v1, s18, |v0|
	v_cvt_u32_f32_e32 v5, v5
	v_cvt_u32_f32_e32 v1, v1
	v_ashrrev_i32_e32 v6, 31, v0
	v_xor_b32_e32 v0, v5, v6
	v_xor_b32_e32 v1, v1, v6
	v_sub_co_u32_e32 v0, vcc, v0, v6
	v_subb_co_u32_e32 v1, vcc, v1, v6, vcc
.LBB78_1052:
	s_or_b64 exec, exec, s[16:17]
.LBB78_1053:
	s_mov_b64 s[18:19], -1
.LBB78_1054:
	s_branch .LBB78_1082
.LBB78_1055:
	s_cmp_gt_i32 s22, 22
	s_cbranch_scc0 .LBB78_1065
; %bb.1056:
	s_cmp_lt_i32 s22, 24
	s_cbranch_scc1 .LBB78_1066
; %bb.1057:
	s_cmp_gt_i32 s22, 24
	s_cbranch_scc0 .LBB78_1067
; %bb.1058:
	global_load_ubyte v5, v[2:3], off
	s_movk_i32 s4, 0x7f
	s_mov_b64 s[16:17], 0
	s_waitcnt vmcnt(0)
	v_cmp_lt_i16_e32 vcc, s4, v5
	s_and_saveexec_b64 s[4:5], vcc
	s_xor_b64 s[4:5], exec, s[4:5]
; %bb.1059:
	s_movk_i32 s16, 0x80
	v_cmp_ne_u16_e32 vcc, s16, v5
	s_and_b64 s[16:17], vcc, exec
; %bb.1060:
	s_andn2_saveexec_b64 s[4:5], s[4:5]
; %bb.1061:
	v_cmp_ne_u16_e32 vcc, 0, v5
	s_andn2_b64 s[16:17], s[16:17], exec
	s_and_b64 s[18:19], vcc, exec
	s_or_b64 s[16:17], s[16:17], s[18:19]
; %bb.1062:
	s_or_b64 exec, exec, s[4:5]
	v_mov_b32_e32 v0, 0
	v_mov_b32_e32 v1, 0
	s_and_saveexec_b64 s[4:5], s[16:17]
	s_cbranch_execz .LBB78_1064
; %bb.1063:
	v_and_b32_e32 v1, 0xffff, v5
	v_lshlrev_b32_e32 v0, 24, v5
	v_and_b32_e32 v5, 3, v1
	v_ffbh_u32_e32 v7, v5
	v_min_u32_e32 v7, 32, v7
	v_subrev_u32_e32 v8, 29, v7
	v_bfe_u32 v6, v1, 2, 5
	v_lshlrev_b32_e32 v1, v8, v1
	v_sub_u32_e32 v7, 30, v7
	v_and_b32_e32 v1, 3, v1
	v_cmp_eq_u32_e32 vcc, 0, v6
	v_cndmask_b32_e32 v6, v6, v7, vcc
	v_cndmask_b32_e32 v1, v5, v1, vcc
	v_mov_b32_e32 v5, 0x37800000
	v_lshlrev_b32_e32 v1, 21, v1
	v_and_b32_e32 v0, 0x80000000, v0
	v_lshl_add_u32 v5, v6, 23, v5
	v_or3_b32 v0, v0, v5, v1
	v_trunc_f32_e32 v0, v0
	s_mov_b32 s16, 0x2f800000
	v_mul_f32_e64 v1, |v0|, s16
	v_floor_f32_e32 v1, v1
	s_mov_b32 s16, 0xcf800000
	v_fma_f32 v5, v1, s16, |v0|
	v_cvt_u32_f32_e32 v5, v5
	v_cvt_u32_f32_e32 v1, v1
	v_ashrrev_i32_e32 v6, 31, v0
	v_xor_b32_e32 v0, v5, v6
	v_xor_b32_e32 v1, v1, v6
	v_sub_co_u32_e32 v0, vcc, v0, v6
	v_subb_co_u32_e32 v1, vcc, v1, v6, vcc
.LBB78_1064:
	s_or_b64 exec, exec, s[4:5]
	s_mov_b64 s[4:5], 0
	s_branch .LBB78_1068
.LBB78_1065:
                                        ; implicit-def: $vgpr0_vgpr1
	s_mov_b64 s[4:5], 0
	s_branch .LBB78_1074
.LBB78_1066:
	s_mov_b64 s[4:5], -1
                                        ; implicit-def: $vgpr0_vgpr1
	s_branch .LBB78_1071
.LBB78_1067:
	s_mov_b64 s[4:5], -1
                                        ; implicit-def: $vgpr0_vgpr1
.LBB78_1068:
	s_and_b64 vcc, exec, s[4:5]
	s_cbranch_vccz .LBB78_1070
; %bb.1069:
	global_load_ubyte v0, v[2:3], off
	s_mov_b32 s4, 0x7f800000
	s_brev_b32 s5, 1
	s_mov_b32 s16, 0x2f800000
	s_mov_b32 s17, 0xcf800000
	s_waitcnt vmcnt(0)
	v_lshlrev_b32_e32 v0, 24, v0
	v_and_b32_e32 v1, 0x7f000000, v0
	v_ffbh_u32_e32 v5, v1
	v_min_u32_e32 v5, 32, v5
	v_sub_u32_e64 v5, v5, 4 clamp
	v_lshlrev_b32_e32 v7, v5, v1
	v_lshlrev_b32_e32 v5, 23, v5
	v_lshrrev_b32_e32 v7, 4, v7
	v_add_u32_e32 v6, 0x1000000, v1
	v_sub_u32_e32 v5, v7, v5
	v_ashrrev_i32_e32 v6, 8, v6
	v_add_u32_e32 v5, 0x3c000000, v5
	v_and_or_b32 v5, v6, s4, v5
	v_cmp_ne_u32_e32 vcc, 0, v1
	v_cndmask_b32_e32 v1, 0, v5, vcc
	v_and_or_b32 v0, v0, s5, v1
	v_trunc_f32_e32 v0, v0
	v_mul_f32_e64 v1, |v0|, s16
	v_floor_f32_e32 v1, v1
	v_fma_f32 v5, v1, s17, |v0|
	v_cvt_u32_f32_e32 v5, v5
	v_cvt_u32_f32_e32 v1, v1
	v_ashrrev_i32_e32 v6, 31, v0
	v_xor_b32_e32 v0, v5, v6
	v_xor_b32_e32 v1, v1, v6
	v_sub_co_u32_e32 v0, vcc, v0, v6
	v_subb_co_u32_e32 v1, vcc, v1, v6, vcc
.LBB78_1070:
	s_mov_b64 s[4:5], 0
.LBB78_1071:
	s_andn2_b64 vcc, exec, s[4:5]
	s_cbranch_vccnz .LBB78_1073
; %bb.1072:
	global_load_ubyte v0, v[2:3], off
	s_movk_i32 s4, 0x7f00
	s_brev_b32 s5, 16
	s_brev_b32 s16, 1
	s_mov_b32 s17, 0x2f800000
	s_mov_b32 s18, 0xcf800000
	s_waitcnt vmcnt(0)
	v_lshlrev_b16_e32 v1, 8, v0
	v_lshlrev_b32_e32 v0, 25, v0
	v_lshrrev_b32_e32 v5, 4, v0
	v_and_or_b32 v6, v1, s4, 0.5
	v_or_b32_e32 v5, 0x70000000, v5
	v_add_f32_e32 v6, -0.5, v6
	v_mul_f32_e32 v5, 0x7800000, v5
	v_cmp_gt_u32_e32 vcc, s5, v0
	v_bfe_i32 v1, v1, 0, 16
	v_cndmask_b32_e32 v0, v5, v6, vcc
	v_and_or_b32 v0, v1, s16, v0
	v_trunc_f32_e32 v0, v0
	v_mul_f32_e64 v1, |v0|, s17
	v_floor_f32_e32 v1, v1
	v_fma_f32 v5, v1, s18, |v0|
	v_cvt_u32_f32_e32 v5, v5
	v_cvt_u32_f32_e32 v1, v1
	v_ashrrev_i32_e32 v6, 31, v0
	v_xor_b32_e32 v0, v5, v6
	v_xor_b32_e32 v1, v1, v6
	v_sub_co_u32_e32 v0, vcc, v0, v6
	v_subb_co_u32_e32 v1, vcc, v1, v6, vcc
.LBB78_1073:
	s_mov_b64 s[18:19], -1
	s_mov_b64 s[4:5], 0
	s_cbranch_execnz .LBB78_1082
.LBB78_1074:
	s_cmp_gt_i32 s22, 14
	s_cbranch_scc0 .LBB78_1077
; %bb.1075:
	s_cmp_eq_u32 s22, 15
	s_cbranch_scc0 .LBB78_1078
; %bb.1076:
	global_load_ushort v0, v[2:3], off
	s_mov_b32 s0, 0x2f800000
	s_mov_b32 s1, 0xcf800000
	s_mov_b64 s[18:19], -1
	s_waitcnt vmcnt(0)
	v_lshlrev_b32_e32 v0, 16, v0
	v_trunc_f32_e32 v0, v0
	v_mul_f32_e64 v1, |v0|, s0
	v_floor_f32_e32 v1, v1
	v_fma_f32 v5, v1, s1, |v0|
	v_cvt_u32_f32_e32 v5, v5
	v_cvt_u32_f32_e32 v1, v1
	v_ashrrev_i32_e32 v6, 31, v0
	s_mov_b64 s[0:1], 0
	v_xor_b32_e32 v0, v5, v6
	v_xor_b32_e32 v1, v1, v6
	v_sub_co_u32_e32 v0, vcc, v0, v6
	v_subb_co_u32_e32 v1, vcc, v1, v6, vcc
	s_branch .LBB78_1079
.LBB78_1077:
	s_mov_b64 s[16:17], -1
                                        ; implicit-def: $vgpr0_vgpr1
	s_branch .LBB78_1080
.LBB78_1078:
	s_mov_b64 s[0:1], -1
                                        ; implicit-def: $vgpr0_vgpr1
.LBB78_1079:
	s_mov_b64 s[16:17], 0
.LBB78_1080:
	s_and_b64 vcc, exec, s[16:17]
	s_cbranch_vccz .LBB78_1082
; %bb.1081:
	s_cmp_lg_u32 s22, 11
	s_mov_b64 s[4:5], -1
	s_cselect_b64 s[0:1], -1, 0
.LBB78_1082:
	s_and_b64 vcc, exec, s[0:1]
	s_mov_b64 s[16:17], s[14:15]
	s_cbranch_vccnz .LBB78_1143
; %bb.1083:
	s_andn2_b64 vcc, exec, s[4:5]
	s_cbranch_vccnz .LBB78_1085
.LBB78_1084:
	global_load_ubyte v0, v[2:3], off
	s_mov_b32 s0, 0
	s_waitcnt vmcnt(1)
	v_mov_b32_e32 v1, s0
	s_mov_b64 s[18:19], -1
	s_waitcnt vmcnt(0)
	v_cmp_ne_u16_e32 vcc, 0, v0
	v_cndmask_b32_e64 v0, 0, 1, vcc
.LBB78_1085:
	s_branch .LBB78_1020
.LBB78_1086:
	s_cmp_lt_i32 s22, 5
	s_cbranch_scc1 .LBB78_1091
; %bb.1087:
	s_cmp_lt_i32 s22, 8
	s_cbranch_scc1 .LBB78_1092
; %bb.1088:
	s_cmp_lt_i32 s22, 9
	s_cbranch_scc1 .LBB78_1093
; %bb.1089:
	s_cmp_gt_i32 s22, 9
	s_cbranch_scc0 .LBB78_1094
; %bb.1090:
	global_load_dwordx2 v[0:1], v[2:3], off
	s_movk_i32 s0, 0xffe0
	s_waitcnt vmcnt(0)
	v_trunc_f64_e32 v[0:1], v[0:1]
	v_ldexp_f64 v[5:6], v[0:1], s0
	s_mov_b32 s0, 0
	s_mov_b32 s1, 0xc1f00000
	v_floor_f64_e32 v[5:6], v[5:6]
	v_fma_f64 v[7:8], v[5:6], s[0:1], v[0:1]
	v_cvt_i32_f64_e32 v1, v[5:6]
	s_mov_b64 s[0:1], 0
	v_cvt_u32_f64_e32 v0, v[7:8]
	s_branch .LBB78_1095
.LBB78_1091:
                                        ; implicit-def: $vgpr0_vgpr1
	s_branch .LBB78_1112
.LBB78_1092:
                                        ; implicit-def: $vgpr0_vgpr1
	s_branch .LBB78_1101
.LBB78_1093:
	s_mov_b64 s[0:1], -1
                                        ; implicit-def: $vgpr0_vgpr1
	s_branch .LBB78_1098
.LBB78_1094:
	s_mov_b64 s[0:1], -1
                                        ; implicit-def: $vgpr0_vgpr1
.LBB78_1095:
	s_andn2_b64 vcc, exec, s[0:1]
	s_cbranch_vccnz .LBB78_1097
; %bb.1096:
	global_load_dword v0, v[2:3], off
	s_mov_b32 s0, 0x2f800000
	s_mov_b32 s1, 0xcf800000
	s_waitcnt vmcnt(0)
	v_trunc_f32_e32 v0, v0
	v_mul_f32_e64 v1, |v0|, s0
	v_floor_f32_e32 v1, v1
	v_cvt_u32_f32_e32 v5, v1
	v_fma_f32 v1, v1, s1, |v0|
	v_cvt_u32_f32_e32 v1, v1
	v_ashrrev_i32_e32 v6, 31, v0
	v_xor_b32_e32 v5, v5, v6
	v_xor_b32_e32 v0, v1, v6
	v_sub_co_u32_e32 v0, vcc, v0, v6
	v_subb_co_u32_e32 v1, vcc, v5, v6, vcc
.LBB78_1097:
	s_mov_b64 s[0:1], 0
.LBB78_1098:
	s_andn2_b64 vcc, exec, s[0:1]
	s_cbranch_vccnz .LBB78_1100
; %bb.1099:
	global_load_dword v0, v[2:3], off
	s_waitcnt vmcnt(0)
	v_cvt_f32_f16_e32 v0, v0
	v_cvt_i32_f32_e32 v0, v0
	v_ashrrev_i32_e32 v1, 31, v0
.LBB78_1100:
	s_cbranch_execnz .LBB78_1111
.LBB78_1101:
	s_cmp_lt_i32 s22, 6
	s_cbranch_scc1 .LBB78_1104
; %bb.1102:
	s_cmp_gt_i32 s22, 6
	s_cbranch_scc0 .LBB78_1105
; %bb.1103:
	global_load_dwordx2 v[0:1], v[2:3], off
	s_movk_i32 s0, 0xffe0
	s_waitcnt vmcnt(0)
	v_trunc_f64_e32 v[0:1], v[0:1]
	v_ldexp_f64 v[5:6], v[0:1], s0
	s_mov_b32 s0, 0
	s_mov_b32 s1, 0xc1f00000
	v_floor_f64_e32 v[5:6], v[5:6]
	v_fma_f64 v[7:8], v[5:6], s[0:1], v[0:1]
	v_cvt_i32_f64_e32 v1, v[5:6]
	s_mov_b64 s[0:1], 0
	v_cvt_u32_f64_e32 v0, v[7:8]
	s_branch .LBB78_1106
.LBB78_1104:
	s_mov_b64 s[0:1], -1
                                        ; implicit-def: $vgpr0_vgpr1
	s_branch .LBB78_1109
.LBB78_1105:
	s_mov_b64 s[0:1], -1
                                        ; implicit-def: $vgpr0_vgpr1
.LBB78_1106:
	s_andn2_b64 vcc, exec, s[0:1]
	s_cbranch_vccnz .LBB78_1108
; %bb.1107:
	global_load_dword v0, v[2:3], off
	s_mov_b32 s0, 0x2f800000
	s_mov_b32 s1, 0xcf800000
	s_waitcnt vmcnt(0)
	v_trunc_f32_e32 v0, v0
	v_mul_f32_e64 v1, |v0|, s0
	v_floor_f32_e32 v1, v1
	v_cvt_u32_f32_e32 v5, v1
	v_fma_f32 v1, v1, s1, |v0|
	v_cvt_u32_f32_e32 v1, v1
	v_ashrrev_i32_e32 v6, 31, v0
	v_xor_b32_e32 v5, v5, v6
	v_xor_b32_e32 v0, v1, v6
	v_sub_co_u32_e32 v0, vcc, v0, v6
	v_subb_co_u32_e32 v1, vcc, v5, v6, vcc
.LBB78_1108:
	s_mov_b64 s[0:1], 0
.LBB78_1109:
	s_andn2_b64 vcc, exec, s[0:1]
	s_cbranch_vccnz .LBB78_1111
; %bb.1110:
	global_load_ushort v0, v[2:3], off
	s_waitcnt vmcnt(0)
	v_cvt_f32_f16_e32 v0, v0
	v_cvt_i32_f32_e32 v0, v0
	v_ashrrev_i32_e32 v1, 31, v0
.LBB78_1111:
	s_cbranch_execnz .LBB78_1130
.LBB78_1112:
	s_cmp_lt_i32 s22, 2
	s_cbranch_scc1 .LBB78_1116
; %bb.1113:
	s_cmp_lt_i32 s22, 3
	s_cbranch_scc1 .LBB78_1117
; %bb.1114:
	s_cmp_gt_i32 s22, 3
	s_cbranch_scc0 .LBB78_1118
; %bb.1115:
	global_load_dwordx2 v[0:1], v[2:3], off
	s_mov_b64 s[0:1], 0
	s_branch .LBB78_1119
.LBB78_1116:
                                        ; implicit-def: $vgpr0_vgpr1
	s_branch .LBB78_1125
.LBB78_1117:
	s_mov_b64 s[0:1], -1
                                        ; implicit-def: $vgpr0_vgpr1
	s_branch .LBB78_1122
.LBB78_1118:
	s_mov_b64 s[0:1], -1
                                        ; implicit-def: $vgpr0_vgpr1
.LBB78_1119:
	s_andn2_b64 vcc, exec, s[0:1]
	s_cbranch_vccnz .LBB78_1121
; %bb.1120:
	global_load_dword v0, v[2:3], off
	s_waitcnt vmcnt(0)
	v_ashrrev_i32_e32 v1, 31, v0
.LBB78_1121:
	s_mov_b64 s[0:1], 0
.LBB78_1122:
	s_andn2_b64 vcc, exec, s[0:1]
	s_cbranch_vccnz .LBB78_1124
; %bb.1123:
	global_load_ushort v0, v[2:3], off
	s_waitcnt vmcnt(0)
	v_bfe_i32 v0, v0, 0, 16
	v_ashrrev_i32_e32 v1, 31, v0
.LBB78_1124:
	s_cbranch_execnz .LBB78_1130
.LBB78_1125:
	s_cmp_gt_i32 s22, 0
	s_cbranch_scc0 .LBB78_1127
; %bb.1126:
	global_load_sbyte v0, v[2:3], off
	s_mov_b64 s[0:1], 0
	s_waitcnt vmcnt(0)
	v_bfe_i32 v0, v0, 0, 16
	v_ashrrev_i32_e32 v1, 31, v0
	s_branch .LBB78_1128
.LBB78_1127:
	s_mov_b64 s[0:1], -1
                                        ; implicit-def: $vgpr0_vgpr1
.LBB78_1128:
	s_andn2_b64 vcc, exec, s[0:1]
	s_cbranch_vccnz .LBB78_1130
; %bb.1129:
	global_load_ubyte v0, v[2:3], off
	s_mov_b32 s0, 0
	s_waitcnt vmcnt(1)
	v_mov_b32_e32 v1, s0
	s_waitcnt vmcnt(0)
	v_and_b32_e32 v0, 0xffff, v0
.LBB78_1130:
.LBB78_1131:
	s_lshl_b32 s13, s13, 7
	v_add_u32_e32 v6, s13, v4
	v_ashrrev_i32_e32 v2, 31, v6
	v_mov_b32_e32 v3, s11
	v_add_co_u32_e32 v4, vcc, s10, v6
	s_cmp_lt_i32 s22, 11
	v_addc_co_u32_e32 v5, vcc, v3, v2, vcc
	s_cbranch_scc1 .LBB78_1138
; %bb.1132:
	s_cmp_gt_i32 s22, 25
	s_mov_b64 s[4:5], 0
	s_cbranch_scc0 .LBB78_1140
; %bb.1133:
	s_cmp_gt_i32 s22, 28
	s_cbranch_scc0 .LBB78_1141
; %bb.1134:
	s_cmp_gt_i32 s22, 43
	;; [unrolled: 3-line block ×3, first 2 shown]
	s_cbranch_scc0 .LBB78_1144
; %bb.1136:
	s_cmp_eq_u32 s22, 46
	s_mov_b64 s[20:21], 0
	s_cbranch_scc0 .LBB78_1147
; %bb.1137:
	global_load_dword v2, v[4:5], off
	s_mov_b32 s0, 0x2f800000
	s_mov_b32 s1, 0xcf800000
	s_mov_b64 s[18:19], -1
	s_waitcnt vmcnt(0)
	v_lshlrev_b32_e32 v2, 16, v2
	v_trunc_f32_e32 v2, v2
	v_mul_f32_e64 v3, |v2|, s0
	v_floor_f32_e32 v3, v3
	v_fma_f32 v7, v3, s1, |v2|
	v_cvt_u32_f32_e32 v7, v7
	v_cvt_u32_f32_e32 v3, v3
	v_ashrrev_i32_e32 v8, 31, v2
	s_mov_b64 s[0:1], 0
	v_xor_b32_e32 v2, v7, v8
	v_xor_b32_e32 v3, v3, v8
	v_sub_co_u32_e32 v2, vcc, v2, v8
	v_subb_co_u32_e32 v3, vcc, v3, v8, vcc
	s_branch .LBB78_1148
.LBB78_1138:
	s_mov_b64 s[18:19], 0
                                        ; implicit-def: $vgpr2_vgpr3
	s_cbranch_execnz .LBB78_1209
.LBB78_1139:
	s_andn2_b64 vcc, exec, s[18:19]
	s_cbranch_vccnz .LBB78_1940
	s_branch .LBB78_1256
.LBB78_1140:
	s_mov_b64 s[18:19], 0
	s_mov_b64 s[0:1], 0
                                        ; implicit-def: $vgpr2_vgpr3
	s_cbranch_execnz .LBB78_1177
	s_branch .LBB78_1205
.LBB78_1141:
	s_mov_b64 s[20:21], -1
	s_mov_b64 s[18:19], 0
	s_mov_b64 s[0:1], 0
                                        ; implicit-def: $vgpr2_vgpr3
	s_branch .LBB78_1158
.LBB78_1142:
	s_mov_b64 s[20:21], -1
	s_mov_b64 s[18:19], 0
	s_mov_b64 s[0:1], 0
                                        ; implicit-def: $vgpr2_vgpr3
	s_branch .LBB78_1153
.LBB78_1143:
	s_or_b64 s[16:17], s[14:15], exec
	s_trap 2
	s_cbranch_execz .LBB78_1084
	s_branch .LBB78_1085
.LBB78_1144:
	s_mov_b64 s[20:21], -1
	s_mov_b64 s[18:19], 0
	s_mov_b64 s[0:1], 0
                                        ; implicit-def: $vgpr2_vgpr3
	s_branch .LBB78_1148
.LBB78_1145:
	s_andn2_saveexec_b64 s[26:27], s[26:27]
	s_cbranch_execz .LBB78_936
.LBB78_1146:
	s_mov_b32 s30, 0x42800000
	v_add_f32_e64 v5, |v4|, s30
	v_and_b32_e32 v5, 0xff, v5
	v_cmp_ne_u32_e32 vcc, 0, v5
	s_andn2_b64 s[24:25], s[24:25], exec
	s_and_b64 s[30:31], vcc, exec
	s_or_b64 s[24:25], s[24:25], s[30:31]
	s_or_b64 exec, exec, s[26:27]
	v_mov_b32_e32 v6, 0
	s_and_saveexec_b64 s[26:27], s[24:25]
	s_cbranch_execnz .LBB78_937
	s_branch .LBB78_938
.LBB78_1147:
	s_mov_b64 s[0:1], -1
                                        ; implicit-def: $vgpr2_vgpr3
	s_mov_b64 s[18:19], 0
.LBB78_1148:
	s_and_b64 vcc, exec, s[20:21]
	s_cbranch_vccz .LBB78_1152
; %bb.1149:
	s_cmp_eq_u32 s22, 44
	s_cbranch_scc0 .LBB78_1151
; %bb.1150:
	global_load_ubyte v2, v[4:5], off
	s_mov_b32 s0, 0x2f800000
	s_mov_b32 s1, 0xcf800000
	s_mov_b64 s[18:19], -1
	s_waitcnt vmcnt(0)
	v_lshlrev_b32_e32 v3, 23, v2
	v_trunc_f32_e32 v3, v3
	v_mul_f32_e64 v7, |v3|, s0
	v_floor_f32_e32 v7, v7
	v_fma_f32 v8, v7, s1, |v3|
	v_cvt_u32_f32_e32 v8, v8
	v_cvt_u32_f32_e32 v7, v7
	v_ashrrev_i32_e32 v3, 31, v3
	s_mov_b64 s[0:1], 0
	v_xor_b32_e32 v8, v8, v3
	v_xor_b32_e32 v7, v7, v3
	v_sub_co_u32_e32 v8, vcc, v8, v3
	v_subb_co_u32_e32 v3, vcc, v7, v3, vcc
	v_cmp_ne_u32_e32 vcc, 0, v2
	v_cndmask_b32_e32 v3, 0, v3, vcc
	v_cndmask_b32_e32 v2, 0, v8, vcc
	s_branch .LBB78_1152
.LBB78_1151:
	s_mov_b64 s[0:1], -1
                                        ; implicit-def: $vgpr2_vgpr3
.LBB78_1152:
	s_mov_b64 s[20:21], 0
.LBB78_1153:
	s_and_b64 vcc, exec, s[20:21]
	s_cbranch_vccz .LBB78_1157
; %bb.1154:
	s_cmp_eq_u32 s22, 29
	s_cbranch_scc0 .LBB78_1156
; %bb.1155:
	global_load_dwordx2 v[2:3], v[4:5], off
	s_mov_b64 s[0:1], 0
	s_mov_b64 s[18:19], -1
	s_branch .LBB78_1157
.LBB78_1156:
	s_mov_b64 s[0:1], -1
                                        ; implicit-def: $vgpr2_vgpr3
.LBB78_1157:
	s_mov_b64 s[20:21], 0
.LBB78_1158:
	s_and_b64 vcc, exec, s[20:21]
	s_cbranch_vccz .LBB78_1176
; %bb.1159:
	s_cmp_lt_i32 s22, 27
	s_cbranch_scc1 .LBB78_1162
; %bb.1160:
	s_cmp_gt_i32 s22, 27
	s_cbranch_scc0 .LBB78_1163
; %bb.1161:
	global_load_dword v2, v[4:5], off
	s_waitcnt vmcnt(1)
	v_mov_b32_e32 v3, 0
	s_mov_b64 s[18:19], 0
	s_branch .LBB78_1164
.LBB78_1162:
	s_mov_b64 s[18:19], -1
                                        ; implicit-def: $vgpr2_vgpr3
	s_branch .LBB78_1167
.LBB78_1163:
	s_mov_b64 s[18:19], -1
                                        ; implicit-def: $vgpr2_vgpr3
.LBB78_1164:
	s_andn2_b64 vcc, exec, s[18:19]
	s_cbranch_vccnz .LBB78_1166
; %bb.1165:
	global_load_ushort v2, v[4:5], off
	s_mov_b32 s18, 0
	s_waitcnt vmcnt(1)
	v_mov_b32_e32 v3, s18
	s_waitcnt vmcnt(0)
	v_and_b32_e32 v2, 0xffff, v2
.LBB78_1166:
	s_mov_b64 s[18:19], 0
.LBB78_1167:
	s_andn2_b64 vcc, exec, s[18:19]
	s_cbranch_vccnz .LBB78_1175
; %bb.1168:
	global_load_ubyte v7, v[4:5], off
	s_movk_i32 s18, 0x7f
	s_mov_b64 s[20:21], 0
	s_waitcnt vmcnt(0)
	v_cmp_lt_i16_e32 vcc, s18, v7
	s_and_saveexec_b64 s[18:19], vcc
	s_xor_b64 s[18:19], exec, s[18:19]
; %bb.1169:
	s_movk_i32 s20, 0x80
	v_cmp_ne_u16_e32 vcc, s20, v7
	s_and_b64 s[20:21], vcc, exec
; %bb.1170:
	s_andn2_saveexec_b64 s[18:19], s[18:19]
; %bb.1171:
	v_cmp_ne_u16_e32 vcc, 0, v7
	s_andn2_b64 s[20:21], s[20:21], exec
	s_and_b64 s[24:25], vcc, exec
	s_or_b64 s[20:21], s[20:21], s[24:25]
; %bb.1172:
	s_or_b64 exec, exec, s[18:19]
	v_mov_b32_e32 v2, 0
	v_mov_b32_e32 v3, 0
	s_and_saveexec_b64 s[18:19], s[20:21]
	s_cbranch_execz .LBB78_1174
; %bb.1173:
	v_and_b32_e32 v3, 0xffff, v7
	v_lshlrev_b32_e32 v2, 24, v7
	v_and_b32_e32 v7, 7, v3
	v_ffbh_u32_e32 v9, v7
	v_min_u32_e32 v9, 32, v9
	v_subrev_u32_e32 v11, 28, v9
	v_bfe_u32 v8, v3, 3, 4
	v_lshlrev_b32_e32 v3, v11, v3
	v_sub_u32_e32 v9, 29, v9
	v_and_b32_e32 v3, 7, v3
	v_cmp_eq_u32_e32 vcc, 0, v8
	v_cndmask_b32_e32 v8, v8, v9, vcc
	v_cndmask_b32_e32 v3, v7, v3, vcc
	v_mov_b32_e32 v7, 0x3b800000
	v_lshlrev_b32_e32 v3, 20, v3
	v_and_b32_e32 v2, 0x80000000, v2
	v_lshl_add_u32 v7, v8, 23, v7
	v_or3_b32 v2, v2, v7, v3
	v_trunc_f32_e32 v2, v2
	s_mov_b32 s20, 0x2f800000
	v_mul_f32_e64 v3, |v2|, s20
	v_floor_f32_e32 v3, v3
	s_mov_b32 s20, 0xcf800000
	v_fma_f32 v7, v3, s20, |v2|
	v_cvt_u32_f32_e32 v7, v7
	v_cvt_u32_f32_e32 v3, v3
	v_ashrrev_i32_e32 v8, 31, v2
	v_xor_b32_e32 v2, v7, v8
	v_xor_b32_e32 v3, v3, v8
	v_sub_co_u32_e32 v2, vcc, v2, v8
	v_subb_co_u32_e32 v3, vcc, v3, v8, vcc
.LBB78_1174:
	s_or_b64 exec, exec, s[18:19]
.LBB78_1175:
	s_mov_b64 s[18:19], -1
.LBB78_1176:
	s_branch .LBB78_1205
.LBB78_1177:
	s_cmp_gt_i32 s22, 22
	s_cbranch_scc0 .LBB78_1187
; %bb.1178:
	s_cmp_lt_i32 s22, 24
	s_cbranch_scc1 .LBB78_1188
; %bb.1179:
	s_cmp_gt_i32 s22, 24
	s_cbranch_scc0 .LBB78_1189
; %bb.1180:
	global_load_ubyte v7, v[4:5], off
	s_movk_i32 s4, 0x7f
	s_mov_b64 s[18:19], 0
	s_waitcnt vmcnt(0)
	v_cmp_lt_i16_e32 vcc, s4, v7
	s_and_saveexec_b64 s[4:5], vcc
	s_xor_b64 s[4:5], exec, s[4:5]
; %bb.1181:
	s_movk_i32 s18, 0x80
	v_cmp_ne_u16_e32 vcc, s18, v7
	s_and_b64 s[18:19], vcc, exec
; %bb.1182:
	s_andn2_saveexec_b64 s[4:5], s[4:5]
; %bb.1183:
	v_cmp_ne_u16_e32 vcc, 0, v7
	s_andn2_b64 s[18:19], s[18:19], exec
	s_and_b64 s[20:21], vcc, exec
	s_or_b64 s[18:19], s[18:19], s[20:21]
; %bb.1184:
	s_or_b64 exec, exec, s[4:5]
	v_mov_b32_e32 v2, 0
	v_mov_b32_e32 v3, 0
	s_and_saveexec_b64 s[4:5], s[18:19]
	s_cbranch_execz .LBB78_1186
; %bb.1185:
	v_and_b32_e32 v3, 0xffff, v7
	v_lshlrev_b32_e32 v2, 24, v7
	v_and_b32_e32 v7, 3, v3
	v_ffbh_u32_e32 v9, v7
	v_min_u32_e32 v9, 32, v9
	v_subrev_u32_e32 v11, 29, v9
	v_bfe_u32 v8, v3, 2, 5
	v_lshlrev_b32_e32 v3, v11, v3
	v_sub_u32_e32 v9, 30, v9
	v_and_b32_e32 v3, 3, v3
	v_cmp_eq_u32_e32 vcc, 0, v8
	v_cndmask_b32_e32 v8, v8, v9, vcc
	v_cndmask_b32_e32 v3, v7, v3, vcc
	v_mov_b32_e32 v7, 0x37800000
	v_lshlrev_b32_e32 v3, 21, v3
	v_and_b32_e32 v2, 0x80000000, v2
	v_lshl_add_u32 v7, v8, 23, v7
	v_or3_b32 v2, v2, v7, v3
	v_trunc_f32_e32 v2, v2
	s_mov_b32 s18, 0x2f800000
	v_mul_f32_e64 v3, |v2|, s18
	v_floor_f32_e32 v3, v3
	s_mov_b32 s18, 0xcf800000
	v_fma_f32 v7, v3, s18, |v2|
	v_cvt_u32_f32_e32 v7, v7
	v_cvt_u32_f32_e32 v3, v3
	v_ashrrev_i32_e32 v8, 31, v2
	v_xor_b32_e32 v2, v7, v8
	v_xor_b32_e32 v3, v3, v8
	v_sub_co_u32_e32 v2, vcc, v2, v8
	v_subb_co_u32_e32 v3, vcc, v3, v8, vcc
.LBB78_1186:
	s_or_b64 exec, exec, s[4:5]
	s_mov_b64 s[4:5], 0
	s_branch .LBB78_1190
.LBB78_1187:
	s_mov_b64 s[4:5], -1
                                        ; implicit-def: $vgpr2_vgpr3
	s_branch .LBB78_1196
.LBB78_1188:
	s_mov_b64 s[4:5], -1
                                        ; implicit-def: $vgpr2_vgpr3
	s_branch .LBB78_1193
.LBB78_1189:
	s_mov_b64 s[4:5], -1
                                        ; implicit-def: $vgpr2_vgpr3
.LBB78_1190:
	s_and_b64 vcc, exec, s[4:5]
	s_cbranch_vccz .LBB78_1192
; %bb.1191:
	global_load_ubyte v2, v[4:5], off
	s_mov_b32 s4, 0x7f800000
	s_brev_b32 s5, 1
	s_mov_b32 s18, 0x2f800000
	s_mov_b32 s19, 0xcf800000
	s_waitcnt vmcnt(0)
	v_lshlrev_b32_e32 v2, 24, v2
	v_and_b32_e32 v3, 0x7f000000, v2
	v_ffbh_u32_e32 v7, v3
	v_min_u32_e32 v7, 32, v7
	v_sub_u32_e64 v7, v7, 4 clamp
	v_lshlrev_b32_e32 v9, v7, v3
	v_lshlrev_b32_e32 v7, 23, v7
	v_lshrrev_b32_e32 v9, 4, v9
	v_add_u32_e32 v8, 0x1000000, v3
	v_sub_u32_e32 v7, v9, v7
	v_ashrrev_i32_e32 v8, 8, v8
	v_add_u32_e32 v7, 0x3c000000, v7
	v_and_or_b32 v7, v8, s4, v7
	v_cmp_ne_u32_e32 vcc, 0, v3
	v_cndmask_b32_e32 v3, 0, v7, vcc
	v_and_or_b32 v2, v2, s5, v3
	v_trunc_f32_e32 v2, v2
	v_mul_f32_e64 v3, |v2|, s18
	v_floor_f32_e32 v3, v3
	v_fma_f32 v7, v3, s19, |v2|
	v_cvt_u32_f32_e32 v7, v7
	v_cvt_u32_f32_e32 v3, v3
	v_ashrrev_i32_e32 v8, 31, v2
	v_xor_b32_e32 v2, v7, v8
	v_xor_b32_e32 v3, v3, v8
	v_sub_co_u32_e32 v2, vcc, v2, v8
	v_subb_co_u32_e32 v3, vcc, v3, v8, vcc
.LBB78_1192:
	s_mov_b64 s[4:5], 0
.LBB78_1193:
	s_andn2_b64 vcc, exec, s[4:5]
	s_cbranch_vccnz .LBB78_1195
; %bb.1194:
	global_load_ubyte v2, v[4:5], off
	s_movk_i32 s4, 0x7f00
	s_brev_b32 s5, 16
	s_brev_b32 s18, 1
	s_mov_b32 s19, 0x2f800000
	s_mov_b32 s20, 0xcf800000
	s_waitcnt vmcnt(0)
	v_lshlrev_b16_e32 v3, 8, v2
	v_lshlrev_b32_e32 v2, 25, v2
	v_lshrrev_b32_e32 v7, 4, v2
	v_and_or_b32 v8, v3, s4, 0.5
	v_or_b32_e32 v7, 0x70000000, v7
	v_add_f32_e32 v8, -0.5, v8
	v_mul_f32_e32 v7, 0x7800000, v7
	v_cmp_gt_u32_e32 vcc, s5, v2
	v_bfe_i32 v3, v3, 0, 16
	v_cndmask_b32_e32 v2, v7, v8, vcc
	v_and_or_b32 v2, v3, s18, v2
	v_trunc_f32_e32 v2, v2
	v_mul_f32_e64 v3, |v2|, s19
	v_floor_f32_e32 v3, v3
	v_fma_f32 v7, v3, s20, |v2|
	v_cvt_u32_f32_e32 v7, v7
	v_cvt_u32_f32_e32 v3, v3
	v_ashrrev_i32_e32 v8, 31, v2
	v_xor_b32_e32 v2, v7, v8
	v_xor_b32_e32 v3, v3, v8
	v_sub_co_u32_e32 v2, vcc, v2, v8
	v_subb_co_u32_e32 v3, vcc, v3, v8, vcc
.LBB78_1195:
	s_mov_b64 s[4:5], 0
	s_mov_b64 s[18:19], -1
.LBB78_1196:
	s_andn2_b64 vcc, exec, s[4:5]
	s_mov_b64 s[4:5], 0
	s_cbranch_vccnz .LBB78_1205
; %bb.1197:
	s_cmp_gt_i32 s22, 14
	s_cbranch_scc0 .LBB78_1200
; %bb.1198:
	s_cmp_eq_u32 s22, 15
	s_cbranch_scc0 .LBB78_1201
; %bb.1199:
	global_load_ushort v2, v[4:5], off
	s_mov_b32 s0, 0x2f800000
	s_mov_b32 s1, 0xcf800000
	s_mov_b64 s[18:19], -1
	s_waitcnt vmcnt(0)
	v_lshlrev_b32_e32 v2, 16, v2
	v_trunc_f32_e32 v2, v2
	v_mul_f32_e64 v3, |v2|, s0
	v_floor_f32_e32 v3, v3
	v_fma_f32 v7, v3, s1, |v2|
	v_cvt_u32_f32_e32 v7, v7
	v_cvt_u32_f32_e32 v3, v3
	v_ashrrev_i32_e32 v8, 31, v2
	s_mov_b64 s[0:1], 0
	v_xor_b32_e32 v2, v7, v8
	v_xor_b32_e32 v3, v3, v8
	v_sub_co_u32_e32 v2, vcc, v2, v8
	v_subb_co_u32_e32 v3, vcc, v3, v8, vcc
	s_branch .LBB78_1202
.LBB78_1200:
	s_mov_b64 s[20:21], -1
                                        ; implicit-def: $vgpr2_vgpr3
	s_branch .LBB78_1203
.LBB78_1201:
	s_mov_b64 s[0:1], -1
                                        ; implicit-def: $vgpr2_vgpr3
.LBB78_1202:
	s_mov_b64 s[20:21], 0
.LBB78_1203:
	s_and_b64 vcc, exec, s[20:21]
	s_cbranch_vccz .LBB78_1205
; %bb.1204:
	s_cmp_lg_u32 s22, 11
	s_mov_b64 s[4:5], -1
	s_cselect_b64 s[0:1], -1, 0
.LBB78_1205:
	s_and_b64 vcc, exec, s[0:1]
	s_cbranch_vccnz .LBB78_1268
; %bb.1206:
	s_andn2_b64 vcc, exec, s[4:5]
	s_cbranch_vccnz .LBB78_1208
.LBB78_1207:
	global_load_ubyte v2, v[4:5], off
	s_mov_b32 s0, 0
	s_waitcnt vmcnt(1)
	v_mov_b32_e32 v3, s0
	s_mov_b64 s[18:19], -1
	s_waitcnt vmcnt(0)
	v_cmp_ne_u16_e32 vcc, 0, v2
	v_cndmask_b32_e64 v2, 0, 1, vcc
.LBB78_1208:
	s_branch .LBB78_1139
.LBB78_1209:
	s_cmp_lt_i32 s22, 5
	s_cbranch_scc1 .LBB78_1214
; %bb.1210:
	s_cmp_lt_i32 s22, 8
	s_cbranch_scc1 .LBB78_1215
; %bb.1211:
	;; [unrolled: 3-line block ×3, first 2 shown]
	s_cmp_gt_i32 s22, 9
	s_cbranch_scc0 .LBB78_1217
; %bb.1213:
	global_load_dwordx2 v[2:3], v[4:5], off
	s_movk_i32 s0, 0xffe0
	s_waitcnt vmcnt(0)
	v_trunc_f64_e32 v[2:3], v[2:3]
	v_ldexp_f64 v[7:8], v[2:3], s0
	s_mov_b32 s0, 0
	s_mov_b32 s1, 0xc1f00000
	v_floor_f64_e32 v[7:8], v[7:8]
	v_fma_f64 v[11:12], v[7:8], s[0:1], v[2:3]
	v_cvt_i32_f64_e32 v3, v[7:8]
	s_mov_b64 s[0:1], 0
	v_cvt_u32_f64_e32 v2, v[11:12]
	s_branch .LBB78_1218
.LBB78_1214:
                                        ; implicit-def: $vgpr2_vgpr3
	s_branch .LBB78_1236
.LBB78_1215:
	s_mov_b64 s[0:1], -1
                                        ; implicit-def: $vgpr2_vgpr3
	s_branch .LBB78_1224
.LBB78_1216:
	s_mov_b64 s[0:1], -1
                                        ; implicit-def: $vgpr2_vgpr3
	s_branch .LBB78_1221
.LBB78_1217:
	s_mov_b64 s[0:1], -1
                                        ; implicit-def: $vgpr2_vgpr3
.LBB78_1218:
	s_andn2_b64 vcc, exec, s[0:1]
	s_cbranch_vccnz .LBB78_1220
; %bb.1219:
	global_load_dword v2, v[4:5], off
	s_mov_b32 s0, 0x2f800000
	s_mov_b32 s1, 0xcf800000
	s_waitcnt vmcnt(0)
	v_trunc_f32_e32 v2, v2
	v_mul_f32_e64 v3, |v2|, s0
	v_floor_f32_e32 v3, v3
	v_cvt_u32_f32_e32 v7, v3
	v_fma_f32 v3, v3, s1, |v2|
	v_cvt_u32_f32_e32 v3, v3
	v_ashrrev_i32_e32 v8, 31, v2
	v_xor_b32_e32 v7, v7, v8
	v_xor_b32_e32 v2, v3, v8
	v_sub_co_u32_e32 v2, vcc, v2, v8
	v_subb_co_u32_e32 v3, vcc, v7, v8, vcc
.LBB78_1220:
	s_mov_b64 s[0:1], 0
.LBB78_1221:
	s_andn2_b64 vcc, exec, s[0:1]
	s_cbranch_vccnz .LBB78_1223
; %bb.1222:
	global_load_dword v2, v[4:5], off
	s_waitcnt vmcnt(0)
	v_cvt_f32_f16_e32 v2, v2
	v_cvt_i32_f32_e32 v2, v2
	v_ashrrev_i32_e32 v3, 31, v2
.LBB78_1223:
	s_mov_b64 s[0:1], 0
.LBB78_1224:
	s_andn2_b64 vcc, exec, s[0:1]
	s_cbranch_vccnz .LBB78_1235
; %bb.1225:
	s_cmp_lt_i32 s22, 6
	s_cbranch_scc1 .LBB78_1228
; %bb.1226:
	s_cmp_gt_i32 s22, 6
	s_cbranch_scc0 .LBB78_1229
; %bb.1227:
	global_load_dwordx2 v[2:3], v[4:5], off
	s_movk_i32 s0, 0xffe0
	s_waitcnt vmcnt(0)
	v_trunc_f64_e32 v[2:3], v[2:3]
	v_ldexp_f64 v[7:8], v[2:3], s0
	s_mov_b32 s0, 0
	s_mov_b32 s1, 0xc1f00000
	v_floor_f64_e32 v[7:8], v[7:8]
	v_fma_f64 v[11:12], v[7:8], s[0:1], v[2:3]
	v_cvt_i32_f64_e32 v3, v[7:8]
	s_mov_b64 s[0:1], 0
	v_cvt_u32_f64_e32 v2, v[11:12]
	s_branch .LBB78_1230
.LBB78_1228:
	s_mov_b64 s[0:1], -1
                                        ; implicit-def: $vgpr2_vgpr3
	s_branch .LBB78_1233
.LBB78_1229:
	s_mov_b64 s[0:1], -1
                                        ; implicit-def: $vgpr2_vgpr3
.LBB78_1230:
	s_andn2_b64 vcc, exec, s[0:1]
	s_cbranch_vccnz .LBB78_1232
; %bb.1231:
	global_load_dword v2, v[4:5], off
	s_mov_b32 s0, 0x2f800000
	s_mov_b32 s1, 0xcf800000
	s_waitcnt vmcnt(0)
	v_trunc_f32_e32 v2, v2
	v_mul_f32_e64 v3, |v2|, s0
	v_floor_f32_e32 v3, v3
	v_cvt_u32_f32_e32 v7, v3
	v_fma_f32 v3, v3, s1, |v2|
	v_cvt_u32_f32_e32 v3, v3
	v_ashrrev_i32_e32 v8, 31, v2
	v_xor_b32_e32 v7, v7, v8
	v_xor_b32_e32 v2, v3, v8
	v_sub_co_u32_e32 v2, vcc, v2, v8
	v_subb_co_u32_e32 v3, vcc, v7, v8, vcc
.LBB78_1232:
	s_mov_b64 s[0:1], 0
.LBB78_1233:
	s_andn2_b64 vcc, exec, s[0:1]
	s_cbranch_vccnz .LBB78_1235
; %bb.1234:
	global_load_ushort v2, v[4:5], off
	s_waitcnt vmcnt(0)
	v_cvt_f32_f16_e32 v2, v2
	v_cvt_i32_f32_e32 v2, v2
	v_ashrrev_i32_e32 v3, 31, v2
.LBB78_1235:
	s_cbranch_execnz .LBB78_1255
.LBB78_1236:
	s_cmp_lt_i32 s22, 2
	s_cbranch_scc1 .LBB78_1240
; %bb.1237:
	s_cmp_lt_i32 s22, 3
	s_cbranch_scc1 .LBB78_1241
; %bb.1238:
	s_cmp_gt_i32 s22, 3
	s_cbranch_scc0 .LBB78_1242
; %bb.1239:
	global_load_dwordx2 v[2:3], v[4:5], off
	s_mov_b64 s[0:1], 0
	s_branch .LBB78_1243
.LBB78_1240:
	s_mov_b64 s[0:1], -1
                                        ; implicit-def: $vgpr2_vgpr3
	s_branch .LBB78_1249
.LBB78_1241:
	s_mov_b64 s[0:1], -1
                                        ; implicit-def: $vgpr2_vgpr3
	s_branch .LBB78_1246
.LBB78_1242:
	s_mov_b64 s[0:1], -1
                                        ; implicit-def: $vgpr2_vgpr3
.LBB78_1243:
	s_andn2_b64 vcc, exec, s[0:1]
	s_cbranch_vccnz .LBB78_1245
; %bb.1244:
	global_load_dword v2, v[4:5], off
	s_waitcnt vmcnt(0)
	v_ashrrev_i32_e32 v3, 31, v2
.LBB78_1245:
	s_mov_b64 s[0:1], 0
.LBB78_1246:
	s_andn2_b64 vcc, exec, s[0:1]
	s_cbranch_vccnz .LBB78_1248
; %bb.1247:
	global_load_ushort v2, v[4:5], off
	s_waitcnt vmcnt(0)
	v_bfe_i32 v2, v2, 0, 16
	v_ashrrev_i32_e32 v3, 31, v2
.LBB78_1248:
	s_mov_b64 s[0:1], 0
.LBB78_1249:
	s_andn2_b64 vcc, exec, s[0:1]
	s_cbranch_vccnz .LBB78_1255
; %bb.1250:
	s_cmp_gt_i32 s22, 0
	s_cbranch_scc0 .LBB78_1252
; %bb.1251:
	global_load_sbyte v2, v[4:5], off
	s_mov_b64 s[0:1], 0
	s_waitcnt vmcnt(0)
	v_bfe_i32 v2, v2, 0, 16
	v_ashrrev_i32_e32 v3, 31, v2
	s_branch .LBB78_1253
.LBB78_1252:
	s_mov_b64 s[0:1], -1
                                        ; implicit-def: $vgpr2_vgpr3
.LBB78_1253:
	s_andn2_b64 vcc, exec, s[0:1]
	s_cbranch_vccnz .LBB78_1255
; %bb.1254:
	global_load_ubyte v2, v[4:5], off
	s_mov_b32 s0, 0
	s_waitcnt vmcnt(1)
	v_mov_b32_e32 v3, s0
	s_waitcnt vmcnt(0)
	v_and_b32_e32 v2, 0xffff, v2
.LBB78_1255:
.LBB78_1256:
	v_add_u32_e32 v8, s13, v6
	v_ashrrev_i32_e32 v4, 31, v8
	v_mov_b32_e32 v5, s11
	v_add_co_u32_e32 v6, vcc, s10, v8
	s_cmp_lt_i32 s22, 11
	v_addc_co_u32_e32 v7, vcc, v5, v4, vcc
	s_cbranch_scc1 .LBB78_1263
; %bb.1257:
	s_cmp_gt_i32 s22, 25
	s_mov_b64 s[4:5], 0
	s_cbranch_scc0 .LBB78_1265
; %bb.1258:
	s_cmp_gt_i32 s22, 28
	s_cbranch_scc0 .LBB78_1266
; %bb.1259:
	s_cmp_gt_i32 s22, 43
	s_cbranch_scc0 .LBB78_1267
; %bb.1260:
	s_cmp_gt_i32 s22, 45
	s_cbranch_scc0 .LBB78_1269
; %bb.1261:
	s_cmp_eq_u32 s22, 46
	s_mov_b64 s[20:21], 0
	s_cbranch_scc0 .LBB78_1270
; %bb.1262:
	global_load_dword v4, v[6:7], off
	s_mov_b32 s0, 0x2f800000
	s_mov_b32 s1, 0xcf800000
	s_mov_b64 s[18:19], -1
	s_waitcnt vmcnt(0)
	v_lshlrev_b32_e32 v4, 16, v4
	v_trunc_f32_e32 v4, v4
	v_mul_f32_e64 v5, |v4|, s0
	v_floor_f32_e32 v5, v5
	v_fma_f32 v9, v5, s1, |v4|
	v_cvt_u32_f32_e32 v9, v9
	v_cvt_u32_f32_e32 v5, v5
	v_ashrrev_i32_e32 v11, 31, v4
	s_mov_b64 s[0:1], 0
	v_xor_b32_e32 v4, v9, v11
	v_xor_b32_e32 v5, v5, v11
	v_sub_co_u32_e32 v4, vcc, v4, v11
	v_subb_co_u32_e32 v5, vcc, v5, v11, vcc
	s_branch .LBB78_1271
.LBB78_1263:
	s_mov_b64 s[18:19], 0
                                        ; implicit-def: $vgpr4_vgpr5
	s_cbranch_execnz .LBB78_1333
.LBB78_1264:
	s_andn2_b64 vcc, exec, s[18:19]
	s_cbranch_vccnz .LBB78_1940
	s_branch .LBB78_1381
.LBB78_1265:
	s_mov_b64 s[20:21], -1
	s_mov_b64 s[18:19], 0
	s_mov_b64 s[0:1], 0
                                        ; implicit-def: $vgpr4_vgpr5
	s_branch .LBB78_1300
.LBB78_1266:
	s_mov_b64 s[20:21], -1
	s_mov_b64 s[18:19], 0
	s_mov_b64 s[0:1], 0
                                        ; implicit-def: $vgpr4_vgpr5
	s_branch .LBB78_1281
.LBB78_1267:
	s_mov_b64 s[20:21], -1
	s_mov_b64 s[18:19], 0
	s_mov_b64 s[0:1], 0
                                        ; implicit-def: $vgpr4_vgpr5
	s_branch .LBB78_1276
.LBB78_1268:
	s_trap 2
	s_or_b64 s[16:17], s[16:17], exec
	s_cbranch_execz .LBB78_1207
	s_branch .LBB78_1208
.LBB78_1269:
	s_mov_b64 s[20:21], -1
	s_mov_b64 s[18:19], 0
	s_mov_b64 s[0:1], 0
                                        ; implicit-def: $vgpr4_vgpr5
	s_branch .LBB78_1271
.LBB78_1270:
	s_mov_b64 s[0:1], -1
                                        ; implicit-def: $vgpr4_vgpr5
	s_mov_b64 s[18:19], 0
.LBB78_1271:
	s_and_b64 vcc, exec, s[20:21]
	s_cbranch_vccz .LBB78_1275
; %bb.1272:
	s_cmp_eq_u32 s22, 44
	s_cbranch_scc0 .LBB78_1274
; %bb.1273:
	global_load_ubyte v4, v[6:7], off
	s_mov_b32 s0, 0x2f800000
	s_mov_b32 s1, 0xcf800000
	s_mov_b64 s[18:19], -1
	s_waitcnt vmcnt(0)
	v_lshlrev_b32_e32 v5, 23, v4
	v_trunc_f32_e32 v5, v5
	v_mul_f32_e64 v9, |v5|, s0
	v_floor_f32_e32 v9, v9
	v_fma_f32 v11, v9, s1, |v5|
	v_cvt_u32_f32_e32 v11, v11
	v_cvt_u32_f32_e32 v9, v9
	v_ashrrev_i32_e32 v5, 31, v5
	s_mov_b64 s[0:1], 0
	v_xor_b32_e32 v11, v11, v5
	v_xor_b32_e32 v9, v9, v5
	v_sub_co_u32_e32 v11, vcc, v11, v5
	v_subb_co_u32_e32 v5, vcc, v9, v5, vcc
	v_cmp_ne_u32_e32 vcc, 0, v4
	v_cndmask_b32_e32 v5, 0, v5, vcc
	v_cndmask_b32_e32 v4, 0, v11, vcc
	s_branch .LBB78_1275
.LBB78_1274:
	s_mov_b64 s[0:1], -1
                                        ; implicit-def: $vgpr4_vgpr5
.LBB78_1275:
	s_mov_b64 s[20:21], 0
.LBB78_1276:
	s_and_b64 vcc, exec, s[20:21]
	s_cbranch_vccz .LBB78_1280
; %bb.1277:
	s_cmp_eq_u32 s22, 29
	s_cbranch_scc0 .LBB78_1279
; %bb.1278:
	global_load_dwordx2 v[4:5], v[6:7], off
	s_mov_b64 s[0:1], 0
	s_mov_b64 s[18:19], -1
	s_branch .LBB78_1280
.LBB78_1279:
	s_mov_b64 s[0:1], -1
                                        ; implicit-def: $vgpr4_vgpr5
.LBB78_1280:
	s_mov_b64 s[20:21], 0
.LBB78_1281:
	s_and_b64 vcc, exec, s[20:21]
	s_cbranch_vccz .LBB78_1299
; %bb.1282:
	s_cmp_lt_i32 s22, 27
	s_cbranch_scc1 .LBB78_1285
; %bb.1283:
	s_cmp_gt_i32 s22, 27
	s_cbranch_scc0 .LBB78_1286
; %bb.1284:
	global_load_dword v4, v[6:7], off
	s_waitcnt vmcnt(1)
	v_mov_b32_e32 v5, 0
	s_mov_b64 s[18:19], 0
	s_branch .LBB78_1287
.LBB78_1285:
	s_mov_b64 s[18:19], -1
                                        ; implicit-def: $vgpr4_vgpr5
	s_branch .LBB78_1290
.LBB78_1286:
	s_mov_b64 s[18:19], -1
                                        ; implicit-def: $vgpr4_vgpr5
.LBB78_1287:
	s_andn2_b64 vcc, exec, s[18:19]
	s_cbranch_vccnz .LBB78_1289
; %bb.1288:
	global_load_ushort v4, v[6:7], off
	s_mov_b32 s18, 0
	s_waitcnt vmcnt(1)
	v_mov_b32_e32 v5, s18
	s_waitcnt vmcnt(0)
	v_and_b32_e32 v4, 0xffff, v4
.LBB78_1289:
	s_mov_b64 s[18:19], 0
.LBB78_1290:
	s_andn2_b64 vcc, exec, s[18:19]
	s_cbranch_vccnz .LBB78_1298
; %bb.1291:
	global_load_ubyte v9, v[6:7], off
	s_movk_i32 s18, 0x7f
	s_mov_b64 s[20:21], 0
	s_waitcnt vmcnt(0)
	v_cmp_lt_i16_e32 vcc, s18, v9
	s_and_saveexec_b64 s[18:19], vcc
	s_xor_b64 s[18:19], exec, s[18:19]
; %bb.1292:
	s_movk_i32 s20, 0x80
	v_cmp_ne_u16_e32 vcc, s20, v9
	s_and_b64 s[20:21], vcc, exec
; %bb.1293:
	s_andn2_saveexec_b64 s[18:19], s[18:19]
; %bb.1294:
	v_cmp_ne_u16_e32 vcc, 0, v9
	s_andn2_b64 s[20:21], s[20:21], exec
	s_and_b64 s[24:25], vcc, exec
	s_or_b64 s[20:21], s[20:21], s[24:25]
; %bb.1295:
	s_or_b64 exec, exec, s[18:19]
	v_mov_b32_e32 v4, 0
	v_mov_b32_e32 v5, 0
	s_and_saveexec_b64 s[18:19], s[20:21]
	s_cbranch_execz .LBB78_1297
; %bb.1296:
	v_and_b32_e32 v5, 0xffff, v9
	v_lshlrev_b32_e32 v4, 24, v9
	v_and_b32_e32 v9, 7, v5
	v_ffbh_u32_e32 v12, v9
	v_min_u32_e32 v12, 32, v12
	v_subrev_u32_e32 v13, 28, v12
	v_bfe_u32 v11, v5, 3, 4
	v_lshlrev_b32_e32 v5, v13, v5
	v_sub_u32_e32 v12, 29, v12
	v_and_b32_e32 v5, 7, v5
	v_cmp_eq_u32_e32 vcc, 0, v11
	v_cndmask_b32_e32 v11, v11, v12, vcc
	v_cndmask_b32_e32 v5, v9, v5, vcc
	v_mov_b32_e32 v9, 0x3b800000
	v_lshlrev_b32_e32 v5, 20, v5
	v_and_b32_e32 v4, 0x80000000, v4
	v_lshl_add_u32 v9, v11, 23, v9
	v_or3_b32 v4, v4, v9, v5
	v_trunc_f32_e32 v4, v4
	s_mov_b32 s20, 0x2f800000
	v_mul_f32_e64 v5, |v4|, s20
	v_floor_f32_e32 v5, v5
	s_mov_b32 s20, 0xcf800000
	v_fma_f32 v9, v5, s20, |v4|
	v_cvt_u32_f32_e32 v9, v9
	v_cvt_u32_f32_e32 v5, v5
	v_ashrrev_i32_e32 v11, 31, v4
	v_xor_b32_e32 v4, v9, v11
	v_xor_b32_e32 v5, v5, v11
	v_sub_co_u32_e32 v4, vcc, v4, v11
	v_subb_co_u32_e32 v5, vcc, v5, v11, vcc
.LBB78_1297:
	s_or_b64 exec, exec, s[18:19]
.LBB78_1298:
	s_mov_b64 s[18:19], -1
.LBB78_1299:
	s_mov_b64 s[20:21], 0
.LBB78_1300:
	s_and_b64 vcc, exec, s[20:21]
	s_cbranch_vccz .LBB78_1329
; %bb.1301:
	s_cmp_gt_i32 s22, 22
	s_cbranch_scc0 .LBB78_1311
; %bb.1302:
	s_cmp_lt_i32 s22, 24
	s_cbranch_scc1 .LBB78_1312
; %bb.1303:
	s_cmp_gt_i32 s22, 24
	s_cbranch_scc0 .LBB78_1313
; %bb.1304:
	global_load_ubyte v9, v[6:7], off
	s_movk_i32 s4, 0x7f
	s_mov_b64 s[18:19], 0
	s_waitcnt vmcnt(0)
	v_cmp_lt_i16_e32 vcc, s4, v9
	s_and_saveexec_b64 s[4:5], vcc
	s_xor_b64 s[4:5], exec, s[4:5]
; %bb.1305:
	s_movk_i32 s18, 0x80
	v_cmp_ne_u16_e32 vcc, s18, v9
	s_and_b64 s[18:19], vcc, exec
; %bb.1306:
	s_andn2_saveexec_b64 s[4:5], s[4:5]
; %bb.1307:
	v_cmp_ne_u16_e32 vcc, 0, v9
	s_andn2_b64 s[18:19], s[18:19], exec
	s_and_b64 s[20:21], vcc, exec
	s_or_b64 s[18:19], s[18:19], s[20:21]
; %bb.1308:
	s_or_b64 exec, exec, s[4:5]
	v_mov_b32_e32 v4, 0
	v_mov_b32_e32 v5, 0
	s_and_saveexec_b64 s[4:5], s[18:19]
	s_cbranch_execz .LBB78_1310
; %bb.1309:
	v_and_b32_e32 v5, 0xffff, v9
	v_lshlrev_b32_e32 v4, 24, v9
	v_and_b32_e32 v9, 3, v5
	v_ffbh_u32_e32 v12, v9
	v_min_u32_e32 v12, 32, v12
	v_subrev_u32_e32 v13, 29, v12
	v_bfe_u32 v11, v5, 2, 5
	v_lshlrev_b32_e32 v5, v13, v5
	v_sub_u32_e32 v12, 30, v12
	v_and_b32_e32 v5, 3, v5
	v_cmp_eq_u32_e32 vcc, 0, v11
	v_cndmask_b32_e32 v11, v11, v12, vcc
	v_cndmask_b32_e32 v5, v9, v5, vcc
	v_mov_b32_e32 v9, 0x37800000
	v_lshlrev_b32_e32 v5, 21, v5
	v_and_b32_e32 v4, 0x80000000, v4
	v_lshl_add_u32 v9, v11, 23, v9
	v_or3_b32 v4, v4, v9, v5
	v_trunc_f32_e32 v4, v4
	s_mov_b32 s18, 0x2f800000
	v_mul_f32_e64 v5, |v4|, s18
	v_floor_f32_e32 v5, v5
	s_mov_b32 s18, 0xcf800000
	v_fma_f32 v9, v5, s18, |v4|
	v_cvt_u32_f32_e32 v9, v9
	v_cvt_u32_f32_e32 v5, v5
	v_ashrrev_i32_e32 v11, 31, v4
	v_xor_b32_e32 v4, v9, v11
	v_xor_b32_e32 v5, v5, v11
	v_sub_co_u32_e32 v4, vcc, v4, v11
	v_subb_co_u32_e32 v5, vcc, v5, v11, vcc
.LBB78_1310:
	s_or_b64 exec, exec, s[4:5]
	s_mov_b64 s[4:5], 0
	s_branch .LBB78_1314
.LBB78_1311:
	s_mov_b64 s[4:5], -1
                                        ; implicit-def: $vgpr4_vgpr5
	s_branch .LBB78_1320
.LBB78_1312:
	s_mov_b64 s[4:5], -1
                                        ; implicit-def: $vgpr4_vgpr5
	s_branch .LBB78_1317
.LBB78_1313:
	s_mov_b64 s[4:5], -1
                                        ; implicit-def: $vgpr4_vgpr5
.LBB78_1314:
	s_and_b64 vcc, exec, s[4:5]
	s_cbranch_vccz .LBB78_1316
; %bb.1315:
	global_load_ubyte v4, v[6:7], off
	s_mov_b32 s4, 0x7f800000
	s_brev_b32 s5, 1
	s_mov_b32 s18, 0x2f800000
	s_mov_b32 s19, 0xcf800000
	s_waitcnt vmcnt(0)
	v_lshlrev_b32_e32 v4, 24, v4
	v_and_b32_e32 v5, 0x7f000000, v4
	v_ffbh_u32_e32 v9, v5
	v_min_u32_e32 v9, 32, v9
	v_sub_u32_e64 v9, v9, 4 clamp
	v_lshlrev_b32_e32 v12, v9, v5
	v_lshlrev_b32_e32 v9, 23, v9
	v_lshrrev_b32_e32 v12, 4, v12
	v_add_u32_e32 v11, 0x1000000, v5
	v_sub_u32_e32 v9, v12, v9
	v_ashrrev_i32_e32 v11, 8, v11
	v_add_u32_e32 v9, 0x3c000000, v9
	v_and_or_b32 v9, v11, s4, v9
	v_cmp_ne_u32_e32 vcc, 0, v5
	v_cndmask_b32_e32 v5, 0, v9, vcc
	v_and_or_b32 v4, v4, s5, v5
	v_trunc_f32_e32 v4, v4
	v_mul_f32_e64 v5, |v4|, s18
	v_floor_f32_e32 v5, v5
	v_fma_f32 v9, v5, s19, |v4|
	v_cvt_u32_f32_e32 v9, v9
	v_cvt_u32_f32_e32 v5, v5
	v_ashrrev_i32_e32 v11, 31, v4
	v_xor_b32_e32 v4, v9, v11
	v_xor_b32_e32 v5, v5, v11
	v_sub_co_u32_e32 v4, vcc, v4, v11
	v_subb_co_u32_e32 v5, vcc, v5, v11, vcc
.LBB78_1316:
	s_mov_b64 s[4:5], 0
.LBB78_1317:
	s_andn2_b64 vcc, exec, s[4:5]
	s_cbranch_vccnz .LBB78_1319
; %bb.1318:
	global_load_ubyte v4, v[6:7], off
	s_movk_i32 s4, 0x7f00
	s_brev_b32 s5, 16
	s_brev_b32 s18, 1
	s_mov_b32 s19, 0x2f800000
	s_mov_b32 s20, 0xcf800000
	s_waitcnt vmcnt(0)
	v_lshlrev_b16_e32 v5, 8, v4
	v_lshlrev_b32_e32 v4, 25, v4
	v_lshrrev_b32_e32 v9, 4, v4
	v_and_or_b32 v11, v5, s4, 0.5
	v_or_b32_e32 v9, 0x70000000, v9
	v_add_f32_e32 v11, -0.5, v11
	v_mul_f32_e32 v9, 0x7800000, v9
	v_cmp_gt_u32_e32 vcc, s5, v4
	v_bfe_i32 v5, v5, 0, 16
	v_cndmask_b32_e32 v4, v9, v11, vcc
	v_and_or_b32 v4, v5, s18, v4
	v_trunc_f32_e32 v4, v4
	v_mul_f32_e64 v5, |v4|, s19
	v_floor_f32_e32 v5, v5
	v_fma_f32 v9, v5, s20, |v4|
	v_cvt_u32_f32_e32 v9, v9
	v_cvt_u32_f32_e32 v5, v5
	v_ashrrev_i32_e32 v11, 31, v4
	v_xor_b32_e32 v4, v9, v11
	v_xor_b32_e32 v5, v5, v11
	v_sub_co_u32_e32 v4, vcc, v4, v11
	v_subb_co_u32_e32 v5, vcc, v5, v11, vcc
.LBB78_1319:
	s_mov_b64 s[4:5], 0
	s_mov_b64 s[18:19], -1
.LBB78_1320:
	s_andn2_b64 vcc, exec, s[4:5]
	s_mov_b64 s[4:5], 0
	s_cbranch_vccnz .LBB78_1329
; %bb.1321:
	s_cmp_gt_i32 s22, 14
	s_cbranch_scc0 .LBB78_1324
; %bb.1322:
	s_cmp_eq_u32 s22, 15
	s_cbranch_scc0 .LBB78_1325
; %bb.1323:
	global_load_ushort v4, v[6:7], off
	s_mov_b32 s0, 0x2f800000
	s_mov_b32 s1, 0xcf800000
	s_mov_b64 s[18:19], -1
	s_waitcnt vmcnt(0)
	v_lshlrev_b32_e32 v4, 16, v4
	v_trunc_f32_e32 v4, v4
	v_mul_f32_e64 v5, |v4|, s0
	v_floor_f32_e32 v5, v5
	v_fma_f32 v9, v5, s1, |v4|
	v_cvt_u32_f32_e32 v9, v9
	v_cvt_u32_f32_e32 v5, v5
	v_ashrrev_i32_e32 v11, 31, v4
	s_mov_b64 s[0:1], 0
	v_xor_b32_e32 v4, v9, v11
	v_xor_b32_e32 v5, v5, v11
	v_sub_co_u32_e32 v4, vcc, v4, v11
	v_subb_co_u32_e32 v5, vcc, v5, v11, vcc
	s_branch .LBB78_1326
.LBB78_1324:
	s_mov_b64 s[20:21], -1
                                        ; implicit-def: $vgpr4_vgpr5
	s_branch .LBB78_1327
.LBB78_1325:
	s_mov_b64 s[0:1], -1
                                        ; implicit-def: $vgpr4_vgpr5
.LBB78_1326:
	s_mov_b64 s[20:21], 0
.LBB78_1327:
	s_and_b64 vcc, exec, s[20:21]
	s_cbranch_vccz .LBB78_1329
; %bb.1328:
	s_cmp_lg_u32 s22, 11
	s_mov_b64 s[4:5], -1
	s_cselect_b64 s[0:1], -1, 0
.LBB78_1329:
	s_and_b64 vcc, exec, s[0:1]
	s_cbranch_vccnz .LBB78_1392
; %bb.1330:
	s_andn2_b64 vcc, exec, s[4:5]
	s_cbranch_vccnz .LBB78_1332
.LBB78_1331:
	global_load_ubyte v4, v[6:7], off
	s_mov_b32 s0, 0
	s_waitcnt vmcnt(1)
	v_mov_b32_e32 v5, s0
	s_mov_b64 s[18:19], -1
	s_waitcnt vmcnt(0)
	v_cmp_ne_u16_e32 vcc, 0, v4
	v_cndmask_b32_e64 v4, 0, 1, vcc
.LBB78_1332:
	s_branch .LBB78_1264
.LBB78_1333:
	s_cmp_lt_i32 s22, 5
	s_cbranch_scc1 .LBB78_1338
; %bb.1334:
	s_cmp_lt_i32 s22, 8
	s_cbranch_scc1 .LBB78_1339
; %bb.1335:
	s_cmp_lt_i32 s22, 9
	s_cbranch_scc1 .LBB78_1340
; %bb.1336:
	s_cmp_gt_i32 s22, 9
	s_cbranch_scc0 .LBB78_1341
; %bb.1337:
	global_load_dwordx2 v[4:5], v[6:7], off
	s_movk_i32 s0, 0xffe0
	s_waitcnt vmcnt(0)
	v_trunc_f64_e32 v[4:5], v[4:5]
	v_ldexp_f64 v[11:12], v[4:5], s0
	s_mov_b32 s0, 0
	s_mov_b32 s1, 0xc1f00000
	v_floor_f64_e32 v[11:12], v[11:12]
	v_fma_f64 v[13:14], v[11:12], s[0:1], v[4:5]
	v_cvt_i32_f64_e32 v5, v[11:12]
	s_mov_b64 s[0:1], 0
	v_cvt_u32_f64_e32 v4, v[13:14]
	s_branch .LBB78_1342
.LBB78_1338:
	s_mov_b64 s[0:1], -1
                                        ; implicit-def: $vgpr4_vgpr5
	s_branch .LBB78_1360
.LBB78_1339:
	s_mov_b64 s[0:1], -1
                                        ; implicit-def: $vgpr4_vgpr5
	s_branch .LBB78_1348
.LBB78_1340:
	s_mov_b64 s[0:1], -1
                                        ; implicit-def: $vgpr4_vgpr5
	s_branch .LBB78_1345
.LBB78_1341:
	s_mov_b64 s[0:1], -1
                                        ; implicit-def: $vgpr4_vgpr5
.LBB78_1342:
	s_andn2_b64 vcc, exec, s[0:1]
	s_cbranch_vccnz .LBB78_1344
; %bb.1343:
	global_load_dword v4, v[6:7], off
	s_mov_b32 s0, 0x2f800000
	s_mov_b32 s1, 0xcf800000
	s_waitcnt vmcnt(0)
	v_trunc_f32_e32 v4, v4
	v_mul_f32_e64 v5, |v4|, s0
	v_floor_f32_e32 v5, v5
	v_cvt_u32_f32_e32 v9, v5
	v_fma_f32 v5, v5, s1, |v4|
	v_cvt_u32_f32_e32 v5, v5
	v_ashrrev_i32_e32 v11, 31, v4
	v_xor_b32_e32 v9, v9, v11
	v_xor_b32_e32 v4, v5, v11
	v_sub_co_u32_e32 v4, vcc, v4, v11
	v_subb_co_u32_e32 v5, vcc, v9, v11, vcc
.LBB78_1344:
	s_mov_b64 s[0:1], 0
.LBB78_1345:
	s_andn2_b64 vcc, exec, s[0:1]
	s_cbranch_vccnz .LBB78_1347
; %bb.1346:
	global_load_dword v4, v[6:7], off
	s_waitcnt vmcnt(0)
	v_cvt_f32_f16_e32 v4, v4
	v_cvt_i32_f32_e32 v4, v4
	v_ashrrev_i32_e32 v5, 31, v4
.LBB78_1347:
	s_mov_b64 s[0:1], 0
.LBB78_1348:
	s_andn2_b64 vcc, exec, s[0:1]
	s_cbranch_vccnz .LBB78_1359
; %bb.1349:
	s_cmp_lt_i32 s22, 6
	s_cbranch_scc1 .LBB78_1352
; %bb.1350:
	s_cmp_gt_i32 s22, 6
	s_cbranch_scc0 .LBB78_1353
; %bb.1351:
	global_load_dwordx2 v[4:5], v[6:7], off
	s_movk_i32 s0, 0xffe0
	s_waitcnt vmcnt(0)
	v_trunc_f64_e32 v[4:5], v[4:5]
	v_ldexp_f64 v[11:12], v[4:5], s0
	s_mov_b32 s0, 0
	s_mov_b32 s1, 0xc1f00000
	v_floor_f64_e32 v[11:12], v[11:12]
	v_fma_f64 v[13:14], v[11:12], s[0:1], v[4:5]
	v_cvt_i32_f64_e32 v5, v[11:12]
	s_mov_b64 s[0:1], 0
	v_cvt_u32_f64_e32 v4, v[13:14]
	s_branch .LBB78_1354
.LBB78_1352:
	s_mov_b64 s[0:1], -1
                                        ; implicit-def: $vgpr4_vgpr5
	s_branch .LBB78_1357
.LBB78_1353:
	s_mov_b64 s[0:1], -1
                                        ; implicit-def: $vgpr4_vgpr5
.LBB78_1354:
	s_andn2_b64 vcc, exec, s[0:1]
	s_cbranch_vccnz .LBB78_1356
; %bb.1355:
	global_load_dword v4, v[6:7], off
	s_mov_b32 s0, 0x2f800000
	s_mov_b32 s1, 0xcf800000
	s_waitcnt vmcnt(0)
	v_trunc_f32_e32 v4, v4
	v_mul_f32_e64 v5, |v4|, s0
	v_floor_f32_e32 v5, v5
	v_cvt_u32_f32_e32 v9, v5
	v_fma_f32 v5, v5, s1, |v4|
	v_cvt_u32_f32_e32 v5, v5
	v_ashrrev_i32_e32 v11, 31, v4
	v_xor_b32_e32 v9, v9, v11
	v_xor_b32_e32 v4, v5, v11
	v_sub_co_u32_e32 v4, vcc, v4, v11
	v_subb_co_u32_e32 v5, vcc, v9, v11, vcc
.LBB78_1356:
	s_mov_b64 s[0:1], 0
.LBB78_1357:
	s_andn2_b64 vcc, exec, s[0:1]
	s_cbranch_vccnz .LBB78_1359
; %bb.1358:
	global_load_ushort v4, v[6:7], off
	s_waitcnt vmcnt(0)
	v_cvt_f32_f16_e32 v4, v4
	v_cvt_i32_f32_e32 v4, v4
	v_ashrrev_i32_e32 v5, 31, v4
.LBB78_1359:
	s_mov_b64 s[0:1], 0
.LBB78_1360:
	s_andn2_b64 vcc, exec, s[0:1]
	s_cbranch_vccnz .LBB78_1380
; %bb.1361:
	s_cmp_lt_i32 s22, 2
	s_cbranch_scc1 .LBB78_1365
; %bb.1362:
	s_cmp_lt_i32 s22, 3
	s_cbranch_scc1 .LBB78_1366
; %bb.1363:
	s_cmp_gt_i32 s22, 3
	s_cbranch_scc0 .LBB78_1367
; %bb.1364:
	global_load_dwordx2 v[4:5], v[6:7], off
	s_mov_b64 s[0:1], 0
	s_branch .LBB78_1368
.LBB78_1365:
	s_mov_b64 s[0:1], -1
                                        ; implicit-def: $vgpr4_vgpr5
	s_branch .LBB78_1374
.LBB78_1366:
	s_mov_b64 s[0:1], -1
                                        ; implicit-def: $vgpr4_vgpr5
	s_branch .LBB78_1371
.LBB78_1367:
	s_mov_b64 s[0:1], -1
                                        ; implicit-def: $vgpr4_vgpr5
.LBB78_1368:
	s_andn2_b64 vcc, exec, s[0:1]
	s_cbranch_vccnz .LBB78_1370
; %bb.1369:
	global_load_dword v4, v[6:7], off
	s_waitcnt vmcnt(0)
	v_ashrrev_i32_e32 v5, 31, v4
.LBB78_1370:
	s_mov_b64 s[0:1], 0
.LBB78_1371:
	s_andn2_b64 vcc, exec, s[0:1]
	s_cbranch_vccnz .LBB78_1373
; %bb.1372:
	global_load_ushort v4, v[6:7], off
	s_waitcnt vmcnt(0)
	v_bfe_i32 v4, v4, 0, 16
	v_ashrrev_i32_e32 v5, 31, v4
.LBB78_1373:
	s_mov_b64 s[0:1], 0
.LBB78_1374:
	s_andn2_b64 vcc, exec, s[0:1]
	s_cbranch_vccnz .LBB78_1380
; %bb.1375:
	s_cmp_gt_i32 s22, 0
	s_cbranch_scc0 .LBB78_1377
; %bb.1376:
	global_load_sbyte v4, v[6:7], off
	s_mov_b64 s[0:1], 0
	s_waitcnt vmcnt(0)
	v_bfe_i32 v4, v4, 0, 16
	v_ashrrev_i32_e32 v5, 31, v4
	s_branch .LBB78_1378
.LBB78_1377:
	s_mov_b64 s[0:1], -1
                                        ; implicit-def: $vgpr4_vgpr5
.LBB78_1378:
	s_andn2_b64 vcc, exec, s[0:1]
	s_cbranch_vccnz .LBB78_1380
; %bb.1379:
	global_load_ubyte v4, v[6:7], off
	s_mov_b32 s0, 0
	s_waitcnt vmcnt(1)
	v_mov_b32_e32 v5, s0
	s_waitcnt vmcnt(0)
	v_and_b32_e32 v4, 0xffff, v4
.LBB78_1380:
.LBB78_1381:
	v_add_u32_e32 v6, s13, v8
	v_ashrrev_i32_e32 v7, 31, v6
	v_mov_b32_e32 v9, s11
	v_add_co_u32_e32 v8, vcc, s10, v6
	s_cmp_lt_i32 s22, 11
	v_addc_co_u32_e32 v9, vcc, v9, v7, vcc
	s_cbranch_scc1 .LBB78_1388
; %bb.1382:
	s_cmp_gt_i32 s22, 25
	s_mov_b64 s[4:5], 0
	s_cbranch_scc0 .LBB78_1389
; %bb.1383:
	s_cmp_gt_i32 s22, 28
	s_cbranch_scc0 .LBB78_1390
; %bb.1384:
	s_cmp_gt_i32 s22, 43
	;; [unrolled: 3-line block ×3, first 2 shown]
	s_cbranch_scc0 .LBB78_1393
; %bb.1386:
	s_cmp_eq_u32 s22, 46
	s_mov_b64 s[18:19], 0
	s_cbranch_scc0 .LBB78_1394
; %bb.1387:
	global_load_dword v6, v[8:9], off
	s_mov_b32 s0, 0x2f800000
	s_mov_b32 s1, 0xcf800000
	s_mov_b64 s[10:11], -1
	s_waitcnt vmcnt(0)
	v_lshlrev_b32_e32 v6, 16, v6
	v_trunc_f32_e32 v6, v6
	v_mul_f32_e64 v7, |v6|, s0
	v_floor_f32_e32 v7, v7
	v_fma_f32 v11, v7, s1, |v6|
	v_cvt_u32_f32_e32 v11, v11
	v_cvt_u32_f32_e32 v7, v7
	v_ashrrev_i32_e32 v12, 31, v6
	s_mov_b64 s[0:1], 0
	v_xor_b32_e32 v6, v11, v12
	v_xor_b32_e32 v7, v7, v12
	v_sub_co_u32_e32 v6, vcc, v6, v12
	v_subb_co_u32_e32 v7, vcc, v7, v12, vcc
	s_branch .LBB78_1395
.LBB78_1388:
	s_mov_b64 s[0:1], -1
	s_mov_b64 s[10:11], 0
                                        ; implicit-def: $vgpr6_vgpr7
	s_branch .LBB78_1457
.LBB78_1389:
	s_mov_b64 s[18:19], -1
	s_mov_b64 s[10:11], 0
	s_mov_b64 s[0:1], 0
                                        ; implicit-def: $vgpr6_vgpr7
	s_branch .LBB78_1424
.LBB78_1390:
	s_mov_b64 s[18:19], -1
	s_mov_b64 s[10:11], 0
	s_mov_b64 s[0:1], 0
                                        ; implicit-def: $vgpr6_vgpr7
	s_branch .LBB78_1405
.LBB78_1391:
	s_mov_b64 s[18:19], -1
	s_mov_b64 s[10:11], 0
	s_mov_b64 s[0:1], 0
                                        ; implicit-def: $vgpr6_vgpr7
	s_branch .LBB78_1400
.LBB78_1392:
	s_trap 2
	s_or_b64 s[16:17], s[16:17], exec
	s_cbranch_execz .LBB78_1331
	s_branch .LBB78_1332
.LBB78_1393:
	s_mov_b64 s[18:19], -1
	s_mov_b64 s[10:11], 0
	s_mov_b64 s[0:1], 0
                                        ; implicit-def: $vgpr6_vgpr7
	s_branch .LBB78_1395
.LBB78_1394:
	s_mov_b64 s[0:1], -1
                                        ; implicit-def: $vgpr6_vgpr7
	s_mov_b64 s[10:11], 0
.LBB78_1395:
	s_and_b64 vcc, exec, s[18:19]
	s_cbranch_vccz .LBB78_1399
; %bb.1396:
	s_cmp_eq_u32 s22, 44
	s_cbranch_scc0 .LBB78_1398
; %bb.1397:
	global_load_ubyte v6, v[8:9], off
	s_mov_b32 s0, 0x2f800000
	s_mov_b32 s1, 0xcf800000
	s_mov_b64 s[10:11], -1
	s_waitcnt vmcnt(0)
	v_lshlrev_b32_e32 v7, 23, v6
	v_trunc_f32_e32 v7, v7
	v_mul_f32_e64 v11, |v7|, s0
	v_floor_f32_e32 v11, v11
	v_fma_f32 v12, v11, s1, |v7|
	v_cvt_u32_f32_e32 v12, v12
	v_cvt_u32_f32_e32 v11, v11
	v_ashrrev_i32_e32 v7, 31, v7
	s_mov_b64 s[0:1], 0
	v_xor_b32_e32 v12, v12, v7
	v_xor_b32_e32 v11, v11, v7
	v_sub_co_u32_e32 v12, vcc, v12, v7
	v_subb_co_u32_e32 v7, vcc, v11, v7, vcc
	v_cmp_ne_u32_e32 vcc, 0, v6
	v_cndmask_b32_e32 v7, 0, v7, vcc
	v_cndmask_b32_e32 v6, 0, v12, vcc
	s_branch .LBB78_1399
.LBB78_1398:
	s_mov_b64 s[0:1], -1
                                        ; implicit-def: $vgpr6_vgpr7
.LBB78_1399:
	s_mov_b64 s[18:19], 0
.LBB78_1400:
	s_and_b64 vcc, exec, s[18:19]
	s_cbranch_vccz .LBB78_1404
; %bb.1401:
	s_cmp_eq_u32 s22, 29
	s_cbranch_scc0 .LBB78_1403
; %bb.1402:
	global_load_dwordx2 v[6:7], v[8:9], off
	s_mov_b64 s[0:1], 0
	s_mov_b64 s[10:11], -1
	s_branch .LBB78_1404
.LBB78_1403:
	s_mov_b64 s[0:1], -1
                                        ; implicit-def: $vgpr6_vgpr7
.LBB78_1404:
	s_mov_b64 s[18:19], 0
.LBB78_1405:
	s_and_b64 vcc, exec, s[18:19]
	s_cbranch_vccz .LBB78_1423
; %bb.1406:
	s_cmp_lt_i32 s22, 27
	s_cbranch_scc1 .LBB78_1409
; %bb.1407:
	s_cmp_gt_i32 s22, 27
	s_cbranch_scc0 .LBB78_1410
; %bb.1408:
	global_load_dword v6, v[8:9], off
	s_waitcnt vmcnt(1)
	v_mov_b32_e32 v7, 0
	s_mov_b64 s[10:11], 0
	s_branch .LBB78_1411
.LBB78_1409:
	s_mov_b64 s[10:11], -1
                                        ; implicit-def: $vgpr6_vgpr7
	s_branch .LBB78_1414
.LBB78_1410:
	s_mov_b64 s[10:11], -1
                                        ; implicit-def: $vgpr6_vgpr7
.LBB78_1411:
	s_andn2_b64 vcc, exec, s[10:11]
	s_cbranch_vccnz .LBB78_1413
; %bb.1412:
	global_load_ushort v6, v[8:9], off
	s_mov_b32 s10, 0
	s_waitcnt vmcnt(1)
	v_mov_b32_e32 v7, s10
	s_waitcnt vmcnt(0)
	v_and_b32_e32 v6, 0xffff, v6
.LBB78_1413:
	s_mov_b64 s[10:11], 0
.LBB78_1414:
	s_andn2_b64 vcc, exec, s[10:11]
	s_cbranch_vccnz .LBB78_1422
; %bb.1415:
	global_load_ubyte v11, v[8:9], off
	s_movk_i32 s10, 0x7f
	s_mov_b64 s[18:19], 0
	s_waitcnt vmcnt(0)
	v_cmp_lt_i16_e32 vcc, s10, v11
	s_and_saveexec_b64 s[10:11], vcc
	s_xor_b64 s[10:11], exec, s[10:11]
; %bb.1416:
	s_movk_i32 s13, 0x80
	v_cmp_ne_u16_e32 vcc, s13, v11
	s_and_b64 s[18:19], vcc, exec
; %bb.1417:
	s_andn2_saveexec_b64 s[10:11], s[10:11]
; %bb.1418:
	v_cmp_ne_u16_e32 vcc, 0, v11
	s_andn2_b64 s[18:19], s[18:19], exec
	s_and_b64 s[20:21], vcc, exec
	s_or_b64 s[18:19], s[18:19], s[20:21]
; %bb.1419:
	s_or_b64 exec, exec, s[10:11]
	v_mov_b32_e32 v6, 0
	v_mov_b32_e32 v7, 0
	s_and_saveexec_b64 s[10:11], s[18:19]
	s_cbranch_execz .LBB78_1421
; %bb.1420:
	v_and_b32_e32 v7, 0xffff, v11
	v_lshlrev_b32_e32 v6, 24, v11
	v_and_b32_e32 v11, 7, v7
	v_ffbh_u32_e32 v13, v11
	v_min_u32_e32 v13, 32, v13
	v_subrev_u32_e32 v14, 28, v13
	v_bfe_u32 v12, v7, 3, 4
	v_lshlrev_b32_e32 v7, v14, v7
	v_sub_u32_e32 v13, 29, v13
	v_and_b32_e32 v7, 7, v7
	v_cmp_eq_u32_e32 vcc, 0, v12
	v_cndmask_b32_e32 v12, v12, v13, vcc
	v_cndmask_b32_e32 v7, v11, v7, vcc
	v_mov_b32_e32 v11, 0x3b800000
	v_lshlrev_b32_e32 v7, 20, v7
	v_and_b32_e32 v6, 0x80000000, v6
	v_lshl_add_u32 v11, v12, 23, v11
	v_or3_b32 v6, v6, v11, v7
	v_trunc_f32_e32 v6, v6
	s_mov_b32 s13, 0x2f800000
	v_mul_f32_e64 v7, |v6|, s13
	v_floor_f32_e32 v7, v7
	s_mov_b32 s13, 0xcf800000
	v_fma_f32 v11, v7, s13, |v6|
	v_cvt_u32_f32_e32 v11, v11
	v_cvt_u32_f32_e32 v7, v7
	v_ashrrev_i32_e32 v12, 31, v6
	v_xor_b32_e32 v6, v11, v12
	v_xor_b32_e32 v7, v7, v12
	v_sub_co_u32_e32 v6, vcc, v6, v12
	v_subb_co_u32_e32 v7, vcc, v7, v12, vcc
.LBB78_1421:
	s_or_b64 exec, exec, s[10:11]
.LBB78_1422:
	s_mov_b64 s[10:11], -1
.LBB78_1423:
	s_mov_b64 s[18:19], 0
.LBB78_1424:
	s_and_b64 vcc, exec, s[18:19]
	s_cbranch_vccz .LBB78_1453
; %bb.1425:
	s_cmp_gt_i32 s22, 22
	s_cbranch_scc0 .LBB78_1435
; %bb.1426:
	s_cmp_lt_i32 s22, 24
	s_cbranch_scc1 .LBB78_1436
; %bb.1427:
	s_cmp_gt_i32 s22, 24
	s_cbranch_scc0 .LBB78_1437
; %bb.1428:
	global_load_ubyte v11, v[8:9], off
	s_movk_i32 s4, 0x7f
	s_mov_b64 s[10:11], 0
	s_waitcnt vmcnt(0)
	v_cmp_lt_i16_e32 vcc, s4, v11
	s_and_saveexec_b64 s[4:5], vcc
	s_xor_b64 s[4:5], exec, s[4:5]
; %bb.1429:
	s_movk_i32 s10, 0x80
	v_cmp_ne_u16_e32 vcc, s10, v11
	s_and_b64 s[10:11], vcc, exec
; %bb.1430:
	s_andn2_saveexec_b64 s[4:5], s[4:5]
; %bb.1431:
	v_cmp_ne_u16_e32 vcc, 0, v11
	s_andn2_b64 s[10:11], s[10:11], exec
	s_and_b64 s[18:19], vcc, exec
	s_or_b64 s[10:11], s[10:11], s[18:19]
; %bb.1432:
	s_or_b64 exec, exec, s[4:5]
	v_mov_b32_e32 v6, 0
	v_mov_b32_e32 v7, 0
	s_and_saveexec_b64 s[4:5], s[10:11]
	s_cbranch_execz .LBB78_1434
; %bb.1433:
	v_and_b32_e32 v7, 0xffff, v11
	v_lshlrev_b32_e32 v6, 24, v11
	v_and_b32_e32 v11, 3, v7
	v_ffbh_u32_e32 v13, v11
	v_min_u32_e32 v13, 32, v13
	v_subrev_u32_e32 v14, 29, v13
	v_bfe_u32 v12, v7, 2, 5
	v_lshlrev_b32_e32 v7, v14, v7
	v_sub_u32_e32 v13, 30, v13
	v_and_b32_e32 v7, 3, v7
	v_cmp_eq_u32_e32 vcc, 0, v12
	v_cndmask_b32_e32 v12, v12, v13, vcc
	v_cndmask_b32_e32 v7, v11, v7, vcc
	v_mov_b32_e32 v11, 0x37800000
	v_lshlrev_b32_e32 v7, 21, v7
	v_and_b32_e32 v6, 0x80000000, v6
	v_lshl_add_u32 v11, v12, 23, v11
	v_or3_b32 v6, v6, v11, v7
	v_trunc_f32_e32 v6, v6
	s_mov_b32 s10, 0x2f800000
	v_mul_f32_e64 v7, |v6|, s10
	v_floor_f32_e32 v7, v7
	s_mov_b32 s10, 0xcf800000
	v_fma_f32 v11, v7, s10, |v6|
	v_cvt_u32_f32_e32 v11, v11
	v_cvt_u32_f32_e32 v7, v7
	v_ashrrev_i32_e32 v12, 31, v6
	v_xor_b32_e32 v6, v11, v12
	v_xor_b32_e32 v7, v7, v12
	v_sub_co_u32_e32 v6, vcc, v6, v12
	v_subb_co_u32_e32 v7, vcc, v7, v12, vcc
.LBB78_1434:
	s_or_b64 exec, exec, s[4:5]
	s_mov_b64 s[4:5], 0
	s_branch .LBB78_1438
.LBB78_1435:
	s_mov_b64 s[4:5], -1
                                        ; implicit-def: $vgpr6_vgpr7
	s_branch .LBB78_1444
.LBB78_1436:
	s_mov_b64 s[4:5], -1
                                        ; implicit-def: $vgpr6_vgpr7
	s_branch .LBB78_1441
.LBB78_1437:
	s_mov_b64 s[4:5], -1
                                        ; implicit-def: $vgpr6_vgpr7
.LBB78_1438:
	s_and_b64 vcc, exec, s[4:5]
	s_cbranch_vccz .LBB78_1440
; %bb.1439:
	global_load_ubyte v6, v[8:9], off
	s_mov_b32 s4, 0x7f800000
	s_brev_b32 s5, 1
	s_mov_b32 s10, 0x2f800000
	s_mov_b32 s11, 0xcf800000
	s_waitcnt vmcnt(0)
	v_lshlrev_b32_e32 v6, 24, v6
	v_and_b32_e32 v7, 0x7f000000, v6
	v_ffbh_u32_e32 v11, v7
	v_min_u32_e32 v11, 32, v11
	v_sub_u32_e64 v11, v11, 4 clamp
	v_lshlrev_b32_e32 v13, v11, v7
	v_lshlrev_b32_e32 v11, 23, v11
	v_lshrrev_b32_e32 v13, 4, v13
	v_add_u32_e32 v12, 0x1000000, v7
	v_sub_u32_e32 v11, v13, v11
	v_ashrrev_i32_e32 v12, 8, v12
	v_add_u32_e32 v11, 0x3c000000, v11
	v_and_or_b32 v11, v12, s4, v11
	v_cmp_ne_u32_e32 vcc, 0, v7
	v_cndmask_b32_e32 v7, 0, v11, vcc
	v_and_or_b32 v6, v6, s5, v7
	v_trunc_f32_e32 v6, v6
	v_mul_f32_e64 v7, |v6|, s10
	v_floor_f32_e32 v7, v7
	v_fma_f32 v11, v7, s11, |v6|
	v_cvt_u32_f32_e32 v11, v11
	v_cvt_u32_f32_e32 v7, v7
	v_ashrrev_i32_e32 v12, 31, v6
	v_xor_b32_e32 v6, v11, v12
	v_xor_b32_e32 v7, v7, v12
	v_sub_co_u32_e32 v6, vcc, v6, v12
	v_subb_co_u32_e32 v7, vcc, v7, v12, vcc
.LBB78_1440:
	s_mov_b64 s[4:5], 0
.LBB78_1441:
	s_andn2_b64 vcc, exec, s[4:5]
	s_cbranch_vccnz .LBB78_1443
; %bb.1442:
	global_load_ubyte v6, v[8:9], off
	s_movk_i32 s4, 0x7f00
	s_brev_b32 s5, 16
	s_brev_b32 s10, 1
	s_mov_b32 s11, 0x2f800000
	s_mov_b32 s13, 0xcf800000
	s_waitcnt vmcnt(0)
	v_lshlrev_b16_e32 v7, 8, v6
	v_lshlrev_b32_e32 v6, 25, v6
	v_lshrrev_b32_e32 v11, 4, v6
	v_and_or_b32 v12, v7, s4, 0.5
	v_or_b32_e32 v11, 0x70000000, v11
	v_add_f32_e32 v12, -0.5, v12
	v_mul_f32_e32 v11, 0x7800000, v11
	v_cmp_gt_u32_e32 vcc, s5, v6
	v_bfe_i32 v7, v7, 0, 16
	v_cndmask_b32_e32 v6, v11, v12, vcc
	v_and_or_b32 v6, v7, s10, v6
	v_trunc_f32_e32 v6, v6
	v_mul_f32_e64 v7, |v6|, s11
	v_floor_f32_e32 v7, v7
	v_fma_f32 v11, v7, s13, |v6|
	v_cvt_u32_f32_e32 v11, v11
	v_cvt_u32_f32_e32 v7, v7
	v_ashrrev_i32_e32 v12, 31, v6
	v_xor_b32_e32 v6, v11, v12
	v_xor_b32_e32 v7, v7, v12
	v_sub_co_u32_e32 v6, vcc, v6, v12
	v_subb_co_u32_e32 v7, vcc, v7, v12, vcc
.LBB78_1443:
	s_mov_b64 s[4:5], 0
	s_mov_b64 s[10:11], -1
.LBB78_1444:
	s_andn2_b64 vcc, exec, s[4:5]
	s_mov_b64 s[4:5], 0
	s_cbranch_vccnz .LBB78_1453
; %bb.1445:
	s_cmp_gt_i32 s22, 14
	s_cbranch_scc0 .LBB78_1448
; %bb.1446:
	s_cmp_eq_u32 s22, 15
	s_cbranch_scc0 .LBB78_1449
; %bb.1447:
	global_load_ushort v6, v[8:9], off
	s_mov_b32 s0, 0x2f800000
	s_mov_b32 s1, 0xcf800000
	s_mov_b64 s[10:11], -1
	s_waitcnt vmcnt(0)
	v_lshlrev_b32_e32 v6, 16, v6
	v_trunc_f32_e32 v6, v6
	v_mul_f32_e64 v7, |v6|, s0
	v_floor_f32_e32 v7, v7
	v_fma_f32 v11, v7, s1, |v6|
	v_cvt_u32_f32_e32 v11, v11
	v_cvt_u32_f32_e32 v7, v7
	v_ashrrev_i32_e32 v12, 31, v6
	s_mov_b64 s[0:1], 0
	v_xor_b32_e32 v6, v11, v12
	v_xor_b32_e32 v7, v7, v12
	v_sub_co_u32_e32 v6, vcc, v6, v12
	v_subb_co_u32_e32 v7, vcc, v7, v12, vcc
	s_branch .LBB78_1450
.LBB78_1448:
	s_mov_b64 s[18:19], -1
                                        ; implicit-def: $vgpr6_vgpr7
	s_branch .LBB78_1451
.LBB78_1449:
	s_mov_b64 s[0:1], -1
                                        ; implicit-def: $vgpr6_vgpr7
.LBB78_1450:
	s_mov_b64 s[18:19], 0
.LBB78_1451:
	s_and_b64 vcc, exec, s[18:19]
	s_cbranch_vccz .LBB78_1453
; %bb.1452:
	s_cmp_lg_u32 s22, 11
	s_mov_b64 s[4:5], -1
	s_cselect_b64 s[0:1], -1, 0
.LBB78_1453:
	s_and_b64 vcc, exec, s[0:1]
	s_cbranch_vccnz .LBB78_1986
; %bb.1454:
	s_andn2_b64 vcc, exec, s[4:5]
	s_cbranch_vccnz .LBB78_1456
.LBB78_1455:
	global_load_ubyte v6, v[8:9], off
	s_mov_b32 s0, 0
	s_waitcnt vmcnt(1)
	v_mov_b32_e32 v7, s0
	s_mov_b64 s[10:11], -1
	s_waitcnt vmcnt(0)
	v_cmp_ne_u16_e32 vcc, 0, v6
	v_cndmask_b32_e64 v6, 0, 1, vcc
.LBB78_1456:
	s_mov_b64 s[0:1], 0
.LBB78_1457:
	s_and_b64 vcc, exec, s[0:1]
	s_cbranch_vccz .LBB78_1506
; %bb.1458:
	s_cmp_lt_i32 s22, 5
	s_cbranch_scc1 .LBB78_1463
; %bb.1459:
	s_cmp_lt_i32 s22, 8
	s_cbranch_scc1 .LBB78_1464
	;; [unrolled: 3-line block ×3, first 2 shown]
; %bb.1461:
	s_cmp_gt_i32 s22, 9
	s_cbranch_scc0 .LBB78_1466
; %bb.1462:
	global_load_dwordx2 v[6:7], v[8:9], off
	s_movk_i32 s0, 0xffe0
	s_waitcnt vmcnt(0)
	v_trunc_f64_e32 v[6:7], v[6:7]
	v_ldexp_f64 v[11:12], v[6:7], s0
	s_mov_b32 s0, 0
	s_mov_b32 s1, 0xc1f00000
	v_floor_f64_e32 v[11:12], v[11:12]
	v_fma_f64 v[13:14], v[11:12], s[0:1], v[6:7]
	v_cvt_i32_f64_e32 v7, v[11:12]
	s_mov_b64 s[0:1], 0
	v_cvt_u32_f64_e32 v6, v[13:14]
	s_branch .LBB78_1467
.LBB78_1463:
	s_mov_b64 s[0:1], -1
                                        ; implicit-def: $vgpr6_vgpr7
	s_branch .LBB78_1485
.LBB78_1464:
	s_mov_b64 s[0:1], -1
                                        ; implicit-def: $vgpr6_vgpr7
	s_branch .LBB78_1473
.LBB78_1465:
	s_mov_b64 s[0:1], -1
                                        ; implicit-def: $vgpr6_vgpr7
	s_branch .LBB78_1470
.LBB78_1466:
	s_mov_b64 s[0:1], -1
                                        ; implicit-def: $vgpr6_vgpr7
.LBB78_1467:
	s_andn2_b64 vcc, exec, s[0:1]
	s_cbranch_vccnz .LBB78_1469
; %bb.1468:
	global_load_dword v6, v[8:9], off
	s_mov_b32 s0, 0x2f800000
	s_mov_b32 s1, 0xcf800000
	s_waitcnt vmcnt(0)
	v_trunc_f32_e32 v6, v6
	v_mul_f32_e64 v7, |v6|, s0
	v_floor_f32_e32 v7, v7
	v_cvt_u32_f32_e32 v11, v7
	v_fma_f32 v7, v7, s1, |v6|
	v_cvt_u32_f32_e32 v7, v7
	v_ashrrev_i32_e32 v12, 31, v6
	v_xor_b32_e32 v11, v11, v12
	v_xor_b32_e32 v6, v7, v12
	v_sub_co_u32_e32 v6, vcc, v6, v12
	v_subb_co_u32_e32 v7, vcc, v11, v12, vcc
.LBB78_1469:
	s_mov_b64 s[0:1], 0
.LBB78_1470:
	s_andn2_b64 vcc, exec, s[0:1]
	s_cbranch_vccnz .LBB78_1472
; %bb.1471:
	global_load_dword v6, v[8:9], off
	s_waitcnt vmcnt(0)
	v_cvt_f32_f16_e32 v6, v6
	v_cvt_i32_f32_e32 v6, v6
	v_ashrrev_i32_e32 v7, 31, v6
.LBB78_1472:
	s_mov_b64 s[0:1], 0
.LBB78_1473:
	s_andn2_b64 vcc, exec, s[0:1]
	s_cbranch_vccnz .LBB78_1484
; %bb.1474:
	s_cmp_lt_i32 s22, 6
	s_cbranch_scc1 .LBB78_1477
; %bb.1475:
	s_cmp_gt_i32 s22, 6
	s_cbranch_scc0 .LBB78_1478
; %bb.1476:
	global_load_dwordx2 v[6:7], v[8:9], off
	s_movk_i32 s0, 0xffe0
	s_waitcnt vmcnt(0)
	v_trunc_f64_e32 v[6:7], v[6:7]
	v_ldexp_f64 v[11:12], v[6:7], s0
	s_mov_b32 s0, 0
	s_mov_b32 s1, 0xc1f00000
	v_floor_f64_e32 v[11:12], v[11:12]
	v_fma_f64 v[13:14], v[11:12], s[0:1], v[6:7]
	v_cvt_i32_f64_e32 v7, v[11:12]
	s_mov_b64 s[0:1], 0
	v_cvt_u32_f64_e32 v6, v[13:14]
	s_branch .LBB78_1479
.LBB78_1477:
	s_mov_b64 s[0:1], -1
                                        ; implicit-def: $vgpr6_vgpr7
	s_branch .LBB78_1482
.LBB78_1478:
	s_mov_b64 s[0:1], -1
                                        ; implicit-def: $vgpr6_vgpr7
.LBB78_1479:
	s_andn2_b64 vcc, exec, s[0:1]
	s_cbranch_vccnz .LBB78_1481
; %bb.1480:
	global_load_dword v6, v[8:9], off
	s_mov_b32 s0, 0x2f800000
	s_mov_b32 s1, 0xcf800000
	s_waitcnt vmcnt(0)
	v_trunc_f32_e32 v6, v6
	v_mul_f32_e64 v7, |v6|, s0
	v_floor_f32_e32 v7, v7
	v_cvt_u32_f32_e32 v11, v7
	v_fma_f32 v7, v7, s1, |v6|
	v_cvt_u32_f32_e32 v7, v7
	v_ashrrev_i32_e32 v12, 31, v6
	v_xor_b32_e32 v11, v11, v12
	v_xor_b32_e32 v6, v7, v12
	v_sub_co_u32_e32 v6, vcc, v6, v12
	v_subb_co_u32_e32 v7, vcc, v11, v12, vcc
.LBB78_1481:
	s_mov_b64 s[0:1], 0
.LBB78_1482:
	s_andn2_b64 vcc, exec, s[0:1]
	s_cbranch_vccnz .LBB78_1484
; %bb.1483:
	global_load_ushort v6, v[8:9], off
	s_waitcnt vmcnt(0)
	v_cvt_f32_f16_e32 v6, v6
	v_cvt_i32_f32_e32 v6, v6
	v_ashrrev_i32_e32 v7, 31, v6
.LBB78_1484:
	s_mov_b64 s[0:1], 0
.LBB78_1485:
	s_andn2_b64 vcc, exec, s[0:1]
	s_cbranch_vccnz .LBB78_1505
; %bb.1486:
	s_cmp_lt_i32 s22, 2
	s_cbranch_scc1 .LBB78_1490
; %bb.1487:
	s_cmp_lt_i32 s22, 3
	s_cbranch_scc1 .LBB78_1491
; %bb.1488:
	s_cmp_gt_i32 s22, 3
	s_cbranch_scc0 .LBB78_1492
; %bb.1489:
	global_load_dwordx2 v[6:7], v[8:9], off
	s_mov_b64 s[0:1], 0
	s_branch .LBB78_1493
.LBB78_1490:
	s_mov_b64 s[0:1], -1
                                        ; implicit-def: $vgpr6_vgpr7
	s_branch .LBB78_1499
.LBB78_1491:
	s_mov_b64 s[0:1], -1
                                        ; implicit-def: $vgpr6_vgpr7
	s_branch .LBB78_1496
.LBB78_1492:
	s_mov_b64 s[0:1], -1
                                        ; implicit-def: $vgpr6_vgpr7
.LBB78_1493:
	s_andn2_b64 vcc, exec, s[0:1]
	s_cbranch_vccnz .LBB78_1495
; %bb.1494:
	global_load_dword v6, v[8:9], off
	s_waitcnt vmcnt(0)
	v_ashrrev_i32_e32 v7, 31, v6
.LBB78_1495:
	s_mov_b64 s[0:1], 0
.LBB78_1496:
	s_andn2_b64 vcc, exec, s[0:1]
	s_cbranch_vccnz .LBB78_1498
; %bb.1497:
	global_load_ushort v6, v[8:9], off
	s_waitcnt vmcnt(0)
	v_bfe_i32 v6, v6, 0, 16
	v_ashrrev_i32_e32 v7, 31, v6
.LBB78_1498:
	s_mov_b64 s[0:1], 0
.LBB78_1499:
	s_andn2_b64 vcc, exec, s[0:1]
	s_cbranch_vccnz .LBB78_1505
; %bb.1500:
	s_cmp_gt_i32 s22, 0
	s_cbranch_scc0 .LBB78_1502
; %bb.1501:
	global_load_sbyte v6, v[8:9], off
	s_mov_b64 s[0:1], 0
	s_waitcnt vmcnt(0)
	v_bfe_i32 v6, v6, 0, 16
	v_ashrrev_i32_e32 v7, 31, v6
	s_branch .LBB78_1503
.LBB78_1502:
	s_mov_b64 s[0:1], -1
                                        ; implicit-def: $vgpr6_vgpr7
.LBB78_1503:
	s_andn2_b64 vcc, exec, s[0:1]
	s_cbranch_vccnz .LBB78_1505
; %bb.1504:
	global_load_ubyte v6, v[8:9], off
	s_mov_b32 s0, 0
	s_waitcnt vmcnt(1)
	v_mov_b32_e32 v7, s0
	s_waitcnt vmcnt(0)
	v_and_b32_e32 v6, 0xffff, v6
.LBB78_1505:
	s_mov_b64 s[10:11], -1
.LBB78_1506:
	s_andn2_b64 vcc, exec, s[10:11]
	s_cbranch_vccnz .LBB78_1940
; %bb.1507:
	v_mul_lo_u32 v10, s12, v10
	s_waitcnt vmcnt(0)
	v_lshlrev_b64 v[8:9], v0, s[2:3]
	v_cmp_gt_u64_e32 vcc, 64, v[0:1]
	v_mov_b32_e32 v11, s9
	v_cndmask_b32_e32 v1, 0, v9, vcc
	v_cndmask_b32_e32 v0, 0, v8, vcc
	v_ashrrev_i32_e32 v9, 31, v10
	s_and_b32 s22, s33, 0xff
	v_add_co_u32_e32 v8, vcc, s8, v10
	s_cmp_lt_i32 s22, 11
	v_addc_co_u32_e32 v9, vcc, v11, v9, vcc
	s_cbranch_scc1 .LBB78_1585
; %bb.1508:
	s_and_b32 s13, 0xffff, s22
	s_mov_b64 s[18:19], -1
	s_mov_b64 s[4:5], 0
	s_cmp_gt_i32 s13, 25
	s_mov_b64 s[10:11], 0
	s_mov_b64 s[0:1], 0
	s_cbranch_scc0 .LBB78_1541
; %bb.1509:
	s_cmp_gt_i32 s13, 28
	s_cbranch_scc0 .LBB78_1524
; %bb.1510:
	s_cmp_gt_i32 s13, 43
	;; [unrolled: 3-line block ×3, first 2 shown]
	s_cbranch_scc0 .LBB78_1514
; %bb.1512:
	s_mov_b64 s[0:1], -1
	s_mov_b64 s[18:19], 0
	s_cmp_eq_u32 s13, 46
	s_cbranch_scc0 .LBB78_1514
; %bb.1513:
	v_xor_b32_e32 v12, v0, v1
	v_ffbh_i32_e32 v11, v1
	v_ashrrev_i32_e32 v12, 31, v12
	v_add_u32_e32 v11, -1, v11
	v_add_u32_e32 v12, 32, v12
	v_min_u32_e32 v13, v11, v12
	v_lshlrev_b64 v[11:12], v13, v[0:1]
	s_movk_i32 s0, 0x7fff
	v_min_u32_e32 v11, 1, v11
	v_or_b32_e32 v11, v12, v11
	v_cvt_f32_i32_e32 v11, v11
	v_sub_u32_e32 v12, 32, v13
	s_mov_b64 s[10:11], -1
	v_ldexp_f32 v11, v11, v12
	v_bfe_u32 v12, v11, 16, 1
	v_add3_u32 v11, v11, v12, s0
	v_lshrrev_b32_e32 v11, 16, v11
	global_store_dword v[8:9], v11, off
	s_mov_b64 s[0:1], 0
.LBB78_1514:
	s_and_b64 vcc, exec, s[18:19]
	s_cbranch_vccz .LBB78_1519
; %bb.1515:
	s_cmp_eq_u32 s13, 44
	s_mov_b64 s[0:1], -1
	s_cbranch_scc0 .LBB78_1519
; %bb.1516:
	v_xor_b32_e32 v12, v0, v1
	v_ffbh_i32_e32 v11, v1
	v_ashrrev_i32_e32 v12, 31, v12
	v_add_u32_e32 v11, -1, v11
	v_add_u32_e32 v12, 32, v12
	v_min_u32_e32 v13, v11, v12
	v_lshlrev_b64 v[11:12], v13, v[0:1]
	s_movk_i32 s0, 0xff
	v_min_u32_e32 v11, 1, v11
	v_or_b32_e32 v11, v12, v11
	v_cvt_f32_i32_e32 v11, v11
	v_sub_u32_e32 v12, 32, v13
	v_mov_b32_e32 v13, 0xff
	v_ldexp_f32 v11, v11, v12
	v_bfe_u32 v12, v11, 23, 8
	v_cmp_ne_u32_e32 vcc, s0, v12
	s_and_saveexec_b64 s[10:11], vcc
; %bb.1517:
	s_mov_b32 s0, 0x3fffff
	v_lshrrev_b32_e32 v13, 23, v11
	v_and_b32_e32 v14, 0x400000, v11
	v_and_or_b32 v11, v11, s0, v12
	v_cmp_ne_u32_e32 vcc, 0, v14
	v_cmp_ne_u32_e64 s[0:1], 0, v11
	s_and_b64 s[0:1], vcc, s[0:1]
	v_cndmask_b32_e64 v11, 0, 1, s[0:1]
	v_add_u32_e32 v13, v13, v11
; %bb.1518:
	s_or_b64 exec, exec, s[10:11]
	s_mov_b64 s[0:1], 0
	s_mov_b64 s[10:11], -1
	global_store_byte v[8:9], v13, off
.LBB78_1519:
	s_mov_b64 s[18:19], 0
.LBB78_1520:
	s_and_b64 vcc, exec, s[18:19]
	s_cbranch_vccz .LBB78_1523
; %bb.1521:
	s_cmp_eq_u32 s13, 29
	s_mov_b64 s[0:1], -1
	s_cbranch_scc0 .LBB78_1523
; %bb.1522:
	global_store_dwordx2 v[8:9], v[0:1], off
	s_mov_b64 s[0:1], 0
	s_mov_b64 s[10:11], -1
.LBB78_1523:
	s_mov_b64 s[18:19], 0
.LBB78_1524:
	s_and_b64 vcc, exec, s[18:19]
	s_cbranch_vccz .LBB78_1540
; %bb.1525:
	s_cmp_lt_i32 s13, 27
	s_mov_b64 s[10:11], -1
	s_cbranch_scc1 .LBB78_1531
; %bb.1526:
	s_cmp_gt_i32 s13, 27
	s_cbranch_scc0 .LBB78_1528
; %bb.1527:
	s_mov_b64 s[10:11], 0
	global_store_dword v[8:9], v0, off
.LBB78_1528:
	s_andn2_b64 vcc, exec, s[10:11]
	s_cbranch_vccnz .LBB78_1530
; %bb.1529:
	global_store_short v[8:9], v0, off
.LBB78_1530:
	s_mov_b64 s[10:11], 0
.LBB78_1531:
	s_andn2_b64 vcc, exec, s[10:11]
	s_cbranch_vccnz .LBB78_1539
; %bb.1532:
	v_xor_b32_e32 v12, v0, v1
	v_ffbh_i32_e32 v11, v1
	v_ashrrev_i32_e32 v12, 31, v12
	v_add_u32_e32 v11, -1, v11
	v_add_u32_e32 v12, 32, v12
	v_min_u32_e32 v13, v11, v12
	v_lshlrev_b64 v[11:12], v13, v[0:1]
	s_mov_b32 s10, 0x43800000
	v_min_u32_e32 v11, 1, v11
	v_or_b32_e32 v11, v12, v11
	v_cvt_f32_i32_e32 v11, v11
	v_sub_u32_e32 v12, 32, v13
	v_mov_b32_e32 v13, 0x80
	v_ldexp_f32 v11, v11, v12
	v_and_b32_e32 v12, 0x7fffffff, v11
	v_cmp_gt_u32_e32 vcc, s10, v12
	s_and_saveexec_b64 s[10:11], vcc
	s_cbranch_execz .LBB78_1538
; %bb.1533:
	s_mov_b32 s18, 0x3bffffff
	v_cmp_lt_u32_e32 vcc, s18, v12
	s_mov_b64 s[18:19], 0
                                        ; implicit-def: $vgpr12
	s_and_saveexec_b64 s[20:21], vcc
	s_xor_b64 s[20:21], exec, s[20:21]
	s_cbranch_execz .LBB78_1987
; %bb.1534:
	v_bfe_u32 v12, v11, 20, 1
	s_mov_b32 s23, 0x487ffff
	v_add3_u32 v12, v11, v12, s23
	s_mov_b64 s[18:19], exec
	v_lshrrev_b32_e32 v12, 20, v12
	s_andn2_saveexec_b64 s[20:21], s[20:21]
	s_cbranch_execnz .LBB78_1988
.LBB78_1535:
	s_or_b64 exec, exec, s[20:21]
	v_mov_b32_e32 v13, 0
	s_and_saveexec_b64 s[20:21], s[18:19]
.LBB78_1536:
	v_lshrrev_b32_e32 v11, 24, v11
	s_movk_i32 s18, 0x80
	v_and_or_b32 v13, v11, s18, v12
.LBB78_1537:
	s_or_b64 exec, exec, s[20:21]
.LBB78_1538:
	s_or_b64 exec, exec, s[10:11]
	global_store_byte v[8:9], v13, off
.LBB78_1539:
	s_mov_b64 s[10:11], -1
.LBB78_1540:
	s_mov_b64 s[18:19], 0
.LBB78_1541:
	s_and_b64 vcc, exec, s[18:19]
	s_cbranch_vccz .LBB78_1581
; %bb.1542:
	s_cmp_gt_i32 s13, 22
	s_mov_b64 s[4:5], -1
	s_cbranch_scc0 .LBB78_1574
; %bb.1543:
	s_cmp_lt_i32 s13, 24
	s_cbranch_scc1 .LBB78_1563
; %bb.1544:
	s_cmp_gt_i32 s13, 24
	s_cbranch_scc0 .LBB78_1552
; %bb.1545:
	v_xor_b32_e32 v12, v0, v1
	v_ffbh_i32_e32 v11, v1
	v_ashrrev_i32_e32 v12, 31, v12
	v_add_u32_e32 v11, -1, v11
	v_add_u32_e32 v12, 32, v12
	v_min_u32_e32 v13, v11, v12
	v_lshlrev_b64 v[11:12], v13, v[0:1]
	s_mov_b32 s4, 0x47800000
	v_min_u32_e32 v11, 1, v11
	v_or_b32_e32 v11, v12, v11
	v_cvt_f32_i32_e32 v11, v11
	v_sub_u32_e32 v12, 32, v13
	v_mov_b32_e32 v13, 0x80
	v_ldexp_f32 v11, v11, v12
	v_and_b32_e32 v12, 0x7fffffff, v11
	v_cmp_gt_u32_e32 vcc, s4, v12
	s_and_saveexec_b64 s[4:5], vcc
	s_cbranch_execz .LBB78_1551
; %bb.1546:
	s_mov_b32 s10, 0x37ffffff
	v_cmp_lt_u32_e32 vcc, s10, v12
	s_mov_b64 s[10:11], 0
                                        ; implicit-def: $vgpr12
	s_and_saveexec_b64 s[18:19], vcc
	s_xor_b64 s[18:19], exec, s[18:19]
	s_cbranch_execz .LBB78_1990
; %bb.1547:
	v_bfe_u32 v12, v11, 21, 1
	s_mov_b32 s20, 0x88fffff
	v_add3_u32 v12, v11, v12, s20
	s_mov_b64 s[10:11], exec
	v_lshrrev_b32_e32 v12, 21, v12
	s_andn2_saveexec_b64 s[18:19], s[18:19]
	s_cbranch_execnz .LBB78_1991
.LBB78_1548:
	s_or_b64 exec, exec, s[18:19]
	v_mov_b32_e32 v13, 0
	s_and_saveexec_b64 s[18:19], s[10:11]
.LBB78_1549:
	v_lshrrev_b32_e32 v11, 24, v11
	s_movk_i32 s10, 0x80
	v_and_or_b32 v13, v11, s10, v12
.LBB78_1550:
	s_or_b64 exec, exec, s[18:19]
.LBB78_1551:
	s_or_b64 exec, exec, s[4:5]
	s_mov_b64 s[4:5], 0
	global_store_byte v[8:9], v13, off
.LBB78_1552:
	s_and_b64 vcc, exec, s[4:5]
	s_cbranch_vccz .LBB78_1562
; %bb.1553:
	v_xor_b32_e32 v12, v0, v1
	v_ffbh_i32_e32 v11, v1
	v_ashrrev_i32_e32 v12, 31, v12
	v_add_u32_e32 v11, -1, v11
	v_add_u32_e32 v12, 32, v12
	v_min_u32_e32 v13, v11, v12
	v_lshlrev_b64 v[11:12], v13, v[0:1]
	s_mov_b32 s4, 0x43f00000
	v_min_u32_e32 v11, 1, v11
	v_or_b32_e32 v11, v12, v11
	v_cvt_f32_i32_e32 v11, v11
	v_sub_u32_e32 v12, 32, v13
	v_ldexp_f32 v11, v11, v12
	v_and_b32_e32 v13, 0x7fffffff, v11
	v_cmp_gt_u32_e32 vcc, s4, v13
                                        ; implicit-def: $vgpr12
	s_and_saveexec_b64 s[4:5], vcc
	s_xor_b64 s[4:5], exec, s[4:5]
	s_cbranch_execz .LBB78_1559
; %bb.1554:
	s_mov_b32 s10, 0x3c7fffff
	v_cmp_lt_u32_e32 vcc, s10, v13
                                        ; implicit-def: $vgpr12
	s_and_saveexec_b64 s[10:11], vcc
	s_xor_b64 s[10:11], exec, s[10:11]
; %bb.1555:
	v_bfe_u32 v12, v11, 20, 1
	s_mov_b32 s18, 0x407ffff
	v_add3_u32 v12, v11, v12, s18
	v_lshrrev_b32_e32 v13, 20, v12
	v_and_b32_e32 v12, 0xff00000, v12
	s_mov_b32 s18, 0x7f00000
	v_mov_b32_e32 v14, 0x7e
	v_cmp_ne_u32_e32 vcc, s18, v12
	v_cndmask_b32_e32 v12, v14, v13, vcc
; %bb.1556:
	s_andn2_saveexec_b64 s[10:11], s[10:11]
; %bb.1557:
	s_mov_b32 s18, 0x46800000
	v_add_f32_e64 v12, |v11|, s18
; %bb.1558:
	s_or_b64 exec, exec, s[10:11]
                                        ; implicit-def: $vgpr13
.LBB78_1559:
	s_andn2_saveexec_b64 s[4:5], s[4:5]
; %bb.1560:
	s_mov_b32 s10, 0x7f800000
	v_mov_b32_e32 v12, 0x7e
	v_mov_b32_e32 v14, 0x7f
	v_cmp_lt_u32_e32 vcc, s10, v13
	v_cndmask_b32_e32 v12, v12, v14, vcc
; %bb.1561:
	s_or_b64 exec, exec, s[4:5]
	v_lshrrev_b32_e32 v11, 24, v11
	s_movk_i32 s4, 0x80
	v_and_or_b32 v11, v11, s4, v12
	global_store_byte v[8:9], v11, off
.LBB78_1562:
	s_mov_b64 s[4:5], 0
.LBB78_1563:
	s_andn2_b64 vcc, exec, s[4:5]
	s_cbranch_vccnz .LBB78_1573
; %bb.1564:
	v_xor_b32_e32 v12, v0, v1
	v_ffbh_i32_e32 v11, v1
	v_ashrrev_i32_e32 v12, 31, v12
	v_add_u32_e32 v11, -1, v11
	v_add_u32_e32 v12, 32, v12
	v_min_u32_e32 v13, v11, v12
	v_lshlrev_b64 v[11:12], v13, v[0:1]
	s_mov_b32 s4, 0x47800000
	v_min_u32_e32 v11, 1, v11
	v_or_b32_e32 v11, v12, v11
	v_cvt_f32_i32_e32 v11, v11
	v_sub_u32_e32 v12, 32, v13
	v_ldexp_f32 v11, v11, v12
	v_and_b32_e32 v13, 0x7fffffff, v11
	v_cmp_gt_u32_e32 vcc, s4, v13
                                        ; implicit-def: $vgpr12
	s_and_saveexec_b64 s[4:5], vcc
	s_xor_b64 s[4:5], exec, s[4:5]
	s_cbranch_execz .LBB78_1570
; %bb.1565:
	s_mov_b32 s10, 0x387fffff
	v_cmp_lt_u32_e32 vcc, s10, v13
                                        ; implicit-def: $vgpr12
	s_and_saveexec_b64 s[10:11], vcc
	s_xor_b64 s[10:11], exec, s[10:11]
; %bb.1566:
	v_bfe_u32 v12, v11, 21, 1
	s_mov_b32 s18, 0x80fffff
	v_add3_u32 v12, v11, v12, s18
	v_lshrrev_b32_e32 v12, 21, v12
; %bb.1567:
	s_andn2_saveexec_b64 s[10:11], s[10:11]
; %bb.1568:
	s_mov_b32 s18, 0x43000000
	v_add_f32_e64 v12, |v11|, s18
; %bb.1569:
	s_or_b64 exec, exec, s[10:11]
                                        ; implicit-def: $vgpr13
.LBB78_1570:
	s_andn2_saveexec_b64 s[4:5], s[4:5]
; %bb.1571:
	s_mov_b32 s10, 0x7f800000
	v_mov_b32_e32 v12, 0x7c
	v_mov_b32_e32 v14, 0x7f
	v_cmp_lt_u32_e32 vcc, s10, v13
	v_cndmask_b32_e32 v12, v12, v14, vcc
; %bb.1572:
	s_or_b64 exec, exec, s[4:5]
	v_lshrrev_b32_e32 v11, 24, v11
	s_movk_i32 s4, 0x80
	v_and_or_b32 v11, v11, s4, v12
	global_store_byte v[8:9], v11, off
.LBB78_1573:
	s_mov_b64 s[4:5], 0
	s_mov_b64 s[10:11], -1
.LBB78_1574:
	s_andn2_b64 vcc, exec, s[4:5]
	s_mov_b64 s[4:5], 0
	s_cbranch_vccnz .LBB78_1581
; %bb.1575:
	s_cmp_gt_i32 s13, 14
	s_mov_b64 s[18:19], -1
	s_cbranch_scc0 .LBB78_1579
; %bb.1576:
	s_cmp_eq_u32 s13, 15
	s_mov_b64 s[0:1], -1
	s_cbranch_scc0 .LBB78_1578
; %bb.1577:
	v_xor_b32_e32 v12, v0, v1
	v_ffbh_i32_e32 v11, v1
	v_ashrrev_i32_e32 v12, 31, v12
	v_add_u32_e32 v11, -1, v11
	v_add_u32_e32 v12, 32, v12
	v_min_u32_e32 v13, v11, v12
	v_lshlrev_b64 v[11:12], v13, v[0:1]
	s_movk_i32 s0, 0x7fff
	v_min_u32_e32 v11, 1, v11
	v_or_b32_e32 v11, v12, v11
	v_cvt_f32_i32_e32 v11, v11
	v_sub_u32_e32 v12, 32, v13
	s_mov_b64 s[10:11], -1
	v_ldexp_f32 v11, v11, v12
	v_bfe_u32 v12, v11, 16, 1
	v_add3_u32 v11, v11, v12, s0
	global_store_short_d16_hi v[8:9], v11, off
	s_mov_b64 s[0:1], 0
.LBB78_1578:
	s_mov_b64 s[18:19], 0
.LBB78_1579:
	s_and_b64 vcc, exec, s[18:19]
	s_cbranch_vccz .LBB78_1581
; %bb.1580:
	s_cmp_lg_u32 s13, 11
	s_mov_b64 s[4:5], -1
	s_cselect_b64 s[0:1], -1, 0
.LBB78_1581:
	s_and_b64 vcc, exec, s[0:1]
	s_cbranch_vccnz .LBB78_1989
; %bb.1582:
	s_andn2_b64 vcc, exec, s[4:5]
	s_cbranch_vccnz .LBB78_1584
.LBB78_1583:
	v_cmp_ne_u64_e32 vcc, 0, v[0:1]
	s_mov_b64 s[10:11], -1
	v_cndmask_b32_e64 v11, 0, 1, vcc
	global_store_byte v[8:9], v11, off
.LBB78_1584:
	s_mov_b64 s[0:1], 0
	s_branch .LBB78_1586
.LBB78_1585:
	s_mov_b64 s[0:1], -1
	s_mov_b64 s[10:11], 0
.LBB78_1586:
	s_and_b64 vcc, exec, s[0:1]
	s_cbranch_vccz .LBB78_1625
; %bb.1587:
	s_and_b32 s4, 0xffff, s22
	s_cmp_lt_i32 s4, 5
	s_mov_b64 s[0:1], -1
	s_cbranch_scc1 .LBB78_1608
; %bb.1588:
	s_cmp_lt_i32 s4, 8
	s_cbranch_scc1 .LBB78_1598
; %bb.1589:
	s_cmp_lt_i32 s4, 9
	s_cbranch_scc1 .LBB78_1595
; %bb.1590:
	s_cmp_gt_i32 s4, 9
	s_cbranch_scc0 .LBB78_1592
; %bb.1591:
	v_cvt_f64_i32_e32 v[11:12], v1
	v_cvt_f64_u32_e32 v[13:14], v0
	s_mov_b64 s[0:1], 0
	v_ldexp_f64 v[11:12], v[11:12], 32
	v_add_f64 v[11:12], v[11:12], v[13:14]
	v_mov_b32_e32 v13, 0
	v_mov_b32_e32 v14, v13
	global_store_dwordx4 v[8:9], v[11:14], off
.LBB78_1592:
	s_andn2_b64 vcc, exec, s[0:1]
	s_cbranch_vccnz .LBB78_1594
; %bb.1593:
	v_xor_b32_e32 v12, v0, v1
	v_ffbh_i32_e32 v11, v1
	v_ashrrev_i32_e32 v12, 31, v12
	v_add_u32_e32 v11, -1, v11
	v_add_u32_e32 v12, 32, v12
	v_min_u32_e32 v13, v11, v12
	v_lshlrev_b64 v[11:12], v13, v[0:1]
	v_min_u32_e32 v11, 1, v11
	v_or_b32_e32 v11, v12, v11
	v_cvt_f32_i32_e32 v11, v11
	v_sub_u32_e32 v12, 32, v13
	v_ldexp_f32 v11, v11, v12
	v_mov_b32_e32 v12, 0
	global_store_dwordx2 v[8:9], v[11:12], off
.LBB78_1594:
	s_mov_b64 s[0:1], 0
.LBB78_1595:
	s_andn2_b64 vcc, exec, s[0:1]
	s_cbranch_vccnz .LBB78_1597
; %bb.1596:
	v_xor_b32_e32 v12, v0, v1
	v_ffbh_i32_e32 v11, v1
	v_ashrrev_i32_e32 v12, 31, v12
	v_add_u32_e32 v11, -1, v11
	v_add_u32_e32 v12, 32, v12
	v_min_u32_e32 v13, v11, v12
	v_lshlrev_b64 v[11:12], v13, v[0:1]
	v_min_u32_e32 v11, 1, v11
	v_or_b32_e32 v11, v12, v11
	v_cvt_f32_i32_e32 v11, v11
	v_sub_u32_e32 v12, 32, v13
	v_ldexp_f32 v11, v11, v12
	v_cvt_f16_f32_e32 v11, v11
	global_store_dword v[8:9], v11, off
.LBB78_1597:
	s_mov_b64 s[0:1], 0
.LBB78_1598:
	s_andn2_b64 vcc, exec, s[0:1]
	s_cbranch_vccnz .LBB78_1607
; %bb.1599:
	s_cmp_lt_i32 s4, 6
	s_mov_b64 s[0:1], -1
	s_cbranch_scc1 .LBB78_1605
; %bb.1600:
	s_cmp_gt_i32 s4, 6
	s_cbranch_scc0 .LBB78_1602
; %bb.1601:
	v_cvt_f64_i32_e32 v[11:12], v1
	v_cvt_f64_u32_e32 v[13:14], v0
	s_mov_b64 s[0:1], 0
	v_ldexp_f64 v[11:12], v[11:12], 32
	v_add_f64 v[11:12], v[11:12], v[13:14]
	global_store_dwordx2 v[8:9], v[11:12], off
.LBB78_1602:
	s_andn2_b64 vcc, exec, s[0:1]
	s_cbranch_vccnz .LBB78_1604
; %bb.1603:
	v_xor_b32_e32 v12, v0, v1
	v_ffbh_i32_e32 v11, v1
	v_ashrrev_i32_e32 v12, 31, v12
	v_add_u32_e32 v11, -1, v11
	v_add_u32_e32 v12, 32, v12
	v_min_u32_e32 v13, v11, v12
	v_lshlrev_b64 v[11:12], v13, v[0:1]
	v_min_u32_e32 v11, 1, v11
	v_or_b32_e32 v11, v12, v11
	v_cvt_f32_i32_e32 v11, v11
	v_sub_u32_e32 v12, 32, v13
	v_ldexp_f32 v11, v11, v12
	global_store_dword v[8:9], v11, off
.LBB78_1604:
	s_mov_b64 s[0:1], 0
.LBB78_1605:
	s_andn2_b64 vcc, exec, s[0:1]
	s_cbranch_vccnz .LBB78_1607
; %bb.1606:
	v_xor_b32_e32 v12, v0, v1
	v_ffbh_i32_e32 v11, v1
	v_ashrrev_i32_e32 v12, 31, v12
	v_add_u32_e32 v11, -1, v11
	v_add_u32_e32 v12, 32, v12
	v_min_u32_e32 v13, v11, v12
	v_lshlrev_b64 v[11:12], v13, v[0:1]
	v_min_u32_e32 v11, 1, v11
	v_or_b32_e32 v11, v12, v11
	v_cvt_f32_i32_e32 v11, v11
	v_sub_u32_e32 v12, 32, v13
	v_ldexp_f32 v11, v11, v12
	v_cvt_f16_f32_e32 v11, v11
	global_store_short v[8:9], v11, off
.LBB78_1607:
	s_mov_b64 s[0:1], 0
.LBB78_1608:
	s_andn2_b64 vcc, exec, s[0:1]
	s_cbranch_vccnz .LBB78_1624
; %bb.1609:
	s_cmp_lt_i32 s4, 2
	s_mov_b64 s[0:1], -1
	s_cbranch_scc1 .LBB78_1619
; %bb.1610:
	s_cmp_lt_i32 s4, 3
	s_cbranch_scc1 .LBB78_1616
; %bb.1611:
	s_cmp_gt_i32 s4, 3
	s_cbranch_scc0 .LBB78_1613
; %bb.1612:
	global_store_dwordx2 v[8:9], v[0:1], off
	s_mov_b64 s[0:1], 0
.LBB78_1613:
	s_andn2_b64 vcc, exec, s[0:1]
	s_cbranch_vccnz .LBB78_1615
; %bb.1614:
	global_store_dword v[8:9], v0, off
.LBB78_1615:
	s_mov_b64 s[0:1], 0
.LBB78_1616:
	s_andn2_b64 vcc, exec, s[0:1]
	s_cbranch_vccnz .LBB78_1618
; %bb.1617:
	global_store_short v[8:9], v0, off
.LBB78_1618:
	s_mov_b64 s[0:1], 0
.LBB78_1619:
	s_andn2_b64 vcc, exec, s[0:1]
	s_cbranch_vccnz .LBB78_1624
; %bb.1620:
	s_cmp_gt_i32 s4, 0
	s_mov_b64 s[0:1], -1
	s_cbranch_scc0 .LBB78_1622
; %bb.1621:
	global_store_byte v[8:9], v0, off
	s_mov_b64 s[0:1], 0
.LBB78_1622:
	s_andn2_b64 vcc, exec, s[0:1]
	s_cbranch_vccnz .LBB78_1624
; %bb.1623:
	global_store_byte v[8:9], v0, off
.LBB78_1624:
	s_mov_b64 s[10:11], -1
.LBB78_1625:
	s_andn2_b64 vcc, exec, s[10:11]
	s_cbranch_vccnz .LBB78_1940
; %bb.1626:
	v_lshlrev_b64 v[0:1], v2, s[2:3]
	v_cmp_gt_u64_e32 vcc, 64, v[2:3]
	s_lshl_b32 s20, s12, 7
	v_add_u32_e32 v8, s20, v10
	v_cndmask_b32_e32 v1, 0, v1, vcc
	v_cndmask_b32_e32 v0, 0, v0, vcc
	v_ashrrev_i32_e32 v3, 31, v8
	v_mov_b32_e32 v9, s9
	v_add_co_u32_e32 v2, vcc, s8, v8
	s_cmp_lt_i32 s22, 11
	v_addc_co_u32_e32 v3, vcc, v9, v3, vcc
	s_cbranch_scc1 .LBB78_1704
; %bb.1627:
	s_and_b32 s21, 0xffff, s22
	s_mov_b64 s[12:13], -1
	s_mov_b64 s[4:5], 0
	s_cmp_gt_i32 s21, 25
	s_mov_b64 s[10:11], 0
	s_mov_b64 s[0:1], 0
	s_cbranch_scc0 .LBB78_1660
; %bb.1628:
	s_cmp_gt_i32 s21, 28
	s_cbranch_scc0 .LBB78_1643
; %bb.1629:
	s_cmp_gt_i32 s21, 43
	;; [unrolled: 3-line block ×3, first 2 shown]
	s_cbranch_scc0 .LBB78_1633
; %bb.1631:
	s_mov_b64 s[0:1], -1
	s_mov_b64 s[12:13], 0
	s_cmp_eq_u32 s21, 46
	s_cbranch_scc0 .LBB78_1633
; %bb.1632:
	v_xor_b32_e32 v10, v0, v1
	v_ffbh_i32_e32 v9, v1
	v_ashrrev_i32_e32 v10, 31, v10
	v_add_u32_e32 v9, -1, v9
	v_add_u32_e32 v10, 32, v10
	v_min_u32_e32 v11, v9, v10
	v_lshlrev_b64 v[9:10], v11, v[0:1]
	s_movk_i32 s0, 0x7fff
	v_min_u32_e32 v9, 1, v9
	v_or_b32_e32 v9, v10, v9
	v_cvt_f32_i32_e32 v9, v9
	v_sub_u32_e32 v10, 32, v11
	s_mov_b64 s[10:11], -1
	v_ldexp_f32 v9, v9, v10
	v_bfe_u32 v10, v9, 16, 1
	v_add3_u32 v9, v9, v10, s0
	v_lshrrev_b32_e32 v9, 16, v9
	global_store_dword v[2:3], v9, off
	s_mov_b64 s[0:1], 0
.LBB78_1633:
	s_and_b64 vcc, exec, s[12:13]
	s_cbranch_vccz .LBB78_1638
; %bb.1634:
	s_cmp_eq_u32 s21, 44
	s_mov_b64 s[0:1], -1
	s_cbranch_scc0 .LBB78_1638
; %bb.1635:
	v_xor_b32_e32 v10, v0, v1
	v_ffbh_i32_e32 v9, v1
	v_ashrrev_i32_e32 v10, 31, v10
	v_add_u32_e32 v9, -1, v9
	v_add_u32_e32 v10, 32, v10
	v_min_u32_e32 v11, v9, v10
	v_lshlrev_b64 v[9:10], v11, v[0:1]
	s_movk_i32 s0, 0xff
	v_min_u32_e32 v9, 1, v9
	v_or_b32_e32 v9, v10, v9
	v_cvt_f32_i32_e32 v9, v9
	v_sub_u32_e32 v10, 32, v11
	v_mov_b32_e32 v11, 0xff
	v_ldexp_f32 v9, v9, v10
	v_bfe_u32 v10, v9, 23, 8
	v_cmp_ne_u32_e32 vcc, s0, v10
	s_and_saveexec_b64 s[10:11], vcc
; %bb.1636:
	s_mov_b32 s0, 0x3fffff
	v_lshrrev_b32_e32 v11, 23, v9
	v_and_b32_e32 v12, 0x400000, v9
	v_and_or_b32 v9, v9, s0, v10
	v_cmp_ne_u32_e32 vcc, 0, v12
	v_cmp_ne_u32_e64 s[0:1], 0, v9
	s_and_b64 s[0:1], vcc, s[0:1]
	v_cndmask_b32_e64 v9, 0, 1, s[0:1]
	v_add_u32_e32 v11, v11, v9
; %bb.1637:
	s_or_b64 exec, exec, s[10:11]
	s_mov_b64 s[0:1], 0
	s_mov_b64 s[10:11], -1
	global_store_byte v[2:3], v11, off
.LBB78_1638:
	s_mov_b64 s[12:13], 0
.LBB78_1639:
	s_and_b64 vcc, exec, s[12:13]
	s_cbranch_vccz .LBB78_1642
; %bb.1640:
	s_cmp_eq_u32 s21, 29
	s_mov_b64 s[0:1], -1
	s_cbranch_scc0 .LBB78_1642
; %bb.1641:
	global_store_dwordx2 v[2:3], v[0:1], off
	s_mov_b64 s[0:1], 0
	s_mov_b64 s[10:11], -1
.LBB78_1642:
	s_mov_b64 s[12:13], 0
.LBB78_1643:
	s_and_b64 vcc, exec, s[12:13]
	s_cbranch_vccz .LBB78_1659
; %bb.1644:
	s_cmp_lt_i32 s21, 27
	s_mov_b64 s[10:11], -1
	s_cbranch_scc1 .LBB78_1650
; %bb.1645:
	s_cmp_gt_i32 s21, 27
	s_cbranch_scc0 .LBB78_1647
; %bb.1646:
	s_mov_b64 s[10:11], 0
	global_store_dword v[2:3], v0, off
.LBB78_1647:
	s_andn2_b64 vcc, exec, s[10:11]
	s_cbranch_vccnz .LBB78_1649
; %bb.1648:
	global_store_short v[2:3], v0, off
.LBB78_1649:
	s_mov_b64 s[10:11], 0
.LBB78_1650:
	s_andn2_b64 vcc, exec, s[10:11]
	s_cbranch_vccnz .LBB78_1658
; %bb.1651:
	v_xor_b32_e32 v10, v0, v1
	v_ffbh_i32_e32 v9, v1
	v_ashrrev_i32_e32 v10, 31, v10
	v_add_u32_e32 v9, -1, v9
	v_add_u32_e32 v10, 32, v10
	v_min_u32_e32 v11, v9, v10
	v_lshlrev_b64 v[9:10], v11, v[0:1]
	s_mov_b32 s10, 0x43800000
	v_min_u32_e32 v9, 1, v9
	v_or_b32_e32 v9, v10, v9
	v_cvt_f32_i32_e32 v9, v9
	v_sub_u32_e32 v10, 32, v11
	v_mov_b32_e32 v11, 0x80
	v_ldexp_f32 v9, v9, v10
	v_and_b32_e32 v10, 0x7fffffff, v9
	v_cmp_gt_u32_e32 vcc, s10, v10
	s_and_saveexec_b64 s[10:11], vcc
	s_cbranch_execz .LBB78_1657
; %bb.1652:
	s_mov_b32 s12, 0x3bffffff
	v_cmp_lt_u32_e32 vcc, s12, v10
	s_mov_b64 s[12:13], 0
                                        ; implicit-def: $vgpr10
	s_and_saveexec_b64 s[18:19], vcc
	s_xor_b64 s[18:19], exec, s[18:19]
	s_cbranch_execz .LBB78_1992
; %bb.1653:
	v_bfe_u32 v10, v9, 20, 1
	s_mov_b32 s23, 0x487ffff
	v_add3_u32 v10, v9, v10, s23
	s_mov_b64 s[12:13], exec
	v_lshrrev_b32_e32 v10, 20, v10
	s_andn2_saveexec_b64 s[18:19], s[18:19]
	s_cbranch_execnz .LBB78_1993
.LBB78_1654:
	s_or_b64 exec, exec, s[18:19]
	v_mov_b32_e32 v11, 0
	s_and_saveexec_b64 s[18:19], s[12:13]
.LBB78_1655:
	v_lshrrev_b32_e32 v9, 24, v9
	s_movk_i32 s12, 0x80
	v_and_or_b32 v11, v9, s12, v10
.LBB78_1656:
	s_or_b64 exec, exec, s[18:19]
.LBB78_1657:
	s_or_b64 exec, exec, s[10:11]
	global_store_byte v[2:3], v11, off
.LBB78_1658:
	s_mov_b64 s[10:11], -1
.LBB78_1659:
	s_mov_b64 s[12:13], 0
.LBB78_1660:
	s_and_b64 vcc, exec, s[12:13]
	s_cbranch_vccz .LBB78_1700
; %bb.1661:
	s_cmp_gt_i32 s21, 22
	s_mov_b64 s[4:5], -1
	s_cbranch_scc0 .LBB78_1693
; %bb.1662:
	s_cmp_lt_i32 s21, 24
	s_cbranch_scc1 .LBB78_1682
; %bb.1663:
	s_cmp_gt_i32 s21, 24
	s_cbranch_scc0 .LBB78_1671
; %bb.1664:
	v_xor_b32_e32 v10, v0, v1
	v_ffbh_i32_e32 v9, v1
	v_ashrrev_i32_e32 v10, 31, v10
	v_add_u32_e32 v9, -1, v9
	v_add_u32_e32 v10, 32, v10
	v_min_u32_e32 v11, v9, v10
	v_lshlrev_b64 v[9:10], v11, v[0:1]
	s_mov_b32 s4, 0x47800000
	v_min_u32_e32 v9, 1, v9
	v_or_b32_e32 v9, v10, v9
	v_cvt_f32_i32_e32 v9, v9
	v_sub_u32_e32 v10, 32, v11
	v_mov_b32_e32 v11, 0x80
	v_ldexp_f32 v9, v9, v10
	v_and_b32_e32 v10, 0x7fffffff, v9
	v_cmp_gt_u32_e32 vcc, s4, v10
	s_and_saveexec_b64 s[4:5], vcc
	s_cbranch_execz .LBB78_1670
; %bb.1665:
	s_mov_b32 s10, 0x37ffffff
	v_cmp_lt_u32_e32 vcc, s10, v10
	s_mov_b64 s[10:11], 0
                                        ; implicit-def: $vgpr10
	s_and_saveexec_b64 s[12:13], vcc
	s_xor_b64 s[12:13], exec, s[12:13]
	s_cbranch_execz .LBB78_1995
; %bb.1666:
	v_bfe_u32 v10, v9, 21, 1
	s_mov_b32 s18, 0x88fffff
	v_add3_u32 v10, v9, v10, s18
	s_mov_b64 s[10:11], exec
	v_lshrrev_b32_e32 v10, 21, v10
	s_andn2_saveexec_b64 s[12:13], s[12:13]
	s_cbranch_execnz .LBB78_1996
.LBB78_1667:
	s_or_b64 exec, exec, s[12:13]
	v_mov_b32_e32 v11, 0
	s_and_saveexec_b64 s[12:13], s[10:11]
.LBB78_1668:
	v_lshrrev_b32_e32 v9, 24, v9
	s_movk_i32 s10, 0x80
	v_and_or_b32 v11, v9, s10, v10
.LBB78_1669:
	s_or_b64 exec, exec, s[12:13]
.LBB78_1670:
	s_or_b64 exec, exec, s[4:5]
	s_mov_b64 s[4:5], 0
	global_store_byte v[2:3], v11, off
.LBB78_1671:
	s_and_b64 vcc, exec, s[4:5]
	s_cbranch_vccz .LBB78_1681
; %bb.1672:
	v_xor_b32_e32 v10, v0, v1
	v_ffbh_i32_e32 v9, v1
	v_ashrrev_i32_e32 v10, 31, v10
	v_add_u32_e32 v9, -1, v9
	v_add_u32_e32 v10, 32, v10
	v_min_u32_e32 v11, v9, v10
	v_lshlrev_b64 v[9:10], v11, v[0:1]
	s_mov_b32 s4, 0x43f00000
	v_min_u32_e32 v9, 1, v9
	v_or_b32_e32 v9, v10, v9
	v_cvt_f32_i32_e32 v9, v9
	v_sub_u32_e32 v10, 32, v11
	v_ldexp_f32 v9, v9, v10
	v_and_b32_e32 v11, 0x7fffffff, v9
	v_cmp_gt_u32_e32 vcc, s4, v11
                                        ; implicit-def: $vgpr10
	s_and_saveexec_b64 s[4:5], vcc
	s_xor_b64 s[4:5], exec, s[4:5]
	s_cbranch_execz .LBB78_1678
; %bb.1673:
	s_mov_b32 s10, 0x3c7fffff
	v_cmp_lt_u32_e32 vcc, s10, v11
                                        ; implicit-def: $vgpr10
	s_and_saveexec_b64 s[10:11], vcc
	s_xor_b64 s[10:11], exec, s[10:11]
; %bb.1674:
	v_bfe_u32 v10, v9, 20, 1
	s_mov_b32 s12, 0x407ffff
	v_add3_u32 v10, v9, v10, s12
	v_lshrrev_b32_e32 v11, 20, v10
	v_and_b32_e32 v10, 0xff00000, v10
	s_mov_b32 s12, 0x7f00000
	v_mov_b32_e32 v12, 0x7e
	v_cmp_ne_u32_e32 vcc, s12, v10
	v_cndmask_b32_e32 v10, v12, v11, vcc
; %bb.1675:
	s_andn2_saveexec_b64 s[10:11], s[10:11]
; %bb.1676:
	s_mov_b32 s12, 0x46800000
	v_add_f32_e64 v10, |v9|, s12
; %bb.1677:
	s_or_b64 exec, exec, s[10:11]
                                        ; implicit-def: $vgpr11
.LBB78_1678:
	s_andn2_saveexec_b64 s[4:5], s[4:5]
; %bb.1679:
	s_mov_b32 s10, 0x7f800000
	v_mov_b32_e32 v10, 0x7e
	v_mov_b32_e32 v12, 0x7f
	v_cmp_lt_u32_e32 vcc, s10, v11
	v_cndmask_b32_e32 v10, v10, v12, vcc
; %bb.1680:
	s_or_b64 exec, exec, s[4:5]
	v_lshrrev_b32_e32 v9, 24, v9
	s_movk_i32 s4, 0x80
	v_and_or_b32 v9, v9, s4, v10
	global_store_byte v[2:3], v9, off
.LBB78_1681:
	s_mov_b64 s[4:5], 0
.LBB78_1682:
	s_andn2_b64 vcc, exec, s[4:5]
	s_cbranch_vccnz .LBB78_1692
; %bb.1683:
	v_xor_b32_e32 v10, v0, v1
	v_ffbh_i32_e32 v9, v1
	v_ashrrev_i32_e32 v10, 31, v10
	v_add_u32_e32 v9, -1, v9
	v_add_u32_e32 v10, 32, v10
	v_min_u32_e32 v11, v9, v10
	v_lshlrev_b64 v[9:10], v11, v[0:1]
	s_mov_b32 s4, 0x47800000
	v_min_u32_e32 v9, 1, v9
	v_or_b32_e32 v9, v10, v9
	v_cvt_f32_i32_e32 v9, v9
	v_sub_u32_e32 v10, 32, v11
	v_ldexp_f32 v9, v9, v10
	v_and_b32_e32 v11, 0x7fffffff, v9
	v_cmp_gt_u32_e32 vcc, s4, v11
                                        ; implicit-def: $vgpr10
	s_and_saveexec_b64 s[4:5], vcc
	s_xor_b64 s[4:5], exec, s[4:5]
	s_cbranch_execz .LBB78_1689
; %bb.1684:
	s_mov_b32 s10, 0x387fffff
	v_cmp_lt_u32_e32 vcc, s10, v11
                                        ; implicit-def: $vgpr10
	s_and_saveexec_b64 s[10:11], vcc
	s_xor_b64 s[10:11], exec, s[10:11]
; %bb.1685:
	v_bfe_u32 v10, v9, 21, 1
	s_mov_b32 s12, 0x80fffff
	v_add3_u32 v10, v9, v10, s12
	v_lshrrev_b32_e32 v10, 21, v10
; %bb.1686:
	s_andn2_saveexec_b64 s[10:11], s[10:11]
; %bb.1687:
	s_mov_b32 s12, 0x43000000
	v_add_f32_e64 v10, |v9|, s12
; %bb.1688:
	s_or_b64 exec, exec, s[10:11]
                                        ; implicit-def: $vgpr11
.LBB78_1689:
	s_andn2_saveexec_b64 s[4:5], s[4:5]
; %bb.1690:
	s_mov_b32 s10, 0x7f800000
	v_mov_b32_e32 v10, 0x7c
	v_mov_b32_e32 v12, 0x7f
	v_cmp_lt_u32_e32 vcc, s10, v11
	v_cndmask_b32_e32 v10, v10, v12, vcc
; %bb.1691:
	s_or_b64 exec, exec, s[4:5]
	v_lshrrev_b32_e32 v9, 24, v9
	s_movk_i32 s4, 0x80
	v_and_or_b32 v9, v9, s4, v10
	global_store_byte v[2:3], v9, off
.LBB78_1692:
	s_mov_b64 s[4:5], 0
	s_mov_b64 s[10:11], -1
.LBB78_1693:
	s_andn2_b64 vcc, exec, s[4:5]
	s_mov_b64 s[4:5], 0
	s_cbranch_vccnz .LBB78_1700
; %bb.1694:
	s_cmp_gt_i32 s21, 14
	s_mov_b64 s[12:13], -1
	s_cbranch_scc0 .LBB78_1698
; %bb.1695:
	s_cmp_eq_u32 s21, 15
	s_mov_b64 s[0:1], -1
	s_cbranch_scc0 .LBB78_1697
; %bb.1696:
	v_xor_b32_e32 v10, v0, v1
	v_ffbh_i32_e32 v9, v1
	v_ashrrev_i32_e32 v10, 31, v10
	v_add_u32_e32 v9, -1, v9
	v_add_u32_e32 v10, 32, v10
	v_min_u32_e32 v11, v9, v10
	v_lshlrev_b64 v[9:10], v11, v[0:1]
	s_movk_i32 s0, 0x7fff
	v_min_u32_e32 v9, 1, v9
	v_or_b32_e32 v9, v10, v9
	v_cvt_f32_i32_e32 v9, v9
	v_sub_u32_e32 v10, 32, v11
	s_mov_b64 s[10:11], -1
	v_ldexp_f32 v9, v9, v10
	v_bfe_u32 v10, v9, 16, 1
	v_add3_u32 v9, v9, v10, s0
	global_store_short_d16_hi v[2:3], v9, off
	s_mov_b64 s[0:1], 0
.LBB78_1697:
	s_mov_b64 s[12:13], 0
.LBB78_1698:
	s_and_b64 vcc, exec, s[12:13]
	s_cbranch_vccz .LBB78_1700
; %bb.1699:
	s_cmp_lg_u32 s21, 11
	s_mov_b64 s[4:5], -1
	s_cselect_b64 s[0:1], -1, 0
.LBB78_1700:
	s_and_b64 vcc, exec, s[0:1]
	s_cbranch_vccnz .LBB78_1994
; %bb.1701:
	s_andn2_b64 vcc, exec, s[4:5]
	s_cbranch_vccnz .LBB78_1703
.LBB78_1702:
	v_cmp_ne_u64_e32 vcc, 0, v[0:1]
	s_mov_b64 s[10:11], -1
	v_cndmask_b32_e64 v9, 0, 1, vcc
	global_store_byte v[2:3], v9, off
.LBB78_1703:
	s_mov_b64 s[0:1], 0
	s_branch .LBB78_1705
.LBB78_1704:
	s_mov_b64 s[0:1], -1
	s_mov_b64 s[10:11], 0
.LBB78_1705:
	s_and_b64 vcc, exec, s[0:1]
	s_cbranch_vccz .LBB78_1744
; %bb.1706:
	s_and_b32 s4, 0xffff, s22
	s_cmp_lt_i32 s4, 5
	s_mov_b64 s[0:1], -1
	s_cbranch_scc1 .LBB78_1727
; %bb.1707:
	s_cmp_lt_i32 s4, 8
	s_cbranch_scc1 .LBB78_1717
; %bb.1708:
	s_cmp_lt_i32 s4, 9
	s_cbranch_scc1 .LBB78_1714
; %bb.1709:
	s_cmp_gt_i32 s4, 9
	s_cbranch_scc0 .LBB78_1711
; %bb.1710:
	v_cvt_f64_i32_e32 v[9:10], v1
	v_cvt_f64_u32_e32 v[11:12], v0
	s_mov_b64 s[0:1], 0
	v_ldexp_f64 v[9:10], v[9:10], 32
	v_add_f64 v[9:10], v[9:10], v[11:12]
	v_mov_b32_e32 v11, 0
	v_mov_b32_e32 v12, v11
	global_store_dwordx4 v[2:3], v[9:12], off
.LBB78_1711:
	s_andn2_b64 vcc, exec, s[0:1]
	s_cbranch_vccnz .LBB78_1713
; %bb.1712:
	v_xor_b32_e32 v10, v0, v1
	v_ffbh_i32_e32 v9, v1
	v_ashrrev_i32_e32 v10, 31, v10
	v_add_u32_e32 v9, -1, v9
	v_add_u32_e32 v10, 32, v10
	v_min_u32_e32 v11, v9, v10
	v_lshlrev_b64 v[9:10], v11, v[0:1]
	v_min_u32_e32 v9, 1, v9
	v_or_b32_e32 v9, v10, v9
	v_cvt_f32_i32_e32 v9, v9
	v_sub_u32_e32 v10, 32, v11
	v_ldexp_f32 v9, v9, v10
	v_mov_b32_e32 v10, 0
	global_store_dwordx2 v[2:3], v[9:10], off
.LBB78_1713:
	s_mov_b64 s[0:1], 0
.LBB78_1714:
	s_andn2_b64 vcc, exec, s[0:1]
	s_cbranch_vccnz .LBB78_1716
; %bb.1715:
	v_xor_b32_e32 v10, v0, v1
	v_ffbh_i32_e32 v9, v1
	v_ashrrev_i32_e32 v10, 31, v10
	v_add_u32_e32 v9, -1, v9
	v_add_u32_e32 v10, 32, v10
	v_min_u32_e32 v11, v9, v10
	v_lshlrev_b64 v[9:10], v11, v[0:1]
	v_min_u32_e32 v9, 1, v9
	v_or_b32_e32 v9, v10, v9
	v_cvt_f32_i32_e32 v9, v9
	v_sub_u32_e32 v10, 32, v11
	v_ldexp_f32 v9, v9, v10
	v_cvt_f16_f32_e32 v9, v9
	global_store_dword v[2:3], v9, off
.LBB78_1716:
	s_mov_b64 s[0:1], 0
.LBB78_1717:
	s_andn2_b64 vcc, exec, s[0:1]
	s_cbranch_vccnz .LBB78_1726
; %bb.1718:
	s_cmp_lt_i32 s4, 6
	s_mov_b64 s[0:1], -1
	s_cbranch_scc1 .LBB78_1724
; %bb.1719:
	s_cmp_gt_i32 s4, 6
	s_cbranch_scc0 .LBB78_1721
; %bb.1720:
	v_cvt_f64_i32_e32 v[9:10], v1
	v_cvt_f64_u32_e32 v[11:12], v0
	s_mov_b64 s[0:1], 0
	v_ldexp_f64 v[9:10], v[9:10], 32
	v_add_f64 v[9:10], v[9:10], v[11:12]
	global_store_dwordx2 v[2:3], v[9:10], off
.LBB78_1721:
	s_andn2_b64 vcc, exec, s[0:1]
	s_cbranch_vccnz .LBB78_1723
; %bb.1722:
	v_xor_b32_e32 v10, v0, v1
	v_ffbh_i32_e32 v9, v1
	v_ashrrev_i32_e32 v10, 31, v10
	v_add_u32_e32 v9, -1, v9
	v_add_u32_e32 v10, 32, v10
	v_min_u32_e32 v11, v9, v10
	v_lshlrev_b64 v[9:10], v11, v[0:1]
	v_min_u32_e32 v9, 1, v9
	v_or_b32_e32 v9, v10, v9
	v_cvt_f32_i32_e32 v9, v9
	v_sub_u32_e32 v10, 32, v11
	v_ldexp_f32 v9, v9, v10
	global_store_dword v[2:3], v9, off
.LBB78_1723:
	s_mov_b64 s[0:1], 0
.LBB78_1724:
	s_andn2_b64 vcc, exec, s[0:1]
	s_cbranch_vccnz .LBB78_1726
; %bb.1725:
	v_xor_b32_e32 v10, v0, v1
	v_ffbh_i32_e32 v9, v1
	v_ashrrev_i32_e32 v10, 31, v10
	v_add_u32_e32 v9, -1, v9
	v_add_u32_e32 v10, 32, v10
	v_min_u32_e32 v11, v9, v10
	v_lshlrev_b64 v[9:10], v11, v[0:1]
	v_min_u32_e32 v9, 1, v9
	v_or_b32_e32 v9, v10, v9
	v_cvt_f32_i32_e32 v9, v9
	v_sub_u32_e32 v10, 32, v11
	v_ldexp_f32 v9, v9, v10
	v_cvt_f16_f32_e32 v9, v9
	global_store_short v[2:3], v9, off
.LBB78_1726:
	s_mov_b64 s[0:1], 0
.LBB78_1727:
	s_andn2_b64 vcc, exec, s[0:1]
	s_cbranch_vccnz .LBB78_1743
; %bb.1728:
	s_cmp_lt_i32 s4, 2
	s_mov_b64 s[0:1], -1
	s_cbranch_scc1 .LBB78_1738
; %bb.1729:
	s_cmp_lt_i32 s4, 3
	s_cbranch_scc1 .LBB78_1735
; %bb.1730:
	s_cmp_gt_i32 s4, 3
	s_cbranch_scc0 .LBB78_1732
; %bb.1731:
	global_store_dwordx2 v[2:3], v[0:1], off
	s_mov_b64 s[0:1], 0
.LBB78_1732:
	s_andn2_b64 vcc, exec, s[0:1]
	s_cbranch_vccnz .LBB78_1734
; %bb.1733:
	global_store_dword v[2:3], v0, off
.LBB78_1734:
	s_mov_b64 s[0:1], 0
.LBB78_1735:
	s_andn2_b64 vcc, exec, s[0:1]
	s_cbranch_vccnz .LBB78_1737
; %bb.1736:
	global_store_short v[2:3], v0, off
.LBB78_1737:
	s_mov_b64 s[0:1], 0
.LBB78_1738:
	s_andn2_b64 vcc, exec, s[0:1]
	s_cbranch_vccnz .LBB78_1743
; %bb.1739:
	s_cmp_gt_i32 s4, 0
	s_mov_b64 s[0:1], -1
	s_cbranch_scc0 .LBB78_1741
; %bb.1740:
	global_store_byte v[2:3], v0, off
	s_mov_b64 s[0:1], 0
.LBB78_1741:
	s_andn2_b64 vcc, exec, s[0:1]
	s_cbranch_vccnz .LBB78_1743
; %bb.1742:
	global_store_byte v[2:3], v0, off
.LBB78_1743:
	s_mov_b64 s[10:11], -1
.LBB78_1744:
	s_andn2_b64 vcc, exec, s[10:11]
	s_cbranch_vccnz .LBB78_1940
; %bb.1745:
	v_lshlrev_b64 v[0:1], v4, s[2:3]
	v_cmp_gt_u64_e32 vcc, 64, v[4:5]
	v_add_u32_e32 v4, s20, v8
	v_cndmask_b32_e32 v1, 0, v1, vcc
	v_cndmask_b32_e32 v0, 0, v0, vcc
	v_ashrrev_i32_e32 v3, 31, v4
	v_mov_b32_e32 v5, s9
	v_add_co_u32_e32 v2, vcc, s8, v4
	s_cmp_lt_i32 s22, 11
	v_addc_co_u32_e32 v3, vcc, v5, v3, vcc
	s_cbranch_scc1 .LBB78_1823
; %bb.1746:
	s_and_b32 s21, 0xffff, s22
	s_mov_b64 s[12:13], -1
	s_mov_b64 s[4:5], 0
	s_cmp_gt_i32 s21, 25
	s_mov_b64 s[10:11], 0
	s_mov_b64 s[0:1], 0
	s_cbranch_scc0 .LBB78_1779
; %bb.1747:
	s_cmp_gt_i32 s21, 28
	s_cbranch_scc0 .LBB78_1762
; %bb.1748:
	s_cmp_gt_i32 s21, 43
	;; [unrolled: 3-line block ×3, first 2 shown]
	s_cbranch_scc0 .LBB78_1752
; %bb.1750:
	s_mov_b64 s[0:1], -1
	s_mov_b64 s[12:13], 0
	s_cmp_eq_u32 s21, 46
	s_cbranch_scc0 .LBB78_1752
; %bb.1751:
	v_xor_b32_e32 v8, v0, v1
	v_ffbh_i32_e32 v5, v1
	v_ashrrev_i32_e32 v8, 31, v8
	v_add_u32_e32 v5, -1, v5
	v_add_u32_e32 v8, 32, v8
	v_min_u32_e32 v5, v5, v8
	v_lshlrev_b64 v[8:9], v5, v[0:1]
	v_sub_u32_e32 v5, 32, v5
	v_min_u32_e32 v8, 1, v8
	v_or_b32_e32 v8, v9, v8
	v_cvt_f32_i32_e32 v8, v8
	s_movk_i32 s0, 0x7fff
	s_mov_b64 s[10:11], -1
	v_ldexp_f32 v5, v8, v5
	v_bfe_u32 v8, v5, 16, 1
	v_add3_u32 v5, v5, v8, s0
	v_lshrrev_b32_e32 v5, 16, v5
	global_store_dword v[2:3], v5, off
	s_mov_b64 s[0:1], 0
.LBB78_1752:
	s_and_b64 vcc, exec, s[12:13]
	s_cbranch_vccz .LBB78_1757
; %bb.1753:
	s_cmp_eq_u32 s21, 44
	s_mov_b64 s[0:1], -1
	s_cbranch_scc0 .LBB78_1757
; %bb.1754:
	v_xor_b32_e32 v8, v0, v1
	v_ffbh_i32_e32 v5, v1
	v_ashrrev_i32_e32 v8, 31, v8
	v_add_u32_e32 v5, -1, v5
	v_add_u32_e32 v8, 32, v8
	v_min_u32_e32 v5, v5, v8
	v_lshlrev_b64 v[8:9], v5, v[0:1]
	v_sub_u32_e32 v5, 32, v5
	v_min_u32_e32 v8, 1, v8
	v_or_b32_e32 v8, v9, v8
	v_cvt_f32_i32_e32 v8, v8
	s_movk_i32 s0, 0xff
	v_mov_b32_e32 v9, 0xff
	v_ldexp_f32 v5, v8, v5
	v_bfe_u32 v8, v5, 23, 8
	v_cmp_ne_u32_e32 vcc, s0, v8
	s_and_saveexec_b64 s[10:11], vcc
; %bb.1755:
	s_mov_b32 s0, 0x3fffff
	v_lshrrev_b32_e32 v9, 23, v5
	v_and_b32_e32 v10, 0x400000, v5
	v_and_or_b32 v5, v5, s0, v8
	v_cmp_ne_u32_e32 vcc, 0, v10
	v_cmp_ne_u32_e64 s[0:1], 0, v5
	s_and_b64 s[0:1], vcc, s[0:1]
	v_cndmask_b32_e64 v5, 0, 1, s[0:1]
	v_add_u32_e32 v9, v9, v5
; %bb.1756:
	s_or_b64 exec, exec, s[10:11]
	s_mov_b64 s[0:1], 0
	s_mov_b64 s[10:11], -1
	global_store_byte v[2:3], v9, off
.LBB78_1757:
	s_mov_b64 s[12:13], 0
.LBB78_1758:
	s_and_b64 vcc, exec, s[12:13]
	s_cbranch_vccz .LBB78_1761
; %bb.1759:
	s_cmp_eq_u32 s21, 29
	s_mov_b64 s[0:1], -1
	s_cbranch_scc0 .LBB78_1761
; %bb.1760:
	global_store_dwordx2 v[2:3], v[0:1], off
	s_mov_b64 s[0:1], 0
	s_mov_b64 s[10:11], -1
.LBB78_1761:
	s_mov_b64 s[12:13], 0
.LBB78_1762:
	s_and_b64 vcc, exec, s[12:13]
	s_cbranch_vccz .LBB78_1778
; %bb.1763:
	s_cmp_lt_i32 s21, 27
	s_mov_b64 s[10:11], -1
	s_cbranch_scc1 .LBB78_1769
; %bb.1764:
	s_cmp_gt_i32 s21, 27
	s_cbranch_scc0 .LBB78_1766
; %bb.1765:
	s_mov_b64 s[10:11], 0
	global_store_dword v[2:3], v0, off
.LBB78_1766:
	s_andn2_b64 vcc, exec, s[10:11]
	s_cbranch_vccnz .LBB78_1768
; %bb.1767:
	global_store_short v[2:3], v0, off
.LBB78_1768:
	s_mov_b64 s[10:11], 0
.LBB78_1769:
	s_andn2_b64 vcc, exec, s[10:11]
	s_cbranch_vccnz .LBB78_1777
; %bb.1770:
	v_xor_b32_e32 v8, v0, v1
	v_ffbh_i32_e32 v5, v1
	v_ashrrev_i32_e32 v8, 31, v8
	v_add_u32_e32 v5, -1, v5
	v_add_u32_e32 v8, 32, v8
	v_min_u32_e32 v5, v5, v8
	v_lshlrev_b64 v[8:9], v5, v[0:1]
	v_sub_u32_e32 v5, 32, v5
	v_min_u32_e32 v8, 1, v8
	v_or_b32_e32 v8, v9, v8
	v_cvt_f32_i32_e32 v8, v8
	s_mov_b32 s10, 0x43800000
	v_mov_b32_e32 v9, 0x80
	v_ldexp_f32 v5, v8, v5
	v_and_b32_e32 v8, 0x7fffffff, v5
	v_cmp_gt_u32_e32 vcc, s10, v8
	s_and_saveexec_b64 s[10:11], vcc
	s_cbranch_execz .LBB78_1776
; %bb.1771:
	s_mov_b32 s12, 0x3bffffff
	v_cmp_lt_u32_e32 vcc, s12, v8
	s_mov_b64 s[12:13], 0
                                        ; implicit-def: $vgpr8
	s_and_saveexec_b64 s[18:19], vcc
	s_xor_b64 s[18:19], exec, s[18:19]
	s_cbranch_execz .LBB78_1997
; %bb.1772:
	v_bfe_u32 v8, v5, 20, 1
	s_mov_b32 s23, 0x487ffff
	v_add3_u32 v8, v5, v8, s23
	s_mov_b64 s[12:13], exec
	v_lshrrev_b32_e32 v8, 20, v8
	s_andn2_saveexec_b64 s[18:19], s[18:19]
	s_cbranch_execnz .LBB78_1998
.LBB78_1773:
	s_or_b64 exec, exec, s[18:19]
	v_mov_b32_e32 v9, 0
	s_and_saveexec_b64 s[18:19], s[12:13]
.LBB78_1774:
	v_lshrrev_b32_e32 v5, 24, v5
	s_movk_i32 s12, 0x80
	v_and_or_b32 v9, v5, s12, v8
.LBB78_1775:
	s_or_b64 exec, exec, s[18:19]
.LBB78_1776:
	s_or_b64 exec, exec, s[10:11]
	global_store_byte v[2:3], v9, off
.LBB78_1777:
	s_mov_b64 s[10:11], -1
.LBB78_1778:
	s_mov_b64 s[12:13], 0
.LBB78_1779:
	s_and_b64 vcc, exec, s[12:13]
	s_cbranch_vccz .LBB78_1819
; %bb.1780:
	s_cmp_gt_i32 s21, 22
	s_mov_b64 s[4:5], -1
	s_cbranch_scc0 .LBB78_1812
; %bb.1781:
	s_cmp_lt_i32 s21, 24
	s_cbranch_scc1 .LBB78_1801
; %bb.1782:
	s_cmp_gt_i32 s21, 24
	s_cbranch_scc0 .LBB78_1790
; %bb.1783:
	v_xor_b32_e32 v8, v0, v1
	v_ffbh_i32_e32 v5, v1
	v_ashrrev_i32_e32 v8, 31, v8
	v_add_u32_e32 v5, -1, v5
	v_add_u32_e32 v8, 32, v8
	v_min_u32_e32 v5, v5, v8
	v_lshlrev_b64 v[8:9], v5, v[0:1]
	v_sub_u32_e32 v5, 32, v5
	v_min_u32_e32 v8, 1, v8
	v_or_b32_e32 v8, v9, v8
	v_cvt_f32_i32_e32 v8, v8
	s_mov_b32 s4, 0x47800000
	v_mov_b32_e32 v9, 0x80
	v_ldexp_f32 v5, v8, v5
	v_and_b32_e32 v8, 0x7fffffff, v5
	v_cmp_gt_u32_e32 vcc, s4, v8
	s_and_saveexec_b64 s[4:5], vcc
	s_cbranch_execz .LBB78_1789
; %bb.1784:
	s_mov_b32 s10, 0x37ffffff
	v_cmp_lt_u32_e32 vcc, s10, v8
	s_mov_b64 s[10:11], 0
                                        ; implicit-def: $vgpr8
	s_and_saveexec_b64 s[12:13], vcc
	s_xor_b64 s[12:13], exec, s[12:13]
	s_cbranch_execz .LBB78_2000
; %bb.1785:
	v_bfe_u32 v8, v5, 21, 1
	s_mov_b32 s18, 0x88fffff
	v_add3_u32 v8, v5, v8, s18
	s_mov_b64 s[10:11], exec
	v_lshrrev_b32_e32 v8, 21, v8
	s_andn2_saveexec_b64 s[12:13], s[12:13]
	s_cbranch_execnz .LBB78_2001
.LBB78_1786:
	s_or_b64 exec, exec, s[12:13]
	v_mov_b32_e32 v9, 0
	s_and_saveexec_b64 s[12:13], s[10:11]
.LBB78_1787:
	v_lshrrev_b32_e32 v5, 24, v5
	s_movk_i32 s10, 0x80
	v_and_or_b32 v9, v5, s10, v8
.LBB78_1788:
	s_or_b64 exec, exec, s[12:13]
.LBB78_1789:
	s_or_b64 exec, exec, s[4:5]
	s_mov_b64 s[4:5], 0
	global_store_byte v[2:3], v9, off
.LBB78_1790:
	s_and_b64 vcc, exec, s[4:5]
	s_cbranch_vccz .LBB78_1800
; %bb.1791:
	v_xor_b32_e32 v8, v0, v1
	v_ffbh_i32_e32 v5, v1
	v_ashrrev_i32_e32 v8, 31, v8
	v_add_u32_e32 v5, -1, v5
	v_add_u32_e32 v8, 32, v8
	v_min_u32_e32 v5, v5, v8
	v_lshlrev_b64 v[8:9], v5, v[0:1]
	v_sub_u32_e32 v5, 32, v5
	v_min_u32_e32 v8, 1, v8
	v_or_b32_e32 v8, v9, v8
	v_cvt_f32_i32_e32 v8, v8
	s_mov_b32 s4, 0x43f00000
	v_ldexp_f32 v5, v8, v5
	v_and_b32_e32 v9, 0x7fffffff, v5
	v_cmp_gt_u32_e32 vcc, s4, v9
                                        ; implicit-def: $vgpr8
	s_and_saveexec_b64 s[4:5], vcc
	s_xor_b64 s[4:5], exec, s[4:5]
	s_cbranch_execz .LBB78_1797
; %bb.1792:
	s_mov_b32 s10, 0x3c7fffff
	v_cmp_lt_u32_e32 vcc, s10, v9
                                        ; implicit-def: $vgpr8
	s_and_saveexec_b64 s[10:11], vcc
	s_xor_b64 s[10:11], exec, s[10:11]
; %bb.1793:
	v_bfe_u32 v8, v5, 20, 1
	s_mov_b32 s12, 0x407ffff
	v_add3_u32 v8, v5, v8, s12
	v_lshrrev_b32_e32 v9, 20, v8
	v_and_b32_e32 v8, 0xff00000, v8
	s_mov_b32 s12, 0x7f00000
	v_mov_b32_e32 v10, 0x7e
	v_cmp_ne_u32_e32 vcc, s12, v8
	v_cndmask_b32_e32 v8, v10, v9, vcc
; %bb.1794:
	s_andn2_saveexec_b64 s[10:11], s[10:11]
; %bb.1795:
	s_mov_b32 s12, 0x46800000
	v_add_f32_e64 v8, |v5|, s12
; %bb.1796:
	s_or_b64 exec, exec, s[10:11]
                                        ; implicit-def: $vgpr9
.LBB78_1797:
	s_andn2_saveexec_b64 s[4:5], s[4:5]
; %bb.1798:
	s_mov_b32 s10, 0x7f800000
	v_mov_b32_e32 v8, 0x7e
	v_mov_b32_e32 v10, 0x7f
	v_cmp_lt_u32_e32 vcc, s10, v9
	v_cndmask_b32_e32 v8, v8, v10, vcc
; %bb.1799:
	s_or_b64 exec, exec, s[4:5]
	v_lshrrev_b32_e32 v5, 24, v5
	s_movk_i32 s4, 0x80
	v_and_or_b32 v5, v5, s4, v8
	global_store_byte v[2:3], v5, off
.LBB78_1800:
	s_mov_b64 s[4:5], 0
.LBB78_1801:
	s_andn2_b64 vcc, exec, s[4:5]
	s_cbranch_vccnz .LBB78_1811
; %bb.1802:
	v_xor_b32_e32 v8, v0, v1
	v_ffbh_i32_e32 v5, v1
	v_ashrrev_i32_e32 v8, 31, v8
	v_add_u32_e32 v5, -1, v5
	v_add_u32_e32 v8, 32, v8
	v_min_u32_e32 v5, v5, v8
	v_lshlrev_b64 v[8:9], v5, v[0:1]
	v_sub_u32_e32 v5, 32, v5
	v_min_u32_e32 v8, 1, v8
	v_or_b32_e32 v8, v9, v8
	v_cvt_f32_i32_e32 v8, v8
	s_mov_b32 s4, 0x47800000
	v_ldexp_f32 v5, v8, v5
	v_and_b32_e32 v9, 0x7fffffff, v5
	v_cmp_gt_u32_e32 vcc, s4, v9
                                        ; implicit-def: $vgpr8
	s_and_saveexec_b64 s[4:5], vcc
	s_xor_b64 s[4:5], exec, s[4:5]
	s_cbranch_execz .LBB78_1808
; %bb.1803:
	s_mov_b32 s10, 0x387fffff
	v_cmp_lt_u32_e32 vcc, s10, v9
                                        ; implicit-def: $vgpr8
	s_and_saveexec_b64 s[10:11], vcc
	s_xor_b64 s[10:11], exec, s[10:11]
; %bb.1804:
	v_bfe_u32 v8, v5, 21, 1
	s_mov_b32 s12, 0x80fffff
	v_add3_u32 v8, v5, v8, s12
	v_lshrrev_b32_e32 v8, 21, v8
; %bb.1805:
	s_andn2_saveexec_b64 s[10:11], s[10:11]
; %bb.1806:
	s_mov_b32 s12, 0x43000000
	v_add_f32_e64 v8, |v5|, s12
; %bb.1807:
	s_or_b64 exec, exec, s[10:11]
                                        ; implicit-def: $vgpr9
.LBB78_1808:
	s_andn2_saveexec_b64 s[4:5], s[4:5]
; %bb.1809:
	s_mov_b32 s10, 0x7f800000
	v_mov_b32_e32 v8, 0x7c
	v_mov_b32_e32 v10, 0x7f
	v_cmp_lt_u32_e32 vcc, s10, v9
	v_cndmask_b32_e32 v8, v8, v10, vcc
; %bb.1810:
	s_or_b64 exec, exec, s[4:5]
	v_lshrrev_b32_e32 v5, 24, v5
	s_movk_i32 s4, 0x80
	v_and_or_b32 v5, v5, s4, v8
	global_store_byte v[2:3], v5, off
.LBB78_1811:
	s_mov_b64 s[4:5], 0
	s_mov_b64 s[10:11], -1
.LBB78_1812:
	s_andn2_b64 vcc, exec, s[4:5]
	s_mov_b64 s[4:5], 0
	s_cbranch_vccnz .LBB78_1819
; %bb.1813:
	s_cmp_gt_i32 s21, 14
	s_mov_b64 s[12:13], -1
	s_cbranch_scc0 .LBB78_1817
; %bb.1814:
	s_cmp_eq_u32 s21, 15
	s_mov_b64 s[0:1], -1
	s_cbranch_scc0 .LBB78_1816
; %bb.1815:
	v_xor_b32_e32 v8, v0, v1
	v_ffbh_i32_e32 v5, v1
	v_ashrrev_i32_e32 v8, 31, v8
	v_add_u32_e32 v5, -1, v5
	v_add_u32_e32 v8, 32, v8
	v_min_u32_e32 v5, v5, v8
	v_lshlrev_b64 v[8:9], v5, v[0:1]
	v_sub_u32_e32 v5, 32, v5
	v_min_u32_e32 v8, 1, v8
	v_or_b32_e32 v8, v9, v8
	v_cvt_f32_i32_e32 v8, v8
	s_movk_i32 s0, 0x7fff
	s_mov_b64 s[10:11], -1
	v_ldexp_f32 v5, v8, v5
	v_bfe_u32 v8, v5, 16, 1
	v_add3_u32 v5, v5, v8, s0
	global_store_short_d16_hi v[2:3], v5, off
	s_mov_b64 s[0:1], 0
.LBB78_1816:
	s_mov_b64 s[12:13], 0
.LBB78_1817:
	s_and_b64 vcc, exec, s[12:13]
	s_cbranch_vccz .LBB78_1819
; %bb.1818:
	s_cmp_lg_u32 s21, 11
	s_mov_b64 s[4:5], -1
	s_cselect_b64 s[0:1], -1, 0
.LBB78_1819:
	s_and_b64 vcc, exec, s[0:1]
	s_cbranch_vccnz .LBB78_1999
; %bb.1820:
	s_andn2_b64 vcc, exec, s[4:5]
	s_cbranch_vccnz .LBB78_1822
.LBB78_1821:
	v_cmp_ne_u64_e32 vcc, 0, v[0:1]
	s_mov_b64 s[10:11], -1
	v_cndmask_b32_e64 v5, 0, 1, vcc
	global_store_byte v[2:3], v5, off
.LBB78_1822:
	s_mov_b64 s[0:1], 0
	s_branch .LBB78_1824
.LBB78_1823:
	s_mov_b64 s[0:1], -1
	s_mov_b64 s[10:11], 0
.LBB78_1824:
	s_and_b64 vcc, exec, s[0:1]
	s_cbranch_vccz .LBB78_1863
; %bb.1825:
	s_and_b32 s4, 0xffff, s22
	s_cmp_lt_i32 s4, 5
	s_mov_b64 s[0:1], -1
	s_cbranch_scc1 .LBB78_1846
; %bb.1826:
	s_cmp_lt_i32 s4, 8
	s_cbranch_scc1 .LBB78_1836
; %bb.1827:
	s_cmp_lt_i32 s4, 9
	s_cbranch_scc1 .LBB78_1833
; %bb.1828:
	s_cmp_gt_i32 s4, 9
	s_cbranch_scc0 .LBB78_1830
; %bb.1829:
	v_cvt_f64_i32_e32 v[8:9], v1
	v_cvt_f64_u32_e32 v[10:11], v0
	s_mov_b64 s[0:1], 0
	v_ldexp_f64 v[8:9], v[8:9], 32
	v_add_f64 v[8:9], v[8:9], v[10:11]
	v_mov_b32_e32 v10, 0
	v_mov_b32_e32 v11, v10
	global_store_dwordx4 v[2:3], v[8:11], off
.LBB78_1830:
	s_andn2_b64 vcc, exec, s[0:1]
	s_cbranch_vccnz .LBB78_1832
; %bb.1831:
	v_xor_b32_e32 v8, v0, v1
	v_ffbh_i32_e32 v5, v1
	v_ashrrev_i32_e32 v8, 31, v8
	v_add_u32_e32 v5, -1, v5
	v_add_u32_e32 v8, 32, v8
	v_min_u32_e32 v5, v5, v8
	v_lshlrev_b64 v[8:9], v5, v[0:1]
	v_sub_u32_e32 v5, 32, v5
	v_min_u32_e32 v8, 1, v8
	v_or_b32_e32 v8, v9, v8
	v_cvt_f32_i32_e32 v8, v8
	v_mov_b32_e32 v9, 0
	v_ldexp_f32 v8, v8, v5
	global_store_dwordx2 v[2:3], v[8:9], off
.LBB78_1832:
	s_mov_b64 s[0:1], 0
.LBB78_1833:
	s_andn2_b64 vcc, exec, s[0:1]
	s_cbranch_vccnz .LBB78_1835
; %bb.1834:
	v_xor_b32_e32 v8, v0, v1
	v_ffbh_i32_e32 v5, v1
	v_ashrrev_i32_e32 v8, 31, v8
	v_add_u32_e32 v5, -1, v5
	v_add_u32_e32 v8, 32, v8
	v_min_u32_e32 v5, v5, v8
	v_lshlrev_b64 v[8:9], v5, v[0:1]
	v_sub_u32_e32 v5, 32, v5
	v_min_u32_e32 v8, 1, v8
	v_or_b32_e32 v8, v9, v8
	v_cvt_f32_i32_e32 v8, v8
	v_ldexp_f32 v5, v8, v5
	v_cvt_f16_f32_e32 v5, v5
	global_store_dword v[2:3], v5, off
.LBB78_1835:
	s_mov_b64 s[0:1], 0
.LBB78_1836:
	s_andn2_b64 vcc, exec, s[0:1]
	s_cbranch_vccnz .LBB78_1845
; %bb.1837:
	s_cmp_lt_i32 s4, 6
	s_mov_b64 s[0:1], -1
	s_cbranch_scc1 .LBB78_1843
; %bb.1838:
	s_cmp_gt_i32 s4, 6
	s_cbranch_scc0 .LBB78_1840
; %bb.1839:
	v_cvt_f64_i32_e32 v[8:9], v1
	v_cvt_f64_u32_e32 v[10:11], v0
	s_mov_b64 s[0:1], 0
	v_ldexp_f64 v[8:9], v[8:9], 32
	v_add_f64 v[8:9], v[8:9], v[10:11]
	global_store_dwordx2 v[2:3], v[8:9], off
.LBB78_1840:
	s_andn2_b64 vcc, exec, s[0:1]
	s_cbranch_vccnz .LBB78_1842
; %bb.1841:
	v_xor_b32_e32 v8, v0, v1
	v_ffbh_i32_e32 v5, v1
	v_ashrrev_i32_e32 v8, 31, v8
	v_add_u32_e32 v5, -1, v5
	v_add_u32_e32 v8, 32, v8
	v_min_u32_e32 v5, v5, v8
	v_lshlrev_b64 v[8:9], v5, v[0:1]
	v_sub_u32_e32 v5, 32, v5
	v_min_u32_e32 v8, 1, v8
	v_or_b32_e32 v8, v9, v8
	v_cvt_f32_i32_e32 v8, v8
	v_ldexp_f32 v5, v8, v5
	global_store_dword v[2:3], v5, off
.LBB78_1842:
	s_mov_b64 s[0:1], 0
.LBB78_1843:
	s_andn2_b64 vcc, exec, s[0:1]
	s_cbranch_vccnz .LBB78_1845
; %bb.1844:
	v_xor_b32_e32 v8, v0, v1
	v_ffbh_i32_e32 v5, v1
	v_ashrrev_i32_e32 v8, 31, v8
	v_add_u32_e32 v5, -1, v5
	v_add_u32_e32 v8, 32, v8
	v_min_u32_e32 v5, v5, v8
	v_lshlrev_b64 v[8:9], v5, v[0:1]
	v_sub_u32_e32 v5, 32, v5
	v_min_u32_e32 v8, 1, v8
	v_or_b32_e32 v8, v9, v8
	v_cvt_f32_i32_e32 v8, v8
	v_ldexp_f32 v5, v8, v5
	v_cvt_f16_f32_e32 v5, v5
	global_store_short v[2:3], v5, off
.LBB78_1845:
	s_mov_b64 s[0:1], 0
.LBB78_1846:
	s_andn2_b64 vcc, exec, s[0:1]
	s_cbranch_vccnz .LBB78_1862
; %bb.1847:
	s_cmp_lt_i32 s4, 2
	s_mov_b64 s[0:1], -1
	s_cbranch_scc1 .LBB78_1857
; %bb.1848:
	s_cmp_lt_i32 s4, 3
	s_cbranch_scc1 .LBB78_1854
; %bb.1849:
	s_cmp_gt_i32 s4, 3
	s_cbranch_scc0 .LBB78_1851
; %bb.1850:
	global_store_dwordx2 v[2:3], v[0:1], off
	s_mov_b64 s[0:1], 0
.LBB78_1851:
	s_andn2_b64 vcc, exec, s[0:1]
	s_cbranch_vccnz .LBB78_1853
; %bb.1852:
	global_store_dword v[2:3], v0, off
.LBB78_1853:
	s_mov_b64 s[0:1], 0
.LBB78_1854:
	s_andn2_b64 vcc, exec, s[0:1]
	s_cbranch_vccnz .LBB78_1856
; %bb.1855:
	global_store_short v[2:3], v0, off
.LBB78_1856:
	s_mov_b64 s[0:1], 0
.LBB78_1857:
	s_andn2_b64 vcc, exec, s[0:1]
	s_cbranch_vccnz .LBB78_1862
; %bb.1858:
	s_cmp_gt_i32 s4, 0
	s_mov_b64 s[0:1], -1
	s_cbranch_scc0 .LBB78_1860
; %bb.1859:
	global_store_byte v[2:3], v0, off
	s_mov_b64 s[0:1], 0
.LBB78_1860:
	s_andn2_b64 vcc, exec, s[0:1]
	s_cbranch_vccnz .LBB78_1862
; %bb.1861:
	global_store_byte v[2:3], v0, off
.LBB78_1862:
	s_mov_b64 s[10:11], -1
.LBB78_1863:
	s_andn2_b64 vcc, exec, s[10:11]
	s_cbranch_vccnz .LBB78_1940
; %bb.1864:
	v_lshlrev_b64 v[0:1], v6, s[2:3]
	v_cmp_gt_u64_e32 vcc, 64, v[6:7]
	v_add_u32_e32 v2, s20, v4
	v_cndmask_b32_e32 v1, 0, v1, vcc
	v_cndmask_b32_e32 v0, 0, v0, vcc
	v_ashrrev_i32_e32 v3, 31, v2
	v_mov_b32_e32 v4, s9
	v_add_co_u32_e32 v2, vcc, s8, v2
	s_cmp_lt_i32 s22, 11
	v_addc_co_u32_e32 v3, vcc, v4, v3, vcc
	s_cbranch_scc1 .LBB78_1985
; %bb.1865:
	s_and_b32 s12, 0xffff, s22
	s_mov_b64 s[4:5], -1
	s_mov_b64 s[2:3], 0
	s_cmp_gt_i32 s12, 25
	s_mov_b64 s[0:1], 0
	s_cbranch_scc0 .LBB78_1898
; %bb.1866:
	s_cmp_gt_i32 s12, 28
	s_cbranch_scc0 .LBB78_1882
; %bb.1867:
	s_cmp_gt_i32 s12, 43
	;; [unrolled: 3-line block ×3, first 2 shown]
	s_cbranch_scc0 .LBB78_1872
; %bb.1869:
	s_cmp_eq_u32 s12, 46
	s_mov_b64 s[0:1], -1
	s_cbranch_scc0 .LBB78_1871
; %bb.1870:
	v_xor_b32_e32 v5, v0, v1
	v_ffbh_i32_e32 v4, v1
	v_ashrrev_i32_e32 v5, 31, v5
	v_add_u32_e32 v4, -1, v4
	v_add_u32_e32 v5, 32, v5
	v_min_u32_e32 v6, v4, v5
	v_lshlrev_b64 v[4:5], v6, v[0:1]
	s_movk_i32 s0, 0x7fff
	v_min_u32_e32 v4, 1, v4
	v_or_b32_e32 v4, v5, v4
	v_cvt_f32_i32_e32 v4, v4
	v_sub_u32_e32 v5, 32, v6
	v_ldexp_f32 v4, v4, v5
	v_bfe_u32 v5, v4, 16, 1
	v_add3_u32 v4, v4, v5, s0
	v_lshrrev_b32_e32 v4, 16, v4
	global_store_dword v[2:3], v4, off
	s_mov_b64 s[0:1], 0
.LBB78_1871:
	s_mov_b64 s[4:5], 0
.LBB78_1872:
	s_and_b64 vcc, exec, s[4:5]
	s_cbranch_vccz .LBB78_1877
; %bb.1873:
	s_cmp_eq_u32 s12, 44
	s_mov_b64 s[0:1], -1
	s_cbranch_scc0 .LBB78_1877
; %bb.1874:
	v_xor_b32_e32 v5, v0, v1
	v_ffbh_i32_e32 v4, v1
	v_ashrrev_i32_e32 v5, 31, v5
	v_add_u32_e32 v4, -1, v4
	v_add_u32_e32 v5, 32, v5
	v_min_u32_e32 v6, v4, v5
	v_lshlrev_b64 v[4:5], v6, v[0:1]
	s_movk_i32 s0, 0xff
	v_min_u32_e32 v4, 1, v4
	v_or_b32_e32 v4, v5, v4
	v_cvt_f32_i32_e32 v4, v4
	v_sub_u32_e32 v5, 32, v6
	v_mov_b32_e32 v6, 0xff
	v_ldexp_f32 v4, v4, v5
	v_bfe_u32 v5, v4, 23, 8
	v_cmp_ne_u32_e32 vcc, s0, v5
	s_and_saveexec_b64 s[4:5], vcc
; %bb.1875:
	s_mov_b32 s0, 0x3fffff
	v_lshrrev_b32_e32 v6, 23, v4
	v_and_b32_e32 v7, 0x400000, v4
	v_and_or_b32 v4, v4, s0, v5
	v_cmp_ne_u32_e32 vcc, 0, v7
	v_cmp_ne_u32_e64 s[0:1], 0, v4
	s_and_b64 s[0:1], vcc, s[0:1]
	v_cndmask_b32_e64 v4, 0, 1, s[0:1]
	v_add_u32_e32 v6, v6, v4
; %bb.1876:
	s_or_b64 exec, exec, s[4:5]
	s_mov_b64 s[0:1], 0
	global_store_byte v[2:3], v6, off
.LBB78_1877:
	s_mov_b64 s[4:5], 0
.LBB78_1878:
	s_and_b64 vcc, exec, s[4:5]
	s_cbranch_vccz .LBB78_1881
; %bb.1879:
	s_cmp_eq_u32 s12, 29
	s_mov_b64 s[0:1], -1
	s_cbranch_scc0 .LBB78_1881
; %bb.1880:
	global_store_dwordx2 v[2:3], v[0:1], off
	s_mov_b64 s[0:1], 0
.LBB78_1881:
	s_mov_b64 s[4:5], 0
.LBB78_1882:
	s_and_b64 vcc, exec, s[4:5]
	s_cbranch_vccz .LBB78_1897
; %bb.1883:
	s_cmp_lt_i32 s12, 27
	s_mov_b64 s[4:5], -1
	s_cbranch_scc1 .LBB78_1889
; %bb.1884:
	s_cmp_gt_i32 s12, 27
	s_cbranch_scc0 .LBB78_1886
; %bb.1885:
	global_store_dword v[2:3], v0, off
	s_mov_b64 s[4:5], 0
.LBB78_1886:
	s_andn2_b64 vcc, exec, s[4:5]
	s_cbranch_vccnz .LBB78_1888
; %bb.1887:
	global_store_short v[2:3], v0, off
.LBB78_1888:
	s_mov_b64 s[4:5], 0
.LBB78_1889:
	s_andn2_b64 vcc, exec, s[4:5]
	s_cbranch_vccnz .LBB78_1897
; %bb.1890:
	v_xor_b32_e32 v5, v0, v1
	v_ffbh_i32_e32 v4, v1
	v_ashrrev_i32_e32 v5, 31, v5
	v_add_u32_e32 v4, -1, v4
	v_add_u32_e32 v5, 32, v5
	v_min_u32_e32 v6, v4, v5
	v_lshlrev_b64 v[4:5], v6, v[0:1]
	s_mov_b32 s4, 0x43800000
	v_min_u32_e32 v4, 1, v4
	v_or_b32_e32 v4, v5, v4
	v_cvt_f32_i32_e32 v4, v4
	v_sub_u32_e32 v5, 32, v6
	v_mov_b32_e32 v6, 0x80
	v_ldexp_f32 v4, v4, v5
	v_and_b32_e32 v5, 0x7fffffff, v4
	v_cmp_gt_u32_e32 vcc, s4, v5
	s_and_saveexec_b64 s[4:5], vcc
	s_cbranch_execz .LBB78_1896
; %bb.1891:
	s_mov_b32 s8, 0x3bffffff
	v_cmp_lt_u32_e32 vcc, s8, v5
	s_mov_b64 s[8:9], 0
                                        ; implicit-def: $vgpr5
	s_and_saveexec_b64 s[10:11], vcc
	s_xor_b64 s[10:11], exec, s[10:11]
	s_cbranch_execz .LBB78_2002
; %bb.1892:
	v_bfe_u32 v5, v4, 20, 1
	s_mov_b32 s13, 0x487ffff
	v_add3_u32 v5, v4, v5, s13
	s_mov_b64 s[8:9], exec
	v_lshrrev_b32_e32 v5, 20, v5
	s_andn2_saveexec_b64 s[10:11], s[10:11]
	s_cbranch_execnz .LBB78_2003
.LBB78_1893:
	s_or_b64 exec, exec, s[10:11]
	v_mov_b32_e32 v6, 0
	s_and_saveexec_b64 s[10:11], s[8:9]
.LBB78_1894:
	v_lshrrev_b32_e32 v4, 24, v4
	s_movk_i32 s8, 0x80
	v_and_or_b32 v6, v4, s8, v5
.LBB78_1895:
	s_or_b64 exec, exec, s[10:11]
.LBB78_1896:
	s_or_b64 exec, exec, s[4:5]
	global_store_byte v[2:3], v6, off
.LBB78_1897:
	s_mov_b64 s[4:5], 0
.LBB78_1898:
	s_and_b64 vcc, exec, s[4:5]
	s_cbranch_vccz .LBB78_1938
; %bb.1899:
	s_cmp_gt_i32 s12, 22
	s_mov_b64 s[2:3], -1
	s_cbranch_scc0 .LBB78_1931
; %bb.1900:
	s_cmp_lt_i32 s12, 24
	s_cbranch_scc1 .LBB78_1920
; %bb.1901:
	s_cmp_gt_i32 s12, 24
	s_cbranch_scc0 .LBB78_1909
; %bb.1902:
	v_xor_b32_e32 v5, v0, v1
	v_ffbh_i32_e32 v4, v1
	v_ashrrev_i32_e32 v5, 31, v5
	v_add_u32_e32 v4, -1, v4
	v_add_u32_e32 v5, 32, v5
	v_min_u32_e32 v6, v4, v5
	v_lshlrev_b64 v[4:5], v6, v[0:1]
	s_mov_b32 s2, 0x47800000
	v_min_u32_e32 v4, 1, v4
	v_or_b32_e32 v4, v5, v4
	v_cvt_f32_i32_e32 v4, v4
	v_sub_u32_e32 v5, 32, v6
	v_mov_b32_e32 v6, 0x80
	v_ldexp_f32 v4, v4, v5
	v_and_b32_e32 v5, 0x7fffffff, v4
	v_cmp_gt_u32_e32 vcc, s2, v5
	s_and_saveexec_b64 s[2:3], vcc
	s_cbranch_execz .LBB78_1908
; %bb.1903:
	s_mov_b32 s4, 0x37ffffff
	v_cmp_lt_u32_e32 vcc, s4, v5
	s_mov_b64 s[4:5], 0
                                        ; implicit-def: $vgpr5
	s_and_saveexec_b64 s[8:9], vcc
	s_xor_b64 s[8:9], exec, s[8:9]
	s_cbranch_execz .LBB78_2005
; %bb.1904:
	v_bfe_u32 v5, v4, 21, 1
	s_mov_b32 s10, 0x88fffff
	v_add3_u32 v5, v4, v5, s10
	s_mov_b64 s[4:5], exec
	v_lshrrev_b32_e32 v5, 21, v5
	s_andn2_saveexec_b64 s[8:9], s[8:9]
	s_cbranch_execnz .LBB78_2006
.LBB78_1905:
	s_or_b64 exec, exec, s[8:9]
	v_mov_b32_e32 v6, 0
	s_and_saveexec_b64 s[8:9], s[4:5]
.LBB78_1906:
	v_lshrrev_b32_e32 v4, 24, v4
	s_movk_i32 s4, 0x80
	v_and_or_b32 v6, v4, s4, v5
.LBB78_1907:
	s_or_b64 exec, exec, s[8:9]
.LBB78_1908:
	s_or_b64 exec, exec, s[2:3]
	s_mov_b64 s[2:3], 0
	global_store_byte v[2:3], v6, off
.LBB78_1909:
	s_and_b64 vcc, exec, s[2:3]
	s_cbranch_vccz .LBB78_1919
; %bb.1910:
	v_xor_b32_e32 v5, v0, v1
	v_ffbh_i32_e32 v4, v1
	v_ashrrev_i32_e32 v5, 31, v5
	v_add_u32_e32 v4, -1, v4
	v_add_u32_e32 v5, 32, v5
	v_min_u32_e32 v6, v4, v5
	v_lshlrev_b64 v[4:5], v6, v[0:1]
	s_mov_b32 s2, 0x43f00000
	v_min_u32_e32 v4, 1, v4
	v_or_b32_e32 v4, v5, v4
	v_cvt_f32_i32_e32 v4, v4
	v_sub_u32_e32 v5, 32, v6
	v_ldexp_f32 v4, v4, v5
	v_and_b32_e32 v6, 0x7fffffff, v4
	v_cmp_gt_u32_e32 vcc, s2, v6
                                        ; implicit-def: $vgpr5
	s_and_saveexec_b64 s[2:3], vcc
	s_xor_b64 s[2:3], exec, s[2:3]
	s_cbranch_execz .LBB78_1916
; %bb.1911:
	s_mov_b32 s4, 0x3c7fffff
	v_cmp_lt_u32_e32 vcc, s4, v6
                                        ; implicit-def: $vgpr5
	s_and_saveexec_b64 s[4:5], vcc
	s_xor_b64 s[4:5], exec, s[4:5]
; %bb.1912:
	v_bfe_u32 v5, v4, 20, 1
	s_mov_b32 s8, 0x407ffff
	v_add3_u32 v5, v4, v5, s8
	v_lshrrev_b32_e32 v6, 20, v5
	v_and_b32_e32 v5, 0xff00000, v5
	s_mov_b32 s8, 0x7f00000
	v_mov_b32_e32 v7, 0x7e
	v_cmp_ne_u32_e32 vcc, s8, v5
	v_cndmask_b32_e32 v5, v7, v6, vcc
; %bb.1913:
	s_andn2_saveexec_b64 s[4:5], s[4:5]
; %bb.1914:
	s_mov_b32 s8, 0x46800000
	v_add_f32_e64 v5, |v4|, s8
; %bb.1915:
	s_or_b64 exec, exec, s[4:5]
                                        ; implicit-def: $vgpr6
.LBB78_1916:
	s_andn2_saveexec_b64 s[2:3], s[2:3]
; %bb.1917:
	s_mov_b32 s4, 0x7f800000
	v_mov_b32_e32 v5, 0x7e
	v_mov_b32_e32 v7, 0x7f
	v_cmp_lt_u32_e32 vcc, s4, v6
	v_cndmask_b32_e32 v5, v5, v7, vcc
; %bb.1918:
	s_or_b64 exec, exec, s[2:3]
	v_lshrrev_b32_e32 v4, 24, v4
	s_movk_i32 s2, 0x80
	v_and_or_b32 v4, v4, s2, v5
	global_store_byte v[2:3], v4, off
.LBB78_1919:
	s_mov_b64 s[2:3], 0
.LBB78_1920:
	s_andn2_b64 vcc, exec, s[2:3]
	s_cbranch_vccnz .LBB78_1930
; %bb.1921:
	v_xor_b32_e32 v5, v0, v1
	v_ffbh_i32_e32 v4, v1
	v_ashrrev_i32_e32 v5, 31, v5
	v_add_u32_e32 v4, -1, v4
	v_add_u32_e32 v5, 32, v5
	v_min_u32_e32 v6, v4, v5
	v_lshlrev_b64 v[4:5], v6, v[0:1]
	s_mov_b32 s2, 0x47800000
	v_min_u32_e32 v4, 1, v4
	v_or_b32_e32 v4, v5, v4
	v_cvt_f32_i32_e32 v4, v4
	v_sub_u32_e32 v5, 32, v6
	v_ldexp_f32 v4, v4, v5
	v_and_b32_e32 v6, 0x7fffffff, v4
	v_cmp_gt_u32_e32 vcc, s2, v6
                                        ; implicit-def: $vgpr5
	s_and_saveexec_b64 s[2:3], vcc
	s_xor_b64 s[2:3], exec, s[2:3]
	s_cbranch_execz .LBB78_1927
; %bb.1922:
	s_mov_b32 s4, 0x387fffff
	v_cmp_lt_u32_e32 vcc, s4, v6
                                        ; implicit-def: $vgpr5
	s_and_saveexec_b64 s[4:5], vcc
	s_xor_b64 s[4:5], exec, s[4:5]
; %bb.1923:
	v_bfe_u32 v5, v4, 21, 1
	s_mov_b32 s8, 0x80fffff
	v_add3_u32 v5, v4, v5, s8
	v_lshrrev_b32_e32 v5, 21, v5
; %bb.1924:
	s_andn2_saveexec_b64 s[4:5], s[4:5]
; %bb.1925:
	s_mov_b32 s8, 0x43000000
	v_add_f32_e64 v5, |v4|, s8
; %bb.1926:
	s_or_b64 exec, exec, s[4:5]
                                        ; implicit-def: $vgpr6
.LBB78_1927:
	s_andn2_saveexec_b64 s[2:3], s[2:3]
; %bb.1928:
	s_mov_b32 s4, 0x7f800000
	v_mov_b32_e32 v5, 0x7c
	v_mov_b32_e32 v7, 0x7f
	v_cmp_lt_u32_e32 vcc, s4, v6
	v_cndmask_b32_e32 v5, v5, v7, vcc
; %bb.1929:
	s_or_b64 exec, exec, s[2:3]
	v_lshrrev_b32_e32 v4, 24, v4
	s_movk_i32 s2, 0x80
	v_and_or_b32 v4, v4, s2, v5
	global_store_byte v[2:3], v4, off
.LBB78_1930:
	s_mov_b64 s[2:3], 0
.LBB78_1931:
	s_andn2_b64 vcc, exec, s[2:3]
	s_mov_b64 s[2:3], 0
	s_cbranch_vccnz .LBB78_1938
; %bb.1932:
	s_cmp_gt_i32 s12, 14
	s_mov_b64 s[4:5], -1
	s_cbranch_scc0 .LBB78_1936
; %bb.1933:
	s_cmp_eq_u32 s12, 15
	s_mov_b64 s[0:1], -1
	s_cbranch_scc0 .LBB78_1935
; %bb.1934:
	v_xor_b32_e32 v5, v0, v1
	v_ffbh_i32_e32 v4, v1
	v_ashrrev_i32_e32 v5, 31, v5
	v_add_u32_e32 v4, -1, v4
	v_add_u32_e32 v5, 32, v5
	v_min_u32_e32 v6, v4, v5
	v_lshlrev_b64 v[4:5], v6, v[0:1]
	s_movk_i32 s0, 0x7fff
	v_min_u32_e32 v4, 1, v4
	v_or_b32_e32 v4, v5, v4
	v_cvt_f32_i32_e32 v4, v4
	v_sub_u32_e32 v5, 32, v6
	v_ldexp_f32 v4, v4, v5
	v_bfe_u32 v5, v4, 16, 1
	v_add3_u32 v4, v4, v5, s0
	global_store_short_d16_hi v[2:3], v4, off
	s_mov_b64 s[0:1], 0
.LBB78_1935:
	s_mov_b64 s[4:5], 0
.LBB78_1936:
	s_and_b64 vcc, exec, s[4:5]
	s_cbranch_vccz .LBB78_1938
; %bb.1937:
	s_cmp_lg_u32 s12, 11
	s_mov_b64 s[2:3], -1
	s_cselect_b64 s[0:1], -1, 0
.LBB78_1938:
	s_and_b64 vcc, exec, s[0:1]
	s_cbranch_vccnz .LBB78_2004
.LBB78_1939:
	s_mov_b64 s[0:1], 0
	s_branch .LBB78_1941
.LBB78_1940:
	s_mov_b64 s[0:1], 0
	s_mov_b64 s[2:3], 0
                                        ; implicit-def: $sgpr22
                                        ; implicit-def: $vgpr2_vgpr3
                                        ; implicit-def: $vgpr0_vgpr1
.LBB78_1941:
	s_and_b64 s[4:5], s[2:3], exec
	s_andn2_b64 s[2:3], s[14:15], exec
	s_and_b64 s[8:9], s[16:17], exec
	s_and_b64 s[0:1], s[0:1], exec
	s_or_b64 s[14:15], s[2:3], s[8:9]
.LBB78_1942:
	s_or_b64 exec, exec, s[6:7]
	s_and_saveexec_b64 s[2:3], s[14:15]
	s_cbranch_execz .LBB78_1945
; %bb.1943:
	; divergent unreachable
	s_or_b64 exec, exec, s[2:3]
	s_and_saveexec_b64 s[2:3], s[4:5]
	s_xor_b64 s[2:3], exec, s[2:3]
	s_cbranch_execnz .LBB78_1946
.LBB78_1944:
	s_or_b64 exec, exec, s[2:3]
	s_and_saveexec_b64 s[2:3], s[0:1]
	s_cbranch_execnz .LBB78_1947
	s_branch .LBB78_1984
.LBB78_1945:
	s_or_b64 exec, exec, s[2:3]
	s_and_saveexec_b64 s[2:3], s[4:5]
	s_xor_b64 s[2:3], exec, s[2:3]
	s_cbranch_execz .LBB78_1944
.LBB78_1946:
	s_waitcnt vmcnt(0)
	v_cmp_ne_u64_e32 vcc, 0, v[0:1]
	v_cndmask_b32_e64 v4, 0, 1, vcc
	global_store_byte v[2:3], v4, off
	s_or_b64 exec, exec, s[2:3]
	s_and_saveexec_b64 s[2:3], s[0:1]
	s_cbranch_execz .LBB78_1984
.LBB78_1947:
	s_sext_i32_i16 s2, s22
	s_cmp_lt_i32 s2, 5
	s_mov_b64 s[0:1], -1
	s_cbranch_scc1 .LBB78_1968
; %bb.1948:
	s_cmp_lt_i32 s2, 8
	s_cbranch_scc1 .LBB78_1958
; %bb.1949:
	s_cmp_lt_i32 s2, 9
	s_cbranch_scc1 .LBB78_1955
; %bb.1950:
	s_cmp_gt_i32 s2, 9
	s_cbranch_scc0 .LBB78_1952
; %bb.1951:
	s_waitcnt vmcnt(0)
	v_cvt_f64_i32_e32 v[4:5], v1
	v_cvt_f64_u32_e32 v[6:7], v0
	s_mov_b64 s[0:1], 0
	v_ldexp_f64 v[4:5], v[4:5], 32
	v_add_f64 v[4:5], v[4:5], v[6:7]
	v_mov_b32_e32 v6, 0
	v_mov_b32_e32 v7, v6
	global_store_dwordx4 v[2:3], v[4:7], off
.LBB78_1952:
	s_andn2_b64 vcc, exec, s[0:1]
	s_cbranch_vccnz .LBB78_1954
; %bb.1953:
	s_waitcnt vmcnt(0)
	v_xor_b32_e32 v5, v0, v1
	v_ffbh_i32_e32 v4, v1
	v_ashrrev_i32_e32 v5, 31, v5
	v_add_u32_e32 v4, -1, v4
	v_add_u32_e32 v5, 32, v5
	v_min_u32_e32 v6, v4, v5
	v_lshlrev_b64 v[4:5], v6, v[0:1]
	v_min_u32_e32 v4, 1, v4
	v_or_b32_e32 v4, v5, v4
	v_cvt_f32_i32_e32 v4, v4
	v_sub_u32_e32 v5, 32, v6
	v_ldexp_f32 v4, v4, v5
	v_mov_b32_e32 v5, 0
	global_store_dwordx2 v[2:3], v[4:5], off
.LBB78_1954:
	s_mov_b64 s[0:1], 0
.LBB78_1955:
	s_andn2_b64 vcc, exec, s[0:1]
	s_cbranch_vccnz .LBB78_1957
; %bb.1956:
	s_waitcnt vmcnt(0)
	v_xor_b32_e32 v5, v0, v1
	v_ffbh_i32_e32 v4, v1
	v_ashrrev_i32_e32 v5, 31, v5
	v_add_u32_e32 v4, -1, v4
	v_add_u32_e32 v5, 32, v5
	v_min_u32_e32 v6, v4, v5
	v_lshlrev_b64 v[4:5], v6, v[0:1]
	v_min_u32_e32 v4, 1, v4
	v_or_b32_e32 v4, v5, v4
	v_cvt_f32_i32_e32 v4, v4
	v_sub_u32_e32 v5, 32, v6
	v_ldexp_f32 v4, v4, v5
	v_cvt_f16_f32_e32 v4, v4
	global_store_dword v[2:3], v4, off
.LBB78_1957:
	s_mov_b64 s[0:1], 0
.LBB78_1958:
	s_andn2_b64 vcc, exec, s[0:1]
	s_cbranch_vccnz .LBB78_1967
; %bb.1959:
	s_sext_i32_i16 s2, s22
	s_cmp_lt_i32 s2, 6
	s_mov_b64 s[0:1], -1
	s_cbranch_scc1 .LBB78_1965
; %bb.1960:
	s_cmp_gt_i32 s2, 6
	s_cbranch_scc0 .LBB78_1962
; %bb.1961:
	s_waitcnt vmcnt(0)
	v_cvt_f64_i32_e32 v[4:5], v1
	v_cvt_f64_u32_e32 v[6:7], v0
	s_mov_b64 s[0:1], 0
	v_ldexp_f64 v[4:5], v[4:5], 32
	v_add_f64 v[4:5], v[4:5], v[6:7]
	global_store_dwordx2 v[2:3], v[4:5], off
.LBB78_1962:
	s_andn2_b64 vcc, exec, s[0:1]
	s_cbranch_vccnz .LBB78_1964
; %bb.1963:
	s_waitcnt vmcnt(0)
	v_xor_b32_e32 v5, v0, v1
	v_ffbh_i32_e32 v4, v1
	v_ashrrev_i32_e32 v5, 31, v5
	v_add_u32_e32 v4, -1, v4
	v_add_u32_e32 v5, 32, v5
	v_min_u32_e32 v6, v4, v5
	v_lshlrev_b64 v[4:5], v6, v[0:1]
	v_min_u32_e32 v4, 1, v4
	v_or_b32_e32 v4, v5, v4
	v_cvt_f32_i32_e32 v4, v4
	v_sub_u32_e32 v5, 32, v6
	v_ldexp_f32 v4, v4, v5
	global_store_dword v[2:3], v4, off
.LBB78_1964:
	s_mov_b64 s[0:1], 0
.LBB78_1965:
	s_andn2_b64 vcc, exec, s[0:1]
	s_cbranch_vccnz .LBB78_1967
; %bb.1966:
	s_waitcnt vmcnt(0)
	v_xor_b32_e32 v5, v0, v1
	v_ffbh_i32_e32 v4, v1
	v_ashrrev_i32_e32 v5, 31, v5
	v_add_u32_e32 v4, -1, v4
	v_add_u32_e32 v5, 32, v5
	v_min_u32_e32 v6, v4, v5
	v_lshlrev_b64 v[4:5], v6, v[0:1]
	v_min_u32_e32 v4, 1, v4
	v_or_b32_e32 v4, v5, v4
	v_cvt_f32_i32_e32 v4, v4
	v_sub_u32_e32 v5, 32, v6
	v_ldexp_f32 v4, v4, v5
	v_cvt_f16_f32_e32 v4, v4
	global_store_short v[2:3], v4, off
.LBB78_1967:
	s_mov_b64 s[0:1], 0
.LBB78_1968:
	s_andn2_b64 vcc, exec, s[0:1]
	s_cbranch_vccnz .LBB78_1984
; %bb.1969:
	s_sext_i32_i16 s2, s22
	s_cmp_lt_i32 s2, 2
	s_mov_b64 s[0:1], -1
	s_cbranch_scc1 .LBB78_1979
; %bb.1970:
	s_cmp_lt_i32 s2, 3
	s_cbranch_scc1 .LBB78_1976
; %bb.1971:
	s_cmp_gt_i32 s2, 3
	s_cbranch_scc0 .LBB78_1973
; %bb.1972:
	s_waitcnt vmcnt(0)
	global_store_dwordx2 v[2:3], v[0:1], off
	s_mov_b64 s[0:1], 0
.LBB78_1973:
	s_andn2_b64 vcc, exec, s[0:1]
	s_cbranch_vccnz .LBB78_1975
; %bb.1974:
	s_waitcnt vmcnt(0)
	global_store_dword v[2:3], v0, off
.LBB78_1975:
	s_mov_b64 s[0:1], 0
.LBB78_1976:
	s_andn2_b64 vcc, exec, s[0:1]
	s_cbranch_vccnz .LBB78_1978
; %bb.1977:
	s_waitcnt vmcnt(0)
	global_store_short v[2:3], v0, off
.LBB78_1978:
	s_mov_b64 s[0:1], 0
.LBB78_1979:
	s_andn2_b64 vcc, exec, s[0:1]
	s_cbranch_vccnz .LBB78_1984
; %bb.1980:
	s_sext_i32_i16 s0, s22
	s_cmp_gt_i32 s0, 0
	s_mov_b64 s[0:1], -1
	s_cbranch_scc0 .LBB78_1982
; %bb.1981:
	s_waitcnt vmcnt(0)
	global_store_byte v[2:3], v0, off
	s_mov_b64 s[0:1], 0
.LBB78_1982:
	s_andn2_b64 vcc, exec, s[0:1]
	s_cbranch_vccnz .LBB78_1984
; %bb.1983:
	s_waitcnt vmcnt(0)
	global_store_byte v[2:3], v0, off
	s_endpgm
.LBB78_1984:
	s_endpgm
.LBB78_1985:
	s_mov_b64 s[2:3], 0
	s_mov_b64 s[0:1], -1
	s_branch .LBB78_1941
.LBB78_1986:
	s_trap 2
	s_or_b64 s[16:17], s[16:17], exec
	s_cbranch_execz .LBB78_1455
	s_branch .LBB78_1456
.LBB78_1987:
	s_andn2_saveexec_b64 s[20:21], s[20:21]
	s_cbranch_execz .LBB78_1535
.LBB78_1988:
	s_mov_b32 s23, 0x46000000
	v_add_f32_e64 v12, |v11|, s23
	v_and_b32_e32 v12, 0xff, v12
	v_cmp_ne_u32_e32 vcc, 0, v12
	s_andn2_b64 s[18:19], s[18:19], exec
	s_and_b64 s[24:25], vcc, exec
	s_or_b64 s[18:19], s[18:19], s[24:25]
	s_or_b64 exec, exec, s[20:21]
	v_mov_b32_e32 v13, 0
	s_and_saveexec_b64 s[20:21], s[18:19]
	s_cbranch_execnz .LBB78_1536
	s_branch .LBB78_1537
.LBB78_1989:
	s_trap 2
	s_or_b64 s[16:17], s[16:17], exec
	s_cbranch_execz .LBB78_1583
	s_branch .LBB78_1584
.LBB78_1990:
	s_andn2_saveexec_b64 s[18:19], s[18:19]
	s_cbranch_execz .LBB78_1548
.LBB78_1991:
	s_mov_b32 s20, 0x42800000
	v_add_f32_e64 v12, |v11|, s20
	v_and_b32_e32 v12, 0xff, v12
	v_cmp_ne_u32_e32 vcc, 0, v12
	s_andn2_b64 s[10:11], s[10:11], exec
	s_and_b64 s[20:21], vcc, exec
	s_or_b64 s[10:11], s[10:11], s[20:21]
	s_or_b64 exec, exec, s[18:19]
	v_mov_b32_e32 v13, 0
	s_and_saveexec_b64 s[18:19], s[10:11]
	s_cbranch_execnz .LBB78_1549
	s_branch .LBB78_1550
.LBB78_1992:
	s_andn2_saveexec_b64 s[18:19], s[18:19]
	s_cbranch_execz .LBB78_1654
.LBB78_1993:
	s_mov_b32 s23, 0x46000000
	v_add_f32_e64 v10, |v9|, s23
	v_and_b32_e32 v10, 0xff, v10
	v_cmp_ne_u32_e32 vcc, 0, v10
	s_andn2_b64 s[12:13], s[12:13], exec
	s_and_b64 s[24:25], vcc, exec
	s_or_b64 s[12:13], s[12:13], s[24:25]
	s_or_b64 exec, exec, s[18:19]
	v_mov_b32_e32 v11, 0
	s_and_saveexec_b64 s[18:19], s[12:13]
	s_cbranch_execnz .LBB78_1655
	s_branch .LBB78_1656
.LBB78_1994:
	s_trap 2
	s_or_b64 s[16:17], s[16:17], exec
	s_cbranch_execz .LBB78_1702
	s_branch .LBB78_1703
.LBB78_1995:
	s_andn2_saveexec_b64 s[12:13], s[12:13]
	s_cbranch_execz .LBB78_1667
.LBB78_1996:
	s_mov_b32 s18, 0x42800000
	v_add_f32_e64 v10, |v9|, s18
	v_and_b32_e32 v10, 0xff, v10
	v_cmp_ne_u32_e32 vcc, 0, v10
	s_andn2_b64 s[10:11], s[10:11], exec
	s_and_b64 s[18:19], vcc, exec
	s_or_b64 s[10:11], s[10:11], s[18:19]
	s_or_b64 exec, exec, s[12:13]
	v_mov_b32_e32 v11, 0
	s_and_saveexec_b64 s[12:13], s[10:11]
	s_cbranch_execnz .LBB78_1668
	s_branch .LBB78_1669
.LBB78_1997:
	s_andn2_saveexec_b64 s[18:19], s[18:19]
	s_cbranch_execz .LBB78_1773
.LBB78_1998:
	s_mov_b32 s23, 0x46000000
	v_add_f32_e64 v8, |v5|, s23
	v_and_b32_e32 v8, 0xff, v8
	v_cmp_ne_u32_e32 vcc, 0, v8
	s_andn2_b64 s[12:13], s[12:13], exec
	s_and_b64 s[24:25], vcc, exec
	s_or_b64 s[12:13], s[12:13], s[24:25]
	s_or_b64 exec, exec, s[18:19]
	v_mov_b32_e32 v9, 0
	s_and_saveexec_b64 s[18:19], s[12:13]
	s_cbranch_execnz .LBB78_1774
	s_branch .LBB78_1775
.LBB78_1999:
	s_trap 2
	s_or_b64 s[16:17], s[16:17], exec
	s_cbranch_execz .LBB78_1821
	s_branch .LBB78_1822
.LBB78_2000:
	s_andn2_saveexec_b64 s[12:13], s[12:13]
	s_cbranch_execz .LBB78_1786
.LBB78_2001:
	s_mov_b32 s18, 0x42800000
	v_add_f32_e64 v8, |v5|, s18
	v_and_b32_e32 v8, 0xff, v8
	v_cmp_ne_u32_e32 vcc, 0, v8
	s_andn2_b64 s[10:11], s[10:11], exec
	s_and_b64 s[18:19], vcc, exec
	s_or_b64 s[10:11], s[10:11], s[18:19]
	s_or_b64 exec, exec, s[12:13]
	v_mov_b32_e32 v9, 0
	s_and_saveexec_b64 s[12:13], s[10:11]
	s_cbranch_execnz .LBB78_1787
	s_branch .LBB78_1788
.LBB78_2002:
	s_andn2_saveexec_b64 s[10:11], s[10:11]
	s_cbranch_execz .LBB78_1893
.LBB78_2003:
	s_mov_b32 s13, 0x46000000
	v_add_f32_e64 v5, |v4|, s13
	v_and_b32_e32 v5, 0xff, v5
	v_cmp_ne_u32_e32 vcc, 0, v5
	s_andn2_b64 s[8:9], s[8:9], exec
	s_and_b64 s[18:19], vcc, exec
	s_or_b64 s[8:9], s[8:9], s[18:19]
	s_or_b64 exec, exec, s[10:11]
	v_mov_b32_e32 v6, 0
	s_and_saveexec_b64 s[10:11], s[8:9]
	s_cbranch_execnz .LBB78_1894
	s_branch .LBB78_1895
.LBB78_2004:
	s_mov_b64 s[2:3], 0
	s_or_b64 s[16:17], s[16:17], exec
	s_trap 2
	s_branch .LBB78_1939
.LBB78_2005:
	s_andn2_saveexec_b64 s[8:9], s[8:9]
	s_cbranch_execz .LBB78_1905
.LBB78_2006:
	s_mov_b32 s10, 0x42800000
	v_add_f32_e64 v5, |v4|, s10
	v_and_b32_e32 v5, 0xff, v5
	v_cmp_ne_u32_e32 vcc, 0, v5
	s_andn2_b64 s[4:5], s[4:5], exec
	s_and_b64 s[10:11], vcc, exec
	s_or_b64 s[4:5], s[4:5], s[10:11]
	s_or_b64 exec, exec, s[8:9]
	v_mov_b32_e32 v6, 0
	s_and_saveexec_b64 s[8:9], s[4:5]
	s_cbranch_execnz .LBB78_1906
	s_branch .LBB78_1907
	.section	.rodata,"a",@progbits
	.p2align	6, 0x0
	.amdhsa_kernel _ZN2at6native32elementwise_kernel_manual_unrollILi128ELi4EZNS0_15gpu_kernel_implINS0_13AUnaryFunctorIlllZZZNS0_18lshift_kernel_cudaERNS_18TensorIteratorBaseEENKUlvE_clEvENKUlvE2_clEvEUlllE_EEEEvS5_RKT_EUlibE_EEviT1_
		.amdhsa_group_segment_fixed_size 0
		.amdhsa_private_segment_fixed_size 0
		.amdhsa_kernarg_size 56
		.amdhsa_user_sgpr_count 6
		.amdhsa_user_sgpr_private_segment_buffer 1
		.amdhsa_user_sgpr_dispatch_ptr 0
		.amdhsa_user_sgpr_queue_ptr 0
		.amdhsa_user_sgpr_kernarg_segment_ptr 1
		.amdhsa_user_sgpr_dispatch_id 0
		.amdhsa_user_sgpr_flat_scratch_init 0
		.amdhsa_user_sgpr_private_segment_size 0
		.amdhsa_uses_dynamic_stack 0
		.amdhsa_system_sgpr_private_segment_wavefront_offset 0
		.amdhsa_system_sgpr_workgroup_id_x 1
		.amdhsa_system_sgpr_workgroup_id_y 0
		.amdhsa_system_sgpr_workgroup_id_z 0
		.amdhsa_system_sgpr_workgroup_info 0
		.amdhsa_system_vgpr_workitem_id 0
		.amdhsa_next_free_vgpr 15
		.amdhsa_next_free_sgpr 48
		.amdhsa_reserve_vcc 1
		.amdhsa_reserve_flat_scratch 0
		.amdhsa_float_round_mode_32 0
		.amdhsa_float_round_mode_16_64 0
		.amdhsa_float_denorm_mode_32 3
		.amdhsa_float_denorm_mode_16_64 3
		.amdhsa_dx10_clamp 1
		.amdhsa_ieee_mode 1
		.amdhsa_fp16_overflow 0
		.amdhsa_exception_fp_ieee_invalid_op 0
		.amdhsa_exception_fp_denorm_src 0
		.amdhsa_exception_fp_ieee_div_zero 0
		.amdhsa_exception_fp_ieee_overflow 0
		.amdhsa_exception_fp_ieee_underflow 0
		.amdhsa_exception_fp_ieee_inexact 0
		.amdhsa_exception_int_div_zero 0
	.end_amdhsa_kernel
	.section	.text._ZN2at6native32elementwise_kernel_manual_unrollILi128ELi4EZNS0_15gpu_kernel_implINS0_13AUnaryFunctorIlllZZZNS0_18lshift_kernel_cudaERNS_18TensorIteratorBaseEENKUlvE_clEvENKUlvE2_clEvEUlllE_EEEEvS5_RKT_EUlibE_EEviT1_,"axG",@progbits,_ZN2at6native32elementwise_kernel_manual_unrollILi128ELi4EZNS0_15gpu_kernel_implINS0_13AUnaryFunctorIlllZZZNS0_18lshift_kernel_cudaERNS_18TensorIteratorBaseEENKUlvE_clEvENKUlvE2_clEvEUlllE_EEEEvS5_RKT_EUlibE_EEviT1_,comdat
.Lfunc_end78:
	.size	_ZN2at6native32elementwise_kernel_manual_unrollILi128ELi4EZNS0_15gpu_kernel_implINS0_13AUnaryFunctorIlllZZZNS0_18lshift_kernel_cudaERNS_18TensorIteratorBaseEENKUlvE_clEvENKUlvE2_clEvEUlllE_EEEEvS5_RKT_EUlibE_EEviT1_, .Lfunc_end78-_ZN2at6native32elementwise_kernel_manual_unrollILi128ELi4EZNS0_15gpu_kernel_implINS0_13AUnaryFunctorIlllZZZNS0_18lshift_kernel_cudaERNS_18TensorIteratorBaseEENKUlvE_clEvENKUlvE2_clEvEUlllE_EEEEvS5_RKT_EUlibE_EEviT1_
                                        ; -- End function
	.set _ZN2at6native32elementwise_kernel_manual_unrollILi128ELi4EZNS0_15gpu_kernel_implINS0_13AUnaryFunctorIlllZZZNS0_18lshift_kernel_cudaERNS_18TensorIteratorBaseEENKUlvE_clEvENKUlvE2_clEvEUlllE_EEEEvS5_RKT_EUlibE_EEviT1_.num_vgpr, 15
	.set _ZN2at6native32elementwise_kernel_manual_unrollILi128ELi4EZNS0_15gpu_kernel_implINS0_13AUnaryFunctorIlllZZZNS0_18lshift_kernel_cudaERNS_18TensorIteratorBaseEENKUlvE_clEvENKUlvE2_clEvEUlllE_EEEEvS5_RKT_EUlibE_EEviT1_.num_agpr, 0
	.set _ZN2at6native32elementwise_kernel_manual_unrollILi128ELi4EZNS0_15gpu_kernel_implINS0_13AUnaryFunctorIlllZZZNS0_18lshift_kernel_cudaERNS_18TensorIteratorBaseEENKUlvE_clEvENKUlvE2_clEvEUlllE_EEEEvS5_RKT_EUlibE_EEviT1_.numbered_sgpr, 48
	.set _ZN2at6native32elementwise_kernel_manual_unrollILi128ELi4EZNS0_15gpu_kernel_implINS0_13AUnaryFunctorIlllZZZNS0_18lshift_kernel_cudaERNS_18TensorIteratorBaseEENKUlvE_clEvENKUlvE2_clEvEUlllE_EEEEvS5_RKT_EUlibE_EEviT1_.num_named_barrier, 0
	.set _ZN2at6native32elementwise_kernel_manual_unrollILi128ELi4EZNS0_15gpu_kernel_implINS0_13AUnaryFunctorIlllZZZNS0_18lshift_kernel_cudaERNS_18TensorIteratorBaseEENKUlvE_clEvENKUlvE2_clEvEUlllE_EEEEvS5_RKT_EUlibE_EEviT1_.private_seg_size, 0
	.set _ZN2at6native32elementwise_kernel_manual_unrollILi128ELi4EZNS0_15gpu_kernel_implINS0_13AUnaryFunctorIlllZZZNS0_18lshift_kernel_cudaERNS_18TensorIteratorBaseEENKUlvE_clEvENKUlvE2_clEvEUlllE_EEEEvS5_RKT_EUlibE_EEviT1_.uses_vcc, 1
	.set _ZN2at6native32elementwise_kernel_manual_unrollILi128ELi4EZNS0_15gpu_kernel_implINS0_13AUnaryFunctorIlllZZZNS0_18lshift_kernel_cudaERNS_18TensorIteratorBaseEENKUlvE_clEvENKUlvE2_clEvEUlllE_EEEEvS5_RKT_EUlibE_EEviT1_.uses_flat_scratch, 0
	.set _ZN2at6native32elementwise_kernel_manual_unrollILi128ELi4EZNS0_15gpu_kernel_implINS0_13AUnaryFunctorIlllZZZNS0_18lshift_kernel_cudaERNS_18TensorIteratorBaseEENKUlvE_clEvENKUlvE2_clEvEUlllE_EEEEvS5_RKT_EUlibE_EEviT1_.has_dyn_sized_stack, 0
	.set _ZN2at6native32elementwise_kernel_manual_unrollILi128ELi4EZNS0_15gpu_kernel_implINS0_13AUnaryFunctorIlllZZZNS0_18lshift_kernel_cudaERNS_18TensorIteratorBaseEENKUlvE_clEvENKUlvE2_clEvEUlllE_EEEEvS5_RKT_EUlibE_EEviT1_.has_recursion, 0
	.set _ZN2at6native32elementwise_kernel_manual_unrollILi128ELi4EZNS0_15gpu_kernel_implINS0_13AUnaryFunctorIlllZZZNS0_18lshift_kernel_cudaERNS_18TensorIteratorBaseEENKUlvE_clEvENKUlvE2_clEvEUlllE_EEEEvS5_RKT_EUlibE_EEviT1_.has_indirect_call, 0
	.section	.AMDGPU.csdata,"",@progbits
; Kernel info:
; codeLenInByte = 40032
; TotalNumSgprs: 52
; NumVgprs: 15
; ScratchSize: 0
; MemoryBound: 1
; FloatMode: 240
; IeeeMode: 1
; LDSByteSize: 0 bytes/workgroup (compile time only)
; SGPRBlocks: 6
; VGPRBlocks: 3
; NumSGPRsForWavesPerEU: 52
; NumVGPRsForWavesPerEU: 15
; Occupancy: 10
; WaveLimiterHint : 0
; COMPUTE_PGM_RSRC2:SCRATCH_EN: 0
; COMPUTE_PGM_RSRC2:USER_SGPR: 6
; COMPUTE_PGM_RSRC2:TRAP_HANDLER: 0
; COMPUTE_PGM_RSRC2:TGID_X_EN: 1
; COMPUTE_PGM_RSRC2:TGID_Y_EN: 0
; COMPUTE_PGM_RSRC2:TGID_Z_EN: 0
; COMPUTE_PGM_RSRC2:TIDIG_COMP_CNT: 0
	.section	.text._ZN2at6native32elementwise_kernel_manual_unrollILi128ELi4EZNS0_15gpu_kernel_implINS0_13AUnaryFunctorIlllZZZNS0_18lshift_kernel_cudaERNS_18TensorIteratorBaseEENKUlvE_clEvENKUlvE2_clEvEUlllE_EEEEvS5_RKT_EUlibE0_EEviT1_,"axG",@progbits,_ZN2at6native32elementwise_kernel_manual_unrollILi128ELi4EZNS0_15gpu_kernel_implINS0_13AUnaryFunctorIlllZZZNS0_18lshift_kernel_cudaERNS_18TensorIteratorBaseEENKUlvE_clEvENKUlvE2_clEvEUlllE_EEEEvS5_RKT_EUlibE0_EEviT1_,comdat
	.globl	_ZN2at6native32elementwise_kernel_manual_unrollILi128ELi4EZNS0_15gpu_kernel_implINS0_13AUnaryFunctorIlllZZZNS0_18lshift_kernel_cudaERNS_18TensorIteratorBaseEENKUlvE_clEvENKUlvE2_clEvEUlllE_EEEEvS5_RKT_EUlibE0_EEviT1_ ; -- Begin function _ZN2at6native32elementwise_kernel_manual_unrollILi128ELi4EZNS0_15gpu_kernel_implINS0_13AUnaryFunctorIlllZZZNS0_18lshift_kernel_cudaERNS_18TensorIteratorBaseEENKUlvE_clEvENKUlvE2_clEvEUlllE_EEEEvS5_RKT_EUlibE0_EEviT1_
	.p2align	8
	.type	_ZN2at6native32elementwise_kernel_manual_unrollILi128ELi4EZNS0_15gpu_kernel_implINS0_13AUnaryFunctorIlllZZZNS0_18lshift_kernel_cudaERNS_18TensorIteratorBaseEENKUlvE_clEvENKUlvE2_clEvEUlllE_EEEEvS5_RKT_EUlibE0_EEviT1_,@function
_ZN2at6native32elementwise_kernel_manual_unrollILi128ELi4EZNS0_15gpu_kernel_implINS0_13AUnaryFunctorIlllZZZNS0_18lshift_kernel_cudaERNS_18TensorIteratorBaseEENKUlvE_clEvENKUlvE2_clEvEUlllE_EEEEvS5_RKT_EUlibE0_EEviT1_: ; @_ZN2at6native32elementwise_kernel_manual_unrollILi128ELi4EZNS0_15gpu_kernel_implINS0_13AUnaryFunctorIlllZZZNS0_18lshift_kernel_cudaERNS_18TensorIteratorBaseEENKUlvE_clEvENKUlvE2_clEvEUlllE_EEEEvS5_RKT_EUlibE0_EEviT1_
; %bb.0:
	s_load_dword s72, s[4:5], 0x0
	s_load_dword s33, s[4:5], 0x8
	s_add_u32 s34, s4, 8
	s_addc_u32 s35, s5, 0
	v_lshl_or_b32 v11, s6, 9, v0
	v_or_b32_e32 v15, 0x180, v11
	s_waitcnt lgkmcnt(0)
	s_add_i32 s74, s33, -1
	s_cmp_gt_u32 s74, 1
	v_cmp_le_i32_e32 vcc, s72, v15
	s_cselect_b64 s[40:41], -1, 0
	s_mov_b64 s[6:7], 0
	s_mov_b64 s[28:29], 0
	s_and_saveexec_b64 s[0:1], vcc
	s_xor_b64 s[42:43], exec, s[0:1]
	s_cbranch_execz .LBB79_1070
; %bb.1:
	s_load_dwordx4 s[28:31], s[34:35], 0x4
	s_load_dwordx2 s[46:47], s[34:35], 0x14
	s_load_dwordx2 s[44:45], s[34:35], 0x160
	s_load_dword s75, s[34:35], 0x168
	s_cmp_lg_u32 s33, 0
	s_load_dwordx4 s[36:39], s[34:35], 0xc4
	s_load_dwordx4 s[24:27], s[34:35], 0x148
	s_cselect_b64 s[52:53], -1, 0
	s_add_u32 s50, s34, 0xc4
	s_addc_u32 s51, s35, 0
	s_min_u32 s77, s74, 15
	s_cmp_gt_u32 s33, 1
	s_cselect_b64 s[48:49], -1, 0
	s_waitcnt lgkmcnt(0)
	s_bfe_u32 s76, s75, 0x80008
	v_cmp_gt_i32_e32 vcc, s72, v11
	s_mov_b64 s[2:3], -1
	s_mov_b64 s[62:63], 0
	s_mov_b64 s[56:57], 0
	;; [unrolled: 1-line block ×3, first 2 shown]
	s_and_saveexec_b64 s[58:59], vcc
	s_cbranch_execz .LBB79_262
; %bb.2:
	s_andn2_b64 vcc, exec, s[40:41]
	s_cbranch_vccnz .LBB79_7
; %bb.3:
	s_andn2_b64 vcc, exec, s[52:53]
	s_cbranch_vccnz .LBB79_8
; %bb.4:
	s_add_i32 s61, s77, 1
	s_cmp_eq_u32 s74, 2
	s_cbranch_scc1 .LBB79_9
; %bb.5:
	s_and_b32 s60, s61, 28
	v_mov_b32_e32 v2, 0
	s_mov_b32 s64, 0
	s_mov_b64 s[54:55], s[34:35]
	s_mov_b64 s[56:57], s[50:51]
	v_mov_b32_e32 v0, 0
	v_mov_b32_e32 v1, v11
.LBB79_6:                               ; =>This Inner Loop Header: Depth=1
	s_load_dwordx8 s[16:23], s[54:55], 0x4
	s_load_dwordx4 s[0:3], s[54:55], 0x24
	s_load_dwordx8 s[8:15], s[56:57], 0x0
	s_add_u32 s54, s54, 48
	s_addc_u32 s55, s55, 0
	s_waitcnt lgkmcnt(0)
	v_mul_hi_u32 v3, s17, v1
	s_add_i32 s64, s64, 4
	s_add_u32 s56, s56, 32
	s_addc_u32 s57, s57, 0
	v_add_u32_e32 v3, v1, v3
	v_lshrrev_b32_e32 v3, s18, v3
	v_mul_lo_u32 v4, v3, s16
	v_mul_hi_u32 v5, s20, v3
	s_cmp_lg_u32 s60, s64
	v_sub_u32_e32 v1, v1, v4
	v_add_u32_e32 v4, v3, v5
	v_mul_lo_u32 v5, v1, s8
	v_mul_lo_u32 v6, v1, s9
	v_lshrrev_b32_e32 v1, s21, v4
	v_mul_lo_u32 v4, v1, s19
	v_mul_hi_u32 v7, s23, v1
	v_sub_u32_e32 v3, v3, v4
	v_add_u32_e32 v4, v1, v7
	v_lshrrev_b32_e32 v4, s0, v4
	v_mul_hi_u32 v8, s2, v4
	v_mul_lo_u32 v9, v4, s22
	v_mul_lo_u32 v7, v3, s10
	;; [unrolled: 1-line block ×3, first 2 shown]
	v_sub_u32_e32 v9, v1, v9
	v_add_u32_e32 v1, v4, v8
	v_lshrrev_b32_e32 v1, s3, v1
	v_mul_lo_u32 v8, v1, s1
	v_mul_lo_u32 v10, v9, s12
	;; [unrolled: 1-line block ×3, first 2 shown]
	v_add3_u32 v0, v5, v0, v7
	v_sub_u32_e32 v4, v4, v8
	v_mul_lo_u32 v8, v4, s14
	v_mul_lo_u32 v4, v4, s15
	v_add3_u32 v2, v6, v2, v3
	v_add3_u32 v0, v10, v0, v8
	;; [unrolled: 1-line block ×3, first 2 shown]
	s_cbranch_scc1 .LBB79_6
	s_branch .LBB79_10
.LBB79_7:
                                        ; implicit-def: $vgpr0
                                        ; implicit-def: $vgpr2
	s_branch .LBB79_14
.LBB79_8:
	v_mov_b32_e32 v0, 0
	v_mov_b32_e32 v2, 0
	s_branch .LBB79_13
.LBB79_9:
	s_mov_b32 s60, 0
	v_mov_b32_e32 v0, 0
	v_mov_b32_e32 v2, 0
	;; [unrolled: 1-line block ×3, first 2 shown]
.LBB79_10:
	s_and_b32 s8, s61, 3
	s_cmp_eq_u32 s8, 0
	s_cbranch_scc1 .LBB79_13
; %bb.11:
	s_lshl_b32 s0, s60, 3
	s_add_u32 s0, s34, s0
	s_addc_u32 s1, s35, 0
	s_add_u32 s0, s0, 0xc4
	s_addc_u32 s1, s1, 0
	s_mul_i32 s2, s60, 12
	s_add_u32 s2, s34, s2
	s_addc_u32 s3, s35, 0
.LBB79_12:                              ; =>This Inner Loop Header: Depth=1
	s_load_dwordx2 s[10:11], s[2:3], 0x4
	s_load_dword s9, s[2:3], 0xc
	s_load_dwordx2 s[12:13], s[0:1], 0x0
	s_add_u32 s2, s2, 12
	s_addc_u32 s3, s3, 0
	s_waitcnt lgkmcnt(0)
	v_mul_hi_u32 v3, s11, v1
	s_add_u32 s0, s0, 8
	s_addc_u32 s1, s1, 0
	s_add_i32 s8, s8, -1
	v_add_u32_e32 v3, v1, v3
	v_lshrrev_b32_e32 v4, s9, v3
	v_mul_lo_u32 v3, v4, s10
	s_cmp_lg_u32 s8, 0
	v_sub_u32_e32 v3, v1, v3
	v_mad_u64_u32 v[0:1], s[10:11], v3, s12, v[0:1]
	v_mad_u64_u32 v[2:3], s[10:11], v3, s13, v[2:3]
	v_mov_b32_e32 v1, v4
	s_cbranch_scc1 .LBB79_12
.LBB79_13:
	s_cbranch_execnz .LBB79_16
.LBB79_14:
	v_mul_hi_u32 v0, s29, v11
	s_andn2_b64 vcc, exec, s[48:49]
	v_add_u32_e32 v0, v11, v0
	v_lshrrev_b32_e32 v1, s30, v0
	v_mul_lo_u32 v0, v1, s28
	v_sub_u32_e32 v2, v11, v0
	v_mul_lo_u32 v0, v2, s36
	v_mul_lo_u32 v2, v2, s37
	s_cbranch_vccnz .LBB79_16
; %bb.15:
	v_mul_hi_u32 v3, s46, v1
	v_add_u32_e32 v3, v1, v3
	v_lshrrev_b32_e32 v3, s47, v3
	v_mul_lo_u32 v3, v3, s31
	v_sub_u32_e32 v3, v1, v3
	v_mad_u64_u32 v[0:1], s[0:1], v3, s38, v[0:1]
	v_mad_u64_u32 v[2:3], s[0:1], v3, s39, v[2:3]
.LBB79_16:
	v_mov_b32_e32 v3, s27
	s_and_b32 s10, 0xffff, s76
	v_add_co_u32_e32 v1, vcc, s26, v2
	s_cmp_lt_i32 s10, 11
	v_addc_co_u32_e32 v2, vcc, 0, v3, vcc
	s_cbranch_scc1 .LBB79_23
; %bb.17:
	s_cmp_gt_i32 s10, 25
	s_cbranch_scc0 .LBB79_32
; %bb.18:
	s_cmp_gt_i32 s10, 28
	s_cbranch_scc0 .LBB79_35
	;; [unrolled: 3-line block ×4, first 2 shown]
; %bb.21:
	s_cmp_eq_u32 s10, 46
	s_mov_b64 s[8:9], 0
	s_cbranch_scc0 .LBB79_41
; %bb.22:
	global_load_dword v3, v[1:2], off
	s_mov_b32 s0, 0x2f800000
	s_mov_b32 s1, 0xcf800000
	s_mov_b64 s[2:3], 0
	s_waitcnt vmcnt(0)
	v_lshlrev_b32_e32 v3, 16, v3
	v_trunc_f32_e32 v3, v3
	v_mul_f32_e64 v4, |v3|, s0
	v_floor_f32_e32 v4, v4
	v_fma_f32 v5, v4, s1, |v3|
	v_cvt_u32_f32_e32 v5, v5
	v_cvt_u32_f32_e32 v4, v4
	v_ashrrev_i32_e32 v6, 31, v3
	s_mov_b64 s[0:1], -1
	v_xor_b32_e32 v3, v5, v6
	v_xor_b32_e32 v4, v4, v6
	v_sub_co_u32_e32 v3, vcc, v3, v6
	v_subb_co_u32_e32 v4, vcc, v4, v6, vcc
	s_branch .LBB79_43
.LBB79_23:
	s_mov_b64 s[2:3], 0
                                        ; implicit-def: $vgpr3_vgpr4
	s_mov_b64 s[0:1], 0
	s_cbranch_execnz .LBB79_212
.LBB79_24:
	s_andn2_b64 vcc, exec, s[0:1]
	s_cbranch_vccnz .LBB79_259
.LBB79_25:
	s_waitcnt vmcnt(0)
	v_lshlrev_b64 v[1:2], v3, s[44:45]
	v_cmp_gt_u64_e32 vcc, 64, v[3:4]
	v_mov_b32_e32 v4, s25
	v_cndmask_b32_e32 v2, 0, v2, vcc
	v_cndmask_b32_e32 v1, 0, v1, vcc
	s_and_b32 s14, s75, 0xff
	v_add_co_u32_e32 v3, vcc, s24, v0
	s_cmp_lt_i32 s14, 11
	v_addc_co_u32_e32 v4, vcc, 0, v4, vcc
	s_cbranch_scc1 .LBB79_33
; %bb.26:
	s_and_b32 s15, 0xffff, s14
	s_cmp_gt_i32 s15, 25
	s_cbranch_scc0 .LBB79_36
; %bb.27:
	s_cmp_gt_i32 s15, 28
	s_cbranch_scc0 .LBB79_38
; %bb.28:
	;; [unrolled: 3-line block ×4, first 2 shown]
	s_mov_b64 s[10:11], 0
	s_mov_b64 s[0:1], -1
	s_cmp_eq_u32 s15, 46
	s_mov_b64 s[8:9], 0
	s_cbranch_scc0 .LBB79_47
; %bb.31:
	v_xor_b32_e32 v5, v1, v2
	v_ffbh_i32_e32 v0, v2
	v_ashrrev_i32_e32 v5, 31, v5
	v_add_u32_e32 v0, -1, v0
	v_add_u32_e32 v5, 32, v5
	v_min_u32_e32 v0, v0, v5
	v_lshlrev_b64 v[5:6], v0, v[1:2]
	v_sub_u32_e32 v0, 32, v0
	v_min_u32_e32 v5, 1, v5
	v_or_b32_e32 v5, v6, v5
	v_cvt_f32_i32_e32 v5, v5
	s_movk_i32 s0, 0x7fff
	s_mov_b64 s[8:9], -1
	v_ldexp_f32 v0, v5, v0
	v_bfe_u32 v5, v0, 16, 1
	v_add3_u32 v0, v0, v5, s0
	v_lshrrev_b32_e32 v0, 16, v0
	global_store_dword v[3:4], v0, off
	s_mov_b64 s[0:1], 0
	s_branch .LBB79_47
.LBB79_32:
	s_mov_b64 s[2:3], 0
	s_mov_b64 s[0:1], 0
                                        ; implicit-def: $vgpr3_vgpr4
	s_cbranch_execnz .LBB79_181
	s_branch .LBB79_211
.LBB79_33:
	s_mov_b64 s[0:1], 0
	s_mov_b64 s[8:9], 0
	s_cbranch_execnz .LBB79_116
.LBB79_34:
	s_andn2_b64 vcc, exec, s[8:9]
	s_cbranch_vccnz .LBB79_260
	s_branch .LBB79_154
.LBB79_35:
	s_mov_b64 s[8:9], -1
	s_mov_b64 s[2:3], 0
	s_mov_b64 s[0:1], 0
                                        ; implicit-def: $vgpr3_vgpr4
	s_branch .LBB79_162
.LBB79_36:
	s_mov_b64 s[10:11], -1
	s_mov_b64 s[0:1], 0
	s_mov_b64 s[8:9], 0
	s_branch .LBB79_74
.LBB79_37:
	s_mov_b64 s[8:9], -1
	s_mov_b64 s[2:3], 0
	s_mov_b64 s[0:1], 0
                                        ; implicit-def: $vgpr3_vgpr4
	s_branch .LBB79_157
.LBB79_38:
	s_mov_b64 s[10:11], -1
	s_mov_b64 s[0:1], 0
	s_mov_b64 s[8:9], 0
	s_branch .LBB79_57
.LBB79_39:
	s_mov_b64 s[8:9], -1
	s_mov_b64 s[2:3], 0
	s_branch .LBB79_42
.LBB79_40:
	s_mov_b64 s[10:11], -1
	s_mov_b64 s[0:1], 0
	s_mov_b64 s[8:9], 0
	s_branch .LBB79_53
.LBB79_41:
	s_mov_b64 s[2:3], -1
.LBB79_42:
	s_mov_b64 s[0:1], 0
                                        ; implicit-def: $vgpr3_vgpr4
.LBB79_43:
	s_and_b64 vcc, exec, s[8:9]
	s_cbranch_vccz .LBB79_156
; %bb.44:
	s_cmp_eq_u32 s10, 44
	s_cbranch_scc0 .LBB79_155
; %bb.45:
	global_load_ubyte v3, v[1:2], off
	s_mov_b32 s0, 0x2f800000
	s_mov_b32 s1, 0xcf800000
	s_mov_b64 s[2:3], 0
	s_waitcnt vmcnt(0)
	v_lshlrev_b32_e32 v4, 23, v3
	v_trunc_f32_e32 v4, v4
	v_mul_f32_e64 v5, |v4|, s0
	v_floor_f32_e32 v5, v5
	v_fma_f32 v6, v5, s1, |v4|
	v_cvt_u32_f32_e32 v6, v6
	v_cvt_u32_f32_e32 v5, v5
	v_ashrrev_i32_e32 v4, 31, v4
	s_mov_b64 s[0:1], -1
	v_xor_b32_e32 v6, v6, v4
	v_xor_b32_e32 v5, v5, v4
	v_sub_co_u32_e32 v6, vcc, v6, v4
	v_subb_co_u32_e32 v4, vcc, v5, v4, vcc
	v_cmp_ne_u32_e32 vcc, 0, v3
	v_cndmask_b32_e32 v4, 0, v4, vcc
	v_cndmask_b32_e32 v3, 0, v6, vcc
	s_branch .LBB79_156
.LBB79_46:
	s_mov_b64 s[10:11], -1
	s_mov_b64 s[0:1], 0
	s_mov_b64 s[8:9], 0
.LBB79_47:
	s_and_b64 vcc, exec, s[10:11]
	s_cbranch_vccz .LBB79_52
; %bb.48:
	s_cmp_eq_u32 s15, 44
	s_mov_b64 s[0:1], -1
	s_cbranch_scc0 .LBB79_52
; %bb.49:
	v_xor_b32_e32 v5, v1, v2
	v_ffbh_i32_e32 v0, v2
	v_ashrrev_i32_e32 v5, 31, v5
	v_add_u32_e32 v0, -1, v0
	v_add_u32_e32 v5, 32, v5
	v_min_u32_e32 v0, v0, v5
	v_lshlrev_b64 v[5:6], v0, v[1:2]
	v_sub_u32_e32 v0, 32, v0
	v_min_u32_e32 v5, 1, v5
	v_or_b32_e32 v5, v6, v5
	v_cvt_f32_i32_e32 v5, v5
	s_movk_i32 s0, 0xff
	v_mov_b32_e32 v6, 0xff
	v_ldexp_f32 v0, v5, v0
	v_bfe_u32 v5, v0, 23, 8
	v_cmp_ne_u32_e32 vcc, s0, v5
	s_and_saveexec_b64 s[8:9], vcc
; %bb.50:
	s_mov_b32 s0, 0x3fffff
	v_lshrrev_b32_e32 v6, 23, v0
	v_and_b32_e32 v7, 0x400000, v0
	v_and_or_b32 v0, v0, s0, v5
	v_cmp_ne_u32_e32 vcc, 0, v7
	v_cmp_ne_u32_e64 s[0:1], 0, v0
	s_and_b64 s[0:1], vcc, s[0:1]
	v_cndmask_b32_e64 v0, 0, 1, s[0:1]
	v_add_u32_e32 v6, v6, v0
; %bb.51:
	s_or_b64 exec, exec, s[8:9]
	s_mov_b64 s[8:9], -1
	s_mov_b64 s[0:1], 0
	global_store_byte v[3:4], v6, off
.LBB79_52:
	s_mov_b64 s[10:11], 0
.LBB79_53:
	s_and_b64 vcc, exec, s[10:11]
	s_cbranch_vccz .LBB79_56
; %bb.54:
	s_cmp_eq_u32 s15, 29
	s_mov_b64 s[0:1], -1
	s_cbranch_scc0 .LBB79_56
; %bb.55:
	global_store_dwordx2 v[3:4], v[1:2], off
	s_mov_b64 s[8:9], -1
	s_mov_b64 s[0:1], 0
.LBB79_56:
	s_mov_b64 s[10:11], 0
.LBB79_57:
	s_and_b64 vcc, exec, s[10:11]
	s_cbranch_vccz .LBB79_73
; %bb.58:
	s_cmp_lt_i32 s15, 27
	s_mov_b64 s[8:9], -1
	s_cbranch_scc1 .LBB79_64
; %bb.59:
	s_cmp_gt_i32 s15, 27
	s_cbranch_scc0 .LBB79_61
; %bb.60:
	s_mov_b64 s[8:9], 0
	global_store_dword v[3:4], v1, off
.LBB79_61:
	s_andn2_b64 vcc, exec, s[8:9]
	s_cbranch_vccnz .LBB79_63
; %bb.62:
	global_store_short v[3:4], v1, off
.LBB79_63:
	s_mov_b64 s[8:9], 0
.LBB79_64:
	s_andn2_b64 vcc, exec, s[8:9]
	s_cbranch_vccnz .LBB79_72
; %bb.65:
	v_xor_b32_e32 v5, v1, v2
	v_ffbh_i32_e32 v0, v2
	v_ashrrev_i32_e32 v5, 31, v5
	v_add_u32_e32 v0, -1, v0
	v_add_u32_e32 v5, 32, v5
	v_min_u32_e32 v0, v0, v5
	v_lshlrev_b64 v[5:6], v0, v[1:2]
	v_sub_u32_e32 v0, 32, v0
	v_min_u32_e32 v5, 1, v5
	v_or_b32_e32 v5, v6, v5
	v_cvt_f32_i32_e32 v5, v5
	s_mov_b32 s8, 0x43800000
	v_mov_b32_e32 v6, 0x80
	v_ldexp_f32 v0, v5, v0
	v_and_b32_e32 v5, 0x7fffffff, v0
	v_cmp_gt_u32_e32 vcc, s8, v5
	s_and_saveexec_b64 s[8:9], vcc
	s_cbranch_execz .LBB79_71
; %bb.66:
	s_mov_b32 s10, 0x3bffffff
	v_cmp_lt_u32_e32 vcc, s10, v5
	s_mov_b64 s[10:11], 0
                                        ; implicit-def: $vgpr5
	s_and_saveexec_b64 s[12:13], vcc
	s_xor_b64 s[12:13], exec, s[12:13]
	s_cbranch_execz .LBB79_303
; %bb.67:
	v_bfe_u32 v5, v0, 20, 1
	s_mov_b32 s16, 0x487ffff
	v_add3_u32 v5, v0, v5, s16
	s_mov_b64 s[10:11], exec
	v_lshrrev_b32_e32 v5, 20, v5
	s_andn2_saveexec_b64 s[12:13], s[12:13]
	s_cbranch_execnz .LBB79_304
.LBB79_68:
	s_or_b64 exec, exec, s[12:13]
	v_mov_b32_e32 v6, 0
	s_and_saveexec_b64 s[12:13], s[10:11]
.LBB79_69:
	v_lshrrev_b32_e32 v0, 24, v0
	s_movk_i32 s10, 0x80
	v_and_or_b32 v6, v0, s10, v5
.LBB79_70:
	s_or_b64 exec, exec, s[12:13]
.LBB79_71:
	s_or_b64 exec, exec, s[8:9]
	global_store_byte v[3:4], v6, off
.LBB79_72:
	s_mov_b64 s[8:9], -1
.LBB79_73:
	s_mov_b64 s[10:11], 0
.LBB79_74:
	s_and_b64 vcc, exec, s[10:11]
	s_cbranch_vccz .LBB79_115
; %bb.75:
	s_cmp_gt_i32 s15, 22
	s_mov_b64 s[10:11], -1
	s_cbranch_scc0 .LBB79_107
; %bb.76:
	s_cmp_lt_i32 s15, 24
	s_mov_b64 s[8:9], -1
	s_cbranch_scc1 .LBB79_96
; %bb.77:
	s_cmp_gt_i32 s15, 24
	s_cbranch_scc0 .LBB79_85
; %bb.78:
	v_xor_b32_e32 v5, v1, v2
	v_ffbh_i32_e32 v0, v2
	v_ashrrev_i32_e32 v5, 31, v5
	v_add_u32_e32 v0, -1, v0
	v_add_u32_e32 v5, 32, v5
	v_min_u32_e32 v0, v0, v5
	v_lshlrev_b64 v[5:6], v0, v[1:2]
	v_sub_u32_e32 v0, 32, v0
	v_min_u32_e32 v5, 1, v5
	v_or_b32_e32 v5, v6, v5
	v_cvt_f32_i32_e32 v5, v5
	s_mov_b32 s8, 0x47800000
	v_mov_b32_e32 v6, 0x80
	v_ldexp_f32 v0, v5, v0
	v_and_b32_e32 v5, 0x7fffffff, v0
	v_cmp_gt_u32_e32 vcc, s8, v5
	s_and_saveexec_b64 s[8:9], vcc
	s_cbranch_execz .LBB79_84
; %bb.79:
	s_mov_b32 s10, 0x37ffffff
	v_cmp_lt_u32_e32 vcc, s10, v5
	s_mov_b64 s[10:11], 0
                                        ; implicit-def: $vgpr5
	s_and_saveexec_b64 s[12:13], vcc
	s_xor_b64 s[12:13], exec, s[12:13]
	s_cbranch_execz .LBB79_307
; %bb.80:
	v_bfe_u32 v5, v0, 21, 1
	s_mov_b32 s16, 0x88fffff
	v_add3_u32 v5, v0, v5, s16
	s_mov_b64 s[10:11], exec
	v_lshrrev_b32_e32 v5, 21, v5
	s_andn2_saveexec_b64 s[12:13], s[12:13]
	s_cbranch_execnz .LBB79_308
.LBB79_81:
	s_or_b64 exec, exec, s[12:13]
	v_mov_b32_e32 v6, 0
	s_and_saveexec_b64 s[12:13], s[10:11]
.LBB79_82:
	v_lshrrev_b32_e32 v0, 24, v0
	s_movk_i32 s10, 0x80
	v_and_or_b32 v6, v0, s10, v5
.LBB79_83:
	s_or_b64 exec, exec, s[12:13]
.LBB79_84:
	s_or_b64 exec, exec, s[8:9]
	s_mov_b64 s[8:9], 0
	global_store_byte v[3:4], v6, off
.LBB79_85:
	s_and_b64 vcc, exec, s[8:9]
	s_cbranch_vccz .LBB79_95
; %bb.86:
	v_xor_b32_e32 v5, v1, v2
	v_ffbh_i32_e32 v0, v2
	v_ashrrev_i32_e32 v5, 31, v5
	v_add_u32_e32 v0, -1, v0
	v_add_u32_e32 v5, 32, v5
	v_min_u32_e32 v0, v0, v5
	v_lshlrev_b64 v[5:6], v0, v[1:2]
	v_sub_u32_e32 v0, 32, v0
	v_min_u32_e32 v5, 1, v5
	v_or_b32_e32 v5, v6, v5
	v_cvt_f32_i32_e32 v5, v5
	s_mov_b32 s8, 0x43f00000
	v_ldexp_f32 v0, v5, v0
	v_and_b32_e32 v6, 0x7fffffff, v0
	v_cmp_gt_u32_e32 vcc, s8, v6
                                        ; implicit-def: $vgpr5
	s_and_saveexec_b64 s[8:9], vcc
	s_xor_b64 s[8:9], exec, s[8:9]
	s_cbranch_execz .LBB79_92
; %bb.87:
	s_mov_b32 s10, 0x3c7fffff
	v_cmp_lt_u32_e32 vcc, s10, v6
                                        ; implicit-def: $vgpr5
	s_and_saveexec_b64 s[10:11], vcc
	s_xor_b64 s[10:11], exec, s[10:11]
; %bb.88:
	v_bfe_u32 v5, v0, 20, 1
	s_mov_b32 s12, 0x407ffff
	v_add3_u32 v5, v0, v5, s12
	v_lshrrev_b32_e32 v6, 20, v5
	v_and_b32_e32 v5, 0xff00000, v5
	s_mov_b32 s12, 0x7f00000
	v_mov_b32_e32 v7, 0x7e
	v_cmp_ne_u32_e32 vcc, s12, v5
	v_cndmask_b32_e32 v5, v7, v6, vcc
; %bb.89:
	s_andn2_saveexec_b64 s[10:11], s[10:11]
; %bb.90:
	s_mov_b32 s12, 0x46800000
	v_add_f32_e64 v5, |v0|, s12
; %bb.91:
	s_or_b64 exec, exec, s[10:11]
                                        ; implicit-def: $vgpr6
.LBB79_92:
	s_andn2_saveexec_b64 s[8:9], s[8:9]
; %bb.93:
	s_mov_b32 s10, 0x7f800000
	v_mov_b32_e32 v5, 0x7e
	v_mov_b32_e32 v7, 0x7f
	v_cmp_lt_u32_e32 vcc, s10, v6
	v_cndmask_b32_e32 v5, v5, v7, vcc
; %bb.94:
	s_or_b64 exec, exec, s[8:9]
	v_lshrrev_b32_e32 v0, 24, v0
	s_movk_i32 s8, 0x80
	v_and_or_b32 v0, v0, s8, v5
	global_store_byte v[3:4], v0, off
.LBB79_95:
	s_mov_b64 s[8:9], 0
.LBB79_96:
	s_andn2_b64 vcc, exec, s[8:9]
	s_cbranch_vccnz .LBB79_106
; %bb.97:
	v_xor_b32_e32 v5, v1, v2
	v_ffbh_i32_e32 v0, v2
	v_ashrrev_i32_e32 v5, 31, v5
	v_add_u32_e32 v0, -1, v0
	v_add_u32_e32 v5, 32, v5
	v_min_u32_e32 v0, v0, v5
	v_lshlrev_b64 v[5:6], v0, v[1:2]
	v_sub_u32_e32 v0, 32, v0
	v_min_u32_e32 v5, 1, v5
	v_or_b32_e32 v5, v6, v5
	v_cvt_f32_i32_e32 v5, v5
	s_mov_b32 s8, 0x47800000
	v_ldexp_f32 v0, v5, v0
	v_and_b32_e32 v6, 0x7fffffff, v0
	v_cmp_gt_u32_e32 vcc, s8, v6
                                        ; implicit-def: $vgpr5
	s_and_saveexec_b64 s[8:9], vcc
	s_xor_b64 s[8:9], exec, s[8:9]
	s_cbranch_execz .LBB79_103
; %bb.98:
	s_mov_b32 s10, 0x387fffff
	v_cmp_lt_u32_e32 vcc, s10, v6
                                        ; implicit-def: $vgpr5
	s_and_saveexec_b64 s[10:11], vcc
	s_xor_b64 s[10:11], exec, s[10:11]
; %bb.99:
	v_bfe_u32 v5, v0, 21, 1
	s_mov_b32 s12, 0x80fffff
	v_add3_u32 v5, v0, v5, s12
	v_lshrrev_b32_e32 v5, 21, v5
; %bb.100:
	s_andn2_saveexec_b64 s[10:11], s[10:11]
; %bb.101:
	s_mov_b32 s12, 0x43000000
	v_add_f32_e64 v5, |v0|, s12
; %bb.102:
	s_or_b64 exec, exec, s[10:11]
                                        ; implicit-def: $vgpr6
.LBB79_103:
	s_andn2_saveexec_b64 s[8:9], s[8:9]
; %bb.104:
	s_mov_b32 s10, 0x7f800000
	v_mov_b32_e32 v5, 0x7c
	v_mov_b32_e32 v7, 0x7f
	v_cmp_lt_u32_e32 vcc, s10, v6
	v_cndmask_b32_e32 v5, v5, v7, vcc
; %bb.105:
	s_or_b64 exec, exec, s[8:9]
	v_lshrrev_b32_e32 v0, 24, v0
	s_movk_i32 s8, 0x80
	v_and_or_b32 v0, v0, s8, v5
	global_store_byte v[3:4], v0, off
.LBB79_106:
	s_mov_b64 s[10:11], 0
	s_mov_b64 s[8:9], -1
.LBB79_107:
	s_andn2_b64 vcc, exec, s[10:11]
	s_cbranch_vccnz .LBB79_115
; %bb.108:
	s_cmp_gt_i32 s15, 14
	s_mov_b64 s[10:11], -1
	s_cbranch_scc0 .LBB79_112
; %bb.109:
	s_cmp_eq_u32 s15, 15
	s_mov_b64 s[0:1], -1
	s_cbranch_scc0 .LBB79_111
; %bb.110:
	v_xor_b32_e32 v5, v1, v2
	v_ffbh_i32_e32 v0, v2
	v_ashrrev_i32_e32 v5, 31, v5
	v_add_u32_e32 v0, -1, v0
	v_add_u32_e32 v5, 32, v5
	v_min_u32_e32 v0, v0, v5
	v_lshlrev_b64 v[5:6], v0, v[1:2]
	v_sub_u32_e32 v0, 32, v0
	v_min_u32_e32 v5, 1, v5
	v_or_b32_e32 v5, v6, v5
	v_cvt_f32_i32_e32 v5, v5
	s_movk_i32 s0, 0x7fff
	s_mov_b64 s[8:9], -1
	v_ldexp_f32 v0, v5, v0
	v_bfe_u32 v5, v0, 16, 1
	v_add3_u32 v0, v0, v5, s0
	global_store_short_d16_hi v[3:4], v0, off
	s_mov_b64 s[0:1], 0
.LBB79_111:
	s_mov_b64 s[10:11], 0
.LBB79_112:
	s_and_b64 vcc, exec, s[10:11]
	s_cbranch_vccz .LBB79_115
; %bb.113:
	s_cmp_eq_u32 s15, 11
	s_mov_b64 s[0:1], -1
	s_cbranch_scc0 .LBB79_115
; %bb.114:
	v_cmp_ne_u64_e32 vcc, 0, v[1:2]
	s_mov_b64 s[0:1], 0
	v_cndmask_b32_e64 v0, 0, 1, vcc
	s_mov_b64 s[8:9], -1
	global_store_byte v[3:4], v0, off
.LBB79_115:
	s_branch .LBB79_34
.LBB79_116:
	s_and_b32 s10, 0xffff, s14
	s_cmp_lt_i32 s10, 5
	s_mov_b64 s[8:9], -1
	s_cbranch_scc1 .LBB79_137
; %bb.117:
	s_cmp_lt_i32 s10, 8
	s_cbranch_scc1 .LBB79_127
; %bb.118:
	s_cmp_lt_i32 s10, 9
	s_cbranch_scc1 .LBB79_124
; %bb.119:
	s_cmp_gt_i32 s10, 9
	s_cbranch_scc0 .LBB79_121
; %bb.120:
	v_cvt_f64_i32_e32 v[5:6], v2
	v_cvt_f64_u32_e32 v[7:8], v1
	s_mov_b64 s[8:9], 0
	v_ldexp_f64 v[5:6], v[5:6], 32
	v_add_f64 v[5:6], v[5:6], v[7:8]
	v_mov_b32_e32 v7, 0
	v_mov_b32_e32 v8, v7
	global_store_dwordx4 v[3:4], v[5:8], off
.LBB79_121:
	s_andn2_b64 vcc, exec, s[8:9]
	s_cbranch_vccnz .LBB79_123
; %bb.122:
	v_xor_b32_e32 v5, v1, v2
	v_ffbh_i32_e32 v0, v2
	v_ashrrev_i32_e32 v5, 31, v5
	v_add_u32_e32 v0, -1, v0
	v_add_u32_e32 v5, 32, v5
	v_min_u32_e32 v0, v0, v5
	v_lshlrev_b64 v[5:6], v0, v[1:2]
	v_sub_u32_e32 v0, 32, v0
	v_min_u32_e32 v5, 1, v5
	v_or_b32_e32 v5, v6, v5
	v_cvt_f32_i32_e32 v5, v5
	v_mov_b32_e32 v6, 0
	v_ldexp_f32 v5, v5, v0
	global_store_dwordx2 v[3:4], v[5:6], off
.LBB79_123:
	s_mov_b64 s[8:9], 0
.LBB79_124:
	s_andn2_b64 vcc, exec, s[8:9]
	s_cbranch_vccnz .LBB79_126
; %bb.125:
	v_xor_b32_e32 v5, v1, v2
	v_ffbh_i32_e32 v0, v2
	v_ashrrev_i32_e32 v5, 31, v5
	v_add_u32_e32 v0, -1, v0
	v_add_u32_e32 v5, 32, v5
	v_min_u32_e32 v0, v0, v5
	v_lshlrev_b64 v[5:6], v0, v[1:2]
	v_sub_u32_e32 v0, 32, v0
	v_min_u32_e32 v5, 1, v5
	v_or_b32_e32 v5, v6, v5
	v_cvt_f32_i32_e32 v5, v5
	v_ldexp_f32 v0, v5, v0
	v_cvt_f16_f32_e32 v0, v0
	global_store_dword v[3:4], v0, off
.LBB79_126:
	s_mov_b64 s[8:9], 0
.LBB79_127:
	s_andn2_b64 vcc, exec, s[8:9]
	s_cbranch_vccnz .LBB79_136
; %bb.128:
	s_cmp_lt_i32 s10, 6
	s_mov_b64 s[8:9], -1
	s_cbranch_scc1 .LBB79_134
; %bb.129:
	s_cmp_gt_i32 s10, 6
	s_cbranch_scc0 .LBB79_131
; %bb.130:
	v_cvt_f64_i32_e32 v[5:6], v2
	v_cvt_f64_u32_e32 v[7:8], v1
	s_mov_b64 s[8:9], 0
	v_ldexp_f64 v[5:6], v[5:6], 32
	v_add_f64 v[5:6], v[5:6], v[7:8]
	global_store_dwordx2 v[3:4], v[5:6], off
.LBB79_131:
	s_andn2_b64 vcc, exec, s[8:9]
	s_cbranch_vccnz .LBB79_133
; %bb.132:
	v_xor_b32_e32 v5, v1, v2
	v_ffbh_i32_e32 v0, v2
	v_ashrrev_i32_e32 v5, 31, v5
	v_add_u32_e32 v0, -1, v0
	v_add_u32_e32 v5, 32, v5
	v_min_u32_e32 v0, v0, v5
	v_lshlrev_b64 v[5:6], v0, v[1:2]
	v_sub_u32_e32 v0, 32, v0
	v_min_u32_e32 v5, 1, v5
	v_or_b32_e32 v5, v6, v5
	v_cvt_f32_i32_e32 v5, v5
	v_ldexp_f32 v0, v5, v0
	global_store_dword v[3:4], v0, off
.LBB79_133:
	s_mov_b64 s[8:9], 0
.LBB79_134:
	s_andn2_b64 vcc, exec, s[8:9]
	s_cbranch_vccnz .LBB79_136
; %bb.135:
	v_xor_b32_e32 v5, v1, v2
	v_ffbh_i32_e32 v0, v2
	v_ashrrev_i32_e32 v5, 31, v5
	v_add_u32_e32 v0, -1, v0
	v_add_u32_e32 v5, 32, v5
	v_min_u32_e32 v0, v0, v5
	v_lshlrev_b64 v[5:6], v0, v[1:2]
	v_sub_u32_e32 v0, 32, v0
	v_min_u32_e32 v5, 1, v5
	v_or_b32_e32 v5, v6, v5
	v_cvt_f32_i32_e32 v5, v5
	v_ldexp_f32 v0, v5, v0
	v_cvt_f16_f32_e32 v0, v0
	global_store_short v[3:4], v0, off
.LBB79_136:
	s_mov_b64 s[8:9], 0
.LBB79_137:
	s_andn2_b64 vcc, exec, s[8:9]
	s_cbranch_vccnz .LBB79_153
; %bb.138:
	s_cmp_lt_i32 s10, 2
	s_mov_b64 s[8:9], -1
	s_cbranch_scc1 .LBB79_148
; %bb.139:
	s_cmp_lt_i32 s10, 3
	s_cbranch_scc1 .LBB79_145
; %bb.140:
	s_cmp_gt_i32 s10, 3
	s_cbranch_scc0 .LBB79_142
; %bb.141:
	global_store_dwordx2 v[3:4], v[1:2], off
	s_mov_b64 s[8:9], 0
.LBB79_142:
	s_andn2_b64 vcc, exec, s[8:9]
	s_cbranch_vccnz .LBB79_144
; %bb.143:
	global_store_dword v[3:4], v1, off
.LBB79_144:
	s_mov_b64 s[8:9], 0
.LBB79_145:
	s_andn2_b64 vcc, exec, s[8:9]
	s_cbranch_vccnz .LBB79_147
; %bb.146:
	global_store_short v[3:4], v1, off
.LBB79_147:
	s_mov_b64 s[8:9], 0
.LBB79_148:
	s_andn2_b64 vcc, exec, s[8:9]
	s_cbranch_vccnz .LBB79_153
; %bb.149:
	s_cmp_gt_i32 s10, 0
	s_mov_b64 s[8:9], -1
	s_cbranch_scc0 .LBB79_151
; %bb.150:
	global_store_byte v[3:4], v1, off
	s_mov_b64 s[8:9], 0
.LBB79_151:
	s_andn2_b64 vcc, exec, s[8:9]
	s_cbranch_vccnz .LBB79_153
; %bb.152:
	global_store_byte v[3:4], v1, off
.LBB79_153:
.LBB79_154:
	v_add_u32_e32 v11, 0x80, v11
	s_mov_b64 s[8:9], -1
	s_branch .LBB79_261
.LBB79_155:
	s_mov_b64 s[2:3], -1
                                        ; implicit-def: $vgpr3_vgpr4
.LBB79_156:
	s_mov_b64 s[8:9], 0
.LBB79_157:
	s_and_b64 vcc, exec, s[8:9]
	s_cbranch_vccz .LBB79_161
; %bb.158:
	s_cmp_eq_u32 s10, 29
	s_cbranch_scc0 .LBB79_160
; %bb.159:
	global_load_dwordx2 v[3:4], v[1:2], off
	s_mov_b64 s[0:1], -1
	s_mov_b64 s[2:3], 0
	s_branch .LBB79_161
.LBB79_160:
	s_mov_b64 s[2:3], -1
                                        ; implicit-def: $vgpr3_vgpr4
.LBB79_161:
	s_mov_b64 s[8:9], 0
.LBB79_162:
	s_and_b64 vcc, exec, s[8:9]
	s_cbranch_vccz .LBB79_180
; %bb.163:
	s_cmp_lt_i32 s10, 27
	s_cbranch_scc1 .LBB79_166
; %bb.164:
	s_cmp_gt_i32 s10, 27
	s_cbranch_scc0 .LBB79_167
; %bb.165:
	global_load_dword v3, v[1:2], off
	s_waitcnt vmcnt(1)
	v_mov_b32_e32 v4, 0
	s_mov_b64 s[0:1], 0
	s_branch .LBB79_168
.LBB79_166:
	s_mov_b64 s[0:1], -1
                                        ; implicit-def: $vgpr3_vgpr4
	s_branch .LBB79_171
.LBB79_167:
	s_mov_b64 s[0:1], -1
                                        ; implicit-def: $vgpr3_vgpr4
.LBB79_168:
	s_andn2_b64 vcc, exec, s[0:1]
	s_cbranch_vccnz .LBB79_170
; %bb.169:
	global_load_ushort v3, v[1:2], off
	s_mov_b32 s0, 0
	s_waitcnt vmcnt(1)
	v_mov_b32_e32 v4, s0
	s_waitcnt vmcnt(0)
	v_and_b32_e32 v3, 0xffff, v3
.LBB79_170:
	s_mov_b64 s[0:1], 0
.LBB79_171:
	s_andn2_b64 vcc, exec, s[0:1]
	s_cbranch_vccnz .LBB79_179
; %bb.172:
	global_load_ubyte v5, v[1:2], off
	s_movk_i32 s0, 0x7f
	s_mov_b64 s[8:9], 0
	s_waitcnt vmcnt(0)
	v_cmp_lt_i16_e32 vcc, s0, v5
	s_and_saveexec_b64 s[0:1], vcc
	s_xor_b64 s[0:1], exec, s[0:1]
; %bb.173:
	s_movk_i32 s8, 0x80
	v_cmp_ne_u16_e32 vcc, s8, v5
	s_and_b64 s[8:9], vcc, exec
; %bb.174:
	s_andn2_saveexec_b64 s[0:1], s[0:1]
; %bb.175:
	v_cmp_ne_u16_e32 vcc, 0, v5
	s_andn2_b64 s[8:9], s[8:9], exec
	s_and_b64 s[12:13], vcc, exec
	s_or_b64 s[8:9], s[8:9], s[12:13]
; %bb.176:
	s_or_b64 exec, exec, s[0:1]
	v_mov_b32_e32 v3, 0
	v_mov_b32_e32 v4, 0
	s_and_saveexec_b64 s[0:1], s[8:9]
	s_cbranch_execz .LBB79_178
; %bb.177:
	v_and_b32_e32 v4, 0xffff, v5
	v_lshlrev_b32_e32 v3, 24, v5
	v_and_b32_e32 v5, 7, v4
	v_ffbh_u32_e32 v7, v5
	v_min_u32_e32 v7, 32, v7
	v_subrev_u32_e32 v8, 28, v7
	v_bfe_u32 v6, v4, 3, 4
	v_lshlrev_b32_e32 v4, v8, v4
	v_sub_u32_e32 v7, 29, v7
	v_and_b32_e32 v4, 7, v4
	v_cmp_eq_u32_e32 vcc, 0, v6
	v_cndmask_b32_e32 v6, v6, v7, vcc
	v_cndmask_b32_e32 v4, v5, v4, vcc
	v_mov_b32_e32 v5, 0x3b800000
	v_lshlrev_b32_e32 v4, 20, v4
	v_and_b32_e32 v3, 0x80000000, v3
	v_lshl_add_u32 v5, v6, 23, v5
	v_or3_b32 v3, v3, v5, v4
	v_trunc_f32_e32 v3, v3
	s_mov_b32 s8, 0x2f800000
	v_mul_f32_e64 v4, |v3|, s8
	v_floor_f32_e32 v4, v4
	s_mov_b32 s8, 0xcf800000
	v_fma_f32 v5, v4, s8, |v3|
	v_cvt_u32_f32_e32 v5, v5
	v_cvt_u32_f32_e32 v4, v4
	v_ashrrev_i32_e32 v6, 31, v3
	v_xor_b32_e32 v3, v5, v6
	v_xor_b32_e32 v4, v4, v6
	v_sub_co_u32_e32 v3, vcc, v3, v6
	v_subb_co_u32_e32 v4, vcc, v4, v6, vcc
.LBB79_178:
	s_or_b64 exec, exec, s[0:1]
.LBB79_179:
	s_mov_b64 s[0:1], -1
.LBB79_180:
	s_branch .LBB79_211
.LBB79_181:
	s_cmp_gt_i32 s10, 22
	s_cbranch_scc0 .LBB79_191
; %bb.182:
	s_cmp_lt_i32 s10, 24
	s_cbranch_scc1 .LBB79_192
; %bb.183:
	s_cmp_gt_i32 s10, 24
	s_cbranch_scc0 .LBB79_193
; %bb.184:
	global_load_ubyte v5, v[1:2], off
	s_movk_i32 s0, 0x7f
	s_mov_b64 s[8:9], 0
	s_waitcnt vmcnt(0)
	v_cmp_lt_i16_e32 vcc, s0, v5
	s_and_saveexec_b64 s[0:1], vcc
	s_xor_b64 s[0:1], exec, s[0:1]
; %bb.185:
	s_movk_i32 s8, 0x80
	v_cmp_ne_u16_e32 vcc, s8, v5
	s_and_b64 s[8:9], vcc, exec
; %bb.186:
	s_andn2_saveexec_b64 s[0:1], s[0:1]
; %bb.187:
	v_cmp_ne_u16_e32 vcc, 0, v5
	s_andn2_b64 s[8:9], s[8:9], exec
	s_and_b64 s[12:13], vcc, exec
	s_or_b64 s[8:9], s[8:9], s[12:13]
; %bb.188:
	s_or_b64 exec, exec, s[0:1]
	v_mov_b32_e32 v3, 0
	v_mov_b32_e32 v4, 0
	s_and_saveexec_b64 s[0:1], s[8:9]
	s_cbranch_execz .LBB79_190
; %bb.189:
	v_and_b32_e32 v4, 0xffff, v5
	v_lshlrev_b32_e32 v3, 24, v5
	v_and_b32_e32 v5, 3, v4
	v_ffbh_u32_e32 v7, v5
	v_min_u32_e32 v7, 32, v7
	v_subrev_u32_e32 v8, 29, v7
	v_bfe_u32 v6, v4, 2, 5
	v_lshlrev_b32_e32 v4, v8, v4
	v_sub_u32_e32 v7, 30, v7
	v_and_b32_e32 v4, 3, v4
	v_cmp_eq_u32_e32 vcc, 0, v6
	v_cndmask_b32_e32 v6, v6, v7, vcc
	v_cndmask_b32_e32 v4, v5, v4, vcc
	v_mov_b32_e32 v5, 0x37800000
	v_lshlrev_b32_e32 v4, 21, v4
	v_and_b32_e32 v3, 0x80000000, v3
	v_lshl_add_u32 v5, v6, 23, v5
	v_or3_b32 v3, v3, v5, v4
	v_trunc_f32_e32 v3, v3
	s_mov_b32 s8, 0x2f800000
	v_mul_f32_e64 v4, |v3|, s8
	v_floor_f32_e32 v4, v4
	s_mov_b32 s8, 0xcf800000
	v_fma_f32 v5, v4, s8, |v3|
	v_cvt_u32_f32_e32 v5, v5
	v_cvt_u32_f32_e32 v4, v4
	v_ashrrev_i32_e32 v6, 31, v3
	v_xor_b32_e32 v3, v5, v6
	v_xor_b32_e32 v4, v4, v6
	v_sub_co_u32_e32 v3, vcc, v3, v6
	v_subb_co_u32_e32 v4, vcc, v4, v6, vcc
.LBB79_190:
	s_or_b64 exec, exec, s[0:1]
	s_mov_b64 s[0:1], 0
	s_branch .LBB79_194
.LBB79_191:
	s_mov_b64 s[8:9], -1
                                        ; implicit-def: $vgpr3_vgpr4
	s_branch .LBB79_200
.LBB79_192:
	s_mov_b64 s[0:1], -1
                                        ; implicit-def: $vgpr3_vgpr4
	s_branch .LBB79_197
.LBB79_193:
	s_mov_b64 s[0:1], -1
                                        ; implicit-def: $vgpr3_vgpr4
.LBB79_194:
	s_and_b64 vcc, exec, s[0:1]
	s_cbranch_vccz .LBB79_196
; %bb.195:
	global_load_ubyte v3, v[1:2], off
	s_mov_b32 s0, 0x7f800000
	s_brev_b32 s1, 1
	s_mov_b32 s8, 0x2f800000
	s_mov_b32 s9, 0xcf800000
	s_waitcnt vmcnt(0)
	v_lshlrev_b32_e32 v3, 24, v3
	v_and_b32_e32 v4, 0x7f000000, v3
	v_ffbh_u32_e32 v5, v4
	v_min_u32_e32 v5, 32, v5
	v_sub_u32_e64 v5, v5, 4 clamp
	v_lshlrev_b32_e32 v7, v5, v4
	v_lshlrev_b32_e32 v5, 23, v5
	v_lshrrev_b32_e32 v7, 4, v7
	v_add_u32_e32 v6, 0x1000000, v4
	v_sub_u32_e32 v5, v7, v5
	v_ashrrev_i32_e32 v6, 8, v6
	v_add_u32_e32 v5, 0x3c000000, v5
	v_and_or_b32 v5, v6, s0, v5
	v_cmp_ne_u32_e32 vcc, 0, v4
	v_cndmask_b32_e32 v4, 0, v5, vcc
	v_and_or_b32 v3, v3, s1, v4
	v_trunc_f32_e32 v3, v3
	v_mul_f32_e64 v4, |v3|, s8
	v_floor_f32_e32 v4, v4
	v_fma_f32 v5, v4, s9, |v3|
	v_cvt_u32_f32_e32 v5, v5
	v_cvt_u32_f32_e32 v4, v4
	v_ashrrev_i32_e32 v6, 31, v3
	v_xor_b32_e32 v3, v5, v6
	v_xor_b32_e32 v4, v4, v6
	v_sub_co_u32_e32 v3, vcc, v3, v6
	v_subb_co_u32_e32 v4, vcc, v4, v6, vcc
.LBB79_196:
	s_mov_b64 s[0:1], 0
.LBB79_197:
	s_andn2_b64 vcc, exec, s[0:1]
	s_cbranch_vccnz .LBB79_199
; %bb.198:
	global_load_ubyte v3, v[1:2], off
	s_movk_i32 s0, 0x7f00
	s_brev_b32 s1, 16
	s_brev_b32 s8, 1
	s_mov_b32 s9, 0x2f800000
	s_mov_b32 s11, 0xcf800000
	s_waitcnt vmcnt(0)
	v_lshlrev_b16_e32 v4, 8, v3
	v_lshlrev_b32_e32 v3, 25, v3
	v_lshrrev_b32_e32 v5, 4, v3
	v_and_or_b32 v6, v4, s0, 0.5
	v_or_b32_e32 v5, 0x70000000, v5
	v_add_f32_e32 v6, -0.5, v6
	v_mul_f32_e32 v5, 0x7800000, v5
	v_cmp_gt_u32_e32 vcc, s1, v3
	v_bfe_i32 v4, v4, 0, 16
	v_cndmask_b32_e32 v3, v5, v6, vcc
	v_and_or_b32 v3, v4, s8, v3
	v_trunc_f32_e32 v3, v3
	v_mul_f32_e64 v4, |v3|, s9
	v_floor_f32_e32 v4, v4
	v_fma_f32 v5, v4, s11, |v3|
	v_cvt_u32_f32_e32 v5, v5
	v_cvt_u32_f32_e32 v4, v4
	v_ashrrev_i32_e32 v6, 31, v3
	v_xor_b32_e32 v3, v5, v6
	v_xor_b32_e32 v4, v4, v6
	v_sub_co_u32_e32 v3, vcc, v3, v6
	v_subb_co_u32_e32 v4, vcc, v4, v6, vcc
.LBB79_199:
	s_mov_b64 s[8:9], 0
	s_mov_b64 s[0:1], -1
.LBB79_200:
	s_andn2_b64 vcc, exec, s[8:9]
	s_cbranch_vccnz .LBB79_211
; %bb.201:
	s_cmp_gt_i32 s10, 14
	s_cbranch_scc0 .LBB79_204
; %bb.202:
	s_cmp_eq_u32 s10, 15
	s_cbranch_scc0 .LBB79_205
; %bb.203:
	global_load_ushort v3, v[1:2], off
	s_mov_b32 s0, 0x2f800000
	s_mov_b32 s1, 0xcf800000
	s_mov_b64 s[2:3], 0
	s_waitcnt vmcnt(0)
	v_lshlrev_b32_e32 v3, 16, v3
	v_trunc_f32_e32 v3, v3
	v_mul_f32_e64 v4, |v3|, s0
	v_floor_f32_e32 v4, v4
	v_fma_f32 v5, v4, s1, |v3|
	v_cvt_u32_f32_e32 v5, v5
	v_cvt_u32_f32_e32 v4, v4
	v_ashrrev_i32_e32 v6, 31, v3
	s_mov_b64 s[0:1], -1
	v_xor_b32_e32 v3, v5, v6
	v_xor_b32_e32 v4, v4, v6
	v_sub_co_u32_e32 v3, vcc, v3, v6
	v_subb_co_u32_e32 v4, vcc, v4, v6, vcc
	s_branch .LBB79_206
.LBB79_204:
	s_mov_b64 s[8:9], -1
                                        ; implicit-def: $vgpr3_vgpr4
	s_branch .LBB79_207
.LBB79_205:
	s_mov_b64 s[2:3], -1
                                        ; implicit-def: $vgpr3_vgpr4
.LBB79_206:
	s_mov_b64 s[8:9], 0
.LBB79_207:
	s_and_b64 vcc, exec, s[8:9]
	s_cbranch_vccz .LBB79_211
; %bb.208:
	s_cmp_eq_u32 s10, 11
	s_cbranch_scc0 .LBB79_210
; %bb.209:
	global_load_ubyte v3, v[1:2], off
	s_mov_b32 s2, 0
	s_mov_b64 s[0:1], -1
	s_waitcnt vmcnt(1)
	v_mov_b32_e32 v4, s2
	s_mov_b64 s[2:3], 0
	s_waitcnt vmcnt(0)
	v_cmp_ne_u16_e32 vcc, 0, v3
	v_cndmask_b32_e64 v3, 0, 1, vcc
	s_branch .LBB79_211
.LBB79_210:
	s_mov_b64 s[2:3], -1
                                        ; implicit-def: $vgpr3_vgpr4
.LBB79_211:
	s_branch .LBB79_24
.LBB79_212:
	s_cmp_lt_i32 s10, 5
	s_cbranch_scc1 .LBB79_217
; %bb.213:
	s_cmp_lt_i32 s10, 8
	s_cbranch_scc1 .LBB79_218
; %bb.214:
	;; [unrolled: 3-line block ×3, first 2 shown]
	s_cmp_gt_i32 s10, 9
	s_cbranch_scc0 .LBB79_220
; %bb.216:
	global_load_dwordx2 v[3:4], v[1:2], off
	s_movk_i32 s0, 0xffe0
	s_waitcnt vmcnt(0)
	v_trunc_f64_e32 v[3:4], v[3:4]
	v_ldexp_f64 v[5:6], v[3:4], s0
	s_mov_b32 s0, 0
	s_mov_b32 s1, 0xc1f00000
	v_floor_f64_e32 v[5:6], v[5:6]
	v_fma_f64 v[7:8], v[5:6], s[0:1], v[3:4]
	v_cvt_i32_f64_e32 v4, v[5:6]
	s_mov_b64 s[0:1], 0
	v_cvt_u32_f64_e32 v3, v[7:8]
	s_branch .LBB79_221
.LBB79_217:
                                        ; implicit-def: $vgpr3_vgpr4
	s_branch .LBB79_239
.LBB79_218:
	s_mov_b64 s[0:1], -1
                                        ; implicit-def: $vgpr3_vgpr4
	s_branch .LBB79_227
.LBB79_219:
	s_mov_b64 s[0:1], -1
                                        ; implicit-def: $vgpr3_vgpr4
	s_branch .LBB79_224
.LBB79_220:
	s_mov_b64 s[0:1], -1
                                        ; implicit-def: $vgpr3_vgpr4
.LBB79_221:
	s_andn2_b64 vcc, exec, s[0:1]
	s_cbranch_vccnz .LBB79_223
; %bb.222:
	global_load_dword v3, v[1:2], off
	s_mov_b32 s0, 0x2f800000
	s_mov_b32 s1, 0xcf800000
	s_waitcnt vmcnt(0)
	v_trunc_f32_e32 v3, v3
	v_mul_f32_e64 v4, |v3|, s0
	v_floor_f32_e32 v4, v4
	v_cvt_u32_f32_e32 v5, v4
	v_fma_f32 v4, v4, s1, |v3|
	v_cvt_u32_f32_e32 v4, v4
	v_ashrrev_i32_e32 v6, 31, v3
	v_xor_b32_e32 v5, v5, v6
	v_xor_b32_e32 v3, v4, v6
	v_sub_co_u32_e32 v3, vcc, v3, v6
	v_subb_co_u32_e32 v4, vcc, v5, v6, vcc
.LBB79_223:
	s_mov_b64 s[0:1], 0
.LBB79_224:
	s_andn2_b64 vcc, exec, s[0:1]
	s_cbranch_vccnz .LBB79_226
; %bb.225:
	global_load_dword v3, v[1:2], off
	s_waitcnt vmcnt(0)
	v_cvt_f32_f16_e32 v3, v3
	v_cvt_i32_f32_e32 v3, v3
	v_ashrrev_i32_e32 v4, 31, v3
.LBB79_226:
	s_mov_b64 s[0:1], 0
.LBB79_227:
	s_andn2_b64 vcc, exec, s[0:1]
	s_cbranch_vccnz .LBB79_238
; %bb.228:
	s_cmp_lt_i32 s10, 6
	s_cbranch_scc1 .LBB79_231
; %bb.229:
	s_cmp_gt_i32 s10, 6
	s_cbranch_scc0 .LBB79_232
; %bb.230:
	global_load_dwordx2 v[3:4], v[1:2], off
	s_movk_i32 s0, 0xffe0
	s_waitcnt vmcnt(0)
	v_trunc_f64_e32 v[3:4], v[3:4]
	v_ldexp_f64 v[5:6], v[3:4], s0
	s_mov_b32 s0, 0
	s_mov_b32 s1, 0xc1f00000
	v_floor_f64_e32 v[5:6], v[5:6]
	v_fma_f64 v[7:8], v[5:6], s[0:1], v[3:4]
	v_cvt_i32_f64_e32 v4, v[5:6]
	s_mov_b64 s[0:1], 0
	v_cvt_u32_f64_e32 v3, v[7:8]
	s_branch .LBB79_233
.LBB79_231:
	s_mov_b64 s[0:1], -1
                                        ; implicit-def: $vgpr3_vgpr4
	s_branch .LBB79_236
.LBB79_232:
	s_mov_b64 s[0:1], -1
                                        ; implicit-def: $vgpr3_vgpr4
.LBB79_233:
	s_andn2_b64 vcc, exec, s[0:1]
	s_cbranch_vccnz .LBB79_235
; %bb.234:
	global_load_dword v3, v[1:2], off
	s_mov_b32 s0, 0x2f800000
	s_mov_b32 s1, 0xcf800000
	s_waitcnt vmcnt(0)
	v_trunc_f32_e32 v3, v3
	v_mul_f32_e64 v4, |v3|, s0
	v_floor_f32_e32 v4, v4
	v_cvt_u32_f32_e32 v5, v4
	v_fma_f32 v4, v4, s1, |v3|
	v_cvt_u32_f32_e32 v4, v4
	v_ashrrev_i32_e32 v6, 31, v3
	v_xor_b32_e32 v5, v5, v6
	v_xor_b32_e32 v3, v4, v6
	v_sub_co_u32_e32 v3, vcc, v3, v6
	v_subb_co_u32_e32 v4, vcc, v5, v6, vcc
.LBB79_235:
	s_mov_b64 s[0:1], 0
.LBB79_236:
	s_andn2_b64 vcc, exec, s[0:1]
	s_cbranch_vccnz .LBB79_238
; %bb.237:
	global_load_ushort v3, v[1:2], off
	s_waitcnt vmcnt(0)
	v_cvt_f32_f16_e32 v3, v3
	v_cvt_i32_f32_e32 v3, v3
	v_ashrrev_i32_e32 v4, 31, v3
.LBB79_238:
	s_cbranch_execnz .LBB79_258
.LBB79_239:
	s_cmp_lt_i32 s10, 2
	s_cbranch_scc1 .LBB79_243
; %bb.240:
	s_cmp_lt_i32 s10, 3
	s_cbranch_scc1 .LBB79_244
; %bb.241:
	s_cmp_gt_i32 s10, 3
	s_cbranch_scc0 .LBB79_245
; %bb.242:
	global_load_dwordx2 v[3:4], v[1:2], off
	s_mov_b64 s[0:1], 0
	s_branch .LBB79_246
.LBB79_243:
	s_mov_b64 s[0:1], -1
                                        ; implicit-def: $vgpr3_vgpr4
	s_branch .LBB79_252
.LBB79_244:
	s_mov_b64 s[0:1], -1
                                        ; implicit-def: $vgpr3_vgpr4
	s_branch .LBB79_249
.LBB79_245:
	s_mov_b64 s[0:1], -1
                                        ; implicit-def: $vgpr3_vgpr4
.LBB79_246:
	s_andn2_b64 vcc, exec, s[0:1]
	s_cbranch_vccnz .LBB79_248
; %bb.247:
	global_load_dword v3, v[1:2], off
	s_waitcnt vmcnt(0)
	v_ashrrev_i32_e32 v4, 31, v3
.LBB79_248:
	s_mov_b64 s[0:1], 0
.LBB79_249:
	s_andn2_b64 vcc, exec, s[0:1]
	s_cbranch_vccnz .LBB79_251
; %bb.250:
	global_load_ushort v3, v[1:2], off
	s_waitcnt vmcnt(0)
	v_bfe_i32 v3, v3, 0, 16
	v_ashrrev_i32_e32 v4, 31, v3
.LBB79_251:
	s_mov_b64 s[0:1], 0
.LBB79_252:
	s_andn2_b64 vcc, exec, s[0:1]
	s_cbranch_vccnz .LBB79_258
; %bb.253:
	s_cmp_gt_i32 s10, 0
	s_cbranch_scc0 .LBB79_255
; %bb.254:
	global_load_sbyte v3, v[1:2], off
	s_mov_b64 s[0:1], 0
	s_waitcnt vmcnt(0)
	v_bfe_i32 v3, v3, 0, 16
	v_ashrrev_i32_e32 v4, 31, v3
	s_branch .LBB79_256
.LBB79_255:
	s_mov_b64 s[0:1], -1
                                        ; implicit-def: $vgpr3_vgpr4
.LBB79_256:
	s_andn2_b64 vcc, exec, s[0:1]
	s_cbranch_vccnz .LBB79_258
; %bb.257:
	global_load_ubyte v1, v[1:2], off
	s_mov_b32 s0, 0
	s_waitcnt vmcnt(1)
	v_mov_b32_e32 v4, s0
	s_waitcnt vmcnt(0)
	v_and_b32_e32 v3, 0xffff, v1
.LBB79_258:
	s_branch .LBB79_25
.LBB79_259:
	s_mov_b64 s[0:1], 0
.LBB79_260:
	s_mov_b64 s[8:9], 0
                                        ; implicit-def: $vgpr11
.LBB79_261:
	s_and_b64 s[54:55], s[0:1], exec
	s_and_b64 s[56:57], s[2:3], exec
	s_orn2_b64 s[2:3], s[8:9], exec
.LBB79_262:
	s_or_b64 exec, exec, s[58:59]
	s_mov_b64 s[10:11], 0
	s_mov_b64 s[0:1], 0
                                        ; implicit-def: $vgpr1_vgpr2
                                        ; implicit-def: $vgpr0
                                        ; implicit-def: $vgpr5_vgpr6
	s_and_saveexec_b64 s[58:59], s[2:3]
	s_cbranch_execz .LBB79_269
; %bb.263:
	v_cmp_gt_i32_e32 vcc, s72, v11
	s_mov_b64 s[0:1], -1
	s_mov_b64 s[60:61], s[56:57]
	s_mov_b64 s[62:63], s[54:55]
	s_and_saveexec_b64 s[64:65], vcc
	s_cbranch_execz .LBB79_534
; %bb.264:
	s_andn2_b64 vcc, exec, s[40:41]
	s_cbranch_vccnz .LBB79_272
; %bb.265:
	s_andn2_b64 vcc, exec, s[52:53]
	s_cbranch_vccnz .LBB79_273
; %bb.266:
	s_add_i32 s67, s77, 1
	s_cmp_eq_u32 s74, 2
	s_cbranch_scc1 .LBB79_274
; %bb.267:
	s_and_b32 s66, s67, 28
	v_mov_b32_e32 v2, 0
	s_mov_b32 s68, 0
	s_mov_b64 s[60:61], s[34:35]
	s_mov_b64 s[62:63], s[50:51]
	v_mov_b32_e32 v0, 0
	v_mov_b32_e32 v1, v11
.LBB79_268:                             ; =>This Inner Loop Header: Depth=1
	s_load_dwordx8 s[16:23], s[60:61], 0x4
	s_load_dwordx4 s[0:3], s[60:61], 0x24
	s_load_dwordx8 s[8:15], s[62:63], 0x0
	s_add_u32 s60, s60, 48
	s_addc_u32 s61, s61, 0
	s_waitcnt vmcnt(0) lgkmcnt(0)
	v_mul_hi_u32 v3, s17, v1
	s_add_i32 s68, s68, 4
	s_add_u32 s62, s62, 32
	s_addc_u32 s63, s63, 0
	v_add_u32_e32 v3, v1, v3
	v_lshrrev_b32_e32 v3, s18, v3
	v_mul_lo_u32 v4, v3, s16
	v_mul_hi_u32 v5, s20, v3
	s_cmp_eq_u32 s66, s68
	v_sub_u32_e32 v1, v1, v4
	v_add_u32_e32 v4, v3, v5
	v_mul_lo_u32 v5, v1, s8
	v_mul_lo_u32 v6, v1, s9
	v_lshrrev_b32_e32 v1, s21, v4
	v_mul_lo_u32 v4, v1, s19
	v_mul_hi_u32 v7, s23, v1
	v_sub_u32_e32 v3, v3, v4
	v_add_u32_e32 v4, v1, v7
	v_lshrrev_b32_e32 v4, s0, v4
	v_mul_hi_u32 v8, s2, v4
	v_mul_lo_u32 v9, v4, s22
	v_mul_lo_u32 v7, v3, s10
	;; [unrolled: 1-line block ×3, first 2 shown]
	v_sub_u32_e32 v9, v1, v9
	v_add_u32_e32 v1, v4, v8
	v_lshrrev_b32_e32 v1, s3, v1
	v_mul_lo_u32 v8, v1, s1
	v_mul_lo_u32 v10, v9, s12
	;; [unrolled: 1-line block ×3, first 2 shown]
	v_add3_u32 v0, v5, v0, v7
	v_sub_u32_e32 v4, v4, v8
	v_mul_lo_u32 v8, v4, s14
	v_mul_lo_u32 v4, v4, s15
	v_add3_u32 v2, v6, v2, v3
	v_add3_u32 v0, v10, v0, v8
	;; [unrolled: 1-line block ×3, first 2 shown]
	s_cbranch_scc0 .LBB79_268
	s_branch .LBB79_275
.LBB79_269:
	s_or_b64 exec, exec, s[58:59]
	s_mov_b64 s[2:3], 0
	s_and_saveexec_b64 s[8:9], s[56:57]
	s_cbranch_execnz .LBB79_902
.LBB79_270:
	s_or_b64 exec, exec, s[8:9]
	s_and_saveexec_b64 s[8:9], s[62:63]
	s_xor_b64 s[8:9], exec, s[8:9]
	s_cbranch_execz .LBB79_903
.LBB79_271:
	global_load_ubyte v3, v[1:2], off
	s_mov_b32 s12, 0
	s_waitcnt vmcnt(1)
	v_mov_b32_e32 v6, s12
	s_or_b64 s[0:1], s[0:1], exec
	s_waitcnt vmcnt(0)
	v_cmp_ne_u16_e32 vcc, 0, v3
	v_cndmask_b32_e64 v5, 0, 1, vcc
	s_or_b64 exec, exec, s[8:9]
	s_and_saveexec_b64 s[8:9], s[10:11]
	s_cbranch_execz .LBB79_949
	s_branch .LBB79_904
.LBB79_272:
                                        ; implicit-def: $vgpr0
                                        ; implicit-def: $vgpr2
	s_andn2_b64 vcc, exec, s[0:1]
	s_cbranch_vccz .LBB79_279
	s_branch .LBB79_281
.LBB79_273:
	v_mov_b32_e32 v0, 0
	v_mov_b32_e32 v2, 0
	s_branch .LBB79_278
.LBB79_274:
	s_mov_b32 s66, 0
	v_mov_b32_e32 v0, 0
	v_mov_b32_e32 v2, 0
	;; [unrolled: 1-line block ×3, first 2 shown]
.LBB79_275:
	s_and_b32 s8, s67, 3
	s_cmp_eq_u32 s8, 0
	s_cbranch_scc1 .LBB79_278
; %bb.276:
	s_lshl_b32 s0, s66, 3
	s_add_u32 s0, s34, s0
	s_addc_u32 s1, s35, 0
	s_add_u32 s0, s0, 0xc4
	s_addc_u32 s1, s1, 0
	s_mul_i32 s2, s66, 12
	s_add_u32 s2, s34, s2
	s_addc_u32 s3, s35, 0
.LBB79_277:                             ; =>This Inner Loop Header: Depth=1
	s_load_dwordx2 s[10:11], s[2:3], 0x4
	s_load_dword s9, s[2:3], 0xc
	s_load_dwordx2 s[12:13], s[0:1], 0x0
	s_add_u32 s2, s2, 12
	s_addc_u32 s3, s3, 0
	s_waitcnt vmcnt(0) lgkmcnt(0)
	v_mul_hi_u32 v3, s11, v1
	s_add_u32 s0, s0, 8
	s_addc_u32 s1, s1, 0
	s_add_i32 s8, s8, -1
	v_add_u32_e32 v3, v1, v3
	v_lshrrev_b32_e32 v4, s9, v3
	v_mul_lo_u32 v3, v4, s10
	s_cmp_lg_u32 s8, 0
	v_sub_u32_e32 v3, v1, v3
	v_mad_u64_u32 v[0:1], s[10:11], v3, s12, v[0:1]
	v_mad_u64_u32 v[2:3], s[10:11], v3, s13, v[2:3]
	v_mov_b32_e32 v1, v4
	s_cbranch_scc1 .LBB79_277
.LBB79_278:
	s_cbranch_execnz .LBB79_281
.LBB79_279:
	v_mul_hi_u32 v0, s29, v11
	s_andn2_b64 vcc, exec, s[48:49]
	v_add_u32_e32 v0, v11, v0
	v_lshrrev_b32_e32 v1, s30, v0
	v_mul_lo_u32 v0, v1, s28
	v_sub_u32_e32 v2, v11, v0
	v_mul_lo_u32 v0, v2, s36
	v_mul_lo_u32 v2, v2, s37
	s_cbranch_vccnz .LBB79_281
; %bb.280:
	s_waitcnt vmcnt(0)
	v_mul_hi_u32 v3, s46, v1
	v_add_u32_e32 v3, v1, v3
	v_lshrrev_b32_e32 v3, s47, v3
	v_mul_lo_u32 v3, v3, s31
	v_sub_u32_e32 v3, v1, v3
	v_mad_u64_u32 v[0:1], s[0:1], v3, s38, v[0:1]
	v_mad_u64_u32 v[2:3], s[0:1], v3, s39, v[2:3]
.LBB79_281:
	s_waitcnt vmcnt(0)
	v_mov_b32_e32 v3, s27
	s_and_b32 s10, 0xffff, s76
	v_add_co_u32_e32 v1, vcc, s26, v2
	s_cmp_lt_i32 s10, 11
	v_addc_co_u32_e32 v2, vcc, 0, v3, vcc
	s_cbranch_scc1 .LBB79_288
; %bb.282:
	s_cmp_gt_i32 s10, 25
	s_cbranch_scc0 .LBB79_297
; %bb.283:
	s_cmp_gt_i32 s10, 28
	s_cbranch_scc0 .LBB79_299
	;; [unrolled: 3-line block ×4, first 2 shown]
; %bb.286:
	s_cmp_eq_u32 s10, 46
	s_mov_b64 s[8:9], 0
	s_cbranch_scc0 .LBB79_309
; %bb.287:
	global_load_dword v3, v[1:2], off
	s_mov_b32 s0, 0x2f800000
	s_mov_b32 s1, 0xcf800000
	s_mov_b64 s[2:3], 0
	s_waitcnt vmcnt(0)
	v_lshlrev_b32_e32 v3, 16, v3
	v_trunc_f32_e32 v3, v3
	v_mul_f32_e64 v4, |v3|, s0
	v_floor_f32_e32 v4, v4
	v_fma_f32 v5, v4, s1, |v3|
	v_cvt_u32_f32_e32 v5, v5
	v_cvt_u32_f32_e32 v4, v4
	v_ashrrev_i32_e32 v6, 31, v3
	s_mov_b64 s[0:1], -1
	v_xor_b32_e32 v3, v5, v6
	v_xor_b32_e32 v4, v4, v6
	v_sub_co_u32_e32 v3, vcc, v3, v6
	v_subb_co_u32_e32 v4, vcc, v4, v6, vcc
	s_branch .LBB79_310
.LBB79_288:
	s_mov_b64 s[0:1], 0
                                        ; implicit-def: $vgpr3_vgpr4
	s_mov_b64 s[2:3], s[56:57]
	s_cbranch_execnz .LBB79_483
.LBB79_289:
	s_andn2_b64 vcc, exec, s[0:1]
	s_cbranch_vccnz .LBB79_531
.LBB79_290:
	s_waitcnt vmcnt(0)
	v_lshlrev_b64 v[1:2], v3, s[44:45]
	v_cmp_gt_u64_e32 vcc, 64, v[3:4]
	v_mov_b32_e32 v4, s25
	v_cndmask_b32_e32 v2, 0, v2, vcc
	v_cndmask_b32_e32 v1, 0, v1, vcc
	s_and_b32 s14, s75, 0xff
	v_add_co_u32_e32 v3, vcc, s24, v0
	s_cmp_lt_i32 s14, 11
	v_addc_co_u32_e32 v4, vcc, 0, v4, vcc
	s_cbranch_scc1 .LBB79_298
; %bb.291:
	s_and_b32 s15, 0xffff, s14
	s_cmp_gt_i32 s15, 25
	s_cbranch_scc0 .LBB79_300
; %bb.292:
	s_cmp_gt_i32 s15, 28
	s_cbranch_scc0 .LBB79_302
; %bb.293:
	s_cmp_gt_i32 s15, 43
	s_cbranch_scc0 .LBB79_306
; %bb.294:
	s_cmp_gt_i32 s15, 45
	s_cbranch_scc0 .LBB79_313
; %bb.295:
	s_mov_b64 s[10:11], 0
	s_mov_b64 s[0:1], -1
	s_cmp_eq_u32 s15, 46
	s_mov_b64 s[8:9], 0
	s_cbranch_scc0 .LBB79_314
; %bb.296:
	v_xor_b32_e32 v5, v1, v2
	v_ffbh_i32_e32 v0, v2
	v_ashrrev_i32_e32 v5, 31, v5
	v_add_u32_e32 v0, -1, v0
	v_add_u32_e32 v5, 32, v5
	v_min_u32_e32 v0, v0, v5
	v_lshlrev_b64 v[5:6], v0, v[1:2]
	v_sub_u32_e32 v0, 32, v0
	v_min_u32_e32 v5, 1, v5
	v_or_b32_e32 v5, v6, v5
	v_cvt_f32_i32_e32 v5, v5
	s_movk_i32 s0, 0x7fff
	s_mov_b64 s[8:9], -1
	v_ldexp_f32 v0, v5, v0
	v_bfe_u32 v5, v0, 16, 1
	v_add3_u32 v0, v0, v5, s0
	v_lshrrev_b32_e32 v0, 16, v0
	global_store_dword v[3:4], v0, off
	s_mov_b64 s[0:1], 0
	s_branch .LBB79_314
.LBB79_297:
	s_mov_b64 s[8:9], -1
	s_mov_b64 s[0:1], 0
	s_mov_b64 s[2:3], s[56:57]
                                        ; implicit-def: $vgpr3_vgpr4
	s_branch .LBB79_451
.LBB79_298:
	s_mov_b64 s[10:11], -1
	s_mov_b64 s[8:9], 0
	s_mov_b64 s[0:1], s[54:55]
	s_branch .LBB79_383
.LBB79_299:
	s_mov_b64 s[8:9], -1
	s_mov_b64 s[0:1], 0
	s_mov_b64 s[2:3], s[56:57]
                                        ; implicit-def: $vgpr3_vgpr4
	s_branch .LBB79_432
.LBB79_300:
	s_mov_b64 s[10:11], -1
	s_mov_b64 s[8:9], 0
	s_mov_b64 s[0:1], s[54:55]
	s_branch .LBB79_341
.LBB79_301:
	s_mov_b64 s[8:9], -1
	s_mov_b64 s[0:1], 0
	s_mov_b64 s[2:3], s[56:57]
                                        ; implicit-def: $vgpr3_vgpr4
	s_branch .LBB79_427
.LBB79_302:
	s_mov_b64 s[10:11], -1
	s_mov_b64 s[8:9], 0
	s_mov_b64 s[0:1], s[54:55]
	s_branch .LBB79_324
.LBB79_303:
	s_andn2_saveexec_b64 s[12:13], s[12:13]
	s_cbranch_execz .LBB79_68
.LBB79_304:
	s_mov_b32 s16, 0x46000000
	v_add_f32_e64 v5, |v0|, s16
	v_and_b32_e32 v5, 0xff, v5
	v_cmp_ne_u32_e32 vcc, 0, v5
	s_andn2_b64 s[10:11], s[10:11], exec
	s_and_b64 s[16:17], vcc, exec
	s_or_b64 s[10:11], s[10:11], s[16:17]
	s_or_b64 exec, exec, s[12:13]
	v_mov_b32_e32 v6, 0
	s_and_saveexec_b64 s[12:13], s[10:11]
	s_cbranch_execnz .LBB79_69
	s_branch .LBB79_70
.LBB79_305:
	s_mov_b64 s[8:9], -1
	s_mov_b64 s[0:1], 0
	s_mov_b64 s[2:3], s[56:57]
                                        ; implicit-def: $vgpr3_vgpr4
	s_branch .LBB79_310
.LBB79_306:
	s_mov_b64 s[10:11], -1
	s_mov_b64 s[8:9], 0
	s_mov_b64 s[0:1], s[54:55]
	s_branch .LBB79_320
.LBB79_307:
	s_andn2_saveexec_b64 s[12:13], s[12:13]
	s_cbranch_execz .LBB79_81
.LBB79_308:
	s_mov_b32 s16, 0x42800000
	v_add_f32_e64 v5, |v0|, s16
	v_and_b32_e32 v5, 0xff, v5
	v_cmp_ne_u32_e32 vcc, 0, v5
	s_andn2_b64 s[10:11], s[10:11], exec
	s_and_b64 s[16:17], vcc, exec
	s_or_b64 s[10:11], s[10:11], s[16:17]
	s_or_b64 exec, exec, s[12:13]
	v_mov_b32_e32 v6, 0
	s_and_saveexec_b64 s[12:13], s[10:11]
	s_cbranch_execnz .LBB79_82
	s_branch .LBB79_83
.LBB79_309:
	s_mov_b64 s[2:3], -1
                                        ; implicit-def: $vgpr3_vgpr4
	s_mov_b64 s[0:1], 0
.LBB79_310:
	s_and_b64 vcc, exec, s[8:9]
	s_cbranch_vccz .LBB79_426
; %bb.311:
	s_cmp_eq_u32 s10, 44
	s_cbranch_scc0 .LBB79_425
; %bb.312:
	global_load_ubyte v3, v[1:2], off
	s_mov_b32 s0, 0x2f800000
	s_mov_b32 s1, 0xcf800000
	s_mov_b64 s[2:3], 0
	s_waitcnt vmcnt(0)
	v_lshlrev_b32_e32 v4, 23, v3
	v_trunc_f32_e32 v4, v4
	v_mul_f32_e64 v5, |v4|, s0
	v_floor_f32_e32 v5, v5
	v_fma_f32 v6, v5, s1, |v4|
	v_cvt_u32_f32_e32 v6, v6
	v_cvt_u32_f32_e32 v5, v5
	v_ashrrev_i32_e32 v4, 31, v4
	s_mov_b64 s[0:1], -1
	v_xor_b32_e32 v6, v6, v4
	v_xor_b32_e32 v5, v5, v4
	v_sub_co_u32_e32 v6, vcc, v6, v4
	v_subb_co_u32_e32 v4, vcc, v5, v4, vcc
	v_cmp_ne_u32_e32 vcc, 0, v3
	v_cndmask_b32_e32 v4, 0, v4, vcc
	v_cndmask_b32_e32 v3, 0, v6, vcc
	s_branch .LBB79_426
.LBB79_313:
	s_mov_b64 s[10:11], -1
	s_mov_b64 s[8:9], 0
	s_mov_b64 s[0:1], s[54:55]
.LBB79_314:
	s_and_b64 vcc, exec, s[10:11]
	s_cbranch_vccz .LBB79_319
; %bb.315:
	s_cmp_eq_u32 s15, 44
	s_mov_b64 s[0:1], -1
	s_cbranch_scc0 .LBB79_319
; %bb.316:
	v_xor_b32_e32 v5, v1, v2
	v_ffbh_i32_e32 v0, v2
	v_ashrrev_i32_e32 v5, 31, v5
	v_add_u32_e32 v0, -1, v0
	v_add_u32_e32 v5, 32, v5
	v_min_u32_e32 v0, v0, v5
	v_lshlrev_b64 v[5:6], v0, v[1:2]
	v_sub_u32_e32 v0, 32, v0
	v_min_u32_e32 v5, 1, v5
	v_or_b32_e32 v5, v6, v5
	v_cvt_f32_i32_e32 v5, v5
	s_movk_i32 s0, 0xff
	v_mov_b32_e32 v6, 0xff
	v_ldexp_f32 v0, v5, v0
	v_bfe_u32 v5, v0, 23, 8
	v_cmp_ne_u32_e32 vcc, s0, v5
	s_and_saveexec_b64 s[8:9], vcc
; %bb.317:
	s_mov_b32 s0, 0x3fffff
	v_lshrrev_b32_e32 v6, 23, v0
	v_and_b32_e32 v7, 0x400000, v0
	v_and_or_b32 v0, v0, s0, v5
	v_cmp_ne_u32_e32 vcc, 0, v7
	v_cmp_ne_u32_e64 s[0:1], 0, v0
	s_and_b64 s[0:1], vcc, s[0:1]
	v_cndmask_b32_e64 v0, 0, 1, s[0:1]
	v_add_u32_e32 v6, v6, v0
; %bb.318:
	s_or_b64 exec, exec, s[8:9]
	s_mov_b64 s[8:9], -1
	s_mov_b64 s[0:1], 0
	global_store_byte v[3:4], v6, off
.LBB79_319:
	s_mov_b64 s[10:11], 0
.LBB79_320:
	s_and_b64 vcc, exec, s[10:11]
	s_cbranch_vccz .LBB79_323
; %bb.321:
	s_cmp_eq_u32 s15, 29
	s_mov_b64 s[0:1], -1
	s_cbranch_scc0 .LBB79_323
; %bb.322:
	global_store_dwordx2 v[3:4], v[1:2], off
	s_mov_b64 s[8:9], -1
	s_mov_b64 s[0:1], 0
.LBB79_323:
	s_mov_b64 s[10:11], 0
.LBB79_324:
	s_and_b64 vcc, exec, s[10:11]
	s_cbranch_vccz .LBB79_340
; %bb.325:
	s_cmp_lt_i32 s15, 27
	s_mov_b64 s[8:9], -1
	s_cbranch_scc1 .LBB79_331
; %bb.326:
	s_cmp_gt_i32 s15, 27
	s_cbranch_scc0 .LBB79_328
; %bb.327:
	s_mov_b64 s[8:9], 0
	global_store_dword v[3:4], v1, off
.LBB79_328:
	s_andn2_b64 vcc, exec, s[8:9]
	s_cbranch_vccnz .LBB79_330
; %bb.329:
	global_store_short v[3:4], v1, off
.LBB79_330:
	s_mov_b64 s[8:9], 0
.LBB79_331:
	s_andn2_b64 vcc, exec, s[8:9]
	s_cbranch_vccnz .LBB79_339
; %bb.332:
	v_xor_b32_e32 v5, v1, v2
	v_ffbh_i32_e32 v0, v2
	v_ashrrev_i32_e32 v5, 31, v5
	v_add_u32_e32 v0, -1, v0
	v_add_u32_e32 v5, 32, v5
	v_min_u32_e32 v0, v0, v5
	v_lshlrev_b64 v[5:6], v0, v[1:2]
	v_sub_u32_e32 v0, 32, v0
	v_min_u32_e32 v5, 1, v5
	v_or_b32_e32 v5, v6, v5
	v_cvt_f32_i32_e32 v5, v5
	s_mov_b32 s8, 0x43800000
	v_mov_b32_e32 v6, 0x80
	v_ldexp_f32 v0, v5, v0
	v_and_b32_e32 v5, 0x7fffffff, v0
	v_cmp_gt_u32_e32 vcc, s8, v5
	s_and_saveexec_b64 s[8:9], vcc
	s_cbranch_execz .LBB79_338
; %bb.333:
	s_mov_b32 s10, 0x3bffffff
	v_cmp_lt_u32_e32 vcc, s10, v5
	s_mov_b64 s[10:11], 0
                                        ; implicit-def: $vgpr5
	s_and_saveexec_b64 s[12:13], vcc
	s_xor_b64 s[12:13], exec, s[12:13]
	s_cbranch_execz .LBB79_562
; %bb.334:
	v_bfe_u32 v5, v0, 20, 1
	s_mov_b32 s16, 0x487ffff
	v_add3_u32 v5, v0, v5, s16
	s_mov_b64 s[10:11], exec
	v_lshrrev_b32_e32 v5, 20, v5
	s_andn2_saveexec_b64 s[12:13], s[12:13]
	s_cbranch_execnz .LBB79_563
.LBB79_335:
	s_or_b64 exec, exec, s[12:13]
	v_mov_b32_e32 v6, 0
	s_and_saveexec_b64 s[12:13], s[10:11]
.LBB79_336:
	v_lshrrev_b32_e32 v0, 24, v0
	s_movk_i32 s10, 0x80
	v_and_or_b32 v6, v0, s10, v5
.LBB79_337:
	s_or_b64 exec, exec, s[12:13]
.LBB79_338:
	s_or_b64 exec, exec, s[8:9]
	global_store_byte v[3:4], v6, off
.LBB79_339:
	s_mov_b64 s[8:9], -1
.LBB79_340:
	s_mov_b64 s[10:11], 0
.LBB79_341:
	s_and_b64 vcc, exec, s[10:11]
	s_cbranch_vccz .LBB79_382
; %bb.342:
	s_cmp_gt_i32 s15, 22
	s_mov_b64 s[10:11], -1
	s_cbranch_scc0 .LBB79_374
; %bb.343:
	s_cmp_lt_i32 s15, 24
	s_mov_b64 s[8:9], -1
	s_cbranch_scc1 .LBB79_363
; %bb.344:
	s_cmp_gt_i32 s15, 24
	s_cbranch_scc0 .LBB79_352
; %bb.345:
	v_xor_b32_e32 v5, v1, v2
	v_ffbh_i32_e32 v0, v2
	v_ashrrev_i32_e32 v5, 31, v5
	v_add_u32_e32 v0, -1, v0
	v_add_u32_e32 v5, 32, v5
	v_min_u32_e32 v0, v0, v5
	v_lshlrev_b64 v[5:6], v0, v[1:2]
	v_sub_u32_e32 v0, 32, v0
	v_min_u32_e32 v5, 1, v5
	v_or_b32_e32 v5, v6, v5
	v_cvt_f32_i32_e32 v5, v5
	s_mov_b32 s8, 0x47800000
	v_mov_b32_e32 v6, 0x80
	v_ldexp_f32 v0, v5, v0
	v_and_b32_e32 v5, 0x7fffffff, v0
	v_cmp_gt_u32_e32 vcc, s8, v5
	s_and_saveexec_b64 s[8:9], vcc
	s_cbranch_execz .LBB79_351
; %bb.346:
	s_mov_b32 s10, 0x37ffffff
	v_cmp_lt_u32_e32 vcc, s10, v5
	s_mov_b64 s[10:11], 0
                                        ; implicit-def: $vgpr5
	s_and_saveexec_b64 s[12:13], vcc
	s_xor_b64 s[12:13], exec, s[12:13]
	s_cbranch_execz .LBB79_565
; %bb.347:
	v_bfe_u32 v5, v0, 21, 1
	s_mov_b32 s16, 0x88fffff
	v_add3_u32 v5, v0, v5, s16
	s_mov_b64 s[10:11], exec
	v_lshrrev_b32_e32 v5, 21, v5
	s_andn2_saveexec_b64 s[12:13], s[12:13]
	s_cbranch_execnz .LBB79_566
.LBB79_348:
	s_or_b64 exec, exec, s[12:13]
	v_mov_b32_e32 v6, 0
	s_and_saveexec_b64 s[12:13], s[10:11]
.LBB79_349:
	v_lshrrev_b32_e32 v0, 24, v0
	s_movk_i32 s10, 0x80
	v_and_or_b32 v6, v0, s10, v5
.LBB79_350:
	s_or_b64 exec, exec, s[12:13]
.LBB79_351:
	s_or_b64 exec, exec, s[8:9]
	s_mov_b64 s[8:9], 0
	global_store_byte v[3:4], v6, off
.LBB79_352:
	s_and_b64 vcc, exec, s[8:9]
	s_cbranch_vccz .LBB79_362
; %bb.353:
	v_xor_b32_e32 v5, v1, v2
	v_ffbh_i32_e32 v0, v2
	v_ashrrev_i32_e32 v5, 31, v5
	v_add_u32_e32 v0, -1, v0
	v_add_u32_e32 v5, 32, v5
	v_min_u32_e32 v0, v0, v5
	v_lshlrev_b64 v[5:6], v0, v[1:2]
	v_sub_u32_e32 v0, 32, v0
	v_min_u32_e32 v5, 1, v5
	v_or_b32_e32 v5, v6, v5
	v_cvt_f32_i32_e32 v5, v5
	s_mov_b32 s8, 0x43f00000
	v_ldexp_f32 v0, v5, v0
	v_and_b32_e32 v6, 0x7fffffff, v0
	v_cmp_gt_u32_e32 vcc, s8, v6
                                        ; implicit-def: $vgpr5
	s_and_saveexec_b64 s[8:9], vcc
	s_xor_b64 s[8:9], exec, s[8:9]
	s_cbranch_execz .LBB79_359
; %bb.354:
	s_mov_b32 s10, 0x3c7fffff
	v_cmp_lt_u32_e32 vcc, s10, v6
                                        ; implicit-def: $vgpr5
	s_and_saveexec_b64 s[10:11], vcc
	s_xor_b64 s[10:11], exec, s[10:11]
; %bb.355:
	v_bfe_u32 v5, v0, 20, 1
	s_mov_b32 s12, 0x407ffff
	v_add3_u32 v5, v0, v5, s12
	v_lshrrev_b32_e32 v6, 20, v5
	v_and_b32_e32 v5, 0xff00000, v5
	s_mov_b32 s12, 0x7f00000
	v_mov_b32_e32 v7, 0x7e
	v_cmp_ne_u32_e32 vcc, s12, v5
	v_cndmask_b32_e32 v5, v7, v6, vcc
; %bb.356:
	s_andn2_saveexec_b64 s[10:11], s[10:11]
; %bb.357:
	s_mov_b32 s12, 0x46800000
	v_add_f32_e64 v5, |v0|, s12
; %bb.358:
	s_or_b64 exec, exec, s[10:11]
                                        ; implicit-def: $vgpr6
.LBB79_359:
	s_andn2_saveexec_b64 s[8:9], s[8:9]
; %bb.360:
	s_mov_b32 s10, 0x7f800000
	v_mov_b32_e32 v5, 0x7e
	v_mov_b32_e32 v7, 0x7f
	v_cmp_lt_u32_e32 vcc, s10, v6
	v_cndmask_b32_e32 v5, v5, v7, vcc
; %bb.361:
	s_or_b64 exec, exec, s[8:9]
	v_lshrrev_b32_e32 v0, 24, v0
	s_movk_i32 s8, 0x80
	v_and_or_b32 v0, v0, s8, v5
	global_store_byte v[3:4], v0, off
.LBB79_362:
	s_mov_b64 s[8:9], 0
.LBB79_363:
	s_andn2_b64 vcc, exec, s[8:9]
	s_cbranch_vccnz .LBB79_373
; %bb.364:
	v_xor_b32_e32 v5, v1, v2
	v_ffbh_i32_e32 v0, v2
	v_ashrrev_i32_e32 v5, 31, v5
	v_add_u32_e32 v0, -1, v0
	v_add_u32_e32 v5, 32, v5
	v_min_u32_e32 v0, v0, v5
	v_lshlrev_b64 v[5:6], v0, v[1:2]
	v_sub_u32_e32 v0, 32, v0
	v_min_u32_e32 v5, 1, v5
	v_or_b32_e32 v5, v6, v5
	v_cvt_f32_i32_e32 v5, v5
	s_mov_b32 s8, 0x47800000
	v_ldexp_f32 v0, v5, v0
	v_and_b32_e32 v6, 0x7fffffff, v0
	v_cmp_gt_u32_e32 vcc, s8, v6
                                        ; implicit-def: $vgpr5
	s_and_saveexec_b64 s[8:9], vcc
	s_xor_b64 s[8:9], exec, s[8:9]
	s_cbranch_execz .LBB79_370
; %bb.365:
	s_mov_b32 s10, 0x387fffff
	v_cmp_lt_u32_e32 vcc, s10, v6
                                        ; implicit-def: $vgpr5
	s_and_saveexec_b64 s[10:11], vcc
	s_xor_b64 s[10:11], exec, s[10:11]
; %bb.366:
	v_bfe_u32 v5, v0, 21, 1
	s_mov_b32 s12, 0x80fffff
	v_add3_u32 v5, v0, v5, s12
	v_lshrrev_b32_e32 v5, 21, v5
; %bb.367:
	s_andn2_saveexec_b64 s[10:11], s[10:11]
; %bb.368:
	s_mov_b32 s12, 0x43000000
	v_add_f32_e64 v5, |v0|, s12
; %bb.369:
	s_or_b64 exec, exec, s[10:11]
                                        ; implicit-def: $vgpr6
.LBB79_370:
	s_andn2_saveexec_b64 s[8:9], s[8:9]
; %bb.371:
	s_mov_b32 s10, 0x7f800000
	v_mov_b32_e32 v5, 0x7c
	v_mov_b32_e32 v7, 0x7f
	v_cmp_lt_u32_e32 vcc, s10, v6
	v_cndmask_b32_e32 v5, v5, v7, vcc
; %bb.372:
	s_or_b64 exec, exec, s[8:9]
	v_lshrrev_b32_e32 v0, 24, v0
	s_movk_i32 s8, 0x80
	v_and_or_b32 v0, v0, s8, v5
	global_store_byte v[3:4], v0, off
.LBB79_373:
	s_mov_b64 s[10:11], 0
	s_mov_b64 s[8:9], -1
.LBB79_374:
	s_andn2_b64 vcc, exec, s[10:11]
	s_cbranch_vccnz .LBB79_382
; %bb.375:
	s_cmp_gt_i32 s15, 14
	s_mov_b64 s[10:11], -1
	s_cbranch_scc0 .LBB79_379
; %bb.376:
	s_cmp_eq_u32 s15, 15
	s_mov_b64 s[0:1], -1
	s_cbranch_scc0 .LBB79_378
; %bb.377:
	v_xor_b32_e32 v5, v1, v2
	v_ffbh_i32_e32 v0, v2
	v_ashrrev_i32_e32 v5, 31, v5
	v_add_u32_e32 v0, -1, v0
	v_add_u32_e32 v5, 32, v5
	v_min_u32_e32 v0, v0, v5
	v_lshlrev_b64 v[5:6], v0, v[1:2]
	v_sub_u32_e32 v0, 32, v0
	v_min_u32_e32 v5, 1, v5
	v_or_b32_e32 v5, v6, v5
	v_cvt_f32_i32_e32 v5, v5
	s_movk_i32 s0, 0x7fff
	s_mov_b64 s[8:9], -1
	v_ldexp_f32 v0, v5, v0
	v_bfe_u32 v5, v0, 16, 1
	v_add3_u32 v0, v0, v5, s0
	global_store_short_d16_hi v[3:4], v0, off
	s_mov_b64 s[0:1], 0
.LBB79_378:
	s_mov_b64 s[10:11], 0
.LBB79_379:
	s_and_b64 vcc, exec, s[10:11]
	s_cbranch_vccz .LBB79_382
; %bb.380:
	s_cmp_eq_u32 s15, 11
	s_mov_b64 s[0:1], -1
	s_cbranch_scc0 .LBB79_382
; %bb.381:
	v_cmp_ne_u64_e32 vcc, 0, v[1:2]
	s_mov_b64 s[0:1], 0
	v_cndmask_b32_e64 v0, 0, 1, vcc
	s_mov_b64 s[8:9], -1
	global_store_byte v[3:4], v0, off
.LBB79_382:
	s_mov_b64 s[10:11], 0
.LBB79_383:
	s_and_b64 vcc, exec, s[10:11]
	s_cbranch_vccz .LBB79_422
; %bb.384:
	s_and_b32 s10, 0xffff, s14
	s_cmp_lt_i32 s10, 5
	s_mov_b64 s[8:9], -1
	s_cbranch_scc1 .LBB79_405
; %bb.385:
	s_cmp_lt_i32 s10, 8
	s_cbranch_scc1 .LBB79_395
; %bb.386:
	s_cmp_lt_i32 s10, 9
	s_cbranch_scc1 .LBB79_392
; %bb.387:
	s_cmp_gt_i32 s10, 9
	s_cbranch_scc0 .LBB79_389
; %bb.388:
	v_cvt_f64_i32_e32 v[5:6], v2
	v_cvt_f64_u32_e32 v[7:8], v1
	s_mov_b64 s[8:9], 0
	v_ldexp_f64 v[5:6], v[5:6], 32
	v_add_f64 v[5:6], v[5:6], v[7:8]
	v_mov_b32_e32 v7, 0
	v_mov_b32_e32 v8, v7
	global_store_dwordx4 v[3:4], v[5:8], off
.LBB79_389:
	s_andn2_b64 vcc, exec, s[8:9]
	s_cbranch_vccnz .LBB79_391
; %bb.390:
	v_xor_b32_e32 v5, v1, v2
	v_ffbh_i32_e32 v0, v2
	v_ashrrev_i32_e32 v5, 31, v5
	v_add_u32_e32 v0, -1, v0
	v_add_u32_e32 v5, 32, v5
	v_min_u32_e32 v0, v0, v5
	v_lshlrev_b64 v[5:6], v0, v[1:2]
	v_sub_u32_e32 v0, 32, v0
	v_min_u32_e32 v5, 1, v5
	v_or_b32_e32 v5, v6, v5
	v_cvt_f32_i32_e32 v5, v5
	v_mov_b32_e32 v6, 0
	v_ldexp_f32 v5, v5, v0
	global_store_dwordx2 v[3:4], v[5:6], off
.LBB79_391:
	s_mov_b64 s[8:9], 0
.LBB79_392:
	s_andn2_b64 vcc, exec, s[8:9]
	s_cbranch_vccnz .LBB79_394
; %bb.393:
	v_xor_b32_e32 v5, v1, v2
	v_ffbh_i32_e32 v0, v2
	v_ashrrev_i32_e32 v5, 31, v5
	v_add_u32_e32 v0, -1, v0
	v_add_u32_e32 v5, 32, v5
	v_min_u32_e32 v0, v0, v5
	v_lshlrev_b64 v[5:6], v0, v[1:2]
	v_sub_u32_e32 v0, 32, v0
	v_min_u32_e32 v5, 1, v5
	v_or_b32_e32 v5, v6, v5
	v_cvt_f32_i32_e32 v5, v5
	v_ldexp_f32 v0, v5, v0
	v_cvt_f16_f32_e32 v0, v0
	global_store_dword v[3:4], v0, off
.LBB79_394:
	s_mov_b64 s[8:9], 0
.LBB79_395:
	s_andn2_b64 vcc, exec, s[8:9]
	s_cbranch_vccnz .LBB79_404
; %bb.396:
	s_cmp_lt_i32 s10, 6
	s_mov_b64 s[8:9], -1
	s_cbranch_scc1 .LBB79_402
; %bb.397:
	s_cmp_gt_i32 s10, 6
	s_cbranch_scc0 .LBB79_399
; %bb.398:
	v_cvt_f64_i32_e32 v[5:6], v2
	v_cvt_f64_u32_e32 v[7:8], v1
	s_mov_b64 s[8:9], 0
	v_ldexp_f64 v[5:6], v[5:6], 32
	v_add_f64 v[5:6], v[5:6], v[7:8]
	global_store_dwordx2 v[3:4], v[5:6], off
.LBB79_399:
	s_andn2_b64 vcc, exec, s[8:9]
	s_cbranch_vccnz .LBB79_401
; %bb.400:
	v_xor_b32_e32 v5, v1, v2
	v_ffbh_i32_e32 v0, v2
	v_ashrrev_i32_e32 v5, 31, v5
	v_add_u32_e32 v0, -1, v0
	v_add_u32_e32 v5, 32, v5
	v_min_u32_e32 v0, v0, v5
	v_lshlrev_b64 v[5:6], v0, v[1:2]
	v_sub_u32_e32 v0, 32, v0
	v_min_u32_e32 v5, 1, v5
	v_or_b32_e32 v5, v6, v5
	v_cvt_f32_i32_e32 v5, v5
	v_ldexp_f32 v0, v5, v0
	global_store_dword v[3:4], v0, off
.LBB79_401:
	s_mov_b64 s[8:9], 0
.LBB79_402:
	s_andn2_b64 vcc, exec, s[8:9]
	s_cbranch_vccnz .LBB79_404
; %bb.403:
	v_xor_b32_e32 v5, v1, v2
	v_ffbh_i32_e32 v0, v2
	v_ashrrev_i32_e32 v5, 31, v5
	v_add_u32_e32 v0, -1, v0
	v_add_u32_e32 v5, 32, v5
	v_min_u32_e32 v0, v0, v5
	v_lshlrev_b64 v[5:6], v0, v[1:2]
	v_sub_u32_e32 v0, 32, v0
	v_min_u32_e32 v5, 1, v5
	v_or_b32_e32 v5, v6, v5
	v_cvt_f32_i32_e32 v5, v5
	v_ldexp_f32 v0, v5, v0
	v_cvt_f16_f32_e32 v0, v0
	global_store_short v[3:4], v0, off
.LBB79_404:
	s_mov_b64 s[8:9], 0
.LBB79_405:
	s_andn2_b64 vcc, exec, s[8:9]
	s_cbranch_vccnz .LBB79_421
; %bb.406:
	s_cmp_lt_i32 s10, 2
	s_mov_b64 s[8:9], -1
	s_cbranch_scc1 .LBB79_416
; %bb.407:
	s_cmp_lt_i32 s10, 3
	s_cbranch_scc1 .LBB79_413
; %bb.408:
	s_cmp_gt_i32 s10, 3
	s_cbranch_scc0 .LBB79_410
; %bb.409:
	s_mov_b64 s[8:9], 0
	global_store_dwordx2 v[3:4], v[1:2], off
.LBB79_410:
	s_andn2_b64 vcc, exec, s[8:9]
	s_cbranch_vccnz .LBB79_412
; %bb.411:
	global_store_dword v[3:4], v1, off
.LBB79_412:
	s_mov_b64 s[8:9], 0
.LBB79_413:
	s_andn2_b64 vcc, exec, s[8:9]
	s_cbranch_vccnz .LBB79_415
; %bb.414:
	global_store_short v[3:4], v1, off
.LBB79_415:
	s_mov_b64 s[8:9], 0
.LBB79_416:
	s_andn2_b64 vcc, exec, s[8:9]
	s_cbranch_vccnz .LBB79_421
; %bb.417:
	s_cmp_gt_i32 s10, 0
	s_mov_b64 s[8:9], -1
	s_cbranch_scc0 .LBB79_419
; %bb.418:
	s_mov_b64 s[8:9], 0
	global_store_byte v[3:4], v1, off
.LBB79_419:
	s_andn2_b64 vcc, exec, s[8:9]
	s_cbranch_vccnz .LBB79_421
; %bb.420:
	global_store_byte v[3:4], v1, off
.LBB79_421:
	s_mov_b64 s[8:9], -1
.LBB79_422:
	s_andn2_b64 vcc, exec, s[8:9]
	s_cbranch_vccnz .LBB79_424
; %bb.423:
	v_add_u32_e32 v11, 0x80, v11
	s_mov_b64 s[8:9], -1
	s_branch .LBB79_533
.LBB79_424:
	s_mov_b64 s[8:9], 0
	s_branch .LBB79_532
.LBB79_425:
	s_mov_b64 s[2:3], -1
                                        ; implicit-def: $vgpr3_vgpr4
.LBB79_426:
	s_mov_b64 s[8:9], 0
.LBB79_427:
	s_and_b64 vcc, exec, s[8:9]
	s_cbranch_vccz .LBB79_431
; %bb.428:
	s_cmp_eq_u32 s10, 29
	s_cbranch_scc0 .LBB79_430
; %bb.429:
	global_load_dwordx2 v[3:4], v[1:2], off
	s_mov_b64 s[0:1], -1
	s_mov_b64 s[2:3], 0
	s_branch .LBB79_431
.LBB79_430:
	s_mov_b64 s[2:3], -1
                                        ; implicit-def: $vgpr3_vgpr4
.LBB79_431:
	s_mov_b64 s[8:9], 0
.LBB79_432:
	s_and_b64 vcc, exec, s[8:9]
	s_cbranch_vccz .LBB79_450
; %bb.433:
	s_cmp_lt_i32 s10, 27
	s_cbranch_scc1 .LBB79_436
; %bb.434:
	s_cmp_gt_i32 s10, 27
	s_cbranch_scc0 .LBB79_437
; %bb.435:
	global_load_dword v3, v[1:2], off
	s_waitcnt vmcnt(1)
	v_mov_b32_e32 v4, 0
	s_mov_b64 s[0:1], 0
	s_branch .LBB79_438
.LBB79_436:
	s_mov_b64 s[0:1], -1
                                        ; implicit-def: $vgpr3_vgpr4
	s_branch .LBB79_441
.LBB79_437:
	s_mov_b64 s[0:1], -1
                                        ; implicit-def: $vgpr3_vgpr4
.LBB79_438:
	s_andn2_b64 vcc, exec, s[0:1]
	s_cbranch_vccnz .LBB79_440
; %bb.439:
	global_load_ushort v3, v[1:2], off
	s_mov_b32 s0, 0
	s_waitcnt vmcnt(1)
	v_mov_b32_e32 v4, s0
	s_waitcnt vmcnt(0)
	v_and_b32_e32 v3, 0xffff, v3
.LBB79_440:
	s_mov_b64 s[0:1], 0
.LBB79_441:
	s_andn2_b64 vcc, exec, s[0:1]
	s_cbranch_vccnz .LBB79_449
; %bb.442:
	global_load_ubyte v5, v[1:2], off
	s_movk_i32 s0, 0x7f
	s_mov_b64 s[8:9], 0
	s_waitcnt vmcnt(0)
	v_cmp_lt_i16_e32 vcc, s0, v5
	s_and_saveexec_b64 s[0:1], vcc
	s_xor_b64 s[0:1], exec, s[0:1]
; %bb.443:
	s_movk_i32 s8, 0x80
	v_cmp_ne_u16_e32 vcc, s8, v5
	s_and_b64 s[8:9], vcc, exec
; %bb.444:
	s_andn2_saveexec_b64 s[0:1], s[0:1]
; %bb.445:
	v_cmp_ne_u16_e32 vcc, 0, v5
	s_andn2_b64 s[8:9], s[8:9], exec
	s_and_b64 s[12:13], vcc, exec
	s_or_b64 s[8:9], s[8:9], s[12:13]
; %bb.446:
	s_or_b64 exec, exec, s[0:1]
	v_mov_b32_e32 v3, 0
	v_mov_b32_e32 v4, 0
	s_and_saveexec_b64 s[0:1], s[8:9]
	s_cbranch_execz .LBB79_448
; %bb.447:
	v_and_b32_e32 v4, 0xffff, v5
	v_lshlrev_b32_e32 v3, 24, v5
	v_and_b32_e32 v5, 7, v4
	v_ffbh_u32_e32 v7, v5
	v_min_u32_e32 v7, 32, v7
	v_subrev_u32_e32 v8, 28, v7
	v_bfe_u32 v6, v4, 3, 4
	v_lshlrev_b32_e32 v4, v8, v4
	v_sub_u32_e32 v7, 29, v7
	v_and_b32_e32 v4, 7, v4
	v_cmp_eq_u32_e32 vcc, 0, v6
	v_cndmask_b32_e32 v6, v6, v7, vcc
	v_cndmask_b32_e32 v4, v5, v4, vcc
	v_mov_b32_e32 v5, 0x3b800000
	v_lshlrev_b32_e32 v4, 20, v4
	v_and_b32_e32 v3, 0x80000000, v3
	v_lshl_add_u32 v5, v6, 23, v5
	v_or3_b32 v3, v3, v5, v4
	v_trunc_f32_e32 v3, v3
	s_mov_b32 s8, 0x2f800000
	v_mul_f32_e64 v4, |v3|, s8
	v_floor_f32_e32 v4, v4
	s_mov_b32 s8, 0xcf800000
	v_fma_f32 v5, v4, s8, |v3|
	v_cvt_u32_f32_e32 v5, v5
	v_cvt_u32_f32_e32 v4, v4
	v_ashrrev_i32_e32 v6, 31, v3
	v_xor_b32_e32 v3, v5, v6
	v_xor_b32_e32 v4, v4, v6
	v_sub_co_u32_e32 v3, vcc, v3, v6
	v_subb_co_u32_e32 v4, vcc, v4, v6, vcc
.LBB79_448:
	s_or_b64 exec, exec, s[0:1]
.LBB79_449:
	s_mov_b64 s[0:1], -1
.LBB79_450:
	s_mov_b64 s[8:9], 0
.LBB79_451:
	s_and_b64 vcc, exec, s[8:9]
	s_cbranch_vccz .LBB79_482
; %bb.452:
	s_cmp_gt_i32 s10, 22
	s_cbranch_scc0 .LBB79_462
; %bb.453:
	s_cmp_lt_i32 s10, 24
	s_cbranch_scc1 .LBB79_463
; %bb.454:
	s_cmp_gt_i32 s10, 24
	s_cbranch_scc0 .LBB79_464
; %bb.455:
	global_load_ubyte v5, v[1:2], off
	s_movk_i32 s0, 0x7f
	s_mov_b64 s[8:9], 0
	s_waitcnt vmcnt(0)
	v_cmp_lt_i16_e32 vcc, s0, v5
	s_and_saveexec_b64 s[0:1], vcc
	s_xor_b64 s[0:1], exec, s[0:1]
; %bb.456:
	s_movk_i32 s8, 0x80
	v_cmp_ne_u16_e32 vcc, s8, v5
	s_and_b64 s[8:9], vcc, exec
; %bb.457:
	s_andn2_saveexec_b64 s[0:1], s[0:1]
; %bb.458:
	v_cmp_ne_u16_e32 vcc, 0, v5
	s_andn2_b64 s[8:9], s[8:9], exec
	s_and_b64 s[12:13], vcc, exec
	s_or_b64 s[8:9], s[8:9], s[12:13]
; %bb.459:
	s_or_b64 exec, exec, s[0:1]
	v_mov_b32_e32 v3, 0
	v_mov_b32_e32 v4, 0
	s_and_saveexec_b64 s[0:1], s[8:9]
	s_cbranch_execz .LBB79_461
; %bb.460:
	v_and_b32_e32 v4, 0xffff, v5
	v_lshlrev_b32_e32 v3, 24, v5
	v_and_b32_e32 v5, 3, v4
	v_ffbh_u32_e32 v7, v5
	v_min_u32_e32 v7, 32, v7
	v_subrev_u32_e32 v8, 29, v7
	v_bfe_u32 v6, v4, 2, 5
	v_lshlrev_b32_e32 v4, v8, v4
	v_sub_u32_e32 v7, 30, v7
	v_and_b32_e32 v4, 3, v4
	v_cmp_eq_u32_e32 vcc, 0, v6
	v_cndmask_b32_e32 v6, v6, v7, vcc
	v_cndmask_b32_e32 v4, v5, v4, vcc
	v_mov_b32_e32 v5, 0x37800000
	v_lshlrev_b32_e32 v4, 21, v4
	v_and_b32_e32 v3, 0x80000000, v3
	v_lshl_add_u32 v5, v6, 23, v5
	v_or3_b32 v3, v3, v5, v4
	v_trunc_f32_e32 v3, v3
	s_mov_b32 s8, 0x2f800000
	v_mul_f32_e64 v4, |v3|, s8
	v_floor_f32_e32 v4, v4
	s_mov_b32 s8, 0xcf800000
	v_fma_f32 v5, v4, s8, |v3|
	v_cvt_u32_f32_e32 v5, v5
	v_cvt_u32_f32_e32 v4, v4
	v_ashrrev_i32_e32 v6, 31, v3
	v_xor_b32_e32 v3, v5, v6
	v_xor_b32_e32 v4, v4, v6
	v_sub_co_u32_e32 v3, vcc, v3, v6
	v_subb_co_u32_e32 v4, vcc, v4, v6, vcc
.LBB79_461:
	s_or_b64 exec, exec, s[0:1]
	s_mov_b64 s[0:1], 0
	s_branch .LBB79_465
.LBB79_462:
	s_mov_b64 s[8:9], -1
                                        ; implicit-def: $vgpr3_vgpr4
	s_branch .LBB79_471
.LBB79_463:
	s_mov_b64 s[0:1], -1
                                        ; implicit-def: $vgpr3_vgpr4
	s_branch .LBB79_468
.LBB79_464:
	s_mov_b64 s[0:1], -1
                                        ; implicit-def: $vgpr3_vgpr4
.LBB79_465:
	s_and_b64 vcc, exec, s[0:1]
	s_cbranch_vccz .LBB79_467
; %bb.466:
	global_load_ubyte v3, v[1:2], off
	s_mov_b32 s0, 0x7f800000
	s_brev_b32 s1, 1
	s_mov_b32 s8, 0x2f800000
	s_mov_b32 s9, 0xcf800000
	s_waitcnt vmcnt(0)
	v_lshlrev_b32_e32 v3, 24, v3
	v_and_b32_e32 v4, 0x7f000000, v3
	v_ffbh_u32_e32 v5, v4
	v_min_u32_e32 v5, 32, v5
	v_sub_u32_e64 v5, v5, 4 clamp
	v_lshlrev_b32_e32 v7, v5, v4
	v_lshlrev_b32_e32 v5, 23, v5
	v_lshrrev_b32_e32 v7, 4, v7
	v_add_u32_e32 v6, 0x1000000, v4
	v_sub_u32_e32 v5, v7, v5
	v_ashrrev_i32_e32 v6, 8, v6
	v_add_u32_e32 v5, 0x3c000000, v5
	v_and_or_b32 v5, v6, s0, v5
	v_cmp_ne_u32_e32 vcc, 0, v4
	v_cndmask_b32_e32 v4, 0, v5, vcc
	v_and_or_b32 v3, v3, s1, v4
	v_trunc_f32_e32 v3, v3
	v_mul_f32_e64 v4, |v3|, s8
	v_floor_f32_e32 v4, v4
	v_fma_f32 v5, v4, s9, |v3|
	v_cvt_u32_f32_e32 v5, v5
	v_cvt_u32_f32_e32 v4, v4
	v_ashrrev_i32_e32 v6, 31, v3
	v_xor_b32_e32 v3, v5, v6
	v_xor_b32_e32 v4, v4, v6
	v_sub_co_u32_e32 v3, vcc, v3, v6
	v_subb_co_u32_e32 v4, vcc, v4, v6, vcc
.LBB79_467:
	s_mov_b64 s[0:1], 0
.LBB79_468:
	s_andn2_b64 vcc, exec, s[0:1]
	s_cbranch_vccnz .LBB79_470
; %bb.469:
	global_load_ubyte v3, v[1:2], off
	s_movk_i32 s0, 0x7f00
	s_brev_b32 s1, 16
	s_brev_b32 s8, 1
	s_mov_b32 s9, 0x2f800000
	s_mov_b32 s11, 0xcf800000
	s_waitcnt vmcnt(0)
	v_lshlrev_b16_e32 v4, 8, v3
	v_lshlrev_b32_e32 v3, 25, v3
	v_lshrrev_b32_e32 v5, 4, v3
	v_and_or_b32 v6, v4, s0, 0.5
	v_or_b32_e32 v5, 0x70000000, v5
	v_add_f32_e32 v6, -0.5, v6
	v_mul_f32_e32 v5, 0x7800000, v5
	v_cmp_gt_u32_e32 vcc, s1, v3
	v_bfe_i32 v4, v4, 0, 16
	v_cndmask_b32_e32 v3, v5, v6, vcc
	v_and_or_b32 v3, v4, s8, v3
	v_trunc_f32_e32 v3, v3
	v_mul_f32_e64 v4, |v3|, s9
	v_floor_f32_e32 v4, v4
	v_fma_f32 v5, v4, s11, |v3|
	v_cvt_u32_f32_e32 v5, v5
	v_cvt_u32_f32_e32 v4, v4
	v_ashrrev_i32_e32 v6, 31, v3
	v_xor_b32_e32 v3, v5, v6
	v_xor_b32_e32 v4, v4, v6
	v_sub_co_u32_e32 v3, vcc, v3, v6
	v_subb_co_u32_e32 v4, vcc, v4, v6, vcc
.LBB79_470:
	s_mov_b64 s[8:9], 0
	s_mov_b64 s[0:1], -1
.LBB79_471:
	s_andn2_b64 vcc, exec, s[8:9]
	s_cbranch_vccnz .LBB79_482
; %bb.472:
	s_cmp_gt_i32 s10, 14
	s_cbranch_scc0 .LBB79_475
; %bb.473:
	s_cmp_eq_u32 s10, 15
	s_cbranch_scc0 .LBB79_476
; %bb.474:
	global_load_ushort v3, v[1:2], off
	s_mov_b32 s0, 0x2f800000
	s_mov_b32 s1, 0xcf800000
	s_mov_b64 s[2:3], 0
	s_waitcnt vmcnt(0)
	v_lshlrev_b32_e32 v3, 16, v3
	v_trunc_f32_e32 v3, v3
	v_mul_f32_e64 v4, |v3|, s0
	v_floor_f32_e32 v4, v4
	v_fma_f32 v5, v4, s1, |v3|
	v_cvt_u32_f32_e32 v5, v5
	v_cvt_u32_f32_e32 v4, v4
	v_ashrrev_i32_e32 v6, 31, v3
	s_mov_b64 s[0:1], -1
	v_xor_b32_e32 v3, v5, v6
	v_xor_b32_e32 v4, v4, v6
	v_sub_co_u32_e32 v3, vcc, v3, v6
	v_subb_co_u32_e32 v4, vcc, v4, v6, vcc
	s_branch .LBB79_477
.LBB79_475:
	s_mov_b64 s[8:9], -1
                                        ; implicit-def: $vgpr3_vgpr4
	s_branch .LBB79_478
.LBB79_476:
	s_mov_b64 s[2:3], -1
                                        ; implicit-def: $vgpr3_vgpr4
.LBB79_477:
	s_mov_b64 s[8:9], 0
.LBB79_478:
	s_and_b64 vcc, exec, s[8:9]
	s_cbranch_vccz .LBB79_482
; %bb.479:
	s_cmp_eq_u32 s10, 11
	s_cbranch_scc0 .LBB79_481
; %bb.480:
	global_load_ubyte v3, v[1:2], off
	s_mov_b32 s2, 0
	s_mov_b64 s[0:1], -1
	s_waitcnt vmcnt(1)
	v_mov_b32_e32 v4, s2
	s_mov_b64 s[2:3], 0
	s_waitcnt vmcnt(0)
	v_cmp_ne_u16_e32 vcc, 0, v3
	v_cndmask_b32_e64 v3, 0, 1, vcc
	s_branch .LBB79_482
.LBB79_481:
	s_mov_b64 s[2:3], -1
                                        ; implicit-def: $vgpr3_vgpr4
.LBB79_482:
	s_branch .LBB79_289
.LBB79_483:
	s_cmp_lt_i32 s10, 5
	s_cbranch_scc1 .LBB79_488
; %bb.484:
	s_cmp_lt_i32 s10, 8
	s_cbranch_scc1 .LBB79_489
; %bb.485:
	;; [unrolled: 3-line block ×3, first 2 shown]
	s_cmp_gt_i32 s10, 9
	s_cbranch_scc0 .LBB79_491
; %bb.487:
	global_load_dwordx2 v[3:4], v[1:2], off
	s_movk_i32 s0, 0xffe0
	s_waitcnt vmcnt(0)
	v_trunc_f64_e32 v[3:4], v[3:4]
	v_ldexp_f64 v[5:6], v[3:4], s0
	s_mov_b32 s0, 0
	s_mov_b32 s1, 0xc1f00000
	v_floor_f64_e32 v[5:6], v[5:6]
	v_fma_f64 v[7:8], v[5:6], s[0:1], v[3:4]
	v_cvt_i32_f64_e32 v4, v[5:6]
	s_mov_b64 s[0:1], 0
	v_cvt_u32_f64_e32 v3, v[7:8]
	s_branch .LBB79_492
.LBB79_488:
	s_mov_b64 s[0:1], -1
                                        ; implicit-def: $vgpr3_vgpr4
	s_branch .LBB79_510
.LBB79_489:
	s_mov_b64 s[0:1], -1
                                        ; implicit-def: $vgpr3_vgpr4
	s_branch .LBB79_498
.LBB79_490:
	s_mov_b64 s[0:1], -1
                                        ; implicit-def: $vgpr3_vgpr4
	s_branch .LBB79_495
.LBB79_491:
	s_mov_b64 s[0:1], -1
                                        ; implicit-def: $vgpr3_vgpr4
.LBB79_492:
	s_andn2_b64 vcc, exec, s[0:1]
	s_cbranch_vccnz .LBB79_494
; %bb.493:
	global_load_dword v3, v[1:2], off
	s_mov_b32 s0, 0x2f800000
	s_mov_b32 s1, 0xcf800000
	s_waitcnt vmcnt(0)
	v_trunc_f32_e32 v3, v3
	v_mul_f32_e64 v4, |v3|, s0
	v_floor_f32_e32 v4, v4
	v_cvt_u32_f32_e32 v5, v4
	v_fma_f32 v4, v4, s1, |v3|
	v_cvt_u32_f32_e32 v4, v4
	v_ashrrev_i32_e32 v6, 31, v3
	v_xor_b32_e32 v5, v5, v6
	v_xor_b32_e32 v3, v4, v6
	v_sub_co_u32_e32 v3, vcc, v3, v6
	v_subb_co_u32_e32 v4, vcc, v5, v6, vcc
.LBB79_494:
	s_mov_b64 s[0:1], 0
.LBB79_495:
	s_andn2_b64 vcc, exec, s[0:1]
	s_cbranch_vccnz .LBB79_497
; %bb.496:
	global_load_dword v3, v[1:2], off
	s_waitcnt vmcnt(0)
	v_cvt_f32_f16_e32 v3, v3
	v_cvt_i32_f32_e32 v3, v3
	v_ashrrev_i32_e32 v4, 31, v3
.LBB79_497:
	s_mov_b64 s[0:1], 0
.LBB79_498:
	s_andn2_b64 vcc, exec, s[0:1]
	s_cbranch_vccnz .LBB79_509
; %bb.499:
	s_cmp_lt_i32 s10, 6
	s_cbranch_scc1 .LBB79_502
; %bb.500:
	s_cmp_gt_i32 s10, 6
	s_cbranch_scc0 .LBB79_503
; %bb.501:
	global_load_dwordx2 v[3:4], v[1:2], off
	s_movk_i32 s0, 0xffe0
	s_waitcnt vmcnt(0)
	v_trunc_f64_e32 v[3:4], v[3:4]
	v_ldexp_f64 v[5:6], v[3:4], s0
	s_mov_b32 s0, 0
	s_mov_b32 s1, 0xc1f00000
	v_floor_f64_e32 v[5:6], v[5:6]
	v_fma_f64 v[7:8], v[5:6], s[0:1], v[3:4]
	v_cvt_i32_f64_e32 v4, v[5:6]
	s_mov_b64 s[0:1], 0
	v_cvt_u32_f64_e32 v3, v[7:8]
	s_branch .LBB79_504
.LBB79_502:
	s_mov_b64 s[0:1], -1
                                        ; implicit-def: $vgpr3_vgpr4
	s_branch .LBB79_507
.LBB79_503:
	s_mov_b64 s[0:1], -1
                                        ; implicit-def: $vgpr3_vgpr4
.LBB79_504:
	s_andn2_b64 vcc, exec, s[0:1]
	s_cbranch_vccnz .LBB79_506
; %bb.505:
	global_load_dword v3, v[1:2], off
	s_mov_b32 s0, 0x2f800000
	s_mov_b32 s1, 0xcf800000
	s_waitcnt vmcnt(0)
	v_trunc_f32_e32 v3, v3
	v_mul_f32_e64 v4, |v3|, s0
	v_floor_f32_e32 v4, v4
	v_cvt_u32_f32_e32 v5, v4
	v_fma_f32 v4, v4, s1, |v3|
	v_cvt_u32_f32_e32 v4, v4
	v_ashrrev_i32_e32 v6, 31, v3
	v_xor_b32_e32 v5, v5, v6
	v_xor_b32_e32 v3, v4, v6
	v_sub_co_u32_e32 v3, vcc, v3, v6
	v_subb_co_u32_e32 v4, vcc, v5, v6, vcc
.LBB79_506:
	s_mov_b64 s[0:1], 0
.LBB79_507:
	s_andn2_b64 vcc, exec, s[0:1]
	s_cbranch_vccnz .LBB79_509
; %bb.508:
	global_load_ushort v3, v[1:2], off
	s_waitcnt vmcnt(0)
	v_cvt_f32_f16_e32 v3, v3
	v_cvt_i32_f32_e32 v3, v3
	v_ashrrev_i32_e32 v4, 31, v3
.LBB79_509:
	s_mov_b64 s[0:1], 0
.LBB79_510:
	s_andn2_b64 vcc, exec, s[0:1]
	s_cbranch_vccnz .LBB79_530
; %bb.511:
	s_cmp_lt_i32 s10, 2
	s_cbranch_scc1 .LBB79_515
; %bb.512:
	s_cmp_lt_i32 s10, 3
	s_cbranch_scc1 .LBB79_516
; %bb.513:
	s_cmp_gt_i32 s10, 3
	s_cbranch_scc0 .LBB79_517
; %bb.514:
	global_load_dwordx2 v[3:4], v[1:2], off
	s_mov_b64 s[0:1], 0
	s_branch .LBB79_518
.LBB79_515:
	s_mov_b64 s[0:1], -1
                                        ; implicit-def: $vgpr3_vgpr4
	s_branch .LBB79_524
.LBB79_516:
	s_mov_b64 s[0:1], -1
                                        ; implicit-def: $vgpr3_vgpr4
	s_branch .LBB79_521
.LBB79_517:
	s_mov_b64 s[0:1], -1
                                        ; implicit-def: $vgpr3_vgpr4
.LBB79_518:
	s_andn2_b64 vcc, exec, s[0:1]
	s_cbranch_vccnz .LBB79_520
; %bb.519:
	global_load_dword v3, v[1:2], off
	s_waitcnt vmcnt(0)
	v_ashrrev_i32_e32 v4, 31, v3
.LBB79_520:
	s_mov_b64 s[0:1], 0
.LBB79_521:
	s_andn2_b64 vcc, exec, s[0:1]
	s_cbranch_vccnz .LBB79_523
; %bb.522:
	global_load_ushort v3, v[1:2], off
	s_waitcnt vmcnt(0)
	v_bfe_i32 v3, v3, 0, 16
	v_ashrrev_i32_e32 v4, 31, v3
.LBB79_523:
	s_mov_b64 s[0:1], 0
.LBB79_524:
	s_andn2_b64 vcc, exec, s[0:1]
	s_cbranch_vccnz .LBB79_530
; %bb.525:
	s_cmp_gt_i32 s10, 0
	s_cbranch_scc0 .LBB79_527
; %bb.526:
	global_load_sbyte v3, v[1:2], off
	s_mov_b64 s[0:1], 0
	s_waitcnt vmcnt(0)
	v_bfe_i32 v3, v3, 0, 16
	v_ashrrev_i32_e32 v4, 31, v3
	s_branch .LBB79_528
.LBB79_527:
	s_mov_b64 s[0:1], -1
                                        ; implicit-def: $vgpr3_vgpr4
.LBB79_528:
	s_andn2_b64 vcc, exec, s[0:1]
	s_cbranch_vccnz .LBB79_530
; %bb.529:
	global_load_ubyte v1, v[1:2], off
	s_mov_b32 s0, 0
	s_waitcnt vmcnt(1)
	v_mov_b32_e32 v4, s0
	s_waitcnt vmcnt(0)
	v_and_b32_e32 v3, 0xffff, v1
.LBB79_530:
	s_branch .LBB79_290
.LBB79_531:
	s_mov_b64 s[8:9], 0
	s_mov_b64 s[0:1], s[54:55]
.LBB79_532:
                                        ; implicit-def: $vgpr11
.LBB79_533:
	s_andn2_b64 s[10:11], s[54:55], exec
	s_and_b64 s[0:1], s[0:1], exec
	s_or_b64 s[62:63], s[10:11], s[0:1]
	s_andn2_b64 s[0:1], s[56:57], exec
	s_and_b64 s[2:3], s[2:3], exec
	s_or_b64 s[60:61], s[0:1], s[2:3]
	s_orn2_b64 s[0:1], s[8:9], exec
.LBB79_534:
	s_or_b64 exec, exec, s[64:65]
	s_mov_b64 s[2:3], 0
	s_mov_b64 s[8:9], 0
	;; [unrolled: 1-line block ×3, first 2 shown]
                                        ; implicit-def: $vgpr1_vgpr2
                                        ; implicit-def: $vgpr0
                                        ; implicit-def: $vgpr5_vgpr6
	s_and_saveexec_b64 s[64:65], s[0:1]
	s_cbranch_execz .LBB79_901
; %bb.535:
	v_cmp_gt_i32_e32 vcc, s72, v11
	s_mov_b64 s[2:3], -1
	s_mov_b64 s[68:69], s[60:61]
	s_mov_b64 s[70:71], s[62:63]
	s_and_saveexec_b64 s[66:67], vcc
	s_cbranch_execz .LBB79_805
; %bb.536:
	s_andn2_b64 vcc, exec, s[40:41]
	s_cbranch_vccnz .LBB79_541
; %bb.537:
	s_andn2_b64 vcc, exec, s[52:53]
	s_cbranch_vccnz .LBB79_542
; %bb.538:
	s_add_i32 s78, s77, 1
	s_cmp_eq_u32 s74, 2
	s_cbranch_scc1 .LBB79_543
; %bb.539:
	s_and_b32 s73, s78, 28
	v_mov_b32_e32 v2, 0
	s_mov_b32 s79, 0
	s_mov_b64 s[68:69], s[34:35]
	s_mov_b64 s[70:71], s[50:51]
	v_mov_b32_e32 v0, 0
	v_mov_b32_e32 v1, v11
.LBB79_540:                             ; =>This Inner Loop Header: Depth=1
	s_load_dwordx8 s[16:23], s[68:69], 0x4
	s_load_dwordx4 s[0:3], s[68:69], 0x24
	s_load_dwordx8 s[8:15], s[70:71], 0x0
	s_add_u32 s68, s68, 48
	s_addc_u32 s69, s69, 0
	s_waitcnt vmcnt(0) lgkmcnt(0)
	v_mul_hi_u32 v3, s17, v1
	s_add_i32 s79, s79, 4
	s_add_u32 s70, s70, 32
	s_addc_u32 s71, s71, 0
	v_add_u32_e32 v3, v1, v3
	v_lshrrev_b32_e32 v3, s18, v3
	v_mul_lo_u32 v4, v3, s16
	v_mul_hi_u32 v5, s20, v3
	s_cmp_eq_u32 s73, s79
	v_sub_u32_e32 v1, v1, v4
	v_add_u32_e32 v4, v3, v5
	v_mul_lo_u32 v5, v1, s8
	v_mul_lo_u32 v6, v1, s9
	v_lshrrev_b32_e32 v1, s21, v4
	v_mul_lo_u32 v4, v1, s19
	v_mul_hi_u32 v7, s23, v1
	v_sub_u32_e32 v3, v3, v4
	v_add_u32_e32 v4, v1, v7
	v_lshrrev_b32_e32 v4, s0, v4
	v_mul_hi_u32 v8, s2, v4
	v_mul_lo_u32 v9, v4, s22
	v_mul_lo_u32 v7, v3, s10
	;; [unrolled: 1-line block ×3, first 2 shown]
	v_sub_u32_e32 v9, v1, v9
	v_add_u32_e32 v1, v4, v8
	v_lshrrev_b32_e32 v1, s3, v1
	v_mul_lo_u32 v8, v1, s1
	v_mul_lo_u32 v10, v9, s12
	;; [unrolled: 1-line block ×3, first 2 shown]
	v_add3_u32 v0, v5, v0, v7
	v_sub_u32_e32 v4, v4, v8
	v_mul_lo_u32 v8, v4, s14
	v_mul_lo_u32 v4, v4, s15
	v_add3_u32 v2, v6, v2, v3
	v_add3_u32 v0, v10, v0, v8
	;; [unrolled: 1-line block ×3, first 2 shown]
	s_cbranch_scc0 .LBB79_540
	s_branch .LBB79_544
.LBB79_541:
	s_mov_b64 s[0:1], -1
                                        ; implicit-def: $vgpr0
                                        ; implicit-def: $vgpr2
	s_branch .LBB79_548
.LBB79_542:
	v_mov_b32_e32 v0, 0
	v_mov_b32_e32 v2, 0
	s_branch .LBB79_547
.LBB79_543:
	s_mov_b32 s73, 0
	v_mov_b32_e32 v0, 0
	v_mov_b32_e32 v2, 0
	;; [unrolled: 1-line block ×3, first 2 shown]
.LBB79_544:
	s_and_b32 s8, s78, 3
	s_cmp_eq_u32 s8, 0
	s_cbranch_scc1 .LBB79_547
; %bb.545:
	s_lshl_b32 s0, s73, 3
	s_add_u32 s0, s34, s0
	s_addc_u32 s1, s35, 0
	s_add_u32 s0, s0, 0xc4
	s_addc_u32 s1, s1, 0
	s_mul_i32 s2, s73, 12
	s_add_u32 s2, s34, s2
	s_addc_u32 s3, s35, 0
.LBB79_546:                             ; =>This Inner Loop Header: Depth=1
	s_load_dwordx2 s[10:11], s[2:3], 0x4
	s_load_dword s9, s[2:3], 0xc
	s_load_dwordx2 s[12:13], s[0:1], 0x0
	s_add_u32 s2, s2, 12
	s_addc_u32 s3, s3, 0
	s_waitcnt vmcnt(0) lgkmcnt(0)
	v_mul_hi_u32 v3, s11, v1
	s_add_u32 s0, s0, 8
	s_addc_u32 s1, s1, 0
	s_add_i32 s8, s8, -1
	v_add_u32_e32 v3, v1, v3
	v_lshrrev_b32_e32 v4, s9, v3
	v_mul_lo_u32 v3, v4, s10
	s_cmp_lg_u32 s8, 0
	v_sub_u32_e32 v3, v1, v3
	v_mad_u64_u32 v[0:1], s[10:11], v3, s12, v[0:1]
	v_mad_u64_u32 v[2:3], s[10:11], v3, s13, v[2:3]
	v_mov_b32_e32 v1, v4
	s_cbranch_scc1 .LBB79_546
.LBB79_547:
	s_mov_b64 s[0:1], 0
.LBB79_548:
	s_andn2_b64 vcc, exec, s[0:1]
	s_cbranch_vccnz .LBB79_551
; %bb.549:
	v_mul_hi_u32 v0, s29, v11
	s_andn2_b64 vcc, exec, s[48:49]
	v_add_u32_e32 v0, v11, v0
	v_lshrrev_b32_e32 v1, s30, v0
	v_mul_lo_u32 v0, v1, s28
	v_sub_u32_e32 v2, v11, v0
	v_mul_lo_u32 v0, v2, s36
	v_mul_lo_u32 v2, v2, s37
	s_cbranch_vccnz .LBB79_551
; %bb.550:
	s_waitcnt vmcnt(0)
	v_mul_hi_u32 v3, s46, v1
	v_add_u32_e32 v3, v1, v3
	v_lshrrev_b32_e32 v3, s47, v3
	v_mul_lo_u32 v3, v3, s31
	v_sub_u32_e32 v3, v1, v3
	v_mad_u64_u32 v[0:1], s[0:1], v3, s38, v[0:1]
	v_mad_u64_u32 v[2:3], s[0:1], v3, s39, v[2:3]
.LBB79_551:
	s_waitcnt vmcnt(0)
	v_mov_b32_e32 v3, s27
	s_and_b32 s10, 0xffff, s76
	v_add_co_u32_e32 v1, vcc, s26, v2
	s_cmp_lt_i32 s10, 11
	v_addc_co_u32_e32 v2, vcc, 0, v3, vcc
	s_cbranch_scc1 .LBB79_558
; %bb.552:
	s_cmp_gt_i32 s10, 25
	s_cbranch_scc0 .LBB79_559
; %bb.553:
	s_cmp_gt_i32 s10, 28
	s_cbranch_scc0 .LBB79_560
	;; [unrolled: 3-line block ×4, first 2 shown]
; %bb.556:
	s_cmp_eq_u32 s10, 46
	s_mov_b64 s[8:9], 0
	s_cbranch_scc0 .LBB79_567
; %bb.557:
	global_load_dword v3, v[1:2], off
	s_mov_b32 s0, 0x2f800000
	s_mov_b32 s1, 0xcf800000
	s_mov_b64 s[2:3], 0
	s_waitcnt vmcnt(0)
	v_lshlrev_b32_e32 v3, 16, v3
	v_trunc_f32_e32 v3, v3
	v_mul_f32_e64 v4, |v3|, s0
	v_floor_f32_e32 v4, v4
	v_fma_f32 v5, v4, s1, |v3|
	v_cvt_u32_f32_e32 v5, v5
	v_cvt_u32_f32_e32 v4, v4
	v_ashrrev_i32_e32 v6, 31, v3
	s_mov_b64 s[0:1], -1
	v_xor_b32_e32 v3, v5, v6
	v_xor_b32_e32 v4, v4, v6
	v_sub_co_u32_e32 v3, vcc, v3, v6
	v_subb_co_u32_e32 v4, vcc, v4, v6, vcc
	s_branch .LBB79_568
.LBB79_558:
	s_mov_b64 s[8:9], -1
	s_mov_b64 s[0:1], 0
                                        ; implicit-def: $vgpr3_vgpr4
	s_mov_b64 s[2:3], s[60:61]
	s_branch .LBB79_629
.LBB79_559:
	s_mov_b64 s[8:9], -1
	s_mov_b64 s[0:1], 0
	s_mov_b64 s[2:3], s[60:61]
                                        ; implicit-def: $vgpr3_vgpr4
	s_branch .LBB79_597
.LBB79_560:
	s_mov_b64 s[8:9], -1
	s_mov_b64 s[0:1], 0
	s_mov_b64 s[2:3], s[60:61]
                                        ; implicit-def: $vgpr3_vgpr4
	s_branch .LBB79_578
.LBB79_561:
	s_mov_b64 s[8:9], -1
	s_mov_b64 s[0:1], 0
	s_mov_b64 s[2:3], s[60:61]
                                        ; implicit-def: $vgpr3_vgpr4
	s_branch .LBB79_573
.LBB79_562:
	s_andn2_saveexec_b64 s[12:13], s[12:13]
	s_cbranch_execz .LBB79_335
.LBB79_563:
	s_mov_b32 s16, 0x46000000
	v_add_f32_e64 v5, |v0|, s16
	v_and_b32_e32 v5, 0xff, v5
	v_cmp_ne_u32_e32 vcc, 0, v5
	s_andn2_b64 s[10:11], s[10:11], exec
	s_and_b64 s[16:17], vcc, exec
	s_or_b64 s[10:11], s[10:11], s[16:17]
	s_or_b64 exec, exec, s[12:13]
	v_mov_b32_e32 v6, 0
	s_and_saveexec_b64 s[12:13], s[10:11]
	s_cbranch_execnz .LBB79_336
	s_branch .LBB79_337
.LBB79_564:
	s_mov_b64 s[8:9], -1
	s_mov_b64 s[0:1], 0
	s_mov_b64 s[2:3], s[60:61]
                                        ; implicit-def: $vgpr3_vgpr4
	s_branch .LBB79_568
.LBB79_565:
	s_andn2_saveexec_b64 s[12:13], s[12:13]
	s_cbranch_execz .LBB79_348
.LBB79_566:
	s_mov_b32 s16, 0x42800000
	v_add_f32_e64 v5, |v0|, s16
	v_and_b32_e32 v5, 0xff, v5
	v_cmp_ne_u32_e32 vcc, 0, v5
	s_andn2_b64 s[10:11], s[10:11], exec
	s_and_b64 s[16:17], vcc, exec
	s_or_b64 s[10:11], s[10:11], s[16:17]
	s_or_b64 exec, exec, s[12:13]
	v_mov_b32_e32 v6, 0
	s_and_saveexec_b64 s[12:13], s[10:11]
	s_cbranch_execnz .LBB79_349
	s_branch .LBB79_350
.LBB79_567:
	s_mov_b64 s[2:3], -1
                                        ; implicit-def: $vgpr3_vgpr4
	s_mov_b64 s[0:1], 0
.LBB79_568:
	s_and_b64 vcc, exec, s[8:9]
	s_cbranch_vccz .LBB79_572
; %bb.569:
	s_cmp_eq_u32 s10, 44
	s_cbranch_scc0 .LBB79_571
; %bb.570:
	global_load_ubyte v3, v[1:2], off
	s_mov_b32 s0, 0x2f800000
	s_mov_b32 s1, 0xcf800000
	s_mov_b64 s[2:3], 0
	s_waitcnt vmcnt(0)
	v_lshlrev_b32_e32 v4, 23, v3
	v_trunc_f32_e32 v4, v4
	v_mul_f32_e64 v5, |v4|, s0
	v_floor_f32_e32 v5, v5
	v_fma_f32 v6, v5, s1, |v4|
	v_cvt_u32_f32_e32 v6, v6
	v_cvt_u32_f32_e32 v5, v5
	v_ashrrev_i32_e32 v4, 31, v4
	s_mov_b64 s[0:1], -1
	v_xor_b32_e32 v6, v6, v4
	v_xor_b32_e32 v5, v5, v4
	v_sub_co_u32_e32 v6, vcc, v6, v4
	v_subb_co_u32_e32 v4, vcc, v5, v4, vcc
	v_cmp_ne_u32_e32 vcc, 0, v3
	v_cndmask_b32_e32 v4, 0, v4, vcc
	v_cndmask_b32_e32 v3, 0, v6, vcc
	s_branch .LBB79_572
.LBB79_571:
	s_mov_b64 s[2:3], -1
                                        ; implicit-def: $vgpr3_vgpr4
.LBB79_572:
	s_mov_b64 s[8:9], 0
.LBB79_573:
	s_and_b64 vcc, exec, s[8:9]
	s_cbranch_vccz .LBB79_577
; %bb.574:
	s_cmp_eq_u32 s10, 29
	s_cbranch_scc0 .LBB79_576
; %bb.575:
	global_load_dwordx2 v[3:4], v[1:2], off
	s_mov_b64 s[0:1], -1
	s_mov_b64 s[2:3], 0
	s_branch .LBB79_577
.LBB79_576:
	s_mov_b64 s[2:3], -1
                                        ; implicit-def: $vgpr3_vgpr4
.LBB79_577:
	s_mov_b64 s[8:9], 0
.LBB79_578:
	s_and_b64 vcc, exec, s[8:9]
	s_cbranch_vccz .LBB79_596
; %bb.579:
	s_cmp_lt_i32 s10, 27
	s_cbranch_scc1 .LBB79_582
; %bb.580:
	s_cmp_gt_i32 s10, 27
	s_cbranch_scc0 .LBB79_583
; %bb.581:
	global_load_dword v3, v[1:2], off
	s_waitcnt vmcnt(1)
	v_mov_b32_e32 v4, 0
	s_mov_b64 s[0:1], 0
	s_branch .LBB79_584
.LBB79_582:
	s_mov_b64 s[0:1], -1
                                        ; implicit-def: $vgpr3_vgpr4
	s_branch .LBB79_587
.LBB79_583:
	s_mov_b64 s[0:1], -1
                                        ; implicit-def: $vgpr3_vgpr4
.LBB79_584:
	s_andn2_b64 vcc, exec, s[0:1]
	s_cbranch_vccnz .LBB79_586
; %bb.585:
	global_load_ushort v3, v[1:2], off
	s_mov_b32 s0, 0
	s_waitcnt vmcnt(1)
	v_mov_b32_e32 v4, s0
	s_waitcnt vmcnt(0)
	v_and_b32_e32 v3, 0xffff, v3
.LBB79_586:
	s_mov_b64 s[0:1], 0
.LBB79_587:
	s_andn2_b64 vcc, exec, s[0:1]
	s_cbranch_vccnz .LBB79_595
; %bb.588:
	global_load_ubyte v5, v[1:2], off
	s_movk_i32 s0, 0x7f
	s_mov_b64 s[8:9], 0
	s_waitcnt vmcnt(0)
	v_cmp_lt_i16_e32 vcc, s0, v5
	s_and_saveexec_b64 s[0:1], vcc
	s_xor_b64 s[0:1], exec, s[0:1]
; %bb.589:
	s_movk_i32 s8, 0x80
	v_cmp_ne_u16_e32 vcc, s8, v5
	s_and_b64 s[8:9], vcc, exec
; %bb.590:
	s_andn2_saveexec_b64 s[0:1], s[0:1]
; %bb.591:
	v_cmp_ne_u16_e32 vcc, 0, v5
	s_andn2_b64 s[8:9], s[8:9], exec
	s_and_b64 s[12:13], vcc, exec
	s_or_b64 s[8:9], s[8:9], s[12:13]
; %bb.592:
	s_or_b64 exec, exec, s[0:1]
	v_mov_b32_e32 v3, 0
	v_mov_b32_e32 v4, 0
	s_and_saveexec_b64 s[0:1], s[8:9]
	s_cbranch_execz .LBB79_594
; %bb.593:
	v_and_b32_e32 v4, 0xffff, v5
	v_lshlrev_b32_e32 v3, 24, v5
	v_and_b32_e32 v5, 7, v4
	v_ffbh_u32_e32 v7, v5
	v_min_u32_e32 v7, 32, v7
	v_subrev_u32_e32 v8, 28, v7
	v_bfe_u32 v6, v4, 3, 4
	v_lshlrev_b32_e32 v4, v8, v4
	v_sub_u32_e32 v7, 29, v7
	v_and_b32_e32 v4, 7, v4
	v_cmp_eq_u32_e32 vcc, 0, v6
	v_cndmask_b32_e32 v6, v6, v7, vcc
	v_cndmask_b32_e32 v4, v5, v4, vcc
	v_mov_b32_e32 v5, 0x3b800000
	v_lshlrev_b32_e32 v4, 20, v4
	v_and_b32_e32 v3, 0x80000000, v3
	v_lshl_add_u32 v5, v6, 23, v5
	v_or3_b32 v3, v3, v5, v4
	v_trunc_f32_e32 v3, v3
	s_mov_b32 s8, 0x2f800000
	v_mul_f32_e64 v4, |v3|, s8
	v_floor_f32_e32 v4, v4
	s_mov_b32 s8, 0xcf800000
	v_fma_f32 v5, v4, s8, |v3|
	v_cvt_u32_f32_e32 v5, v5
	v_cvt_u32_f32_e32 v4, v4
	v_ashrrev_i32_e32 v6, 31, v3
	v_xor_b32_e32 v3, v5, v6
	v_xor_b32_e32 v4, v4, v6
	v_sub_co_u32_e32 v3, vcc, v3, v6
	v_subb_co_u32_e32 v4, vcc, v4, v6, vcc
.LBB79_594:
	s_or_b64 exec, exec, s[0:1]
.LBB79_595:
	s_mov_b64 s[0:1], -1
.LBB79_596:
	s_mov_b64 s[8:9], 0
.LBB79_597:
	s_and_b64 vcc, exec, s[8:9]
	s_cbranch_vccz .LBB79_628
; %bb.598:
	s_cmp_gt_i32 s10, 22
	s_cbranch_scc0 .LBB79_608
; %bb.599:
	s_cmp_lt_i32 s10, 24
	s_cbranch_scc1 .LBB79_609
; %bb.600:
	s_cmp_gt_i32 s10, 24
	s_cbranch_scc0 .LBB79_610
; %bb.601:
	global_load_ubyte v5, v[1:2], off
	s_movk_i32 s0, 0x7f
	s_mov_b64 s[8:9], 0
	s_waitcnt vmcnt(0)
	v_cmp_lt_i16_e32 vcc, s0, v5
	s_and_saveexec_b64 s[0:1], vcc
	s_xor_b64 s[0:1], exec, s[0:1]
; %bb.602:
	s_movk_i32 s8, 0x80
	v_cmp_ne_u16_e32 vcc, s8, v5
	s_and_b64 s[8:9], vcc, exec
; %bb.603:
	s_andn2_saveexec_b64 s[0:1], s[0:1]
; %bb.604:
	v_cmp_ne_u16_e32 vcc, 0, v5
	s_andn2_b64 s[8:9], s[8:9], exec
	s_and_b64 s[12:13], vcc, exec
	s_or_b64 s[8:9], s[8:9], s[12:13]
; %bb.605:
	s_or_b64 exec, exec, s[0:1]
	v_mov_b32_e32 v3, 0
	v_mov_b32_e32 v4, 0
	s_and_saveexec_b64 s[0:1], s[8:9]
	s_cbranch_execz .LBB79_607
; %bb.606:
	v_and_b32_e32 v4, 0xffff, v5
	v_lshlrev_b32_e32 v3, 24, v5
	v_and_b32_e32 v5, 3, v4
	v_ffbh_u32_e32 v7, v5
	v_min_u32_e32 v7, 32, v7
	v_subrev_u32_e32 v8, 29, v7
	v_bfe_u32 v6, v4, 2, 5
	v_lshlrev_b32_e32 v4, v8, v4
	v_sub_u32_e32 v7, 30, v7
	v_and_b32_e32 v4, 3, v4
	v_cmp_eq_u32_e32 vcc, 0, v6
	v_cndmask_b32_e32 v6, v6, v7, vcc
	v_cndmask_b32_e32 v4, v5, v4, vcc
	v_mov_b32_e32 v5, 0x37800000
	v_lshlrev_b32_e32 v4, 21, v4
	v_and_b32_e32 v3, 0x80000000, v3
	v_lshl_add_u32 v5, v6, 23, v5
	v_or3_b32 v3, v3, v5, v4
	v_trunc_f32_e32 v3, v3
	s_mov_b32 s8, 0x2f800000
	v_mul_f32_e64 v4, |v3|, s8
	v_floor_f32_e32 v4, v4
	s_mov_b32 s8, 0xcf800000
	v_fma_f32 v5, v4, s8, |v3|
	v_cvt_u32_f32_e32 v5, v5
	v_cvt_u32_f32_e32 v4, v4
	v_ashrrev_i32_e32 v6, 31, v3
	v_xor_b32_e32 v3, v5, v6
	v_xor_b32_e32 v4, v4, v6
	v_sub_co_u32_e32 v3, vcc, v3, v6
	v_subb_co_u32_e32 v4, vcc, v4, v6, vcc
.LBB79_607:
	s_or_b64 exec, exec, s[0:1]
	s_mov_b64 s[0:1], 0
	s_branch .LBB79_611
.LBB79_608:
	s_mov_b64 s[8:9], -1
                                        ; implicit-def: $vgpr3_vgpr4
	s_branch .LBB79_617
.LBB79_609:
	s_mov_b64 s[0:1], -1
                                        ; implicit-def: $vgpr3_vgpr4
	s_branch .LBB79_614
.LBB79_610:
	s_mov_b64 s[0:1], -1
                                        ; implicit-def: $vgpr3_vgpr4
.LBB79_611:
	s_and_b64 vcc, exec, s[0:1]
	s_cbranch_vccz .LBB79_613
; %bb.612:
	global_load_ubyte v3, v[1:2], off
	s_mov_b32 s0, 0x7f800000
	s_brev_b32 s1, 1
	s_mov_b32 s8, 0x2f800000
	s_mov_b32 s9, 0xcf800000
	s_waitcnt vmcnt(0)
	v_lshlrev_b32_e32 v3, 24, v3
	v_and_b32_e32 v4, 0x7f000000, v3
	v_ffbh_u32_e32 v5, v4
	v_min_u32_e32 v5, 32, v5
	v_sub_u32_e64 v5, v5, 4 clamp
	v_lshlrev_b32_e32 v7, v5, v4
	v_lshlrev_b32_e32 v5, 23, v5
	v_lshrrev_b32_e32 v7, 4, v7
	v_add_u32_e32 v6, 0x1000000, v4
	v_sub_u32_e32 v5, v7, v5
	v_ashrrev_i32_e32 v6, 8, v6
	v_add_u32_e32 v5, 0x3c000000, v5
	v_and_or_b32 v5, v6, s0, v5
	v_cmp_ne_u32_e32 vcc, 0, v4
	v_cndmask_b32_e32 v4, 0, v5, vcc
	v_and_or_b32 v3, v3, s1, v4
	v_trunc_f32_e32 v3, v3
	v_mul_f32_e64 v4, |v3|, s8
	v_floor_f32_e32 v4, v4
	v_fma_f32 v5, v4, s9, |v3|
	v_cvt_u32_f32_e32 v5, v5
	v_cvt_u32_f32_e32 v4, v4
	v_ashrrev_i32_e32 v6, 31, v3
	v_xor_b32_e32 v3, v5, v6
	v_xor_b32_e32 v4, v4, v6
	v_sub_co_u32_e32 v3, vcc, v3, v6
	v_subb_co_u32_e32 v4, vcc, v4, v6, vcc
.LBB79_613:
	s_mov_b64 s[0:1], 0
.LBB79_614:
	s_andn2_b64 vcc, exec, s[0:1]
	s_cbranch_vccnz .LBB79_616
; %bb.615:
	global_load_ubyte v3, v[1:2], off
	s_movk_i32 s0, 0x7f00
	s_brev_b32 s1, 16
	s_brev_b32 s8, 1
	s_mov_b32 s9, 0x2f800000
	s_mov_b32 s11, 0xcf800000
	s_waitcnt vmcnt(0)
	v_lshlrev_b16_e32 v4, 8, v3
	v_lshlrev_b32_e32 v3, 25, v3
	v_lshrrev_b32_e32 v5, 4, v3
	v_and_or_b32 v6, v4, s0, 0.5
	v_or_b32_e32 v5, 0x70000000, v5
	v_add_f32_e32 v6, -0.5, v6
	v_mul_f32_e32 v5, 0x7800000, v5
	v_cmp_gt_u32_e32 vcc, s1, v3
	v_bfe_i32 v4, v4, 0, 16
	v_cndmask_b32_e32 v3, v5, v6, vcc
	v_and_or_b32 v3, v4, s8, v3
	v_trunc_f32_e32 v3, v3
	v_mul_f32_e64 v4, |v3|, s9
	v_floor_f32_e32 v4, v4
	v_fma_f32 v5, v4, s11, |v3|
	v_cvt_u32_f32_e32 v5, v5
	v_cvt_u32_f32_e32 v4, v4
	v_ashrrev_i32_e32 v6, 31, v3
	v_xor_b32_e32 v3, v5, v6
	v_xor_b32_e32 v4, v4, v6
	v_sub_co_u32_e32 v3, vcc, v3, v6
	v_subb_co_u32_e32 v4, vcc, v4, v6, vcc
.LBB79_616:
	s_mov_b64 s[8:9], 0
	s_mov_b64 s[0:1], -1
.LBB79_617:
	s_andn2_b64 vcc, exec, s[8:9]
	s_cbranch_vccnz .LBB79_628
; %bb.618:
	s_cmp_gt_i32 s10, 14
	s_cbranch_scc0 .LBB79_621
; %bb.619:
	s_cmp_eq_u32 s10, 15
	s_cbranch_scc0 .LBB79_622
; %bb.620:
	global_load_ushort v3, v[1:2], off
	s_mov_b32 s0, 0x2f800000
	s_mov_b32 s1, 0xcf800000
	s_mov_b64 s[2:3], 0
	s_waitcnt vmcnt(0)
	v_lshlrev_b32_e32 v3, 16, v3
	v_trunc_f32_e32 v3, v3
	v_mul_f32_e64 v4, |v3|, s0
	v_floor_f32_e32 v4, v4
	v_fma_f32 v5, v4, s1, |v3|
	v_cvt_u32_f32_e32 v5, v5
	v_cvt_u32_f32_e32 v4, v4
	v_ashrrev_i32_e32 v6, 31, v3
	s_mov_b64 s[0:1], -1
	v_xor_b32_e32 v3, v5, v6
	v_xor_b32_e32 v4, v4, v6
	v_sub_co_u32_e32 v3, vcc, v3, v6
	v_subb_co_u32_e32 v4, vcc, v4, v6, vcc
	s_branch .LBB79_623
.LBB79_621:
	s_mov_b64 s[8:9], -1
                                        ; implicit-def: $vgpr3_vgpr4
	s_branch .LBB79_624
.LBB79_622:
	s_mov_b64 s[2:3], -1
                                        ; implicit-def: $vgpr3_vgpr4
.LBB79_623:
	s_mov_b64 s[8:9], 0
.LBB79_624:
	s_and_b64 vcc, exec, s[8:9]
	s_cbranch_vccz .LBB79_628
; %bb.625:
	s_cmp_eq_u32 s10, 11
	s_cbranch_scc0 .LBB79_627
; %bb.626:
	global_load_ubyte v3, v[1:2], off
	s_mov_b32 s2, 0
	s_mov_b64 s[0:1], -1
	s_waitcnt vmcnt(1)
	v_mov_b32_e32 v4, s2
	s_mov_b64 s[2:3], 0
	s_waitcnt vmcnt(0)
	v_cmp_ne_u16_e32 vcc, 0, v3
	v_cndmask_b32_e64 v3, 0, 1, vcc
	s_branch .LBB79_628
.LBB79_627:
	s_mov_b64 s[2:3], -1
                                        ; implicit-def: $vgpr3_vgpr4
.LBB79_628:
	s_mov_b64 s[8:9], 0
.LBB79_629:
	s_and_b64 vcc, exec, s[8:9]
	s_cbranch_vccz .LBB79_678
; %bb.630:
	s_cmp_lt_i32 s10, 5
	s_cbranch_scc1 .LBB79_635
; %bb.631:
	s_cmp_lt_i32 s10, 8
	s_cbranch_scc1 .LBB79_636
	;; [unrolled: 3-line block ×3, first 2 shown]
; %bb.633:
	s_cmp_gt_i32 s10, 9
	s_cbranch_scc0 .LBB79_638
; %bb.634:
	global_load_dwordx2 v[3:4], v[1:2], off
	s_movk_i32 s0, 0xffe0
	s_waitcnt vmcnt(0)
	v_trunc_f64_e32 v[3:4], v[3:4]
	v_ldexp_f64 v[5:6], v[3:4], s0
	s_mov_b32 s0, 0
	s_mov_b32 s1, 0xc1f00000
	v_floor_f64_e32 v[5:6], v[5:6]
	v_fma_f64 v[7:8], v[5:6], s[0:1], v[3:4]
	v_cvt_i32_f64_e32 v4, v[5:6]
	s_mov_b64 s[0:1], 0
	v_cvt_u32_f64_e32 v3, v[7:8]
	s_branch .LBB79_639
.LBB79_635:
	s_mov_b64 s[0:1], -1
                                        ; implicit-def: $vgpr3_vgpr4
	s_branch .LBB79_657
.LBB79_636:
	s_mov_b64 s[0:1], -1
                                        ; implicit-def: $vgpr3_vgpr4
	s_branch .LBB79_645
.LBB79_637:
	s_mov_b64 s[0:1], -1
                                        ; implicit-def: $vgpr3_vgpr4
	s_branch .LBB79_642
.LBB79_638:
	s_mov_b64 s[0:1], -1
                                        ; implicit-def: $vgpr3_vgpr4
.LBB79_639:
	s_andn2_b64 vcc, exec, s[0:1]
	s_cbranch_vccnz .LBB79_641
; %bb.640:
	global_load_dword v3, v[1:2], off
	s_mov_b32 s0, 0x2f800000
	s_mov_b32 s1, 0xcf800000
	s_waitcnt vmcnt(0)
	v_trunc_f32_e32 v3, v3
	v_mul_f32_e64 v4, |v3|, s0
	v_floor_f32_e32 v4, v4
	v_cvt_u32_f32_e32 v5, v4
	v_fma_f32 v4, v4, s1, |v3|
	v_cvt_u32_f32_e32 v4, v4
	v_ashrrev_i32_e32 v6, 31, v3
	v_xor_b32_e32 v5, v5, v6
	v_xor_b32_e32 v3, v4, v6
	v_sub_co_u32_e32 v3, vcc, v3, v6
	v_subb_co_u32_e32 v4, vcc, v5, v6, vcc
.LBB79_641:
	s_mov_b64 s[0:1], 0
.LBB79_642:
	s_andn2_b64 vcc, exec, s[0:1]
	s_cbranch_vccnz .LBB79_644
; %bb.643:
	global_load_dword v3, v[1:2], off
	s_waitcnt vmcnt(0)
	v_cvt_f32_f16_e32 v3, v3
	v_cvt_i32_f32_e32 v3, v3
	v_ashrrev_i32_e32 v4, 31, v3
.LBB79_644:
	s_mov_b64 s[0:1], 0
.LBB79_645:
	s_andn2_b64 vcc, exec, s[0:1]
	s_cbranch_vccnz .LBB79_656
; %bb.646:
	s_cmp_lt_i32 s10, 6
	s_cbranch_scc1 .LBB79_649
; %bb.647:
	s_cmp_gt_i32 s10, 6
	s_cbranch_scc0 .LBB79_650
; %bb.648:
	global_load_dwordx2 v[3:4], v[1:2], off
	s_movk_i32 s0, 0xffe0
	s_waitcnt vmcnt(0)
	v_trunc_f64_e32 v[3:4], v[3:4]
	v_ldexp_f64 v[5:6], v[3:4], s0
	s_mov_b32 s0, 0
	s_mov_b32 s1, 0xc1f00000
	v_floor_f64_e32 v[5:6], v[5:6]
	v_fma_f64 v[7:8], v[5:6], s[0:1], v[3:4]
	v_cvt_i32_f64_e32 v4, v[5:6]
	s_mov_b64 s[0:1], 0
	v_cvt_u32_f64_e32 v3, v[7:8]
	s_branch .LBB79_651
.LBB79_649:
	s_mov_b64 s[0:1], -1
                                        ; implicit-def: $vgpr3_vgpr4
	s_branch .LBB79_654
.LBB79_650:
	s_mov_b64 s[0:1], -1
                                        ; implicit-def: $vgpr3_vgpr4
.LBB79_651:
	s_andn2_b64 vcc, exec, s[0:1]
	s_cbranch_vccnz .LBB79_653
; %bb.652:
	global_load_dword v3, v[1:2], off
	s_mov_b32 s0, 0x2f800000
	s_mov_b32 s1, 0xcf800000
	s_waitcnt vmcnt(0)
	v_trunc_f32_e32 v3, v3
	v_mul_f32_e64 v4, |v3|, s0
	v_floor_f32_e32 v4, v4
	v_cvt_u32_f32_e32 v5, v4
	v_fma_f32 v4, v4, s1, |v3|
	v_cvt_u32_f32_e32 v4, v4
	v_ashrrev_i32_e32 v6, 31, v3
	v_xor_b32_e32 v5, v5, v6
	v_xor_b32_e32 v3, v4, v6
	v_sub_co_u32_e32 v3, vcc, v3, v6
	v_subb_co_u32_e32 v4, vcc, v5, v6, vcc
.LBB79_653:
	s_mov_b64 s[0:1], 0
.LBB79_654:
	s_andn2_b64 vcc, exec, s[0:1]
	s_cbranch_vccnz .LBB79_656
; %bb.655:
	global_load_ushort v3, v[1:2], off
	s_waitcnt vmcnt(0)
	v_cvt_f32_f16_e32 v3, v3
	v_cvt_i32_f32_e32 v3, v3
	v_ashrrev_i32_e32 v4, 31, v3
.LBB79_656:
	s_mov_b64 s[0:1], 0
.LBB79_657:
	s_andn2_b64 vcc, exec, s[0:1]
	s_cbranch_vccnz .LBB79_677
; %bb.658:
	s_cmp_lt_i32 s10, 2
	s_cbranch_scc1 .LBB79_662
; %bb.659:
	s_cmp_lt_i32 s10, 3
	s_cbranch_scc1 .LBB79_663
; %bb.660:
	s_cmp_gt_i32 s10, 3
	s_cbranch_scc0 .LBB79_664
; %bb.661:
	global_load_dwordx2 v[3:4], v[1:2], off
	s_mov_b64 s[0:1], 0
	s_branch .LBB79_665
.LBB79_662:
	s_mov_b64 s[0:1], -1
                                        ; implicit-def: $vgpr3_vgpr4
	s_branch .LBB79_671
.LBB79_663:
	s_mov_b64 s[0:1], -1
                                        ; implicit-def: $vgpr3_vgpr4
	s_branch .LBB79_668
.LBB79_664:
	s_mov_b64 s[0:1], -1
                                        ; implicit-def: $vgpr3_vgpr4
.LBB79_665:
	s_andn2_b64 vcc, exec, s[0:1]
	s_cbranch_vccnz .LBB79_667
; %bb.666:
	global_load_dword v3, v[1:2], off
	s_waitcnt vmcnt(0)
	v_ashrrev_i32_e32 v4, 31, v3
.LBB79_667:
	s_mov_b64 s[0:1], 0
.LBB79_668:
	s_andn2_b64 vcc, exec, s[0:1]
	s_cbranch_vccnz .LBB79_670
; %bb.669:
	global_load_ushort v3, v[1:2], off
	s_waitcnt vmcnt(0)
	v_bfe_i32 v3, v3, 0, 16
	v_ashrrev_i32_e32 v4, 31, v3
.LBB79_670:
	s_mov_b64 s[0:1], 0
.LBB79_671:
	s_andn2_b64 vcc, exec, s[0:1]
	s_cbranch_vccnz .LBB79_677
; %bb.672:
	s_cmp_gt_i32 s10, 0
	s_cbranch_scc0 .LBB79_674
; %bb.673:
	global_load_sbyte v3, v[1:2], off
	s_mov_b64 s[0:1], 0
	s_waitcnt vmcnt(0)
	v_bfe_i32 v3, v3, 0, 16
	v_ashrrev_i32_e32 v4, 31, v3
	s_branch .LBB79_675
.LBB79_674:
	s_mov_b64 s[0:1], -1
                                        ; implicit-def: $vgpr3_vgpr4
.LBB79_675:
	s_andn2_b64 vcc, exec, s[0:1]
	s_cbranch_vccnz .LBB79_677
; %bb.676:
	global_load_ubyte v1, v[1:2], off
	s_mov_b32 s0, 0
	s_waitcnt vmcnt(1)
	v_mov_b32_e32 v4, s0
	s_waitcnt vmcnt(0)
	v_and_b32_e32 v3, 0xffff, v1
.LBB79_677:
	s_mov_b64 s[0:1], -1
.LBB79_678:
	s_andn2_b64 vcc, exec, s[0:1]
	s_cbranch_vccnz .LBB79_686
; %bb.679:
	s_waitcnt vmcnt(0)
	v_lshlrev_b64 v[1:2], v3, s[44:45]
	v_cmp_gt_u64_e32 vcc, 64, v[3:4]
	v_mov_b32_e32 v4, s25
	v_cndmask_b32_e32 v2, 0, v2, vcc
	v_cndmask_b32_e32 v1, 0, v1, vcc
	s_and_b32 s14, s75, 0xff
	v_add_co_u32_e32 v3, vcc, s24, v0
	s_cmp_lt_i32 s14, 11
	v_addc_co_u32_e32 v4, vcc, 0, v4, vcc
	s_cbranch_scc1 .LBB79_687
; %bb.680:
	s_and_b32 s15, 0xffff, s14
	s_cmp_gt_i32 s15, 25
	s_cbranch_scc0 .LBB79_688
; %bb.681:
	s_cmp_gt_i32 s15, 28
	s_cbranch_scc0 .LBB79_689
; %bb.682:
	s_cmp_gt_i32 s15, 43
	s_cbranch_scc0 .LBB79_690
; %bb.683:
	s_cmp_gt_i32 s15, 45
	s_cbranch_scc0 .LBB79_691
; %bb.684:
	s_mov_b64 s[10:11], 0
	s_mov_b64 s[0:1], -1
	s_cmp_eq_u32 s15, 46
	s_mov_b64 s[8:9], 0
	s_cbranch_scc0 .LBB79_692
; %bb.685:
	v_xor_b32_e32 v5, v1, v2
	v_ffbh_i32_e32 v0, v2
	v_ashrrev_i32_e32 v5, 31, v5
	v_add_u32_e32 v0, -1, v0
	v_add_u32_e32 v5, 32, v5
	v_min_u32_e32 v0, v0, v5
	v_lshlrev_b64 v[5:6], v0, v[1:2]
	v_sub_u32_e32 v0, 32, v0
	v_min_u32_e32 v5, 1, v5
	v_or_b32_e32 v5, v6, v5
	v_cvt_f32_i32_e32 v5, v5
	s_movk_i32 s0, 0x7fff
	s_mov_b64 s[8:9], -1
	v_ldexp_f32 v0, v5, v0
	v_bfe_u32 v5, v0, 16, 1
	v_add3_u32 v0, v0, v5, s0
	v_lshrrev_b32_e32 v0, 16, v0
	global_store_dword v[3:4], v0, off
	s_mov_b64 s[0:1], 0
	s_branch .LBB79_692
.LBB79_686:
	s_mov_b64 s[8:9], 0
	s_mov_b64 s[0:1], s[62:63]
	s_branch .LBB79_803
.LBB79_687:
	s_mov_b64 s[10:11], -1
	s_mov_b64 s[8:9], 0
	s_mov_b64 s[0:1], s[62:63]
	s_branch .LBB79_761
.LBB79_688:
	s_mov_b64 s[10:11], -1
	s_mov_b64 s[8:9], 0
	s_mov_b64 s[0:1], s[62:63]
	s_branch .LBB79_719
.LBB79_689:
	s_mov_b64 s[10:11], -1
	s_mov_b64 s[8:9], 0
	s_mov_b64 s[0:1], s[62:63]
	s_branch .LBB79_702
.LBB79_690:
	s_mov_b64 s[10:11], -1
	s_mov_b64 s[8:9], 0
	s_mov_b64 s[0:1], s[62:63]
	s_branch .LBB79_698
.LBB79_691:
	s_mov_b64 s[10:11], -1
	s_mov_b64 s[8:9], 0
	s_mov_b64 s[0:1], s[62:63]
.LBB79_692:
	s_and_b64 vcc, exec, s[10:11]
	s_cbranch_vccz .LBB79_697
; %bb.693:
	s_cmp_eq_u32 s15, 44
	s_mov_b64 s[0:1], -1
	s_cbranch_scc0 .LBB79_697
; %bb.694:
	v_xor_b32_e32 v5, v1, v2
	v_ffbh_i32_e32 v0, v2
	v_ashrrev_i32_e32 v5, 31, v5
	v_add_u32_e32 v0, -1, v0
	v_add_u32_e32 v5, 32, v5
	v_min_u32_e32 v0, v0, v5
	v_lshlrev_b64 v[5:6], v0, v[1:2]
	v_sub_u32_e32 v0, 32, v0
	v_min_u32_e32 v5, 1, v5
	v_or_b32_e32 v5, v6, v5
	v_cvt_f32_i32_e32 v5, v5
	s_movk_i32 s0, 0xff
	v_mov_b32_e32 v6, 0xff
	v_ldexp_f32 v0, v5, v0
	v_bfe_u32 v5, v0, 23, 8
	v_cmp_ne_u32_e32 vcc, s0, v5
	s_and_saveexec_b64 s[8:9], vcc
; %bb.695:
	s_mov_b32 s0, 0x3fffff
	v_lshrrev_b32_e32 v6, 23, v0
	v_and_b32_e32 v7, 0x400000, v0
	v_and_or_b32 v0, v0, s0, v5
	v_cmp_ne_u32_e32 vcc, 0, v7
	v_cmp_ne_u32_e64 s[0:1], 0, v0
	s_and_b64 s[0:1], vcc, s[0:1]
	v_cndmask_b32_e64 v0, 0, 1, s[0:1]
	v_add_u32_e32 v6, v6, v0
; %bb.696:
	s_or_b64 exec, exec, s[8:9]
	s_mov_b64 s[8:9], -1
	s_mov_b64 s[0:1], 0
	global_store_byte v[3:4], v6, off
.LBB79_697:
	s_mov_b64 s[10:11], 0
.LBB79_698:
	s_and_b64 vcc, exec, s[10:11]
	s_cbranch_vccz .LBB79_701
; %bb.699:
	s_cmp_eq_u32 s15, 29
	s_mov_b64 s[0:1], -1
	s_cbranch_scc0 .LBB79_701
; %bb.700:
	global_store_dwordx2 v[3:4], v[1:2], off
	s_mov_b64 s[8:9], -1
	s_mov_b64 s[0:1], 0
.LBB79_701:
	s_mov_b64 s[10:11], 0
.LBB79_702:
	s_and_b64 vcc, exec, s[10:11]
	s_cbranch_vccz .LBB79_718
; %bb.703:
	s_cmp_lt_i32 s15, 27
	s_mov_b64 s[8:9], -1
	s_cbranch_scc1 .LBB79_709
; %bb.704:
	s_cmp_gt_i32 s15, 27
	s_cbranch_scc0 .LBB79_706
; %bb.705:
	s_mov_b64 s[8:9], 0
	global_store_dword v[3:4], v1, off
.LBB79_706:
	s_andn2_b64 vcc, exec, s[8:9]
	s_cbranch_vccnz .LBB79_708
; %bb.707:
	global_store_short v[3:4], v1, off
.LBB79_708:
	s_mov_b64 s[8:9], 0
.LBB79_709:
	s_andn2_b64 vcc, exec, s[8:9]
	s_cbranch_vccnz .LBB79_717
; %bb.710:
	v_xor_b32_e32 v5, v1, v2
	v_ffbh_i32_e32 v0, v2
	v_ashrrev_i32_e32 v5, 31, v5
	v_add_u32_e32 v0, -1, v0
	v_add_u32_e32 v5, 32, v5
	v_min_u32_e32 v0, v0, v5
	v_lshlrev_b64 v[5:6], v0, v[1:2]
	v_sub_u32_e32 v0, 32, v0
	v_min_u32_e32 v5, 1, v5
	v_or_b32_e32 v5, v6, v5
	v_cvt_f32_i32_e32 v5, v5
	s_mov_b32 s8, 0x43800000
	v_mov_b32_e32 v6, 0x80
	v_ldexp_f32 v0, v5, v0
	v_and_b32_e32 v5, 0x7fffffff, v0
	v_cmp_gt_u32_e32 vcc, s8, v5
	s_and_saveexec_b64 s[8:9], vcc
	s_cbranch_execz .LBB79_716
; %bb.711:
	s_mov_b32 s10, 0x3bffffff
	v_cmp_lt_u32_e32 vcc, s10, v5
	s_mov_b64 s[10:11], 0
                                        ; implicit-def: $vgpr5
	s_and_saveexec_b64 s[12:13], vcc
	s_xor_b64 s[12:13], exec, s[12:13]
	s_cbranch_execz .LBB79_833
; %bb.712:
	v_bfe_u32 v5, v0, 20, 1
	s_mov_b32 s16, 0x487ffff
	v_add3_u32 v5, v0, v5, s16
	s_mov_b64 s[10:11], exec
	v_lshrrev_b32_e32 v5, 20, v5
	s_andn2_saveexec_b64 s[12:13], s[12:13]
	s_cbranch_execnz .LBB79_834
.LBB79_713:
	s_or_b64 exec, exec, s[12:13]
	v_mov_b32_e32 v6, 0
	s_and_saveexec_b64 s[12:13], s[10:11]
.LBB79_714:
	v_lshrrev_b32_e32 v0, 24, v0
	s_movk_i32 s10, 0x80
	v_and_or_b32 v6, v0, s10, v5
.LBB79_715:
	s_or_b64 exec, exec, s[12:13]
.LBB79_716:
	s_or_b64 exec, exec, s[8:9]
	global_store_byte v[3:4], v6, off
.LBB79_717:
	s_mov_b64 s[8:9], -1
.LBB79_718:
	s_mov_b64 s[10:11], 0
.LBB79_719:
	s_and_b64 vcc, exec, s[10:11]
	s_cbranch_vccz .LBB79_760
; %bb.720:
	s_cmp_gt_i32 s15, 22
	s_mov_b64 s[10:11], -1
	s_cbranch_scc0 .LBB79_752
; %bb.721:
	s_cmp_lt_i32 s15, 24
	s_mov_b64 s[8:9], -1
	s_cbranch_scc1 .LBB79_741
; %bb.722:
	s_cmp_gt_i32 s15, 24
	s_cbranch_scc0 .LBB79_730
; %bb.723:
	v_xor_b32_e32 v5, v1, v2
	v_ffbh_i32_e32 v0, v2
	v_ashrrev_i32_e32 v5, 31, v5
	v_add_u32_e32 v0, -1, v0
	v_add_u32_e32 v5, 32, v5
	v_min_u32_e32 v0, v0, v5
	v_lshlrev_b64 v[5:6], v0, v[1:2]
	v_sub_u32_e32 v0, 32, v0
	v_min_u32_e32 v5, 1, v5
	v_or_b32_e32 v5, v6, v5
	v_cvt_f32_i32_e32 v5, v5
	s_mov_b32 s8, 0x47800000
	v_mov_b32_e32 v6, 0x80
	v_ldexp_f32 v0, v5, v0
	v_and_b32_e32 v5, 0x7fffffff, v0
	v_cmp_gt_u32_e32 vcc, s8, v5
	s_and_saveexec_b64 s[8:9], vcc
	s_cbranch_execz .LBB79_729
; %bb.724:
	s_mov_b32 s10, 0x37ffffff
	v_cmp_lt_u32_e32 vcc, s10, v5
	s_mov_b64 s[10:11], 0
                                        ; implicit-def: $vgpr5
	s_and_saveexec_b64 s[12:13], vcc
	s_xor_b64 s[12:13], exec, s[12:13]
	s_cbranch_execz .LBB79_836
; %bb.725:
	v_bfe_u32 v5, v0, 21, 1
	s_mov_b32 s16, 0x88fffff
	v_add3_u32 v5, v0, v5, s16
	s_mov_b64 s[10:11], exec
	v_lshrrev_b32_e32 v5, 21, v5
	s_andn2_saveexec_b64 s[12:13], s[12:13]
	s_cbranch_execnz .LBB79_837
.LBB79_726:
	s_or_b64 exec, exec, s[12:13]
	v_mov_b32_e32 v6, 0
	s_and_saveexec_b64 s[12:13], s[10:11]
.LBB79_727:
	v_lshrrev_b32_e32 v0, 24, v0
	s_movk_i32 s10, 0x80
	v_and_or_b32 v6, v0, s10, v5
.LBB79_728:
	s_or_b64 exec, exec, s[12:13]
.LBB79_729:
	s_or_b64 exec, exec, s[8:9]
	s_mov_b64 s[8:9], 0
	global_store_byte v[3:4], v6, off
.LBB79_730:
	s_and_b64 vcc, exec, s[8:9]
	s_cbranch_vccz .LBB79_740
; %bb.731:
	v_xor_b32_e32 v5, v1, v2
	v_ffbh_i32_e32 v0, v2
	v_ashrrev_i32_e32 v5, 31, v5
	v_add_u32_e32 v0, -1, v0
	v_add_u32_e32 v5, 32, v5
	v_min_u32_e32 v0, v0, v5
	v_lshlrev_b64 v[5:6], v0, v[1:2]
	v_sub_u32_e32 v0, 32, v0
	v_min_u32_e32 v5, 1, v5
	v_or_b32_e32 v5, v6, v5
	v_cvt_f32_i32_e32 v5, v5
	s_mov_b32 s8, 0x43f00000
	v_ldexp_f32 v0, v5, v0
	v_and_b32_e32 v6, 0x7fffffff, v0
	v_cmp_gt_u32_e32 vcc, s8, v6
                                        ; implicit-def: $vgpr5
	s_and_saveexec_b64 s[8:9], vcc
	s_xor_b64 s[8:9], exec, s[8:9]
	s_cbranch_execz .LBB79_737
; %bb.732:
	s_mov_b32 s10, 0x3c7fffff
	v_cmp_lt_u32_e32 vcc, s10, v6
                                        ; implicit-def: $vgpr5
	s_and_saveexec_b64 s[10:11], vcc
	s_xor_b64 s[10:11], exec, s[10:11]
; %bb.733:
	v_bfe_u32 v5, v0, 20, 1
	s_mov_b32 s12, 0x407ffff
	v_add3_u32 v5, v0, v5, s12
	v_lshrrev_b32_e32 v6, 20, v5
	v_and_b32_e32 v5, 0xff00000, v5
	s_mov_b32 s12, 0x7f00000
	v_mov_b32_e32 v7, 0x7e
	v_cmp_ne_u32_e32 vcc, s12, v5
	v_cndmask_b32_e32 v5, v7, v6, vcc
; %bb.734:
	s_andn2_saveexec_b64 s[10:11], s[10:11]
; %bb.735:
	s_mov_b32 s12, 0x46800000
	v_add_f32_e64 v5, |v0|, s12
; %bb.736:
	s_or_b64 exec, exec, s[10:11]
                                        ; implicit-def: $vgpr6
.LBB79_737:
	s_andn2_saveexec_b64 s[8:9], s[8:9]
; %bb.738:
	s_mov_b32 s10, 0x7f800000
	v_mov_b32_e32 v5, 0x7e
	v_mov_b32_e32 v7, 0x7f
	v_cmp_lt_u32_e32 vcc, s10, v6
	v_cndmask_b32_e32 v5, v5, v7, vcc
; %bb.739:
	s_or_b64 exec, exec, s[8:9]
	v_lshrrev_b32_e32 v0, 24, v0
	s_movk_i32 s8, 0x80
	v_and_or_b32 v0, v0, s8, v5
	global_store_byte v[3:4], v0, off
.LBB79_740:
	s_mov_b64 s[8:9], 0
.LBB79_741:
	s_andn2_b64 vcc, exec, s[8:9]
	s_cbranch_vccnz .LBB79_751
; %bb.742:
	v_xor_b32_e32 v5, v1, v2
	v_ffbh_i32_e32 v0, v2
	v_ashrrev_i32_e32 v5, 31, v5
	v_add_u32_e32 v0, -1, v0
	v_add_u32_e32 v5, 32, v5
	v_min_u32_e32 v0, v0, v5
	v_lshlrev_b64 v[5:6], v0, v[1:2]
	v_sub_u32_e32 v0, 32, v0
	v_min_u32_e32 v5, 1, v5
	v_or_b32_e32 v5, v6, v5
	v_cvt_f32_i32_e32 v5, v5
	s_mov_b32 s8, 0x47800000
	v_ldexp_f32 v0, v5, v0
	v_and_b32_e32 v6, 0x7fffffff, v0
	v_cmp_gt_u32_e32 vcc, s8, v6
                                        ; implicit-def: $vgpr5
	s_and_saveexec_b64 s[8:9], vcc
	s_xor_b64 s[8:9], exec, s[8:9]
	s_cbranch_execz .LBB79_748
; %bb.743:
	s_mov_b32 s10, 0x387fffff
	v_cmp_lt_u32_e32 vcc, s10, v6
                                        ; implicit-def: $vgpr5
	s_and_saveexec_b64 s[10:11], vcc
	s_xor_b64 s[10:11], exec, s[10:11]
; %bb.744:
	v_bfe_u32 v5, v0, 21, 1
	s_mov_b32 s12, 0x80fffff
	v_add3_u32 v5, v0, v5, s12
	v_lshrrev_b32_e32 v5, 21, v5
; %bb.745:
	s_andn2_saveexec_b64 s[10:11], s[10:11]
; %bb.746:
	s_mov_b32 s12, 0x43000000
	v_add_f32_e64 v5, |v0|, s12
; %bb.747:
	s_or_b64 exec, exec, s[10:11]
                                        ; implicit-def: $vgpr6
.LBB79_748:
	s_andn2_saveexec_b64 s[8:9], s[8:9]
; %bb.749:
	s_mov_b32 s10, 0x7f800000
	v_mov_b32_e32 v5, 0x7c
	v_mov_b32_e32 v7, 0x7f
	v_cmp_lt_u32_e32 vcc, s10, v6
	v_cndmask_b32_e32 v5, v5, v7, vcc
; %bb.750:
	s_or_b64 exec, exec, s[8:9]
	v_lshrrev_b32_e32 v0, 24, v0
	s_movk_i32 s8, 0x80
	v_and_or_b32 v0, v0, s8, v5
	global_store_byte v[3:4], v0, off
.LBB79_751:
	s_mov_b64 s[10:11], 0
	s_mov_b64 s[8:9], -1
.LBB79_752:
	s_andn2_b64 vcc, exec, s[10:11]
	s_cbranch_vccnz .LBB79_760
; %bb.753:
	s_cmp_gt_i32 s15, 14
	s_mov_b64 s[10:11], -1
	s_cbranch_scc0 .LBB79_757
; %bb.754:
	s_cmp_eq_u32 s15, 15
	s_mov_b64 s[0:1], -1
	s_cbranch_scc0 .LBB79_756
; %bb.755:
	v_xor_b32_e32 v5, v1, v2
	v_ffbh_i32_e32 v0, v2
	v_ashrrev_i32_e32 v5, 31, v5
	v_add_u32_e32 v0, -1, v0
	v_add_u32_e32 v5, 32, v5
	v_min_u32_e32 v0, v0, v5
	v_lshlrev_b64 v[5:6], v0, v[1:2]
	v_sub_u32_e32 v0, 32, v0
	v_min_u32_e32 v5, 1, v5
	v_or_b32_e32 v5, v6, v5
	v_cvt_f32_i32_e32 v5, v5
	s_movk_i32 s0, 0x7fff
	s_mov_b64 s[8:9], -1
	v_ldexp_f32 v0, v5, v0
	v_bfe_u32 v5, v0, 16, 1
	v_add3_u32 v0, v0, v5, s0
	global_store_short_d16_hi v[3:4], v0, off
	s_mov_b64 s[0:1], 0
.LBB79_756:
	s_mov_b64 s[10:11], 0
.LBB79_757:
	s_and_b64 vcc, exec, s[10:11]
	s_cbranch_vccz .LBB79_760
; %bb.758:
	s_cmp_eq_u32 s15, 11
	s_mov_b64 s[0:1], -1
	s_cbranch_scc0 .LBB79_760
; %bb.759:
	v_cmp_ne_u64_e32 vcc, 0, v[1:2]
	s_mov_b64 s[0:1], 0
	v_cndmask_b32_e64 v0, 0, 1, vcc
	s_mov_b64 s[8:9], -1
	global_store_byte v[3:4], v0, off
.LBB79_760:
	s_mov_b64 s[10:11], 0
.LBB79_761:
	s_and_b64 vcc, exec, s[10:11]
	s_cbranch_vccz .LBB79_800
; %bb.762:
	s_and_b32 s10, 0xffff, s14
	s_cmp_lt_i32 s10, 5
	s_mov_b64 s[8:9], -1
	s_cbranch_scc1 .LBB79_783
; %bb.763:
	s_cmp_lt_i32 s10, 8
	s_cbranch_scc1 .LBB79_773
; %bb.764:
	s_cmp_lt_i32 s10, 9
	s_cbranch_scc1 .LBB79_770
; %bb.765:
	s_cmp_gt_i32 s10, 9
	s_cbranch_scc0 .LBB79_767
; %bb.766:
	v_cvt_f64_i32_e32 v[5:6], v2
	v_cvt_f64_u32_e32 v[7:8], v1
	s_mov_b64 s[8:9], 0
	v_ldexp_f64 v[5:6], v[5:6], 32
	v_add_f64 v[5:6], v[5:6], v[7:8]
	v_mov_b32_e32 v7, 0
	v_mov_b32_e32 v8, v7
	global_store_dwordx4 v[3:4], v[5:8], off
.LBB79_767:
	s_andn2_b64 vcc, exec, s[8:9]
	s_cbranch_vccnz .LBB79_769
; %bb.768:
	v_xor_b32_e32 v5, v1, v2
	v_ffbh_i32_e32 v0, v2
	v_ashrrev_i32_e32 v5, 31, v5
	v_add_u32_e32 v0, -1, v0
	v_add_u32_e32 v5, 32, v5
	v_min_u32_e32 v0, v0, v5
	v_lshlrev_b64 v[5:6], v0, v[1:2]
	v_sub_u32_e32 v0, 32, v0
	v_min_u32_e32 v5, 1, v5
	v_or_b32_e32 v5, v6, v5
	v_cvt_f32_i32_e32 v5, v5
	v_mov_b32_e32 v6, 0
	v_ldexp_f32 v5, v5, v0
	global_store_dwordx2 v[3:4], v[5:6], off
.LBB79_769:
	s_mov_b64 s[8:9], 0
.LBB79_770:
	s_andn2_b64 vcc, exec, s[8:9]
	s_cbranch_vccnz .LBB79_772
; %bb.771:
	v_xor_b32_e32 v5, v1, v2
	v_ffbh_i32_e32 v0, v2
	v_ashrrev_i32_e32 v5, 31, v5
	v_add_u32_e32 v0, -1, v0
	v_add_u32_e32 v5, 32, v5
	v_min_u32_e32 v0, v0, v5
	v_lshlrev_b64 v[5:6], v0, v[1:2]
	v_sub_u32_e32 v0, 32, v0
	v_min_u32_e32 v5, 1, v5
	v_or_b32_e32 v5, v6, v5
	v_cvt_f32_i32_e32 v5, v5
	v_ldexp_f32 v0, v5, v0
	v_cvt_f16_f32_e32 v0, v0
	global_store_dword v[3:4], v0, off
.LBB79_772:
	s_mov_b64 s[8:9], 0
.LBB79_773:
	s_andn2_b64 vcc, exec, s[8:9]
	s_cbranch_vccnz .LBB79_782
; %bb.774:
	s_cmp_lt_i32 s10, 6
	s_mov_b64 s[8:9], -1
	s_cbranch_scc1 .LBB79_780
; %bb.775:
	s_cmp_gt_i32 s10, 6
	s_cbranch_scc0 .LBB79_777
; %bb.776:
	v_cvt_f64_i32_e32 v[5:6], v2
	v_cvt_f64_u32_e32 v[7:8], v1
	s_mov_b64 s[8:9], 0
	v_ldexp_f64 v[5:6], v[5:6], 32
	v_add_f64 v[5:6], v[5:6], v[7:8]
	global_store_dwordx2 v[3:4], v[5:6], off
.LBB79_777:
	s_andn2_b64 vcc, exec, s[8:9]
	s_cbranch_vccnz .LBB79_779
; %bb.778:
	v_xor_b32_e32 v5, v1, v2
	v_ffbh_i32_e32 v0, v2
	v_ashrrev_i32_e32 v5, 31, v5
	v_add_u32_e32 v0, -1, v0
	v_add_u32_e32 v5, 32, v5
	v_min_u32_e32 v0, v0, v5
	v_lshlrev_b64 v[5:6], v0, v[1:2]
	v_sub_u32_e32 v0, 32, v0
	v_min_u32_e32 v5, 1, v5
	v_or_b32_e32 v5, v6, v5
	v_cvt_f32_i32_e32 v5, v5
	v_ldexp_f32 v0, v5, v0
	global_store_dword v[3:4], v0, off
.LBB79_779:
	s_mov_b64 s[8:9], 0
.LBB79_780:
	s_andn2_b64 vcc, exec, s[8:9]
	s_cbranch_vccnz .LBB79_782
; %bb.781:
	v_xor_b32_e32 v5, v1, v2
	v_ffbh_i32_e32 v0, v2
	v_ashrrev_i32_e32 v5, 31, v5
	v_add_u32_e32 v0, -1, v0
	v_add_u32_e32 v5, 32, v5
	v_min_u32_e32 v0, v0, v5
	v_lshlrev_b64 v[5:6], v0, v[1:2]
	v_sub_u32_e32 v0, 32, v0
	v_min_u32_e32 v5, 1, v5
	v_or_b32_e32 v5, v6, v5
	v_cvt_f32_i32_e32 v5, v5
	v_ldexp_f32 v0, v5, v0
	v_cvt_f16_f32_e32 v0, v0
	global_store_short v[3:4], v0, off
.LBB79_782:
	s_mov_b64 s[8:9], 0
.LBB79_783:
	s_andn2_b64 vcc, exec, s[8:9]
	s_cbranch_vccnz .LBB79_799
; %bb.784:
	s_cmp_lt_i32 s10, 2
	s_mov_b64 s[8:9], -1
	s_cbranch_scc1 .LBB79_794
; %bb.785:
	s_cmp_lt_i32 s10, 3
	s_cbranch_scc1 .LBB79_791
; %bb.786:
	s_cmp_gt_i32 s10, 3
	s_cbranch_scc0 .LBB79_788
; %bb.787:
	s_mov_b64 s[8:9], 0
	global_store_dwordx2 v[3:4], v[1:2], off
.LBB79_788:
	s_andn2_b64 vcc, exec, s[8:9]
	s_cbranch_vccnz .LBB79_790
; %bb.789:
	global_store_dword v[3:4], v1, off
.LBB79_790:
	s_mov_b64 s[8:9], 0
.LBB79_791:
	s_andn2_b64 vcc, exec, s[8:9]
	s_cbranch_vccnz .LBB79_793
; %bb.792:
	global_store_short v[3:4], v1, off
.LBB79_793:
	s_mov_b64 s[8:9], 0
.LBB79_794:
	s_andn2_b64 vcc, exec, s[8:9]
	s_cbranch_vccnz .LBB79_799
; %bb.795:
	s_cmp_gt_i32 s10, 0
	s_mov_b64 s[8:9], -1
	s_cbranch_scc0 .LBB79_797
; %bb.796:
	s_mov_b64 s[8:9], 0
	global_store_byte v[3:4], v1, off
.LBB79_797:
	s_andn2_b64 vcc, exec, s[8:9]
	s_cbranch_vccnz .LBB79_799
; %bb.798:
	global_store_byte v[3:4], v1, off
.LBB79_799:
	s_mov_b64 s[8:9], -1
.LBB79_800:
	s_andn2_b64 vcc, exec, s[8:9]
	s_cbranch_vccnz .LBB79_802
; %bb.801:
	v_add_u32_e32 v11, 0x80, v11
	s_mov_b64 s[8:9], -1
	s_branch .LBB79_804
.LBB79_802:
	s_mov_b64 s[8:9], 0
.LBB79_803:
                                        ; implicit-def: $vgpr11
.LBB79_804:
	s_andn2_b64 s[10:11], s[62:63], exec
	s_and_b64 s[0:1], s[0:1], exec
	s_or_b64 s[70:71], s[10:11], s[0:1]
	s_andn2_b64 s[0:1], s[60:61], exec
	s_and_b64 s[2:3], s[2:3], exec
	s_or_b64 s[68:69], s[0:1], s[2:3]
	s_orn2_b64 s[2:3], s[8:9], exec
.LBB79_805:
	s_or_b64 exec, exec, s[66:67]
	s_mov_b64 s[0:1], 0
	s_mov_b64 s[8:9], 0
	;; [unrolled: 1-line block ×3, first 2 shown]
                                        ; implicit-def: $vgpr1_vgpr2
                                        ; implicit-def: $vgpr0
                                        ; implicit-def: $vgpr5_vgpr6
	s_and_saveexec_b64 s[66:67], s[2:3]
	s_cbranch_execz .LBB79_900
; %bb.806:
	v_cmp_gt_i32_e32 vcc, s72, v11
	s_mov_b64 s[2:3], 0
	s_mov_b64 s[12:13], s[68:69]
                                        ; implicit-def: $vgpr1_vgpr2
                                        ; implicit-def: $vgpr0
                                        ; implicit-def: $vgpr5_vgpr6
	s_and_saveexec_b64 s[72:73], vcc
	s_cbranch_execz .LBB79_899
; %bb.807:
	s_andn2_b64 vcc, exec, s[40:41]
	s_cbranch_vccnz .LBB79_812
; %bb.808:
	s_andn2_b64 vcc, exec, s[52:53]
	s_cbranch_vccnz .LBB79_813
; %bb.809:
	s_add_i32 s78, s77, 1
	s_cmp_eq_u32 s74, 2
	s_cbranch_scc1 .LBB79_814
; %bb.810:
	s_and_b32 s77, s78, 28
	v_mov_b32_e32 v2, 0
	s_mov_b32 s79, 0
	s_mov_b64 s[52:53], s[34:35]
	v_mov_b32_e32 v0, 0
	v_mov_b32_e32 v1, v11
.LBB79_811:                             ; =>This Inner Loop Header: Depth=1
	s_load_dwordx8 s[16:23], s[52:53], 0x4
	s_load_dwordx4 s[0:3], s[52:53], 0x24
	s_load_dwordx8 s[8:15], s[50:51], 0x0
	s_add_u32 s52, s52, 48
	s_addc_u32 s53, s53, 0
	s_waitcnt vmcnt(0) lgkmcnt(0)
	v_mul_hi_u32 v3, s17, v1
	s_add_i32 s79, s79, 4
	s_add_u32 s50, s50, 32
	s_addc_u32 s51, s51, 0
	v_add_u32_e32 v3, v1, v3
	v_lshrrev_b32_e32 v3, s18, v3
	v_mul_lo_u32 v4, v3, s16
	v_mul_hi_u32 v5, s20, v3
	s_cmp_eq_u32 s77, s79
	v_sub_u32_e32 v1, v1, v4
	v_add_u32_e32 v4, v3, v5
	v_mul_lo_u32 v5, v1, s8
	v_mul_lo_u32 v6, v1, s9
	v_lshrrev_b32_e32 v1, s21, v4
	v_mul_lo_u32 v4, v1, s19
	v_mul_hi_u32 v7, s23, v1
	v_sub_u32_e32 v3, v3, v4
	v_add_u32_e32 v4, v1, v7
	v_lshrrev_b32_e32 v4, s0, v4
	v_mul_hi_u32 v8, s2, v4
	v_mul_lo_u32 v9, v4, s22
	v_mul_lo_u32 v7, v3, s10
	v_mul_lo_u32 v3, v3, s11
	v_sub_u32_e32 v9, v1, v9
	v_add_u32_e32 v1, v4, v8
	v_lshrrev_b32_e32 v1, s3, v1
	v_mul_lo_u32 v8, v1, s1
	v_mul_lo_u32 v10, v9, s12
	;; [unrolled: 1-line block ×3, first 2 shown]
	v_add3_u32 v0, v5, v0, v7
	v_sub_u32_e32 v4, v4, v8
	v_mul_lo_u32 v8, v4, s14
	v_mul_lo_u32 v4, v4, s15
	v_add3_u32 v2, v6, v2, v3
	v_add3_u32 v0, v10, v0, v8
	;; [unrolled: 1-line block ×3, first 2 shown]
	s_cbranch_scc0 .LBB79_811
	s_branch .LBB79_815
.LBB79_812:
	s_mov_b64 s[0:1], -1
                                        ; implicit-def: $vgpr0
                                        ; implicit-def: $vgpr2
	s_branch .LBB79_819
.LBB79_813:
	v_mov_b32_e32 v0, 0
	v_mov_b32_e32 v2, 0
	s_branch .LBB79_818
.LBB79_814:
	s_mov_b32 s77, 0
	v_mov_b32_e32 v0, 0
	v_mov_b32_e32 v2, 0
	;; [unrolled: 1-line block ×3, first 2 shown]
.LBB79_815:
	s_and_b32 s8, s78, 3
	s_cmp_eq_u32 s8, 0
	s_cbranch_scc1 .LBB79_818
; %bb.816:
	s_lshl_b32 s0, s77, 3
	s_add_u32 s0, s34, s0
	s_addc_u32 s1, s35, 0
	s_add_u32 s0, s0, 0xc4
	s_addc_u32 s1, s1, 0
	s_mul_i32 s2, s77, 12
	s_add_u32 s2, s34, s2
	s_addc_u32 s3, s35, 0
.LBB79_817:                             ; =>This Inner Loop Header: Depth=1
	s_load_dwordx2 s[10:11], s[2:3], 0x4
	s_load_dword s9, s[2:3], 0xc
	s_load_dwordx2 s[12:13], s[0:1], 0x0
	s_add_u32 s2, s2, 12
	s_addc_u32 s3, s3, 0
	s_waitcnt vmcnt(0) lgkmcnt(0)
	v_mul_hi_u32 v3, s11, v1
	s_add_u32 s0, s0, 8
	s_addc_u32 s1, s1, 0
	s_add_i32 s8, s8, -1
	v_add_u32_e32 v3, v1, v3
	v_lshrrev_b32_e32 v4, s9, v3
	v_mul_lo_u32 v3, v4, s10
	s_cmp_lg_u32 s8, 0
	v_sub_u32_e32 v3, v1, v3
	v_mad_u64_u32 v[0:1], s[10:11], v3, s12, v[0:1]
	v_mad_u64_u32 v[2:3], s[10:11], v3, s13, v[2:3]
	v_mov_b32_e32 v1, v4
	s_cbranch_scc1 .LBB79_817
.LBB79_818:
	s_mov_b64 s[0:1], 0
.LBB79_819:
	s_andn2_b64 vcc, exec, s[0:1]
	s_cbranch_vccnz .LBB79_822
; %bb.820:
	v_mul_hi_u32 v0, s29, v11
	s_andn2_b64 vcc, exec, s[48:49]
	v_add_u32_e32 v0, v11, v0
	v_lshrrev_b32_e32 v1, s30, v0
	v_mul_lo_u32 v0, v1, s28
	v_sub_u32_e32 v2, v11, v0
	v_mul_lo_u32 v0, v2, s36
	v_mul_lo_u32 v2, v2, s37
	s_cbranch_vccnz .LBB79_822
; %bb.821:
	s_waitcnt vmcnt(0)
	v_mul_hi_u32 v3, s46, v1
	v_add_u32_e32 v3, v1, v3
	v_lshrrev_b32_e32 v3, s47, v3
	v_mul_lo_u32 v3, v3, s31
	v_sub_u32_e32 v3, v1, v3
	v_mad_u64_u32 v[0:1], s[0:1], v3, s38, v[0:1]
	v_mad_u64_u32 v[2:3], s[0:1], v3, s39, v[2:3]
.LBB79_822:
	s_waitcnt vmcnt(0)
	v_mov_b32_e32 v3, s27
	s_and_b32 s12, 0xffff, s76
	v_add_co_u32_e32 v1, vcc, s26, v2
	s_cmp_lt_i32 s12, 11
	v_addc_co_u32_e32 v2, vcc, 0, v3, vcc
	s_cbranch_scc1 .LBB79_829
; %bb.823:
	s_cmp_gt_i32 s12, 25
	s_mov_b64 s[2:3], 0
	s_cbranch_scc0 .LBB79_830
; %bb.824:
	s_cmp_gt_i32 s12, 28
	s_cbranch_scc0 .LBB79_831
; %bb.825:
	s_cmp_gt_i32 s12, 43
	;; [unrolled: 3-line block ×3, first 2 shown]
	s_cbranch_scc0 .LBB79_835
; %bb.827:
	s_cmp_eq_u32 s12, 46
	s_mov_b64 s[10:11], 0
	s_cbranch_scc0 .LBB79_838
; %bb.828:
	global_load_dword v3, v[1:2], off
	s_mov_b32 s0, 0x2f800000
	s_mov_b32 s1, 0xcf800000
	s_mov_b64 s[8:9], -1
	s_waitcnt vmcnt(0)
	v_lshlrev_b32_e32 v3, 16, v3
	v_trunc_f32_e32 v3, v3
	v_mul_f32_e64 v4, |v3|, s0
	v_floor_f32_e32 v4, v4
	v_fma_f32 v5, v4, s1, |v3|
	v_cvt_u32_f32_e32 v5, v5
	v_cvt_u32_f32_e32 v4, v4
	v_ashrrev_i32_e32 v3, 31, v3
	s_mov_b64 s[0:1], 0
	v_xor_b32_e32 v5, v5, v3
	v_xor_b32_e32 v4, v4, v3
	v_sub_co_u32_e32 v5, vcc, v5, v3
	v_subb_co_u32_e32 v6, vcc, v4, v3, vcc
	s_branch .LBB79_839
.LBB79_829:
	s_mov_b64 s[12:13], -1
	s_mov_b64 s[8:9], 0
	s_mov_b64 s[2:3], 0
	;; [unrolled: 1-line block ×3, first 2 shown]
                                        ; implicit-def: $vgpr5_vgpr6
	s_branch .LBB79_898
.LBB79_830:
	s_mov_b64 s[10:11], -1
	s_mov_b64 s[8:9], 0
	s_mov_b64 s[0:1], s[68:69]
                                        ; implicit-def: $vgpr5_vgpr6
	s_branch .LBB79_868
.LBB79_831:
	s_mov_b64 s[10:11], -1
	s_mov_b64 s[8:9], 0
	s_mov_b64 s[0:1], s[68:69]
                                        ; implicit-def: $vgpr5_vgpr6
	s_branch .LBB79_849
.LBB79_832:
	s_mov_b64 s[10:11], -1
	s_mov_b64 s[8:9], 0
	s_mov_b64 s[0:1], s[68:69]
                                        ; implicit-def: $vgpr5_vgpr6
	s_branch .LBB79_844
.LBB79_833:
	s_andn2_saveexec_b64 s[12:13], s[12:13]
	s_cbranch_execz .LBB79_713
.LBB79_834:
	s_mov_b32 s16, 0x46000000
	v_add_f32_e64 v5, |v0|, s16
	v_and_b32_e32 v5, 0xff, v5
	v_cmp_ne_u32_e32 vcc, 0, v5
	s_andn2_b64 s[10:11], s[10:11], exec
	s_and_b64 s[16:17], vcc, exec
	s_or_b64 s[10:11], s[10:11], s[16:17]
	s_or_b64 exec, exec, s[12:13]
	v_mov_b32_e32 v6, 0
	s_and_saveexec_b64 s[12:13], s[10:11]
	s_cbranch_execnz .LBB79_714
	s_branch .LBB79_715
.LBB79_835:
	s_mov_b64 s[10:11], -1
	s_mov_b64 s[8:9], 0
	s_mov_b64 s[0:1], s[68:69]
                                        ; implicit-def: $vgpr5_vgpr6
	s_branch .LBB79_839
.LBB79_836:
	s_andn2_saveexec_b64 s[12:13], s[12:13]
	s_cbranch_execz .LBB79_726
.LBB79_837:
	s_mov_b32 s16, 0x42800000
	v_add_f32_e64 v5, |v0|, s16
	v_and_b32_e32 v5, 0xff, v5
	v_cmp_ne_u32_e32 vcc, 0, v5
	s_andn2_b64 s[10:11], s[10:11], exec
	s_and_b64 s[16:17], vcc, exec
	s_or_b64 s[10:11], s[10:11], s[16:17]
	s_or_b64 exec, exec, s[12:13]
	v_mov_b32_e32 v6, 0
	s_and_saveexec_b64 s[12:13], s[10:11]
	s_cbranch_execnz .LBB79_727
	s_branch .LBB79_728
.LBB79_838:
	s_mov_b64 s[0:1], -1
                                        ; implicit-def: $vgpr5_vgpr6
	s_mov_b64 s[8:9], 0
.LBB79_839:
	s_and_b64 vcc, exec, s[10:11]
	s_cbranch_vccz .LBB79_843
; %bb.840:
	s_cmp_eq_u32 s12, 44
	s_cbranch_scc0 .LBB79_842
; %bb.841:
	global_load_ubyte v3, v[1:2], off
	s_mov_b32 s0, 0x2f800000
	s_mov_b32 s1, 0xcf800000
	s_mov_b64 s[8:9], -1
	s_waitcnt vmcnt(0)
	v_lshlrev_b32_e32 v4, 23, v3
	v_trunc_f32_e32 v4, v4
	v_mul_f32_e64 v5, |v4|, s0
	v_floor_f32_e32 v5, v5
	v_fma_f32 v6, v5, s1, |v4|
	v_cvt_u32_f32_e32 v6, v6
	v_cvt_u32_f32_e32 v5, v5
	v_ashrrev_i32_e32 v4, 31, v4
	s_mov_b64 s[0:1], 0
	v_xor_b32_e32 v6, v6, v4
	v_xor_b32_e32 v5, v5, v4
	v_sub_co_u32_e32 v7, vcc, v6, v4
	v_subb_co_u32_e32 v4, vcc, v5, v4, vcc
	v_cmp_ne_u32_e32 vcc, 0, v3
	v_cndmask_b32_e32 v6, 0, v4, vcc
	v_cndmask_b32_e32 v5, 0, v7, vcc
	s_branch .LBB79_843
.LBB79_842:
	s_mov_b64 s[0:1], -1
                                        ; implicit-def: $vgpr5_vgpr6
.LBB79_843:
	s_mov_b64 s[10:11], 0
.LBB79_844:
	s_and_b64 vcc, exec, s[10:11]
	s_cbranch_vccz .LBB79_848
; %bb.845:
	s_cmp_eq_u32 s12, 29
	s_cbranch_scc0 .LBB79_847
; %bb.846:
	global_load_dwordx2 v[5:6], v[1:2], off
	s_mov_b64 s[0:1], 0
	s_mov_b64 s[8:9], -1
	s_branch .LBB79_848
.LBB79_847:
	s_mov_b64 s[0:1], -1
                                        ; implicit-def: $vgpr5_vgpr6
.LBB79_848:
	s_mov_b64 s[10:11], 0
.LBB79_849:
	s_and_b64 vcc, exec, s[10:11]
	s_cbranch_vccz .LBB79_867
; %bb.850:
	s_cmp_lt_i32 s12, 27
	s_cbranch_scc1 .LBB79_853
; %bb.851:
	s_cmp_gt_i32 s12, 27
	s_cbranch_scc0 .LBB79_854
; %bb.852:
	global_load_dword v5, v[1:2], off
	s_waitcnt vmcnt(1)
	v_mov_b32_e32 v6, 0
	s_mov_b64 s[8:9], 0
	s_branch .LBB79_855
.LBB79_853:
	s_mov_b64 s[8:9], -1
                                        ; implicit-def: $vgpr5_vgpr6
	s_branch .LBB79_858
.LBB79_854:
	s_mov_b64 s[8:9], -1
                                        ; implicit-def: $vgpr5_vgpr6
.LBB79_855:
	s_andn2_b64 vcc, exec, s[8:9]
	s_cbranch_vccnz .LBB79_857
; %bb.856:
	global_load_ushort v3, v[1:2], off
	s_mov_b32 s8, 0
	s_waitcnt vmcnt(1)
	v_mov_b32_e32 v6, s8
	s_waitcnt vmcnt(0)
	v_and_b32_e32 v5, 0xffff, v3
.LBB79_857:
	s_mov_b64 s[8:9], 0
.LBB79_858:
	s_andn2_b64 vcc, exec, s[8:9]
	s_cbranch_vccnz .LBB79_866
; %bb.859:
	global_load_ubyte v3, v[1:2], off
	s_movk_i32 s8, 0x7f
	s_mov_b64 s[10:11], 0
	s_waitcnt vmcnt(0)
	v_cmp_lt_i16_e32 vcc, s8, v3
	s_and_saveexec_b64 s[8:9], vcc
	s_xor_b64 s[8:9], exec, s[8:9]
; %bb.860:
	s_movk_i32 s10, 0x80
	v_cmp_ne_u16_e32 vcc, s10, v3
	s_and_b64 s[10:11], vcc, exec
; %bb.861:
	s_andn2_saveexec_b64 s[8:9], s[8:9]
; %bb.862:
	v_cmp_ne_u16_e32 vcc, 0, v3
	s_andn2_b64 s[10:11], s[10:11], exec
	s_and_b64 s[14:15], vcc, exec
	s_or_b64 s[10:11], s[10:11], s[14:15]
; %bb.863:
	s_or_b64 exec, exec, s[8:9]
	v_mov_b32_e32 v5, 0
	v_mov_b32_e32 v6, 0
	s_and_saveexec_b64 s[8:9], s[10:11]
	s_cbranch_execz .LBB79_865
; %bb.864:
	v_lshlrev_b32_e32 v4, 24, v3
	v_and_b32_e32 v3, 0xffff, v3
	v_and_b32_e32 v5, 7, v3
	v_ffbh_u32_e32 v7, v5
	v_min_u32_e32 v7, 32, v7
	v_subrev_u32_e32 v8, 28, v7
	v_bfe_u32 v6, v3, 3, 4
	v_lshlrev_b32_e32 v3, v8, v3
	v_sub_u32_e32 v7, 29, v7
	v_and_b32_e32 v3, 7, v3
	v_cmp_eq_u32_e32 vcc, 0, v6
	v_cndmask_b32_e32 v6, v6, v7, vcc
	v_cndmask_b32_e32 v3, v5, v3, vcc
	v_mov_b32_e32 v5, 0x3b800000
	v_lshlrev_b32_e32 v3, 20, v3
	v_and_b32_e32 v4, 0x80000000, v4
	v_lshl_add_u32 v5, v6, 23, v5
	v_or3_b32 v3, v4, v5, v3
	v_trunc_f32_e32 v3, v3
	s_mov_b32 s10, 0x2f800000
	v_mul_f32_e64 v4, |v3|, s10
	v_floor_f32_e32 v4, v4
	s_mov_b32 s10, 0xcf800000
	v_fma_f32 v5, v4, s10, |v3|
	v_cvt_u32_f32_e32 v5, v5
	v_cvt_u32_f32_e32 v4, v4
	v_ashrrev_i32_e32 v3, 31, v3
	v_xor_b32_e32 v5, v5, v3
	v_xor_b32_e32 v4, v4, v3
	v_sub_co_u32_e32 v5, vcc, v5, v3
	v_subb_co_u32_e32 v6, vcc, v4, v3, vcc
.LBB79_865:
	s_or_b64 exec, exec, s[8:9]
.LBB79_866:
	s_mov_b64 s[8:9], -1
.LBB79_867:
	s_mov_b64 s[10:11], 0
.LBB79_868:
	s_and_b64 vcc, exec, s[10:11]
	s_cbranch_vccz .LBB79_897
; %bb.869:
	s_cmp_gt_i32 s12, 22
	s_cbranch_scc0 .LBB79_879
; %bb.870:
	s_cmp_lt_i32 s12, 24
	s_cbranch_scc1 .LBB79_880
; %bb.871:
	s_cmp_gt_i32 s12, 24
	s_cbranch_scc0 .LBB79_881
; %bb.872:
	global_load_ubyte v3, v[1:2], off
	s_movk_i32 s2, 0x7f
	s_mov_b64 s[8:9], 0
	s_waitcnt vmcnt(0)
	v_cmp_lt_i16_e32 vcc, s2, v3
	s_and_saveexec_b64 s[2:3], vcc
	s_xor_b64 s[2:3], exec, s[2:3]
; %bb.873:
	s_movk_i32 s8, 0x80
	v_cmp_ne_u16_e32 vcc, s8, v3
	s_and_b64 s[8:9], vcc, exec
; %bb.874:
	s_andn2_saveexec_b64 s[2:3], s[2:3]
; %bb.875:
	v_cmp_ne_u16_e32 vcc, 0, v3
	s_andn2_b64 s[8:9], s[8:9], exec
	s_and_b64 s[10:11], vcc, exec
	s_or_b64 s[8:9], s[8:9], s[10:11]
; %bb.876:
	s_or_b64 exec, exec, s[2:3]
	v_mov_b32_e32 v5, 0
	v_mov_b32_e32 v6, 0
	s_and_saveexec_b64 s[2:3], s[8:9]
	s_cbranch_execz .LBB79_878
; %bb.877:
	v_lshlrev_b32_e32 v4, 24, v3
	v_and_b32_e32 v3, 0xffff, v3
	v_and_b32_e32 v5, 3, v3
	v_ffbh_u32_e32 v7, v5
	v_min_u32_e32 v7, 32, v7
	v_subrev_u32_e32 v8, 29, v7
	v_bfe_u32 v6, v3, 2, 5
	v_lshlrev_b32_e32 v3, v8, v3
	v_sub_u32_e32 v7, 30, v7
	v_and_b32_e32 v3, 3, v3
	v_cmp_eq_u32_e32 vcc, 0, v6
	v_cndmask_b32_e32 v6, v6, v7, vcc
	v_cndmask_b32_e32 v3, v5, v3, vcc
	v_mov_b32_e32 v5, 0x37800000
	v_lshlrev_b32_e32 v3, 21, v3
	v_and_b32_e32 v4, 0x80000000, v4
	v_lshl_add_u32 v5, v6, 23, v5
	v_or3_b32 v3, v4, v5, v3
	v_trunc_f32_e32 v3, v3
	s_mov_b32 s8, 0x2f800000
	v_mul_f32_e64 v4, |v3|, s8
	v_floor_f32_e32 v4, v4
	s_mov_b32 s8, 0xcf800000
	v_fma_f32 v5, v4, s8, |v3|
	v_cvt_u32_f32_e32 v5, v5
	v_cvt_u32_f32_e32 v4, v4
	v_ashrrev_i32_e32 v3, 31, v3
	v_xor_b32_e32 v5, v5, v3
	v_xor_b32_e32 v4, v4, v3
	v_sub_co_u32_e32 v5, vcc, v5, v3
	v_subb_co_u32_e32 v6, vcc, v4, v3, vcc
.LBB79_878:
	s_or_b64 exec, exec, s[2:3]
	s_mov_b64 s[2:3], 0
	s_branch .LBB79_882
.LBB79_879:
	s_mov_b64 s[2:3], -1
                                        ; implicit-def: $vgpr5_vgpr6
	s_branch .LBB79_888
.LBB79_880:
	s_mov_b64 s[2:3], -1
                                        ; implicit-def: $vgpr5_vgpr6
	s_branch .LBB79_885
.LBB79_881:
	s_mov_b64 s[2:3], -1
                                        ; implicit-def: $vgpr5_vgpr6
.LBB79_882:
	s_and_b64 vcc, exec, s[2:3]
	s_cbranch_vccz .LBB79_884
; %bb.883:
	global_load_ubyte v3, v[1:2], off
	s_mov_b32 s2, 0x7f800000
	s_brev_b32 s3, 1
	s_mov_b32 s8, 0x2f800000
	s_mov_b32 s9, 0xcf800000
	s_waitcnt vmcnt(0)
	v_lshlrev_b32_e32 v3, 24, v3
	v_and_b32_e32 v4, 0x7f000000, v3
	v_ffbh_u32_e32 v5, v4
	v_min_u32_e32 v5, 32, v5
	v_sub_u32_e64 v5, v5, 4 clamp
	v_lshlrev_b32_e32 v7, v5, v4
	v_lshlrev_b32_e32 v5, 23, v5
	v_lshrrev_b32_e32 v7, 4, v7
	v_add_u32_e32 v6, 0x1000000, v4
	v_sub_u32_e32 v5, v7, v5
	v_ashrrev_i32_e32 v6, 8, v6
	v_add_u32_e32 v5, 0x3c000000, v5
	v_and_or_b32 v5, v6, s2, v5
	v_cmp_ne_u32_e32 vcc, 0, v4
	v_cndmask_b32_e32 v4, 0, v5, vcc
	v_and_or_b32 v3, v3, s3, v4
	v_trunc_f32_e32 v3, v3
	v_mul_f32_e64 v4, |v3|, s8
	v_floor_f32_e32 v4, v4
	v_fma_f32 v5, v4, s9, |v3|
	v_cvt_u32_f32_e32 v5, v5
	v_cvt_u32_f32_e32 v4, v4
	v_ashrrev_i32_e32 v3, 31, v3
	v_xor_b32_e32 v5, v5, v3
	v_xor_b32_e32 v4, v4, v3
	v_sub_co_u32_e32 v5, vcc, v5, v3
	v_subb_co_u32_e32 v6, vcc, v4, v3, vcc
.LBB79_884:
	s_mov_b64 s[2:3], 0
.LBB79_885:
	s_andn2_b64 vcc, exec, s[2:3]
	s_cbranch_vccnz .LBB79_887
; %bb.886:
	global_load_ubyte v3, v[1:2], off
	s_movk_i32 s2, 0x7f00
	s_brev_b32 s3, 16
	s_brev_b32 s8, 1
	s_mov_b32 s9, 0x2f800000
	s_mov_b32 s10, 0xcf800000
	s_waitcnt vmcnt(0)
	v_lshlrev_b16_e32 v4, 8, v3
	v_lshlrev_b32_e32 v3, 25, v3
	v_lshrrev_b32_e32 v5, 4, v3
	v_and_or_b32 v6, v4, s2, 0.5
	v_or_b32_e32 v5, 0x70000000, v5
	v_add_f32_e32 v6, -0.5, v6
	v_mul_f32_e32 v5, 0x7800000, v5
	v_cmp_gt_u32_e32 vcc, s3, v3
	v_bfe_i32 v4, v4, 0, 16
	v_cndmask_b32_e32 v3, v5, v6, vcc
	v_and_or_b32 v3, v4, s8, v3
	v_trunc_f32_e32 v3, v3
	v_mul_f32_e64 v4, |v3|, s9
	v_floor_f32_e32 v4, v4
	v_fma_f32 v5, v4, s10, |v3|
	v_cvt_u32_f32_e32 v5, v5
	v_cvt_u32_f32_e32 v4, v4
	v_ashrrev_i32_e32 v3, 31, v3
	v_xor_b32_e32 v5, v5, v3
	v_xor_b32_e32 v4, v4, v3
	v_sub_co_u32_e32 v5, vcc, v5, v3
	v_subb_co_u32_e32 v6, vcc, v4, v3, vcc
.LBB79_887:
	s_mov_b64 s[2:3], 0
	s_mov_b64 s[8:9], -1
.LBB79_888:
	s_andn2_b64 vcc, exec, s[2:3]
	s_mov_b64 s[2:3], 0
	s_cbranch_vccnz .LBB79_897
; %bb.889:
	s_cmp_gt_i32 s12, 14
	s_cbranch_scc0 .LBB79_892
; %bb.890:
	s_cmp_eq_u32 s12, 15
	s_cbranch_scc0 .LBB79_893
; %bb.891:
	global_load_ushort v3, v[1:2], off
	s_mov_b32 s0, 0x2f800000
	s_mov_b32 s1, 0xcf800000
	s_mov_b64 s[8:9], -1
	s_waitcnt vmcnt(0)
	v_lshlrev_b32_e32 v3, 16, v3
	v_trunc_f32_e32 v3, v3
	v_mul_f32_e64 v4, |v3|, s0
	v_floor_f32_e32 v4, v4
	v_fma_f32 v5, v4, s1, |v3|
	v_cvt_u32_f32_e32 v5, v5
	v_cvt_u32_f32_e32 v4, v4
	v_ashrrev_i32_e32 v3, 31, v3
	s_mov_b64 s[0:1], 0
	v_xor_b32_e32 v5, v5, v3
	v_xor_b32_e32 v4, v4, v3
	v_sub_co_u32_e32 v5, vcc, v5, v3
	v_subb_co_u32_e32 v6, vcc, v4, v3, vcc
	s_branch .LBB79_894
.LBB79_892:
	s_mov_b64 s[10:11], -1
                                        ; implicit-def: $vgpr5_vgpr6
	s_branch .LBB79_895
.LBB79_893:
	s_mov_b64 s[0:1], -1
                                        ; implicit-def: $vgpr5_vgpr6
.LBB79_894:
	s_mov_b64 s[10:11], 0
.LBB79_895:
	s_and_b64 vcc, exec, s[10:11]
	s_cbranch_vccz .LBB79_897
; %bb.896:
	s_cmp_lg_u32 s12, 11
	s_cselect_b64 s[10:11], -1, 0
	s_andn2_b64 s[0:1], s[0:1], exec
	s_and_b64 s[10:11], s[10:11], exec
	s_mov_b64 s[2:3], -1
	s_or_b64 s[0:1], s[0:1], s[10:11]
.LBB79_897:
	s_mov_b64 s[12:13], 0
.LBB79_898:
	s_and_b64 s[10:11], s[8:9], exec
	s_and_b64 s[8:9], s[12:13], exec
	s_andn2_b64 s[12:13], s[68:69], exec
	s_and_b64 s[0:1], s[0:1], exec
	s_and_b64 s[2:3], s[2:3], exec
	s_or_b64 s[12:13], s[12:13], s[0:1]
.LBB79_899:
	s_or_b64 exec, exec, s[72:73]
	s_and_b64 s[0:1], s[2:3], exec
	s_andn2_b64 s[2:3], s[68:69], exec
	s_and_b64 s[12:13], s[12:13], exec
	s_and_b64 s[10:11], s[10:11], exec
	;; [unrolled: 1-line block ×3, first 2 shown]
	s_or_b64 s[68:69], s[2:3], s[12:13]
.LBB79_900:
	s_or_b64 exec, exec, s[66:67]
	s_andn2_b64 s[2:3], s[62:63], exec
	s_and_b64 s[12:13], s[70:71], exec
	s_or_b64 s[62:63], s[2:3], s[12:13]
	s_and_b64 s[2:3], s[0:1], exec
	s_andn2_b64 s[0:1], s[60:61], exec
	s_and_b64 s[12:13], s[68:69], exec
	s_and_b64 s[10:11], s[10:11], exec
	;; [unrolled: 1-line block ×3, first 2 shown]
	s_or_b64 s[60:61], s[0:1], s[12:13]
.LBB79_901:
	s_or_b64 exec, exec, s[64:65]
	s_andn2_b64 s[0:1], s[54:55], exec
	s_and_b64 s[12:13], s[62:63], exec
	s_or_b64 s[54:55], s[0:1], s[12:13]
	s_and_b64 s[0:1], s[10:11], exec
	s_and_b64 s[10:11], s[8:9], exec
	;; [unrolled: 1-line block ×3, first 2 shown]
	s_andn2_b64 s[2:3], s[56:57], exec
	s_and_b64 s[8:9], s[60:61], exec
	s_or_b64 s[56:57], s[2:3], s[8:9]
	s_or_b64 exec, exec, s[58:59]
	s_mov_b64 s[2:3], 0
	s_and_saveexec_b64 s[8:9], s[56:57]
	s_cbranch_execz .LBB79_270
.LBB79_902:
	s_mov_b64 s[2:3], exec
	s_andn2_b64 s[62:63], s[62:63], exec
	s_trap 2
	s_or_b64 exec, exec, s[8:9]
	s_and_saveexec_b64 s[8:9], s[62:63]
	s_xor_b64 s[8:9], exec, s[8:9]
	s_cbranch_execnz .LBB79_271
.LBB79_903:
	s_or_b64 exec, exec, s[8:9]
	s_and_saveexec_b64 s[8:9], s[10:11]
	s_cbranch_execz .LBB79_949
.LBB79_904:
	s_sext_i32_i16 s10, s76
	s_cmp_lt_i32 s10, 5
	s_cbranch_scc1 .LBB79_909
; %bb.905:
	s_cmp_lt_i32 s10, 8
	s_cbranch_scc1 .LBB79_910
; %bb.906:
	;; [unrolled: 3-line block ×3, first 2 shown]
	s_cmp_gt_i32 s10, 9
	s_cbranch_scc0 .LBB79_912
; %bb.908:
	global_load_dwordx2 v[3:4], v[1:2], off
	s_movk_i32 s10, 0xffe0
	s_waitcnt vmcnt(0)
	v_trunc_f64_e32 v[3:4], v[3:4]
	v_ldexp_f64 v[5:6], v[3:4], s10
	s_mov_b32 s10, 0
	s_mov_b32 s11, 0xc1f00000
	v_floor_f64_e32 v[5:6], v[5:6]
	v_fma_f64 v[3:4], v[5:6], s[10:11], v[3:4]
	v_cvt_i32_f64_e32 v6, v[5:6]
	s_mov_b64 s[10:11], 0
	v_cvt_u32_f64_e32 v5, v[3:4]
	s_branch .LBB79_913
.LBB79_909:
                                        ; implicit-def: $vgpr5_vgpr6
	s_branch .LBB79_930
.LBB79_910:
                                        ; implicit-def: $vgpr5_vgpr6
	s_branch .LBB79_919
.LBB79_911:
	s_mov_b64 s[10:11], -1
                                        ; implicit-def: $vgpr5_vgpr6
	s_branch .LBB79_916
.LBB79_912:
	s_mov_b64 s[10:11], -1
                                        ; implicit-def: $vgpr5_vgpr6
.LBB79_913:
	s_andn2_b64 vcc, exec, s[10:11]
	s_cbranch_vccnz .LBB79_915
; %bb.914:
	global_load_dword v3, v[1:2], off
	s_mov_b32 s10, 0x2f800000
	s_mov_b32 s11, 0xcf800000
	s_waitcnt vmcnt(0)
	v_trunc_f32_e32 v3, v3
	v_mul_f32_e64 v4, |v3|, s10
	v_floor_f32_e32 v4, v4
	v_cvt_u32_f32_e32 v5, v4
	v_fma_f32 v4, v4, s11, |v3|
	v_cvt_u32_f32_e32 v4, v4
	v_ashrrev_i32_e32 v3, 31, v3
	v_xor_b32_e32 v6, v5, v3
	v_xor_b32_e32 v4, v4, v3
	v_sub_co_u32_e32 v5, vcc, v4, v3
	v_subb_co_u32_e32 v6, vcc, v6, v3, vcc
.LBB79_915:
	s_mov_b64 s[10:11], 0
.LBB79_916:
	s_andn2_b64 vcc, exec, s[10:11]
	s_cbranch_vccnz .LBB79_918
; %bb.917:
	global_load_dword v3, v[1:2], off
	s_waitcnt vmcnt(0)
	v_cvt_f32_f16_e32 v3, v3
	v_cvt_i32_f32_e32 v5, v3
	v_ashrrev_i32_e32 v6, 31, v5
.LBB79_918:
	s_cbranch_execnz .LBB79_929
.LBB79_919:
	s_sext_i32_i16 s10, s76
	s_cmp_lt_i32 s10, 6
	s_cbranch_scc1 .LBB79_922
; %bb.920:
	s_cmp_gt_i32 s10, 6
	s_cbranch_scc0 .LBB79_923
; %bb.921:
	global_load_dwordx2 v[3:4], v[1:2], off
	s_movk_i32 s10, 0xffe0
	s_waitcnt vmcnt(0)
	v_trunc_f64_e32 v[3:4], v[3:4]
	v_ldexp_f64 v[5:6], v[3:4], s10
	s_mov_b32 s10, 0
	s_mov_b32 s11, 0xc1f00000
	v_floor_f64_e32 v[5:6], v[5:6]
	v_fma_f64 v[3:4], v[5:6], s[10:11], v[3:4]
	v_cvt_i32_f64_e32 v6, v[5:6]
	s_mov_b64 s[10:11], 0
	v_cvt_u32_f64_e32 v5, v[3:4]
	s_branch .LBB79_924
.LBB79_922:
	s_mov_b64 s[10:11], -1
                                        ; implicit-def: $vgpr5_vgpr6
	s_branch .LBB79_927
.LBB79_923:
	s_mov_b64 s[10:11], -1
                                        ; implicit-def: $vgpr5_vgpr6
.LBB79_924:
	s_andn2_b64 vcc, exec, s[10:11]
	s_cbranch_vccnz .LBB79_926
; %bb.925:
	global_load_dword v3, v[1:2], off
	s_mov_b32 s10, 0x2f800000
	s_mov_b32 s11, 0xcf800000
	s_waitcnt vmcnt(0)
	v_trunc_f32_e32 v3, v3
	v_mul_f32_e64 v4, |v3|, s10
	v_floor_f32_e32 v4, v4
	v_cvt_u32_f32_e32 v5, v4
	v_fma_f32 v4, v4, s11, |v3|
	v_cvt_u32_f32_e32 v4, v4
	v_ashrrev_i32_e32 v3, 31, v3
	v_xor_b32_e32 v6, v5, v3
	v_xor_b32_e32 v4, v4, v3
	v_sub_co_u32_e32 v5, vcc, v4, v3
	v_subb_co_u32_e32 v6, vcc, v6, v3, vcc
.LBB79_926:
	s_mov_b64 s[10:11], 0
.LBB79_927:
	s_andn2_b64 vcc, exec, s[10:11]
	s_cbranch_vccnz .LBB79_929
; %bb.928:
	global_load_ushort v3, v[1:2], off
	s_waitcnt vmcnt(0)
	v_cvt_f32_f16_e32 v3, v3
	v_cvt_i32_f32_e32 v5, v3
	v_ashrrev_i32_e32 v6, 31, v5
.LBB79_929:
	s_cbranch_execnz .LBB79_948
.LBB79_930:
	s_sext_i32_i16 s10, s76
	s_cmp_lt_i32 s10, 2
	s_cbranch_scc1 .LBB79_934
; %bb.931:
	s_cmp_lt_i32 s10, 3
	s_cbranch_scc1 .LBB79_935
; %bb.932:
	s_cmp_gt_i32 s10, 3
	s_cbranch_scc0 .LBB79_936
; %bb.933:
	global_load_dwordx2 v[5:6], v[1:2], off
	s_mov_b64 s[10:11], 0
	s_branch .LBB79_937
.LBB79_934:
                                        ; implicit-def: $vgpr5_vgpr6
	s_branch .LBB79_943
.LBB79_935:
	s_mov_b64 s[10:11], -1
                                        ; implicit-def: $vgpr5_vgpr6
	s_branch .LBB79_940
.LBB79_936:
	s_mov_b64 s[10:11], -1
                                        ; implicit-def: $vgpr5_vgpr6
.LBB79_937:
	s_andn2_b64 vcc, exec, s[10:11]
	s_cbranch_vccnz .LBB79_939
; %bb.938:
	global_load_dword v5, v[1:2], off
	s_waitcnt vmcnt(0)
	v_ashrrev_i32_e32 v6, 31, v5
.LBB79_939:
	s_mov_b64 s[10:11], 0
.LBB79_940:
	s_andn2_b64 vcc, exec, s[10:11]
	s_cbranch_vccnz .LBB79_942
; %bb.941:
	global_load_ushort v3, v[1:2], off
	s_waitcnt vmcnt(0)
	v_bfe_i32 v5, v3, 0, 16
	v_ashrrev_i32_e32 v6, 31, v5
.LBB79_942:
	s_cbranch_execnz .LBB79_948
.LBB79_943:
	s_sext_i32_i16 s10, s76
	s_cmp_gt_i32 s10, 0
	s_cbranch_scc0 .LBB79_945
; %bb.944:
	global_load_sbyte v3, v[1:2], off
	s_mov_b64 s[10:11], 0
	s_waitcnt vmcnt(0)
	v_bfe_i32 v5, v3, 0, 16
	v_ashrrev_i32_e32 v6, 31, v5
	s_branch .LBB79_946
.LBB79_945:
	s_mov_b64 s[10:11], -1
                                        ; implicit-def: $vgpr5_vgpr6
.LBB79_946:
	s_andn2_b64 vcc, exec, s[10:11]
	s_cbranch_vccnz .LBB79_948
; %bb.947:
	global_load_ubyte v1, v[1:2], off
	s_mov_b32 s10, 0
	s_waitcnt vmcnt(1)
	v_mov_b32_e32 v6, s10
	s_waitcnt vmcnt(0)
	v_and_b32_e32 v5, 0xffff, v1
.LBB79_948:
	s_or_b64 s[0:1], s[0:1], exec
.LBB79_949:
	s_or_b64 exec, exec, s[8:9]
	s_mov_b64 s[12:13], 0
	s_mov_b64 s[10:11], 0
                                        ; implicit-def: $sgpr18
                                        ; implicit-def: $vgpr3_vgpr4
                                        ; implicit-def: $vgpr1_vgpr2
	s_and_saveexec_b64 s[8:9], s[0:1]
	s_cbranch_execz .LBB79_957
; %bb.950:
	s_waitcnt vmcnt(0)
	v_lshlrev_b64 v[1:2], v5, s[44:45]
	v_cmp_gt_u64_e32 vcc, 64, v[5:6]
	v_mov_b32_e32 v4, s25
	v_cndmask_b32_e32 v2, 0, v2, vcc
	v_cndmask_b32_e32 v1, 0, v1, vcc
	s_and_b32 s18, s75, 0xff
	v_add_co_u32_e32 v3, vcc, s24, v0
	s_cmp_lt_i32 s18, 11
	v_addc_co_u32_e32 v4, vcc, 0, v4, vcc
	s_cbranch_scc1 .LBB79_960
; %bb.951:
	s_and_b32 s19, 0xffff, s18
	s_mov_b64 s[12:13], -1
	s_cmp_gt_i32 s19, 25
	s_mov_b64 s[0:1], s[54:55]
	s_cbranch_scc0 .LBB79_988
; %bb.952:
	s_mov_b64 s[10:11], -1
	s_cmp_gt_i32 s19, 28
	s_mov_b64 s[0:1], s[54:55]
	s_cbranch_scc0 .LBB79_972
; %bb.953:
	s_cmp_gt_i32 s19, 43
	s_mov_b64 s[0:1], s[54:55]
	s_cbranch_scc0 .LBB79_968
; %bb.954:
	;; [unrolled: 4-line block ×3, first 2 shown]
	s_cmp_eq_u32 s19, 46
	s_mov_b64 s[0:1], -1
	s_cbranch_scc0 .LBB79_961
; %bb.956:
	v_xor_b32_e32 v5, v1, v2
	v_ffbh_i32_e32 v0, v2
	v_ashrrev_i32_e32 v5, 31, v5
	v_add_u32_e32 v0, -1, v0
	v_add_u32_e32 v5, 32, v5
	v_min_u32_e32 v0, v0, v5
	v_lshlrev_b64 v[5:6], v0, v[1:2]
	v_sub_u32_e32 v0, 32, v0
	v_min_u32_e32 v5, 1, v5
	v_or_b32_e32 v5, v6, v5
	v_cvt_f32_i32_e32 v5, v5
	s_movk_i32 s0, 0x7fff
	s_mov_b64 s[10:11], 0
	v_ldexp_f32 v0, v5, v0
	v_bfe_u32 v5, v0, 16, 1
	v_add3_u32 v0, v0, v5, s0
	v_lshrrev_b32_e32 v0, 16, v0
	global_store_dword v[3:4], v0, off
	s_mov_b64 s[0:1], 0
	s_branch .LBB79_962
.LBB79_957:
	s_or_b64 exec, exec, s[8:9]
	s_and_saveexec_b64 s[0:1], s[54:55]
	s_cbranch_execnz .LBB79_1030
.LBB79_958:
	s_or_b64 exec, exec, s[0:1]
	s_and_saveexec_b64 s[0:1], s[12:13]
	s_xor_b64 s[0:1], exec, s[0:1]
	s_cbranch_execz .LBB79_1031
.LBB79_959:
	v_cmp_ne_u64_e32 vcc, 0, v[1:2]
	v_cndmask_b32_e64 v0, 0, 1, vcc
	s_waitcnt vmcnt(0)
	global_store_byte v[3:4], v0, off
	s_or_b64 exec, exec, s[0:1]
	s_and_saveexec_b64 s[0:1], s[10:11]
	s_xor_b64 s[0:1], exec, s[0:1]
	s_cbranch_execz .LBB79_1069
	s_branch .LBB79_1032
.LBB79_960:
	s_mov_b64 s[10:11], -1
	s_mov_b64 s[0:1], s[54:55]
	s_branch .LBB79_1029
.LBB79_961:
	s_mov_b64 s[10:11], 0
.LBB79_962:
	s_and_b64 vcc, exec, s[10:11]
	s_cbranch_vccz .LBB79_967
; %bb.963:
	s_cmp_eq_u32 s19, 44
	s_mov_b64 s[0:1], -1
	s_cbranch_scc0 .LBB79_967
; %bb.964:
	v_xor_b32_e32 v5, v1, v2
	v_ffbh_i32_e32 v0, v2
	v_ashrrev_i32_e32 v5, 31, v5
	v_add_u32_e32 v0, -1, v0
	v_add_u32_e32 v5, 32, v5
	v_min_u32_e32 v0, v0, v5
	v_lshlrev_b64 v[5:6], v0, v[1:2]
	v_sub_u32_e32 v0, 32, v0
	v_min_u32_e32 v5, 1, v5
	v_or_b32_e32 v5, v6, v5
	v_cvt_f32_i32_e32 v5, v5
	s_movk_i32 s0, 0xff
	v_mov_b32_e32 v6, 0xff
	v_ldexp_f32 v0, v5, v0
	v_bfe_u32 v5, v0, 23, 8
	v_cmp_ne_u32_e32 vcc, s0, v5
	s_and_saveexec_b64 s[10:11], vcc
; %bb.965:
	s_mov_b32 s0, 0x3fffff
	v_lshrrev_b32_e32 v6, 23, v0
	v_and_b32_e32 v7, 0x400000, v0
	v_and_or_b32 v0, v0, s0, v5
	v_cmp_ne_u32_e32 vcc, 0, v7
	v_cmp_ne_u32_e64 s[0:1], 0, v0
	s_and_b64 s[0:1], vcc, s[0:1]
	v_cndmask_b32_e64 v0, 0, 1, s[0:1]
	v_add_u32_e32 v6, v6, v0
; %bb.966:
	s_or_b64 exec, exec, s[10:11]
	s_mov_b64 s[0:1], 0
	global_store_byte v[3:4], v6, off
.LBB79_967:
	s_mov_b64 s[10:11], 0
.LBB79_968:
	s_and_b64 vcc, exec, s[10:11]
	s_cbranch_vccz .LBB79_971
; %bb.969:
	s_cmp_eq_u32 s19, 29
	s_mov_b64 s[0:1], -1
	s_cbranch_scc0 .LBB79_971
; %bb.970:
	global_store_dwordx2 v[3:4], v[1:2], off
	s_mov_b64 s[0:1], 0
.LBB79_971:
	s_mov_b64 s[10:11], 0
.LBB79_972:
	s_and_b64 vcc, exec, s[10:11]
	s_cbranch_vccz .LBB79_987
; %bb.973:
	s_cmp_lt_i32 s19, 27
	s_mov_b64 s[10:11], -1
	s_cbranch_scc1 .LBB79_979
; %bb.974:
	s_cmp_gt_i32 s19, 27
	s_cbranch_scc0 .LBB79_976
; %bb.975:
	s_mov_b64 s[10:11], 0
	global_store_dword v[3:4], v1, off
.LBB79_976:
	s_andn2_b64 vcc, exec, s[10:11]
	s_cbranch_vccnz .LBB79_978
; %bb.977:
	global_store_short v[3:4], v1, off
.LBB79_978:
	s_mov_b64 s[10:11], 0
.LBB79_979:
	s_andn2_b64 vcc, exec, s[10:11]
	s_cbranch_vccnz .LBB79_987
; %bb.980:
	v_xor_b32_e32 v5, v1, v2
	v_ffbh_i32_e32 v0, v2
	v_ashrrev_i32_e32 v5, 31, v5
	v_add_u32_e32 v0, -1, v0
	v_add_u32_e32 v5, 32, v5
	v_min_u32_e32 v0, v0, v5
	v_lshlrev_b64 v[5:6], v0, v[1:2]
	v_sub_u32_e32 v0, 32, v0
	v_min_u32_e32 v5, 1, v5
	v_or_b32_e32 v5, v6, v5
	v_cvt_f32_i32_e32 v5, v5
	s_mov_b32 s10, 0x43800000
	v_mov_b32_e32 v6, 0x80
	v_ldexp_f32 v0, v5, v0
	v_and_b32_e32 v5, 0x7fffffff, v0
	v_cmp_gt_u32_e32 vcc, s10, v5
	s_and_saveexec_b64 s[10:11], vcc
	s_cbranch_execz .LBB79_986
; %bb.981:
	s_mov_b32 s12, 0x3bffffff
	v_cmp_lt_u32_e32 vcc, s12, v5
	s_mov_b64 s[12:13], 0
                                        ; implicit-def: $vgpr5
	s_and_saveexec_b64 s[14:15], vcc
	s_xor_b64 s[14:15], exec, s[14:15]
	s_cbranch_execz .LBB79_1140
; %bb.982:
	v_bfe_u32 v5, v0, 20, 1
	s_mov_b32 s16, 0x487ffff
	v_add3_u32 v5, v0, v5, s16
	s_mov_b64 s[12:13], exec
	v_lshrrev_b32_e32 v5, 20, v5
	s_andn2_saveexec_b64 s[14:15], s[14:15]
	s_cbranch_execnz .LBB79_1141
.LBB79_983:
	s_or_b64 exec, exec, s[14:15]
	v_mov_b32_e32 v6, 0
	s_and_saveexec_b64 s[14:15], s[12:13]
.LBB79_984:
	v_lshrrev_b32_e32 v0, 24, v0
	s_movk_i32 s12, 0x80
	v_and_or_b32 v6, v0, s12, v5
.LBB79_985:
	s_or_b64 exec, exec, s[14:15]
.LBB79_986:
	s_or_b64 exec, exec, s[10:11]
	global_store_byte v[3:4], v6, off
.LBB79_987:
	s_mov_b64 s[12:13], 0
.LBB79_988:
	s_mov_b64 s[10:11], 0
	s_and_b64 vcc, exec, s[12:13]
	s_cbranch_vccz .LBB79_1028
; %bb.989:
	s_cmp_gt_i32 s19, 22
	s_mov_b64 s[12:13], -1
	s_cbranch_scc0 .LBB79_1021
; %bb.990:
	s_cmp_lt_i32 s19, 24
	s_cbranch_scc1 .LBB79_1010
; %bb.991:
	s_cmp_gt_i32 s19, 24
	s_cbranch_scc0 .LBB79_999
; %bb.992:
	v_xor_b32_e32 v5, v1, v2
	v_ffbh_i32_e32 v0, v2
	v_ashrrev_i32_e32 v5, 31, v5
	v_add_u32_e32 v0, -1, v0
	v_add_u32_e32 v5, 32, v5
	v_min_u32_e32 v0, v0, v5
	v_lshlrev_b64 v[5:6], v0, v[1:2]
	v_sub_u32_e32 v0, 32, v0
	v_min_u32_e32 v5, 1, v5
	v_or_b32_e32 v5, v6, v5
	v_cvt_f32_i32_e32 v5, v5
	s_mov_b32 s12, 0x47800000
	v_mov_b32_e32 v6, 0x80
	v_ldexp_f32 v0, v5, v0
	v_and_b32_e32 v5, 0x7fffffff, v0
	v_cmp_gt_u32_e32 vcc, s12, v5
	s_and_saveexec_b64 s[12:13], vcc
	s_cbranch_execz .LBB79_998
; %bb.993:
	s_mov_b32 s14, 0x37ffffff
	v_cmp_lt_u32_e32 vcc, s14, v5
	s_mov_b64 s[14:15], 0
                                        ; implicit-def: $vgpr5
	s_and_saveexec_b64 s[16:17], vcc
	s_xor_b64 s[16:17], exec, s[16:17]
	s_cbranch_execz .LBB79_1260
; %bb.994:
	v_bfe_u32 v5, v0, 21, 1
	s_mov_b32 s20, 0x88fffff
	v_add3_u32 v5, v0, v5, s20
	s_mov_b64 s[14:15], exec
	v_lshrrev_b32_e32 v5, 21, v5
	s_andn2_saveexec_b64 s[16:17], s[16:17]
	s_cbranch_execnz .LBB79_1261
.LBB79_995:
	s_or_b64 exec, exec, s[16:17]
	v_mov_b32_e32 v6, 0
	s_and_saveexec_b64 s[16:17], s[14:15]
.LBB79_996:
	v_lshrrev_b32_e32 v0, 24, v0
	s_movk_i32 s14, 0x80
	v_and_or_b32 v6, v0, s14, v5
.LBB79_997:
	s_or_b64 exec, exec, s[16:17]
.LBB79_998:
	s_or_b64 exec, exec, s[12:13]
	s_mov_b64 s[12:13], 0
	global_store_byte v[3:4], v6, off
.LBB79_999:
	s_and_b64 vcc, exec, s[12:13]
	s_cbranch_vccz .LBB79_1009
; %bb.1000:
	v_xor_b32_e32 v5, v1, v2
	v_ffbh_i32_e32 v0, v2
	v_ashrrev_i32_e32 v5, 31, v5
	v_add_u32_e32 v0, -1, v0
	v_add_u32_e32 v5, 32, v5
	v_min_u32_e32 v0, v0, v5
	v_lshlrev_b64 v[5:6], v0, v[1:2]
	v_sub_u32_e32 v0, 32, v0
	v_min_u32_e32 v5, 1, v5
	v_or_b32_e32 v5, v6, v5
	v_cvt_f32_i32_e32 v5, v5
	s_mov_b32 s12, 0x43f00000
	v_ldexp_f32 v0, v5, v0
	v_and_b32_e32 v6, 0x7fffffff, v0
	v_cmp_gt_u32_e32 vcc, s12, v6
                                        ; implicit-def: $vgpr5
	s_and_saveexec_b64 s[12:13], vcc
	s_xor_b64 s[12:13], exec, s[12:13]
	s_cbranch_execz .LBB79_1006
; %bb.1001:
	s_mov_b32 s14, 0x3c7fffff
	v_cmp_lt_u32_e32 vcc, s14, v6
                                        ; implicit-def: $vgpr5
	s_and_saveexec_b64 s[14:15], vcc
	s_xor_b64 s[14:15], exec, s[14:15]
; %bb.1002:
	v_bfe_u32 v5, v0, 20, 1
	s_mov_b32 s16, 0x407ffff
	v_add3_u32 v5, v0, v5, s16
	v_lshrrev_b32_e32 v6, 20, v5
	v_and_b32_e32 v5, 0xff00000, v5
	s_mov_b32 s16, 0x7f00000
	v_mov_b32_e32 v7, 0x7e
	v_cmp_ne_u32_e32 vcc, s16, v5
	v_cndmask_b32_e32 v5, v7, v6, vcc
; %bb.1003:
	s_andn2_saveexec_b64 s[14:15], s[14:15]
; %bb.1004:
	s_mov_b32 s16, 0x46800000
	v_add_f32_e64 v5, |v0|, s16
; %bb.1005:
	s_or_b64 exec, exec, s[14:15]
                                        ; implicit-def: $vgpr6
.LBB79_1006:
	s_andn2_saveexec_b64 s[12:13], s[12:13]
; %bb.1007:
	s_mov_b32 s14, 0x7f800000
	v_mov_b32_e32 v5, 0x7e
	v_mov_b32_e32 v7, 0x7f
	v_cmp_lt_u32_e32 vcc, s14, v6
	v_cndmask_b32_e32 v5, v5, v7, vcc
; %bb.1008:
	s_or_b64 exec, exec, s[12:13]
	v_lshrrev_b32_e32 v0, 24, v0
	s_movk_i32 s12, 0x80
	v_and_or_b32 v0, v0, s12, v5
	global_store_byte v[3:4], v0, off
.LBB79_1009:
	s_mov_b64 s[12:13], 0
.LBB79_1010:
	s_andn2_b64 vcc, exec, s[12:13]
	s_cbranch_vccnz .LBB79_1020
; %bb.1011:
	v_xor_b32_e32 v5, v1, v2
	v_ffbh_i32_e32 v0, v2
	v_ashrrev_i32_e32 v5, 31, v5
	v_add_u32_e32 v0, -1, v0
	v_add_u32_e32 v5, 32, v5
	v_min_u32_e32 v0, v0, v5
	v_lshlrev_b64 v[5:6], v0, v[1:2]
	v_sub_u32_e32 v0, 32, v0
	v_min_u32_e32 v5, 1, v5
	v_or_b32_e32 v5, v6, v5
	v_cvt_f32_i32_e32 v5, v5
	s_mov_b32 s12, 0x47800000
	v_ldexp_f32 v0, v5, v0
	v_and_b32_e32 v6, 0x7fffffff, v0
	v_cmp_gt_u32_e32 vcc, s12, v6
                                        ; implicit-def: $vgpr5
	s_and_saveexec_b64 s[12:13], vcc
	s_xor_b64 s[12:13], exec, s[12:13]
	s_cbranch_execz .LBB79_1017
; %bb.1012:
	s_mov_b32 s14, 0x387fffff
	v_cmp_lt_u32_e32 vcc, s14, v6
                                        ; implicit-def: $vgpr5
	s_and_saveexec_b64 s[14:15], vcc
	s_xor_b64 s[14:15], exec, s[14:15]
; %bb.1013:
	v_bfe_u32 v5, v0, 21, 1
	s_mov_b32 s16, 0x80fffff
	v_add3_u32 v5, v0, v5, s16
	v_lshrrev_b32_e32 v5, 21, v5
; %bb.1014:
	s_andn2_saveexec_b64 s[14:15], s[14:15]
; %bb.1015:
	s_mov_b32 s16, 0x43000000
	v_add_f32_e64 v5, |v0|, s16
; %bb.1016:
	s_or_b64 exec, exec, s[14:15]
                                        ; implicit-def: $vgpr6
.LBB79_1017:
	s_andn2_saveexec_b64 s[12:13], s[12:13]
; %bb.1018:
	s_mov_b32 s14, 0x7f800000
	v_mov_b32_e32 v5, 0x7c
	v_mov_b32_e32 v7, 0x7f
	v_cmp_lt_u32_e32 vcc, s14, v6
	v_cndmask_b32_e32 v5, v5, v7, vcc
; %bb.1019:
	s_or_b64 exec, exec, s[12:13]
	v_lshrrev_b32_e32 v0, 24, v0
	s_movk_i32 s12, 0x80
	v_and_or_b32 v0, v0, s12, v5
	global_store_byte v[3:4], v0, off
.LBB79_1020:
	s_mov_b64 s[12:13], 0
.LBB79_1021:
	s_andn2_b64 vcc, exec, s[12:13]
	s_mov_b64 s[12:13], 0
	s_cbranch_vccnz .LBB79_1029
; %bb.1022:
	s_cmp_gt_i32 s19, 14
	s_mov_b64 s[14:15], -1
	s_cbranch_scc0 .LBB79_1026
; %bb.1023:
	s_cmp_eq_u32 s19, 15
	s_mov_b64 s[0:1], -1
	s_cbranch_scc0 .LBB79_1025
; %bb.1024:
	v_xor_b32_e32 v5, v1, v2
	v_ffbh_i32_e32 v0, v2
	v_ashrrev_i32_e32 v5, 31, v5
	v_add_u32_e32 v0, -1, v0
	v_add_u32_e32 v5, 32, v5
	v_min_u32_e32 v0, v0, v5
	v_lshlrev_b64 v[5:6], v0, v[1:2]
	v_sub_u32_e32 v0, 32, v0
	v_min_u32_e32 v5, 1, v5
	v_or_b32_e32 v5, v6, v5
	v_cvt_f32_i32_e32 v5, v5
	s_movk_i32 s0, 0x7fff
	v_ldexp_f32 v0, v5, v0
	v_bfe_u32 v5, v0, 16, 1
	v_add3_u32 v0, v0, v5, s0
	global_store_short_d16_hi v[3:4], v0, off
	s_mov_b64 s[0:1], 0
.LBB79_1025:
	s_mov_b64 s[14:15], 0
.LBB79_1026:
	s_and_b64 vcc, exec, s[14:15]
	s_cbranch_vccz .LBB79_1029
; %bb.1027:
	s_cmp_lg_u32 s19, 11
	s_cselect_b64 s[14:15], -1, 0
	s_andn2_b64 s[0:1], s[0:1], exec
	s_and_b64 s[14:15], s[14:15], exec
	s_mov_b64 s[12:13], -1
	s_or_b64 s[0:1], s[0:1], s[14:15]
	s_branch .LBB79_1029
.LBB79_1028:
	s_mov_b64 s[12:13], 0
.LBB79_1029:
	s_andn2_b64 s[14:15], s[54:55], exec
	s_and_b64 s[0:1], s[0:1], exec
	s_and_b64 s[10:11], s[10:11], exec
	;; [unrolled: 1-line block ×3, first 2 shown]
	s_or_b64 s[54:55], s[14:15], s[0:1]
	s_or_b64 exec, exec, s[8:9]
	s_and_saveexec_b64 s[0:1], s[54:55]
	s_cbranch_execz .LBB79_958
.LBB79_1030:
	s_or_b64 s[2:3], s[2:3], exec
	s_andn2_b64 s[12:13], s[12:13], exec
	s_trap 2
	s_or_b64 exec, exec, s[0:1]
	s_and_saveexec_b64 s[0:1], s[12:13]
	s_xor_b64 s[0:1], exec, s[0:1]
	s_cbranch_execnz .LBB79_959
.LBB79_1031:
	s_or_b64 exec, exec, s[0:1]
	s_and_saveexec_b64 s[0:1], s[10:11]
	s_xor_b64 s[0:1], exec, s[0:1]
	s_cbranch_execz .LBB79_1069
.LBB79_1032:
	s_sext_i32_i16 s10, s18
	s_cmp_lt_i32 s10, 5
	s_mov_b64 s[8:9], -1
	s_cbranch_scc1 .LBB79_1053
; %bb.1033:
	s_cmp_lt_i32 s10, 8
	s_cbranch_scc1 .LBB79_1043
; %bb.1034:
	s_cmp_lt_i32 s10, 9
	s_cbranch_scc1 .LBB79_1040
; %bb.1035:
	s_cmp_gt_i32 s10, 9
	s_cbranch_scc0 .LBB79_1037
; %bb.1036:
	s_waitcnt vmcnt(0)
	v_cvt_f64_i32_e32 v[5:6], v2
	v_cvt_f64_u32_e32 v[7:8], v1
	s_mov_b64 s[8:9], 0
	v_ldexp_f64 v[5:6], v[5:6], 32
	v_add_f64 v[5:6], v[5:6], v[7:8]
	v_mov_b32_e32 v7, 0
	v_mov_b32_e32 v8, v7
	global_store_dwordx4 v[3:4], v[5:8], off
.LBB79_1037:
	s_andn2_b64 vcc, exec, s[8:9]
	s_cbranch_vccnz .LBB79_1039
; %bb.1038:
	s_waitcnt vmcnt(0)
	v_xor_b32_e32 v5, v1, v2
	v_ffbh_i32_e32 v0, v2
	v_ashrrev_i32_e32 v5, 31, v5
	v_add_u32_e32 v0, -1, v0
	v_add_u32_e32 v5, 32, v5
	v_min_u32_e32 v0, v0, v5
	v_lshlrev_b64 v[5:6], v0, v[1:2]
	v_sub_u32_e32 v0, 32, v0
	v_min_u32_e32 v5, 1, v5
	v_or_b32_e32 v5, v6, v5
	v_cvt_f32_i32_e32 v5, v5
	v_mov_b32_e32 v6, 0
	v_ldexp_f32 v5, v5, v0
	global_store_dwordx2 v[3:4], v[5:6], off
.LBB79_1039:
	s_mov_b64 s[8:9], 0
.LBB79_1040:
	s_andn2_b64 vcc, exec, s[8:9]
	s_cbranch_vccnz .LBB79_1042
; %bb.1041:
	s_waitcnt vmcnt(0)
	v_xor_b32_e32 v5, v1, v2
	v_ffbh_i32_e32 v0, v2
	v_ashrrev_i32_e32 v5, 31, v5
	v_add_u32_e32 v0, -1, v0
	v_add_u32_e32 v5, 32, v5
	v_min_u32_e32 v0, v0, v5
	v_lshlrev_b64 v[5:6], v0, v[1:2]
	v_sub_u32_e32 v0, 32, v0
	v_min_u32_e32 v5, 1, v5
	v_or_b32_e32 v5, v6, v5
	v_cvt_f32_i32_e32 v5, v5
	v_ldexp_f32 v0, v5, v0
	v_cvt_f16_f32_e32 v0, v0
	global_store_dword v[3:4], v0, off
.LBB79_1042:
	s_mov_b64 s[8:9], 0
.LBB79_1043:
	s_andn2_b64 vcc, exec, s[8:9]
	s_cbranch_vccnz .LBB79_1052
; %bb.1044:
	s_sext_i32_i16 s10, s18
	s_cmp_lt_i32 s10, 6
	s_mov_b64 s[8:9], -1
	s_cbranch_scc1 .LBB79_1050
; %bb.1045:
	s_cmp_gt_i32 s10, 6
	s_cbranch_scc0 .LBB79_1047
; %bb.1046:
	s_waitcnt vmcnt(0)
	v_cvt_f64_i32_e32 v[5:6], v2
	v_cvt_f64_u32_e32 v[7:8], v1
	s_mov_b64 s[8:9], 0
	v_ldexp_f64 v[5:6], v[5:6], 32
	v_add_f64 v[5:6], v[5:6], v[7:8]
	global_store_dwordx2 v[3:4], v[5:6], off
.LBB79_1047:
	s_andn2_b64 vcc, exec, s[8:9]
	s_cbranch_vccnz .LBB79_1049
; %bb.1048:
	s_waitcnt vmcnt(0)
	v_xor_b32_e32 v5, v1, v2
	v_ffbh_i32_e32 v0, v2
	v_ashrrev_i32_e32 v5, 31, v5
	v_add_u32_e32 v0, -1, v0
	v_add_u32_e32 v5, 32, v5
	v_min_u32_e32 v0, v0, v5
	v_lshlrev_b64 v[5:6], v0, v[1:2]
	v_sub_u32_e32 v0, 32, v0
	v_min_u32_e32 v5, 1, v5
	v_or_b32_e32 v5, v6, v5
	v_cvt_f32_i32_e32 v5, v5
	v_ldexp_f32 v0, v5, v0
	global_store_dword v[3:4], v0, off
.LBB79_1049:
	s_mov_b64 s[8:9], 0
.LBB79_1050:
	s_andn2_b64 vcc, exec, s[8:9]
	s_cbranch_vccnz .LBB79_1052
; %bb.1051:
	s_waitcnt vmcnt(0)
	v_xor_b32_e32 v5, v1, v2
	v_ffbh_i32_e32 v0, v2
	v_ashrrev_i32_e32 v5, 31, v5
	v_add_u32_e32 v0, -1, v0
	v_add_u32_e32 v5, 32, v5
	v_min_u32_e32 v0, v0, v5
	v_lshlrev_b64 v[5:6], v0, v[1:2]
	v_sub_u32_e32 v0, 32, v0
	v_min_u32_e32 v5, 1, v5
	v_or_b32_e32 v5, v6, v5
	v_cvt_f32_i32_e32 v5, v5
	v_ldexp_f32 v0, v5, v0
	v_cvt_f16_f32_e32 v0, v0
	global_store_short v[3:4], v0, off
.LBB79_1052:
	s_mov_b64 s[8:9], 0
.LBB79_1053:
	s_andn2_b64 vcc, exec, s[8:9]
	s_cbranch_vccnz .LBB79_1069
; %bb.1054:
	s_sext_i32_i16 s10, s18
	s_cmp_lt_i32 s10, 2
	s_mov_b64 s[8:9], -1
	s_cbranch_scc1 .LBB79_1064
; %bb.1055:
	s_cmp_lt_i32 s10, 3
	s_cbranch_scc1 .LBB79_1061
; %bb.1056:
	s_cmp_gt_i32 s10, 3
	s_cbranch_scc0 .LBB79_1058
; %bb.1057:
	s_mov_b64 s[8:9], 0
	s_waitcnt vmcnt(0)
	global_store_dwordx2 v[3:4], v[1:2], off
.LBB79_1058:
	s_andn2_b64 vcc, exec, s[8:9]
	s_cbranch_vccnz .LBB79_1060
; %bb.1059:
	s_waitcnt vmcnt(0)
	global_store_dword v[3:4], v1, off
.LBB79_1060:
	s_mov_b64 s[8:9], 0
.LBB79_1061:
	s_andn2_b64 vcc, exec, s[8:9]
	s_cbranch_vccnz .LBB79_1063
; %bb.1062:
	s_waitcnt vmcnt(0)
	global_store_short v[3:4], v1, off
.LBB79_1063:
	s_mov_b64 s[8:9], 0
.LBB79_1064:
	s_andn2_b64 vcc, exec, s[8:9]
	s_cbranch_vccnz .LBB79_1069
; %bb.1065:
	s_sext_i32_i16 s8, s18
	s_cmp_gt_i32 s8, 0
	s_mov_b64 s[8:9], -1
	s_cbranch_scc0 .LBB79_1067
; %bb.1066:
	s_mov_b64 s[8:9], 0
	s_waitcnt vmcnt(0)
	global_store_byte v[3:4], v1, off
.LBB79_1067:
	s_andn2_b64 vcc, exec, s[8:9]
	s_cbranch_vccnz .LBB79_1069
; %bb.1068:
	s_waitcnt vmcnt(0)
	global_store_byte v[3:4], v1, off
.LBB79_1069:
	s_or_b64 exec, exec, s[0:1]
	s_and_b64 s[28:29], s[2:3], exec
                                        ; implicit-def: $vgpr15
                                        ; implicit-def: $vgpr11
.LBB79_1070:
	s_or_saveexec_b64 s[30:31], s[42:43]
	s_mov_b64 s[0:1], 0
                                        ; implicit-def: $vgpr0_vgpr1
                                        ; implicit-def: $sgpr16
                                        ; implicit-def: $vgpr2_vgpr3
	s_xor_b64 exec, exec, s[30:31]
	s_cbranch_execz .LBB79_2057
; %bb.1071:
	v_cndmask_b32_e64 v0, 0, 1, s[40:41]
	v_cmp_ne_u32_e64 s[0:1], 1, v0
	s_andn2_b64 vcc, exec, s[40:41]
	s_cbranch_vccnz .LBB79_1077
; %bb.1072:
	s_cmp_lg_u32 s33, 0
	s_mov_b32 s36, 0
	s_cbranch_scc0 .LBB79_1078
; %bb.1073:
	s_min_u32 s37, s74, 15
	s_add_i32 s37, s37, 1
	s_cmp_eq_u32 s74, 2
	s_cbranch_scc1 .LBB79_1079
; %bb.1074:
	s_and_b32 s36, s37, 28
	s_add_u32 s2, s34, 0xc4
	s_addc_u32 s3, s35, 0
	v_mov_b32_e32 v8, 0
	s_mov_b32 s38, 0
	s_mov_b64 s[6:7], s[34:35]
	s_waitcnt vmcnt(0)
	v_mov_b32_e32 v6, 0
	v_mov_b32_e32 v0, v11
.LBB79_1075:                            ; =>This Inner Loop Header: Depth=1
	s_load_dwordx8 s[16:23], s[6:7], 0x4
	s_load_dwordx4 s[24:27], s[6:7], 0x24
	s_load_dwordx8 s[8:15], s[2:3], 0x0
	s_add_u32 s6, s6, 48
	s_addc_u32 s7, s7, 0
	s_waitcnt lgkmcnt(0)
	v_mul_hi_u32 v1, s17, v0
	s_add_i32 s38, s38, 4
	s_add_u32 s2, s2, 32
	s_addc_u32 s3, s3, 0
	v_add_u32_e32 v1, v0, v1
	v_lshrrev_b32_e32 v1, s18, v1
	v_mul_lo_u32 v2, v1, s16
	v_mul_hi_u32 v3, s20, v1
	s_cmp_lg_u32 s36, s38
	v_sub_u32_e32 v0, v0, v2
	v_add_u32_e32 v2, v1, v3
	v_mul_lo_u32 v3, v0, s8
	v_mul_lo_u32 v4, v0, s9
	v_lshrrev_b32_e32 v0, s21, v2
	v_mul_lo_u32 v2, v0, s19
	v_mul_hi_u32 v5, s23, v0
	v_sub_u32_e32 v1, v1, v2
	v_add_u32_e32 v2, v0, v5
	v_lshrrev_b32_e32 v2, s24, v2
	v_mul_hi_u32 v7, s26, v2
	v_mul_lo_u32 v9, v2, s22
	v_mul_lo_u32 v5, v1, s10
	;; [unrolled: 1-line block ×3, first 2 shown]
	v_sub_u32_e32 v9, v0, v9
	v_add_u32_e32 v0, v2, v7
	v_lshrrev_b32_e32 v0, s27, v0
	v_mul_lo_u32 v7, v0, s25
	v_mul_lo_u32 v10, v9, s12
	;; [unrolled: 1-line block ×3, first 2 shown]
	v_add3_u32 v3, v3, v6, v5
	v_sub_u32_e32 v2, v2, v7
	v_mul_lo_u32 v7, v2, s14
	v_mul_lo_u32 v2, v2, s15
	v_add3_u32 v1, v4, v8, v1
	v_add3_u32 v6, v10, v3, v7
	;; [unrolled: 1-line block ×3, first 2 shown]
	s_cbranch_scc1 .LBB79_1075
; %bb.1076:
	s_and_b32 s8, s37, 3
	s_cmp_eq_u32 s8, 0
	s_cbranch_scc0 .LBB79_1080
	s_branch .LBB79_1082
.LBB79_1077:
                                        ; implicit-def: $vgpr6
                                        ; implicit-def: $vgpr8
	s_branch .LBB79_1083
.LBB79_1078:
	s_waitcnt vmcnt(0)
	v_mov_b32_e32 v6, 0
	v_mov_b32_e32 v8, 0
	s_branch .LBB79_1082
.LBB79_1079:
	s_waitcnt vmcnt(0)
	v_mov_b32_e32 v6, 0
	v_mov_b32_e32 v8, 0
	;; [unrolled: 1-line block ×3, first 2 shown]
	s_and_b32 s8, s37, 3
	s_cmp_eq_u32 s8, 0
	s_cbranch_scc1 .LBB79_1082
.LBB79_1080:
	s_lshl_b32 s2, s36, 3
	s_add_u32 s2, s34, s2
	s_addc_u32 s3, s35, 0
	s_add_u32 s2, s2, 0xc4
	s_addc_u32 s3, s3, 0
	s_mul_i32 s6, s36, 12
	s_add_u32 s6, s34, s6
	s_addc_u32 s7, s35, 0
.LBB79_1081:                            ; =>This Inner Loop Header: Depth=1
	s_load_dwordx2 s[10:11], s[6:7], 0x4
	s_load_dword s9, s[6:7], 0xc
	s_load_dwordx2 s[12:13], s[2:3], 0x0
	s_add_u32 s6, s6, 12
	s_addc_u32 s7, s7, 0
	s_waitcnt lgkmcnt(0)
	v_mul_hi_u32 v1, s11, v0
	s_add_u32 s2, s2, 8
	s_addc_u32 s3, s3, 0
	s_add_i32 s8, s8, -1
	v_add_u32_e32 v1, v0, v1
	v_lshrrev_b32_e32 v1, s9, v1
	v_mul_lo_u32 v2, v1, s10
	s_cmp_lg_u32 s8, 0
	v_sub_u32_e32 v0, v0, v2
	v_mad_u64_u32 v[6:7], s[10:11], v0, s12, v[6:7]
	v_mad_u64_u32 v[8:9], s[10:11], v0, s13, v[8:9]
	v_mov_b32_e32 v0, v1
	s_cbranch_scc1 .LBB79_1081
.LBB79_1082:
	s_cbranch_execnz .LBB79_1085
.LBB79_1083:
	s_load_dwordx4 s[8:11], s[34:35], 0x4
	s_load_dwordx2 s[2:3], s[34:35], 0xc4
	s_cmp_lt_u32 s33, 2
	s_waitcnt lgkmcnt(0)
	v_mul_hi_u32 v0, s9, v11
	v_add_u32_e32 v0, v11, v0
	v_lshrrev_b32_e32 v0, s10, v0
	v_mul_lo_u32 v1, v0, s8
	v_sub_u32_e32 v1, v11, v1
	s_waitcnt vmcnt(0)
	v_mul_lo_u32 v6, v1, s2
	v_mul_lo_u32 v8, v1, s3
	s_cbranch_scc1 .LBB79_1085
; %bb.1084:
	s_load_dwordx4 s[8:11], s[34:35], 0x10
	s_load_dwordx2 s[2:3], s[34:35], 0xcc
	s_waitcnt lgkmcnt(0)
	v_mul_hi_u32 v1, s9, v0
	v_add_u32_e32 v1, v0, v1
	v_lshrrev_b32_e32 v1, s10, v1
	v_mul_lo_u32 v1, v1, s8
	v_sub_u32_e32 v0, v0, v1
	v_mad_u64_u32 v[6:7], s[6:7], v0, s2, v[6:7]
	v_mad_u64_u32 v[8:9], s[2:3], v0, s3, v[8:9]
.LBB79_1085:
	s_and_b64 vcc, exec, s[0:1]
	v_add_u32_e32 v0, 0x80, v11
	s_cbranch_vccnz .LBB79_1091
; %bb.1086:
	s_cmp_lg_u32 s33, 0
	s_mov_b32 s36, 0
	s_cbranch_scc0 .LBB79_1092
; %bb.1087:
	s_min_u32 s37, s74, 15
	s_add_i32 s37, s37, 1
	s_cmp_eq_u32 s74, 2
	s_cbranch_scc1 .LBB79_1093
; %bb.1088:
	s_and_b32 s36, s37, 28
	s_add_u32 s2, s34, 0xc4
	s_addc_u32 s3, s35, 0
	v_mov_b32_e32 v9, 0
	s_mov_b32 s38, 0
	s_mov_b64 s[6:7], s[34:35]
	s_waitcnt vmcnt(0)
	v_mov_b32_e32 v4, 0
	v_mov_b32_e32 v1, v0
.LBB79_1089:                            ; =>This Inner Loop Header: Depth=1
	s_load_dwordx8 s[16:23], s[6:7], 0x4
	s_load_dwordx4 s[24:27], s[6:7], 0x24
	s_load_dwordx8 s[8:15], s[2:3], 0x0
	s_add_u32 s6, s6, 48
	s_addc_u32 s7, s7, 0
	s_waitcnt lgkmcnt(0)
	v_mul_hi_u32 v2, s17, v1
	s_add_i32 s38, s38, 4
	s_add_u32 s2, s2, 32
	s_addc_u32 s3, s3, 0
	v_add_u32_e32 v2, v1, v2
	v_lshrrev_b32_e32 v2, s18, v2
	v_mul_lo_u32 v3, v2, s16
	v_mul_hi_u32 v5, s20, v2
	s_cmp_lg_u32 s36, s38
	v_sub_u32_e32 v1, v1, v3
	v_add_u32_e32 v3, v2, v5
	v_mul_lo_u32 v5, v1, s8
	v_mul_lo_u32 v7, v1, s9
	v_lshrrev_b32_e32 v1, s21, v3
	v_mul_lo_u32 v3, v1, s19
	v_mul_hi_u32 v10, s23, v1
	v_sub_u32_e32 v2, v2, v3
	v_add_u32_e32 v3, v1, v10
	v_lshrrev_b32_e32 v3, s24, v3
	v_mul_hi_u32 v12, s26, v3
	v_mul_lo_u32 v13, v3, s22
	v_mul_lo_u32 v10, v2, s10
	;; [unrolled: 1-line block ×3, first 2 shown]
	v_sub_u32_e32 v13, v1, v13
	v_add_u32_e32 v1, v3, v12
	v_lshrrev_b32_e32 v1, s27, v1
	v_mul_lo_u32 v12, v1, s25
	v_mul_lo_u32 v14, v13, s12
	;; [unrolled: 1-line block ×3, first 2 shown]
	v_add3_u32 v4, v5, v4, v10
	v_sub_u32_e32 v3, v3, v12
	v_mul_lo_u32 v12, v3, s14
	v_mul_lo_u32 v3, v3, s15
	v_add3_u32 v2, v7, v9, v2
	v_add3_u32 v4, v14, v4, v12
	;; [unrolled: 1-line block ×3, first 2 shown]
	s_cbranch_scc1 .LBB79_1089
; %bb.1090:
	s_and_b32 s8, s37, 3
	s_cmp_eq_u32 s8, 0
	s_cbranch_scc0 .LBB79_1094
	s_branch .LBB79_1096
.LBB79_1091:
                                        ; implicit-def: $vgpr4
                                        ; implicit-def: $vgpr9
	s_branch .LBB79_1097
.LBB79_1092:
	s_waitcnt vmcnt(0)
	v_mov_b32_e32 v4, 0
	v_mov_b32_e32 v9, 0
	s_branch .LBB79_1096
.LBB79_1093:
	s_waitcnt vmcnt(0)
	v_mov_b32_e32 v4, 0
	v_mov_b32_e32 v9, 0
	;; [unrolled: 1-line block ×3, first 2 shown]
	s_and_b32 s8, s37, 3
	s_cmp_eq_u32 s8, 0
	s_cbranch_scc1 .LBB79_1096
.LBB79_1094:
	s_lshl_b32 s2, s36, 3
	s_add_u32 s2, s34, s2
	s_addc_u32 s3, s35, 0
	s_add_u32 s2, s2, 0xc4
	s_addc_u32 s3, s3, 0
	s_mul_i32 s6, s36, 12
	s_add_u32 s6, s34, s6
	s_addc_u32 s7, s35, 0
.LBB79_1095:                            ; =>This Inner Loop Header: Depth=1
	s_load_dwordx2 s[10:11], s[6:7], 0x4
	s_load_dword s9, s[6:7], 0xc
	s_load_dwordx2 s[12:13], s[2:3], 0x0
	s_add_u32 s6, s6, 12
	s_addc_u32 s7, s7, 0
	s_waitcnt lgkmcnt(0)
	v_mul_hi_u32 v2, s11, v1
	s_add_u32 s2, s2, 8
	s_addc_u32 s3, s3, 0
	s_add_i32 s8, s8, -1
	v_add_u32_e32 v2, v1, v2
	v_lshrrev_b32_e32 v2, s9, v2
	v_mul_lo_u32 v3, v2, s10
	s_cmp_lg_u32 s8, 0
	v_sub_u32_e32 v1, v1, v3
	v_mad_u64_u32 v[4:5], s[10:11], v1, s12, v[4:5]
	v_mad_u64_u32 v[9:10], s[10:11], v1, s13, v[9:10]
	v_mov_b32_e32 v1, v2
	s_cbranch_scc1 .LBB79_1095
.LBB79_1096:
	s_cbranch_execnz .LBB79_1099
.LBB79_1097:
	s_load_dwordx4 s[8:11], s[34:35], 0x4
	s_load_dwordx2 s[2:3], s[34:35], 0xc4
	s_cmp_lt_u32 s33, 2
	s_waitcnt lgkmcnt(0)
	v_mul_hi_u32 v1, s9, v0
	v_add_u32_e32 v1, v0, v1
	v_lshrrev_b32_e32 v1, s10, v1
	v_mul_lo_u32 v2, v1, s8
	v_sub_u32_e32 v0, v0, v2
	s_waitcnt vmcnt(0)
	v_mul_lo_u32 v4, v0, s2
	v_mul_lo_u32 v9, v0, s3
	s_cbranch_scc1 .LBB79_1099
; %bb.1098:
	s_load_dwordx4 s[8:11], s[34:35], 0x10
	s_load_dwordx2 s[2:3], s[34:35], 0xcc
	s_waitcnt lgkmcnt(0)
	v_mul_hi_u32 v0, s9, v1
	v_add_u32_e32 v0, v1, v0
	v_lshrrev_b32_e32 v0, s10, v0
	v_mul_lo_u32 v0, v0, s8
	v_sub_u32_e32 v0, v1, v0
	v_mad_u64_u32 v[4:5], s[6:7], v0, s2, v[4:5]
	v_mad_u64_u32 v[9:10], s[2:3], v0, s3, v[9:10]
.LBB79_1099:
	s_and_b64 vcc, exec, s[0:1]
	v_add_u32_e32 v0, 0x100, v11
	s_cbranch_vccnz .LBB79_1105
; %bb.1100:
	s_cmp_lg_u32 s33, 0
	s_mov_b32 s36, 0
	s_cbranch_scc0 .LBB79_1106
; %bb.1101:
	s_min_u32 s37, s74, 15
	s_add_i32 s37, s37, 1
	s_cmp_eq_u32 s74, 2
	s_cbranch_scc1 .LBB79_1107
; %bb.1102:
	s_and_b32 s36, s37, 28
	s_add_u32 s2, s34, 0xc4
	s_addc_u32 s3, s35, 0
	v_mov_b32_e32 v11, 0
	s_mov_b32 s38, 0
	s_mov_b64 s[6:7], s[34:35]
	v_mov_b32_e32 v2, 0
	v_mov_b32_e32 v1, v0
.LBB79_1103:                            ; =>This Inner Loop Header: Depth=1
	s_load_dwordx8 s[16:23], s[6:7], 0x4
	s_load_dwordx4 s[24:27], s[6:7], 0x24
	s_load_dwordx8 s[8:15], s[2:3], 0x0
	s_add_u32 s6, s6, 48
	s_addc_u32 s7, s7, 0
	s_waitcnt vmcnt(0) lgkmcnt(0)
	v_mul_hi_u32 v3, s17, v1
	s_add_i32 s38, s38, 4
	s_add_u32 s2, s2, 32
	s_addc_u32 s3, s3, 0
	v_add_u32_e32 v3, v1, v3
	v_lshrrev_b32_e32 v3, s18, v3
	v_mul_lo_u32 v5, v3, s16
	v_mul_hi_u32 v7, s20, v3
	s_cmp_lg_u32 s36, s38
	v_sub_u32_e32 v1, v1, v5
	v_add_u32_e32 v5, v3, v7
	v_mul_lo_u32 v7, v1, s8
	v_mul_lo_u32 v10, v1, s9
	v_lshrrev_b32_e32 v1, s21, v5
	v_mul_lo_u32 v5, v1, s19
	v_mul_hi_u32 v12, s23, v1
	v_sub_u32_e32 v3, v3, v5
	v_add_u32_e32 v5, v1, v12
	v_lshrrev_b32_e32 v5, s24, v5
	v_mul_hi_u32 v13, s26, v5
	v_mul_lo_u32 v14, v5, s22
	v_mul_lo_u32 v12, v3, s10
	;; [unrolled: 1-line block ×3, first 2 shown]
	v_sub_u32_e32 v14, v1, v14
	v_add_u32_e32 v1, v5, v13
	v_lshrrev_b32_e32 v1, s27, v1
	v_mul_lo_u32 v13, v1, s25
	v_mul_lo_u32 v16, v14, s12
	v_mul_lo_u32 v14, v14, s13
	v_add3_u32 v2, v7, v2, v12
	v_sub_u32_e32 v5, v5, v13
	v_mul_lo_u32 v13, v5, s14
	v_mul_lo_u32 v5, v5, s15
	v_add3_u32 v3, v10, v11, v3
	v_add3_u32 v2, v16, v2, v13
	;; [unrolled: 1-line block ×3, first 2 shown]
	s_cbranch_scc1 .LBB79_1103
; %bb.1104:
	s_and_b32 s8, s37, 3
	s_cmp_eq_u32 s8, 0
	s_cbranch_scc0 .LBB79_1108
	s_branch .LBB79_1110
.LBB79_1105:
                                        ; implicit-def: $vgpr2
                                        ; implicit-def: $vgpr11
	s_branch .LBB79_1111
.LBB79_1106:
	v_mov_b32_e32 v2, 0
	v_mov_b32_e32 v11, 0
	s_branch .LBB79_1110
.LBB79_1107:
	v_mov_b32_e32 v2, 0
	v_mov_b32_e32 v11, 0
	;; [unrolled: 1-line block ×3, first 2 shown]
	s_and_b32 s8, s37, 3
	s_cmp_eq_u32 s8, 0
	s_cbranch_scc1 .LBB79_1110
.LBB79_1108:
	s_lshl_b32 s2, s36, 3
	s_add_u32 s2, s34, s2
	s_addc_u32 s3, s35, 0
	s_add_u32 s2, s2, 0xc4
	s_addc_u32 s3, s3, 0
	s_mul_i32 s6, s36, 12
	s_add_u32 s6, s34, s6
	s_addc_u32 s7, s35, 0
.LBB79_1109:                            ; =>This Inner Loop Header: Depth=1
	s_load_dwordx2 s[10:11], s[6:7], 0x4
	s_load_dword s9, s[6:7], 0xc
	s_load_dwordx2 s[12:13], s[2:3], 0x0
	s_add_u32 s6, s6, 12
	s_addc_u32 s7, s7, 0
	s_waitcnt vmcnt(0) lgkmcnt(0)
	v_mul_hi_u32 v3, s11, v1
	s_add_u32 s2, s2, 8
	s_addc_u32 s3, s3, 0
	s_add_i32 s8, s8, -1
	v_add_u32_e32 v3, v1, v3
	v_lshrrev_b32_e32 v5, s9, v3
	v_mul_lo_u32 v3, v5, s10
	s_cmp_lg_u32 s8, 0
	v_sub_u32_e32 v1, v1, v3
	v_mad_u64_u32 v[2:3], s[10:11], v1, s12, v[2:3]
	v_mad_u64_u32 v[11:12], s[10:11], v1, s13, v[11:12]
	v_mov_b32_e32 v1, v5
	s_cbranch_scc1 .LBB79_1109
.LBB79_1110:
	s_cbranch_execnz .LBB79_1113
.LBB79_1111:
	s_load_dwordx4 s[8:11], s[34:35], 0x4
	s_load_dwordx2 s[2:3], s[34:35], 0xc4
	s_cmp_lt_u32 s33, 2
	s_waitcnt lgkmcnt(0)
	v_mul_hi_u32 v1, s9, v0
	v_add_u32_e32 v1, v0, v1
	v_lshrrev_b32_e32 v1, s10, v1
	v_mul_lo_u32 v2, v1, s8
	v_sub_u32_e32 v0, v0, v2
	v_mul_lo_u32 v2, v0, s2
	v_mul_lo_u32 v11, v0, s3
	s_cbranch_scc1 .LBB79_1113
; %bb.1112:
	s_load_dwordx4 s[8:11], s[34:35], 0x10
	s_load_dwordx2 s[2:3], s[34:35], 0xcc
	s_waitcnt lgkmcnt(0)
	v_mul_hi_u32 v0, s9, v1
	v_add_u32_e32 v0, v1, v0
	v_lshrrev_b32_e32 v0, s10, v0
	v_mul_lo_u32 v0, v0, s8
	v_sub_u32_e32 v0, v1, v0
	s_waitcnt vmcnt(0)
	v_mad_u64_u32 v[2:3], s[6:7], v0, s2, v[2:3]
	v_mad_u64_u32 v[11:12], s[2:3], v0, s3, v[11:12]
.LBB79_1113:
	s_and_b64 vcc, exec, s[0:1]
	s_cbranch_vccnz .LBB79_1119
; %bb.1114:
	s_cmp_lg_u32 s33, 0
	s_mov_b32 s26, 0
	s_cbranch_scc0 .LBB79_1120
; %bb.1115:
	s_min_u32 s27, s74, 15
	s_add_i32 s27, s27, 1
	s_cmp_eq_u32 s74, 2
	s_cbranch_scc1 .LBB79_1121
; %bb.1116:
	s_and_b32 s26, s27, 28
	s_add_u32 s6, s34, 0xc4
	s_addc_u32 s7, s35, 0
	v_mov_b32_e32 v13, 0
	s_mov_b32 s36, 0
	s_mov_b64 s[24:25], s[34:35]
	v_mov_b32_e32 v0, 0
	v_mov_b32_e32 v1, v15
.LBB79_1117:                            ; =>This Inner Loop Header: Depth=1
	s_load_dwordx8 s[16:23], s[24:25], 0x4
	s_load_dwordx4 s[0:3], s[24:25], 0x24
	s_load_dwordx8 s[8:15], s[6:7], 0x0
	s_add_u32 s24, s24, 48
	s_addc_u32 s25, s25, 0
	s_waitcnt vmcnt(0) lgkmcnt(0)
	v_mul_hi_u32 v3, s17, v1
	s_add_i32 s36, s36, 4
	s_add_u32 s6, s6, 32
	s_addc_u32 s7, s7, 0
	v_add_u32_e32 v3, v1, v3
	v_lshrrev_b32_e32 v3, s18, v3
	v_mul_lo_u32 v5, v3, s16
	v_mul_hi_u32 v7, s20, v3
	s_cmp_lg_u32 s26, s36
	v_sub_u32_e32 v1, v1, v5
	v_add_u32_e32 v5, v3, v7
	v_mul_lo_u32 v7, v1, s8
	v_mul_lo_u32 v10, v1, s9
	v_lshrrev_b32_e32 v1, s21, v5
	v_mul_lo_u32 v5, v1, s19
	v_mul_hi_u32 v12, s23, v1
	v_sub_u32_e32 v3, v3, v5
	v_add_u32_e32 v5, v1, v12
	v_lshrrev_b32_e32 v5, s0, v5
	v_mul_hi_u32 v14, s2, v5
	v_mul_lo_u32 v16, v5, s22
	v_mul_lo_u32 v12, v3, s10
	;; [unrolled: 1-line block ×3, first 2 shown]
	v_sub_u32_e32 v16, v1, v16
	v_add_u32_e32 v1, v5, v14
	v_lshrrev_b32_e32 v1, s3, v1
	v_mul_lo_u32 v14, v1, s1
	v_mul_lo_u32 v17, v16, s12
	;; [unrolled: 1-line block ×3, first 2 shown]
	v_add3_u32 v0, v7, v0, v12
	v_sub_u32_e32 v5, v5, v14
	v_mul_lo_u32 v14, v5, s14
	v_mul_lo_u32 v5, v5, s15
	v_add3_u32 v3, v10, v13, v3
	v_add3_u32 v0, v17, v0, v14
	;; [unrolled: 1-line block ×3, first 2 shown]
	s_cbranch_scc1 .LBB79_1117
; %bb.1118:
	s_and_b32 s6, s27, 3
	s_cmp_eq_u32 s6, 0
	s_cbranch_scc0 .LBB79_1122
	s_branch .LBB79_1124
.LBB79_1119:
                                        ; implicit-def: $vgpr0
                                        ; implicit-def: $vgpr13
	s_branch .LBB79_1125
.LBB79_1120:
	v_mov_b32_e32 v0, 0
	v_mov_b32_e32 v13, 0
	s_branch .LBB79_1124
.LBB79_1121:
	v_mov_b32_e32 v0, 0
	v_mov_b32_e32 v13, 0
	;; [unrolled: 1-line block ×3, first 2 shown]
	s_and_b32 s6, s27, 3
	s_cmp_eq_u32 s6, 0
	s_cbranch_scc1 .LBB79_1124
.LBB79_1122:
	s_lshl_b32 s0, s26, 3
	s_add_u32 s0, s34, s0
	s_addc_u32 s1, s35, 0
	s_add_u32 s0, s0, 0xc4
	s_addc_u32 s1, s1, 0
	s_mul_i32 s2, s26, 12
	s_add_u32 s2, s34, s2
	s_addc_u32 s3, s35, 0
.LBB79_1123:                            ; =>This Inner Loop Header: Depth=1
	s_load_dwordx2 s[8:9], s[2:3], 0x4
	s_load_dword s7, s[2:3], 0xc
	s_load_dwordx2 s[10:11], s[0:1], 0x0
	s_add_u32 s2, s2, 12
	s_addc_u32 s3, s3, 0
	s_waitcnt vmcnt(0) lgkmcnt(0)
	v_mul_hi_u32 v3, s9, v1
	s_add_u32 s0, s0, 8
	s_addc_u32 s1, s1, 0
	s_add_i32 s6, s6, -1
	v_add_u32_e32 v3, v1, v3
	v_lshrrev_b32_e32 v3, s7, v3
	v_mul_lo_u32 v5, v3, s8
	s_cmp_lg_u32 s6, 0
	v_sub_u32_e32 v5, v1, v5
	v_mad_u64_u32 v[0:1], s[8:9], v5, s10, v[0:1]
	v_mad_u64_u32 v[13:14], s[8:9], v5, s11, v[13:14]
	v_mov_b32_e32 v1, v3
	s_cbranch_scc1 .LBB79_1123
.LBB79_1124:
	s_cbranch_execnz .LBB79_1127
.LBB79_1125:
	s_load_dwordx4 s[0:3], s[34:35], 0x4
	s_load_dwordx2 s[6:7], s[34:35], 0xc4
	s_cmp_lt_u32 s33, 2
	s_waitcnt lgkmcnt(0)
	v_mul_hi_u32 v0, s1, v15
	v_add_u32_e32 v0, v15, v0
	v_lshrrev_b32_e32 v1, s2, v0
	v_mul_lo_u32 v0, v1, s0
	s_waitcnt vmcnt(0)
	v_sub_u32_e32 v3, v15, v0
	v_mul_lo_u32 v0, v3, s6
	v_mul_lo_u32 v13, v3, s7
	s_cbranch_scc1 .LBB79_1127
; %bb.1126:
	s_load_dwordx4 s[0:3], s[34:35], 0x10
	s_load_dwordx2 s[6:7], s[34:35], 0xcc
	s_waitcnt lgkmcnt(0)
	v_mul_hi_u32 v3, s1, v1
	v_add_u32_e32 v3, v1, v3
	v_lshrrev_b32_e32 v3, s2, v3
	v_mul_lo_u32 v3, v3, s0
	v_sub_u32_e32 v3, v1, v3
	v_mad_u64_u32 v[0:1], s[0:1], v3, s6, v[0:1]
	v_mad_u64_u32 v[13:14], s[0:1], v3, s7, v[13:14]
.LBB79_1127:
	s_load_dwordx4 s[8:11], s[34:35], 0x148
	s_load_dword s12, s[4:5], 0x170
	s_waitcnt lgkmcnt(0)
	v_mov_b32_e32 v1, s11
	s_bfe_u32 s13, s12, 0x80008
	v_add_co_u32_e32 v14, vcc, s10, v8
	s_cmp_lt_i32 s13, 11
	v_addc_co_u32_e32 v15, vcc, 0, v1, vcc
	s_cbranch_scc1 .LBB79_1134
; %bb.1128:
	s_and_b32 s14, 0xffff, s13
	s_cmp_gt_i32 s14, 25
	s_mov_b64 s[4:5], 0
	s_cbranch_scc0 .LBB79_1136
; %bb.1129:
	s_cmp_gt_i32 s14, 28
	s_cbranch_scc0 .LBB79_1137
; %bb.1130:
	s_cmp_gt_i32 s14, 43
	;; [unrolled: 3-line block ×3, first 2 shown]
	s_cbranch_scc0 .LBB79_1139
; %bb.1132:
	s_cmp_eq_u32 s14, 46
	s_mov_b64 s[2:3], 0
	s_cbranch_scc0 .LBB79_1142
; %bb.1133:
	global_load_dword v1, v[14:15], off
	s_mov_b32 s0, 0x2f800000
	s_mov_b32 s1, 0xcf800000
	s_mov_b64 s[6:7], -1
	s_waitcnt vmcnt(0)
	v_lshlrev_b32_e32 v1, 16, v1
	v_trunc_f32_e32 v1, v1
	v_mul_f32_e64 v3, |v1|, s0
	v_floor_f32_e32 v3, v3
	v_fma_f32 v5, v3, s1, |v1|
	v_cvt_u32_f32_e32 v5, v5
	v_cvt_u32_f32_e32 v3, v3
	v_ashrrev_i32_e32 v1, 31, v1
	s_mov_b64 s[0:1], 0
	v_xor_b32_e32 v5, v5, v1
	v_xor_b32_e32 v3, v3, v1
	v_sub_co_u32_e32 v7, vcc, v5, v1
	v_subb_co_u32_e32 v8, vcc, v3, v1, vcc
	s_branch .LBB79_1143
.LBB79_1134:
	s_mov_b64 s[6:7], 0
                                        ; implicit-def: $vgpr7_vgpr8
	s_mov_b64 s[2:3], s[28:29]
	s_cbranch_execnz .LBB79_1201
.LBB79_1135:
	s_andn2_b64 vcc, exec, s[6:7]
	s_cbranch_vccz .LBB79_1246
	s_branch .LBB79_2055
.LBB79_1136:
	s_mov_b64 s[6:7], 0
	s_mov_b64 s[0:1], 0
                                        ; implicit-def: $vgpr7_vgpr8
	s_cbranch_execnz .LBB79_1170
	s_branch .LBB79_1197
.LBB79_1137:
	s_mov_b64 s[6:7], 0
	s_mov_b64 s[0:1], 0
                                        ; implicit-def: $vgpr7_vgpr8
	s_cbranch_execz .LBB79_1169
	s_branch .LBB79_1152
.LBB79_1138:
	s_mov_b64 s[6:7], 0
	s_mov_b64 s[0:1], 0
                                        ; implicit-def: $vgpr7_vgpr8
	s_cbranch_execnz .LBB79_1148
	s_branch .LBB79_1151
.LBB79_1139:
	s_mov_b64 s[2:3], -1
	s_mov_b64 s[6:7], 0
	s_mov_b64 s[0:1], 0
                                        ; implicit-def: $vgpr7_vgpr8
	s_branch .LBB79_1143
.LBB79_1140:
	s_andn2_saveexec_b64 s[14:15], s[14:15]
	s_cbranch_execz .LBB79_983
.LBB79_1141:
	s_mov_b32 s16, 0x46000000
	v_add_f32_e64 v5, |v0|, s16
	v_and_b32_e32 v5, 0xff, v5
	v_cmp_ne_u32_e32 vcc, 0, v5
	s_andn2_b64 s[12:13], s[12:13], exec
	s_and_b64 s[16:17], vcc, exec
	s_or_b64 s[12:13], s[12:13], s[16:17]
	s_or_b64 exec, exec, s[14:15]
	v_mov_b32_e32 v6, 0
	s_and_saveexec_b64 s[14:15], s[12:13]
	s_cbranch_execnz .LBB79_984
	s_branch .LBB79_985
.LBB79_1142:
	s_mov_b64 s[0:1], -1
                                        ; implicit-def: $vgpr7_vgpr8
	s_mov_b64 s[6:7], 0
.LBB79_1143:
	s_and_b64 vcc, exec, s[2:3]
	s_cbranch_vccz .LBB79_1146
; %bb.1144:
	s_cmp_eq_u32 s14, 44
	s_cbranch_scc0 .LBB79_1147
; %bb.1145:
	global_load_ubyte v1, v[14:15], off
	s_mov_b32 s0, 0x2f800000
	s_mov_b32 s1, 0xcf800000
	s_mov_b64 s[6:7], -1
	s_waitcnt vmcnt(0)
	v_lshlrev_b32_e32 v3, 23, v1
	v_trunc_f32_e32 v3, v3
	v_mul_f32_e64 v5, |v3|, s0
	v_floor_f32_e32 v5, v5
	v_fma_f32 v7, v5, s1, |v3|
	v_cvt_u32_f32_e32 v7, v7
	v_cvt_u32_f32_e32 v5, v5
	v_ashrrev_i32_e32 v3, 31, v3
	s_mov_b64 s[0:1], 0
	v_xor_b32_e32 v7, v7, v3
	v_xor_b32_e32 v5, v5, v3
	v_sub_co_u32_e32 v7, vcc, v7, v3
	v_subb_co_u32_e32 v3, vcc, v5, v3, vcc
	v_cmp_ne_u32_e32 vcc, 0, v1
	v_cndmask_b32_e32 v8, 0, v3, vcc
	v_cndmask_b32_e32 v7, 0, v7, vcc
.LBB79_1146:
	s_branch .LBB79_1151
.LBB79_1147:
	s_mov_b64 s[0:1], -1
                                        ; implicit-def: $vgpr7_vgpr8
	s_branch .LBB79_1151
.LBB79_1148:
	s_cmp_eq_u32 s14, 29
	s_cbranch_scc0 .LBB79_1150
; %bb.1149:
	global_load_dwordx2 v[7:8], v[14:15], off
	s_mov_b64 s[0:1], 0
	s_mov_b64 s[6:7], -1
	s_branch .LBB79_1151
.LBB79_1150:
	s_mov_b64 s[0:1], -1
                                        ; implicit-def: $vgpr7_vgpr8
.LBB79_1151:
	s_branch .LBB79_1169
.LBB79_1152:
	s_cmp_lt_i32 s14, 27
	s_cbranch_scc1 .LBB79_1155
; %bb.1153:
	s_cmp_gt_i32 s14, 27
	s_cbranch_scc0 .LBB79_1156
; %bb.1154:
	global_load_dword v7, v[14:15], off
	s_waitcnt vmcnt(1)
	v_mov_b32_e32 v8, 0
	s_mov_b64 s[2:3], 0
	s_branch .LBB79_1157
.LBB79_1155:
	s_mov_b64 s[2:3], -1
                                        ; implicit-def: $vgpr7_vgpr8
	s_branch .LBB79_1160
.LBB79_1156:
	s_mov_b64 s[2:3], -1
                                        ; implicit-def: $vgpr7_vgpr8
.LBB79_1157:
	s_andn2_b64 vcc, exec, s[2:3]
	s_cbranch_vccnz .LBB79_1159
; %bb.1158:
	global_load_ushort v1, v[14:15], off
	s_mov_b32 s2, 0
	s_waitcnt vmcnt(1)
	v_mov_b32_e32 v8, s2
	s_waitcnt vmcnt(0)
	v_and_b32_e32 v7, 0xffff, v1
.LBB79_1159:
	s_mov_b64 s[2:3], 0
.LBB79_1160:
	s_andn2_b64 vcc, exec, s[2:3]
	s_cbranch_vccnz .LBB79_1168
; %bb.1161:
	global_load_ubyte v1, v[14:15], off
	s_movk_i32 s2, 0x7f
	s_mov_b64 s[6:7], 0
	s_waitcnt vmcnt(0)
	v_cmp_lt_i16_e32 vcc, s2, v1
	s_and_saveexec_b64 s[2:3], vcc
	s_xor_b64 s[2:3], exec, s[2:3]
; %bb.1162:
	s_movk_i32 s6, 0x80
	v_cmp_ne_u16_e32 vcc, s6, v1
	s_and_b64 s[6:7], vcc, exec
; %bb.1163:
	s_andn2_saveexec_b64 s[2:3], s[2:3]
; %bb.1164:
	v_cmp_ne_u16_e32 vcc, 0, v1
	s_andn2_b64 s[6:7], s[6:7], exec
	s_and_b64 s[16:17], vcc, exec
	s_or_b64 s[6:7], s[6:7], s[16:17]
; %bb.1165:
	s_or_b64 exec, exec, s[2:3]
	v_mov_b32_e32 v7, 0
	v_mov_b32_e32 v8, 0
	s_and_saveexec_b64 s[2:3], s[6:7]
	s_cbranch_execz .LBB79_1167
; %bb.1166:
	v_lshlrev_b32_e32 v3, 24, v1
	v_and_b32_e32 v1, 0xffff, v1
	v_and_b32_e32 v5, 7, v1
	v_ffbh_u32_e32 v8, v5
	v_min_u32_e32 v8, 32, v8
	v_subrev_u32_e32 v10, 28, v8
	v_bfe_u32 v7, v1, 3, 4
	v_lshlrev_b32_e32 v1, v10, v1
	v_sub_u32_e32 v8, 29, v8
	v_and_b32_e32 v1, 7, v1
	v_cmp_eq_u32_e32 vcc, 0, v7
	v_cndmask_b32_e32 v7, v7, v8, vcc
	v_cndmask_b32_e32 v1, v5, v1, vcc
	v_mov_b32_e32 v5, 0x3b800000
	v_lshlrev_b32_e32 v1, 20, v1
	v_and_b32_e32 v3, 0x80000000, v3
	v_lshl_add_u32 v5, v7, 23, v5
	v_or3_b32 v1, v3, v5, v1
	v_trunc_f32_e32 v1, v1
	s_mov_b32 s6, 0x2f800000
	v_mul_f32_e64 v3, |v1|, s6
	v_floor_f32_e32 v3, v3
	s_mov_b32 s6, 0xcf800000
	v_fma_f32 v5, v3, s6, |v1|
	v_cvt_u32_f32_e32 v5, v5
	v_cvt_u32_f32_e32 v3, v3
	v_ashrrev_i32_e32 v1, 31, v1
	v_xor_b32_e32 v5, v5, v1
	v_xor_b32_e32 v3, v3, v1
	v_sub_co_u32_e32 v7, vcc, v5, v1
	v_subb_co_u32_e32 v8, vcc, v3, v1, vcc
.LBB79_1167:
	s_or_b64 exec, exec, s[2:3]
.LBB79_1168:
	s_mov_b64 s[6:7], -1
.LBB79_1169:
	s_branch .LBB79_1197
.LBB79_1170:
	s_cmp_gt_i32 s14, 22
	s_cbranch_scc0 .LBB79_1180
; %bb.1171:
	s_cmp_lt_i32 s14, 24
	s_cbranch_scc1 .LBB79_1181
; %bb.1172:
	s_cmp_gt_i32 s14, 24
	s_cbranch_scc0 .LBB79_1182
; %bb.1173:
	global_load_ubyte v1, v[14:15], off
	s_movk_i32 s2, 0x7f
	s_waitcnt vmcnt(0)
	v_cmp_lt_i16_e32 vcc, s2, v1
	s_and_saveexec_b64 s[2:3], vcc
	s_xor_b64 s[2:3], exec, s[2:3]
; %bb.1174:
	s_movk_i32 s4, 0x80
	v_cmp_ne_u16_e32 vcc, s4, v1
	s_and_b64 s[4:5], vcc, exec
; %bb.1175:
	s_andn2_saveexec_b64 s[2:3], s[2:3]
; %bb.1176:
	v_cmp_ne_u16_e32 vcc, 0, v1
	s_andn2_b64 s[4:5], s[4:5], exec
	s_and_b64 s[6:7], vcc, exec
	s_or_b64 s[4:5], s[4:5], s[6:7]
; %bb.1177:
	s_or_b64 exec, exec, s[2:3]
	v_mov_b32_e32 v7, 0
	v_mov_b32_e32 v8, 0
	s_and_saveexec_b64 s[2:3], s[4:5]
	s_cbranch_execz .LBB79_1179
; %bb.1178:
	v_lshlrev_b32_e32 v3, 24, v1
	v_and_b32_e32 v1, 0xffff, v1
	v_and_b32_e32 v5, 3, v1
	v_ffbh_u32_e32 v8, v5
	v_min_u32_e32 v8, 32, v8
	v_subrev_u32_e32 v10, 29, v8
	v_bfe_u32 v7, v1, 2, 5
	v_lshlrev_b32_e32 v1, v10, v1
	v_sub_u32_e32 v8, 30, v8
	v_and_b32_e32 v1, 3, v1
	v_cmp_eq_u32_e32 vcc, 0, v7
	v_cndmask_b32_e32 v7, v7, v8, vcc
	v_cndmask_b32_e32 v1, v5, v1, vcc
	v_mov_b32_e32 v5, 0x37800000
	v_lshlrev_b32_e32 v1, 21, v1
	v_and_b32_e32 v3, 0x80000000, v3
	v_lshl_add_u32 v5, v7, 23, v5
	v_or3_b32 v1, v3, v5, v1
	v_trunc_f32_e32 v1, v1
	s_mov_b32 s4, 0x2f800000
	v_mul_f32_e64 v3, |v1|, s4
	v_floor_f32_e32 v3, v3
	s_mov_b32 s4, 0xcf800000
	v_fma_f32 v5, v3, s4, |v1|
	v_cvt_u32_f32_e32 v5, v5
	v_cvt_u32_f32_e32 v3, v3
	v_ashrrev_i32_e32 v1, 31, v1
	v_xor_b32_e32 v5, v5, v1
	v_xor_b32_e32 v3, v3, v1
	v_sub_co_u32_e32 v7, vcc, v5, v1
	v_subb_co_u32_e32 v8, vcc, v3, v1, vcc
.LBB79_1179:
	s_or_b64 exec, exec, s[2:3]
	s_mov_b64 s[2:3], 0
	s_branch .LBB79_1183
.LBB79_1180:
                                        ; implicit-def: $vgpr7_vgpr8
	s_mov_b64 s[4:5], 0
	s_branch .LBB79_1189
.LBB79_1181:
	s_mov_b64 s[2:3], -1
                                        ; implicit-def: $vgpr7_vgpr8
	s_branch .LBB79_1186
.LBB79_1182:
	s_mov_b64 s[2:3], -1
                                        ; implicit-def: $vgpr7_vgpr8
.LBB79_1183:
	s_and_b64 vcc, exec, s[2:3]
	s_cbranch_vccz .LBB79_1185
; %bb.1184:
	global_load_ubyte v1, v[14:15], off
	s_mov_b32 s2, 0x7f800000
	s_brev_b32 s3, 1
	s_mov_b32 s4, 0x2f800000
	s_mov_b32 s5, 0xcf800000
	s_waitcnt vmcnt(0)
	v_lshlrev_b32_e32 v1, 24, v1
	v_and_b32_e32 v3, 0x7f000000, v1
	v_ffbh_u32_e32 v5, v3
	v_min_u32_e32 v5, 32, v5
	v_sub_u32_e64 v5, v5, 4 clamp
	v_lshlrev_b32_e32 v8, v5, v3
	v_lshlrev_b32_e32 v5, 23, v5
	v_lshrrev_b32_e32 v8, 4, v8
	v_add_u32_e32 v7, 0x1000000, v3
	v_sub_u32_e32 v5, v8, v5
	v_ashrrev_i32_e32 v7, 8, v7
	v_add_u32_e32 v5, 0x3c000000, v5
	v_and_or_b32 v5, v7, s2, v5
	v_cmp_ne_u32_e32 vcc, 0, v3
	v_cndmask_b32_e32 v3, 0, v5, vcc
	v_and_or_b32 v1, v1, s3, v3
	v_trunc_f32_e32 v1, v1
	v_mul_f32_e64 v3, |v1|, s4
	v_floor_f32_e32 v3, v3
	v_fma_f32 v5, v3, s5, |v1|
	v_cvt_u32_f32_e32 v5, v5
	v_cvt_u32_f32_e32 v3, v3
	v_ashrrev_i32_e32 v1, 31, v1
	v_xor_b32_e32 v5, v5, v1
	v_xor_b32_e32 v3, v3, v1
	v_sub_co_u32_e32 v7, vcc, v5, v1
	v_subb_co_u32_e32 v8, vcc, v3, v1, vcc
.LBB79_1185:
	s_mov_b64 s[2:3], 0
.LBB79_1186:
	s_andn2_b64 vcc, exec, s[2:3]
	s_cbranch_vccnz .LBB79_1188
; %bb.1187:
	global_load_ubyte v1, v[14:15], off
	s_movk_i32 s2, 0x7f00
	s_brev_b32 s3, 16
	s_brev_b32 s4, 1
	s_mov_b32 s5, 0x2f800000
	s_mov_b32 s6, 0xcf800000
	s_waitcnt vmcnt(0)
	v_lshlrev_b16_e32 v3, 8, v1
	v_lshlrev_b32_e32 v1, 25, v1
	v_lshrrev_b32_e32 v5, 4, v1
	v_and_or_b32 v7, v3, s2, 0.5
	v_or_b32_e32 v5, 0x70000000, v5
	v_add_f32_e32 v7, -0.5, v7
	v_mul_f32_e32 v5, 0x7800000, v5
	v_cmp_gt_u32_e32 vcc, s3, v1
	v_bfe_i32 v3, v3, 0, 16
	v_cndmask_b32_e32 v1, v5, v7, vcc
	v_and_or_b32 v1, v3, s4, v1
	v_trunc_f32_e32 v1, v1
	v_mul_f32_e64 v3, |v1|, s5
	v_floor_f32_e32 v3, v3
	v_fma_f32 v5, v3, s6, |v1|
	v_cvt_u32_f32_e32 v5, v5
	v_cvt_u32_f32_e32 v3, v3
	v_ashrrev_i32_e32 v1, 31, v1
	v_xor_b32_e32 v5, v5, v1
	v_xor_b32_e32 v3, v3, v1
	v_sub_co_u32_e32 v7, vcc, v5, v1
	v_subb_co_u32_e32 v8, vcc, v3, v1, vcc
.LBB79_1188:
	s_mov_b64 s[6:7], -1
	s_mov_b64 s[4:5], 0
	s_cbranch_execnz .LBB79_1197
.LBB79_1189:
	s_cmp_gt_i32 s14, 14
	s_cbranch_scc0 .LBB79_1192
; %bb.1190:
	s_cmp_eq_u32 s14, 15
	s_cbranch_scc0 .LBB79_1193
; %bb.1191:
	global_load_ushort v1, v[14:15], off
	s_mov_b32 s0, 0x2f800000
	s_mov_b32 s1, 0xcf800000
	s_mov_b64 s[6:7], -1
	s_waitcnt vmcnt(0)
	v_lshlrev_b32_e32 v1, 16, v1
	v_trunc_f32_e32 v1, v1
	v_mul_f32_e64 v3, |v1|, s0
	v_floor_f32_e32 v3, v3
	v_fma_f32 v5, v3, s1, |v1|
	v_cvt_u32_f32_e32 v5, v5
	v_cvt_u32_f32_e32 v3, v3
	v_ashrrev_i32_e32 v1, 31, v1
	s_mov_b64 s[0:1], 0
	v_xor_b32_e32 v5, v5, v1
	v_xor_b32_e32 v3, v3, v1
	v_sub_co_u32_e32 v7, vcc, v5, v1
	v_subb_co_u32_e32 v8, vcc, v3, v1, vcc
	s_branch .LBB79_1194
.LBB79_1192:
	s_mov_b64 s[2:3], -1
                                        ; implicit-def: $vgpr7_vgpr8
	s_branch .LBB79_1195
.LBB79_1193:
	s_mov_b64 s[0:1], -1
                                        ; implicit-def: $vgpr7_vgpr8
.LBB79_1194:
	s_mov_b64 s[2:3], 0
.LBB79_1195:
	s_and_b64 vcc, exec, s[2:3]
	s_cbranch_vccz .LBB79_1197
; %bb.1196:
	s_cmp_lg_u32 s14, 11
	s_mov_b64 s[4:5], -1
	s_cselect_b64 s[0:1], -1, 0
.LBB79_1197:
	s_and_b64 vcc, exec, s[0:1]
	s_mov_b64 s[2:3], s[28:29]
	s_cbranch_vccnz .LBB79_1258
; %bb.1198:
	s_andn2_b64 vcc, exec, s[4:5]
	s_cbranch_vccnz .LBB79_1200
.LBB79_1199:
	global_load_ubyte v1, v[14:15], off
	s_mov_b32 s0, 0
	s_waitcnt vmcnt(1)
	v_mov_b32_e32 v8, s0
	s_mov_b64 s[6:7], -1
	s_waitcnt vmcnt(0)
	v_cmp_ne_u16_e32 vcc, 0, v1
	v_cndmask_b32_e64 v7, 0, 1, vcc
.LBB79_1200:
	s_branch .LBB79_1135
.LBB79_1201:
	s_and_b32 s4, 0xffff, s13
	s_cmp_lt_i32 s4, 5
	s_cbranch_scc1 .LBB79_1206
; %bb.1202:
	s_cmp_lt_i32 s4, 8
	s_cbranch_scc1 .LBB79_1207
; %bb.1203:
	;; [unrolled: 3-line block ×3, first 2 shown]
	s_cmp_gt_i32 s4, 9
	s_cbranch_scc0 .LBB79_1209
; %bb.1205:
	global_load_dwordx2 v[7:8], v[14:15], off
	s_movk_i32 s0, 0xffe0
	s_waitcnt vmcnt(0)
	v_trunc_f64_e32 v[7:8], v[7:8]
	v_ldexp_f64 v[16:17], v[7:8], s0
	s_mov_b32 s0, 0
	s_mov_b32 s1, 0xc1f00000
	v_floor_f64_e32 v[16:17], v[16:17]
	v_fma_f64 v[18:19], v[16:17], s[0:1], v[7:8]
	v_cvt_i32_f64_e32 v8, v[16:17]
	s_mov_b64 s[0:1], 0
	v_cvt_u32_f64_e32 v7, v[18:19]
	s_branch .LBB79_1210
.LBB79_1206:
                                        ; implicit-def: $vgpr7_vgpr8
	s_branch .LBB79_1227
.LBB79_1207:
                                        ; implicit-def: $vgpr7_vgpr8
	s_branch .LBB79_1216
.LBB79_1208:
	s_mov_b64 s[0:1], -1
                                        ; implicit-def: $vgpr7_vgpr8
	s_branch .LBB79_1213
.LBB79_1209:
	s_mov_b64 s[0:1], -1
                                        ; implicit-def: $vgpr7_vgpr8
.LBB79_1210:
	s_andn2_b64 vcc, exec, s[0:1]
	s_cbranch_vccnz .LBB79_1212
; %bb.1211:
	global_load_dword v1, v[14:15], off
	s_mov_b32 s0, 0x2f800000
	s_mov_b32 s1, 0xcf800000
	s_waitcnt vmcnt(0)
	v_trunc_f32_e32 v1, v1
	v_mul_f32_e64 v3, |v1|, s0
	v_floor_f32_e32 v3, v3
	v_cvt_u32_f32_e32 v5, v3
	v_fma_f32 v3, v3, s1, |v1|
	v_cvt_u32_f32_e32 v3, v3
	v_ashrrev_i32_e32 v1, 31, v1
	v_xor_b32_e32 v5, v5, v1
	v_xor_b32_e32 v3, v3, v1
	v_sub_co_u32_e32 v7, vcc, v3, v1
	v_subb_co_u32_e32 v8, vcc, v5, v1, vcc
.LBB79_1212:
	s_mov_b64 s[0:1], 0
.LBB79_1213:
	s_andn2_b64 vcc, exec, s[0:1]
	s_cbranch_vccnz .LBB79_1215
; %bb.1214:
	global_load_dword v1, v[14:15], off
	s_waitcnt vmcnt(0)
	v_cvt_f32_f16_e32 v1, v1
	v_cvt_i32_f32_e32 v7, v1
	v_ashrrev_i32_e32 v8, 31, v7
.LBB79_1215:
	s_cbranch_execnz .LBB79_1226
.LBB79_1216:
	s_cmp_lt_i32 s4, 6
	s_cbranch_scc1 .LBB79_1219
; %bb.1217:
	s_cmp_gt_i32 s4, 6
	s_cbranch_scc0 .LBB79_1220
; %bb.1218:
	global_load_dwordx2 v[7:8], v[14:15], off
	s_movk_i32 s0, 0xffe0
	s_waitcnt vmcnt(0)
	v_trunc_f64_e32 v[7:8], v[7:8]
	v_ldexp_f64 v[16:17], v[7:8], s0
	s_mov_b32 s0, 0
	s_mov_b32 s1, 0xc1f00000
	v_floor_f64_e32 v[16:17], v[16:17]
	v_fma_f64 v[18:19], v[16:17], s[0:1], v[7:8]
	v_cvt_i32_f64_e32 v8, v[16:17]
	s_mov_b64 s[0:1], 0
	v_cvt_u32_f64_e32 v7, v[18:19]
	s_branch .LBB79_1221
.LBB79_1219:
	s_mov_b64 s[0:1], -1
                                        ; implicit-def: $vgpr7_vgpr8
	s_branch .LBB79_1224
.LBB79_1220:
	s_mov_b64 s[0:1], -1
                                        ; implicit-def: $vgpr7_vgpr8
.LBB79_1221:
	s_andn2_b64 vcc, exec, s[0:1]
	s_cbranch_vccnz .LBB79_1223
; %bb.1222:
	global_load_dword v1, v[14:15], off
	s_mov_b32 s0, 0x2f800000
	s_mov_b32 s1, 0xcf800000
	s_waitcnt vmcnt(0)
	v_trunc_f32_e32 v1, v1
	v_mul_f32_e64 v3, |v1|, s0
	v_floor_f32_e32 v3, v3
	v_cvt_u32_f32_e32 v5, v3
	v_fma_f32 v3, v3, s1, |v1|
	v_cvt_u32_f32_e32 v3, v3
	v_ashrrev_i32_e32 v1, 31, v1
	v_xor_b32_e32 v5, v5, v1
	v_xor_b32_e32 v3, v3, v1
	v_sub_co_u32_e32 v7, vcc, v3, v1
	v_subb_co_u32_e32 v8, vcc, v5, v1, vcc
.LBB79_1223:
	s_mov_b64 s[0:1], 0
.LBB79_1224:
	s_andn2_b64 vcc, exec, s[0:1]
	s_cbranch_vccnz .LBB79_1226
; %bb.1225:
	global_load_ushort v1, v[14:15], off
	s_waitcnt vmcnt(0)
	v_cvt_f32_f16_e32 v1, v1
	v_cvt_i32_f32_e32 v7, v1
	v_ashrrev_i32_e32 v8, 31, v7
.LBB79_1226:
	s_cbranch_execnz .LBB79_1245
.LBB79_1227:
	s_cmp_lt_i32 s4, 2
	s_cbranch_scc1 .LBB79_1231
; %bb.1228:
	s_cmp_lt_i32 s4, 3
	s_cbranch_scc1 .LBB79_1232
; %bb.1229:
	s_cmp_gt_i32 s4, 3
	s_cbranch_scc0 .LBB79_1233
; %bb.1230:
	global_load_dwordx2 v[7:8], v[14:15], off
	s_mov_b64 s[0:1], 0
	s_branch .LBB79_1234
.LBB79_1231:
                                        ; implicit-def: $vgpr7_vgpr8
	s_branch .LBB79_1240
.LBB79_1232:
	s_mov_b64 s[0:1], -1
                                        ; implicit-def: $vgpr7_vgpr8
	s_branch .LBB79_1237
.LBB79_1233:
	s_mov_b64 s[0:1], -1
                                        ; implicit-def: $vgpr7_vgpr8
.LBB79_1234:
	s_andn2_b64 vcc, exec, s[0:1]
	s_cbranch_vccnz .LBB79_1236
; %bb.1235:
	global_load_dword v7, v[14:15], off
	s_waitcnt vmcnt(0)
	v_ashrrev_i32_e32 v8, 31, v7
.LBB79_1236:
	s_mov_b64 s[0:1], 0
.LBB79_1237:
	s_andn2_b64 vcc, exec, s[0:1]
	s_cbranch_vccnz .LBB79_1239
; %bb.1238:
	global_load_ushort v1, v[14:15], off
	s_waitcnt vmcnt(0)
	v_bfe_i32 v7, v1, 0, 16
	v_ashrrev_i32_e32 v8, 31, v7
.LBB79_1239:
	s_cbranch_execnz .LBB79_1245
.LBB79_1240:
	s_cmp_gt_i32 s4, 0
	s_cbranch_scc0 .LBB79_1242
; %bb.1241:
	global_load_sbyte v1, v[14:15], off
	s_mov_b64 s[0:1], 0
	s_waitcnt vmcnt(0)
	v_bfe_i32 v7, v1, 0, 16
	v_ashrrev_i32_e32 v8, 31, v7
	s_branch .LBB79_1243
.LBB79_1242:
	s_mov_b64 s[0:1], -1
                                        ; implicit-def: $vgpr7_vgpr8
.LBB79_1243:
	s_andn2_b64 vcc, exec, s[0:1]
	s_cbranch_vccnz .LBB79_1245
; %bb.1244:
	global_load_ubyte v1, v[14:15], off
	s_mov_b32 s0, 0
	s_waitcnt vmcnt(1)
	v_mov_b32_e32 v8, s0
	s_waitcnt vmcnt(0)
	v_and_b32_e32 v7, 0xffff, v1
.LBB79_1245:
.LBB79_1246:
	s_lshr_b32 s0, s12, 8
	v_mov_b32_e32 v1, s11
	s_and_b32 s14, s0, 0xff
	v_add_co_u32_e32 v14, vcc, s10, v9
	s_cmp_lt_i32 s14, 11
	v_addc_co_u32_e32 v15, vcc, 0, v1, vcc
	s_cbranch_scc1 .LBB79_1253
; %bb.1247:
	s_and_b32 s15, 0xffff, s14
	s_cmp_gt_i32 s15, 25
	s_mov_b64 s[4:5], 0
	s_cbranch_scc0 .LBB79_1255
; %bb.1248:
	s_cmp_gt_i32 s15, 28
	s_cbranch_scc0 .LBB79_1256
; %bb.1249:
	s_cmp_gt_i32 s15, 43
	s_cbranch_scc0 .LBB79_1257
; %bb.1250:
	s_cmp_gt_i32 s15, 45
	s_cbranch_scc0 .LBB79_1259
; %bb.1251:
	s_cmp_eq_u32 s15, 46
	s_mov_b64 s[12:13], 0
	s_cbranch_scc0 .LBB79_1262
; %bb.1252:
	global_load_dword v1, v[14:15], off
	s_mov_b32 s0, 0x2f800000
	s_mov_b32 s1, 0xcf800000
	s_mov_b64 s[6:7], -1
	s_waitcnt vmcnt(0)
	v_lshlrev_b32_e32 v1, 16, v1
	v_trunc_f32_e32 v1, v1
	v_mul_f32_e64 v3, |v1|, s0
	v_floor_f32_e32 v3, v3
	v_fma_f32 v5, v3, s1, |v1|
	v_cvt_u32_f32_e32 v5, v5
	v_cvt_u32_f32_e32 v3, v3
	v_ashrrev_i32_e32 v1, 31, v1
	s_mov_b64 s[0:1], 0
	v_xor_b32_e32 v5, v5, v1
	v_xor_b32_e32 v3, v3, v1
	v_sub_co_u32_e32 v9, vcc, v5, v1
	v_subb_co_u32_e32 v10, vcc, v3, v1, vcc
	s_branch .LBB79_1263
.LBB79_1253:
	s_mov_b64 s[6:7], 0
                                        ; implicit-def: $vgpr9_vgpr10
	s_cbranch_execnz .LBB79_1324
.LBB79_1254:
	s_andn2_b64 vcc, exec, s[6:7]
	s_cbranch_vccnz .LBB79_2055
	s_branch .LBB79_1371
.LBB79_1255:
	s_mov_b64 s[6:7], 0
	s_mov_b64 s[0:1], 0
                                        ; implicit-def: $vgpr9_vgpr10
	s_cbranch_execnz .LBB79_1292
	s_branch .LBB79_1320
.LBB79_1256:
	s_mov_b64 s[12:13], -1
	s_mov_b64 s[6:7], 0
	s_mov_b64 s[0:1], 0
                                        ; implicit-def: $vgpr9_vgpr10
	s_branch .LBB79_1273
.LBB79_1257:
	s_mov_b64 s[12:13], -1
	s_mov_b64 s[6:7], 0
	s_mov_b64 s[0:1], 0
                                        ; implicit-def: $vgpr9_vgpr10
	s_branch .LBB79_1268
.LBB79_1258:
	s_or_b64 s[2:3], s[28:29], exec
	s_trap 2
	s_cbranch_execz .LBB79_1199
	s_branch .LBB79_1200
.LBB79_1259:
	s_mov_b64 s[12:13], -1
	s_mov_b64 s[6:7], 0
	s_mov_b64 s[0:1], 0
                                        ; implicit-def: $vgpr9_vgpr10
	s_branch .LBB79_1263
.LBB79_1260:
	s_andn2_saveexec_b64 s[16:17], s[16:17]
	s_cbranch_execz .LBB79_995
.LBB79_1261:
	s_mov_b32 s20, 0x42800000
	v_add_f32_e64 v5, |v0|, s20
	v_and_b32_e32 v5, 0xff, v5
	v_cmp_ne_u32_e32 vcc, 0, v5
	s_andn2_b64 s[14:15], s[14:15], exec
	s_and_b64 s[20:21], vcc, exec
	s_or_b64 s[14:15], s[14:15], s[20:21]
	s_or_b64 exec, exec, s[16:17]
	v_mov_b32_e32 v6, 0
	s_and_saveexec_b64 s[16:17], s[14:15]
	s_cbranch_execnz .LBB79_996
	s_branch .LBB79_997
.LBB79_1262:
	s_mov_b64 s[0:1], -1
                                        ; implicit-def: $vgpr9_vgpr10
	s_mov_b64 s[6:7], 0
.LBB79_1263:
	s_and_b64 vcc, exec, s[12:13]
	s_cbranch_vccz .LBB79_1267
; %bb.1264:
	s_cmp_eq_u32 s15, 44
	s_cbranch_scc0 .LBB79_1266
; %bb.1265:
	global_load_ubyte v1, v[14:15], off
	s_mov_b32 s0, 0x2f800000
	s_mov_b32 s1, 0xcf800000
	s_mov_b64 s[6:7], -1
	s_waitcnt vmcnt(0)
	v_lshlrev_b32_e32 v3, 23, v1
	v_trunc_f32_e32 v3, v3
	v_mul_f32_e64 v5, |v3|, s0
	v_floor_f32_e32 v5, v5
	v_fma_f32 v9, v5, s1, |v3|
	v_cvt_u32_f32_e32 v9, v9
	v_cvt_u32_f32_e32 v5, v5
	v_ashrrev_i32_e32 v3, 31, v3
	s_mov_b64 s[0:1], 0
	v_xor_b32_e32 v9, v9, v3
	v_xor_b32_e32 v5, v5, v3
	v_sub_co_u32_e32 v9, vcc, v9, v3
	v_subb_co_u32_e32 v3, vcc, v5, v3, vcc
	v_cmp_ne_u32_e32 vcc, 0, v1
	v_cndmask_b32_e32 v10, 0, v3, vcc
	v_cndmask_b32_e32 v9, 0, v9, vcc
	s_branch .LBB79_1267
.LBB79_1266:
	s_mov_b64 s[0:1], -1
                                        ; implicit-def: $vgpr9_vgpr10
.LBB79_1267:
	s_mov_b64 s[12:13], 0
.LBB79_1268:
	s_and_b64 vcc, exec, s[12:13]
	s_cbranch_vccz .LBB79_1272
; %bb.1269:
	s_cmp_eq_u32 s15, 29
	s_cbranch_scc0 .LBB79_1271
; %bb.1270:
	global_load_dwordx2 v[9:10], v[14:15], off
	s_mov_b64 s[0:1], 0
	s_mov_b64 s[6:7], -1
	s_branch .LBB79_1272
.LBB79_1271:
	s_mov_b64 s[0:1], -1
                                        ; implicit-def: $vgpr9_vgpr10
.LBB79_1272:
	s_mov_b64 s[12:13], 0
.LBB79_1273:
	s_and_b64 vcc, exec, s[12:13]
	s_cbranch_vccz .LBB79_1291
; %bb.1274:
	s_cmp_lt_i32 s15, 27
	s_cbranch_scc1 .LBB79_1277
; %bb.1275:
	s_cmp_gt_i32 s15, 27
	s_cbranch_scc0 .LBB79_1278
; %bb.1276:
	global_load_dword v9, v[14:15], off
	s_waitcnt vmcnt(1)
	v_mov_b32_e32 v10, 0
	s_mov_b64 s[6:7], 0
	s_branch .LBB79_1279
.LBB79_1277:
	s_mov_b64 s[6:7], -1
                                        ; implicit-def: $vgpr9_vgpr10
	s_branch .LBB79_1282
.LBB79_1278:
	s_mov_b64 s[6:7], -1
                                        ; implicit-def: $vgpr9_vgpr10
.LBB79_1279:
	s_andn2_b64 vcc, exec, s[6:7]
	s_cbranch_vccnz .LBB79_1281
; %bb.1280:
	global_load_ushort v1, v[14:15], off
	s_mov_b32 s6, 0
	s_waitcnt vmcnt(1)
	v_mov_b32_e32 v10, s6
	s_waitcnt vmcnt(0)
	v_and_b32_e32 v9, 0xffff, v1
.LBB79_1281:
	s_mov_b64 s[6:7], 0
.LBB79_1282:
	s_andn2_b64 vcc, exec, s[6:7]
	s_cbranch_vccnz .LBB79_1290
; %bb.1283:
	global_load_ubyte v1, v[14:15], off
	s_movk_i32 s6, 0x7f
	s_mov_b64 s[12:13], 0
	s_waitcnt vmcnt(0)
	v_cmp_lt_i16_e32 vcc, s6, v1
	s_and_saveexec_b64 s[6:7], vcc
	s_xor_b64 s[6:7], exec, s[6:7]
; %bb.1284:
	s_movk_i32 s12, 0x80
	v_cmp_ne_u16_e32 vcc, s12, v1
	s_and_b64 s[12:13], vcc, exec
; %bb.1285:
	s_andn2_saveexec_b64 s[6:7], s[6:7]
; %bb.1286:
	v_cmp_ne_u16_e32 vcc, 0, v1
	s_andn2_b64 s[12:13], s[12:13], exec
	s_and_b64 s[16:17], vcc, exec
	s_or_b64 s[12:13], s[12:13], s[16:17]
; %bb.1287:
	s_or_b64 exec, exec, s[6:7]
	v_mov_b32_e32 v9, 0
	v_mov_b32_e32 v10, 0
	s_and_saveexec_b64 s[6:7], s[12:13]
	s_cbranch_execz .LBB79_1289
; %bb.1288:
	v_lshlrev_b32_e32 v3, 24, v1
	v_and_b32_e32 v1, 0xffff, v1
	v_and_b32_e32 v5, 7, v1
	v_ffbh_u32_e32 v10, v5
	v_min_u32_e32 v10, 32, v10
	v_subrev_u32_e32 v12, 28, v10
	v_bfe_u32 v9, v1, 3, 4
	v_lshlrev_b32_e32 v1, v12, v1
	v_sub_u32_e32 v10, 29, v10
	v_and_b32_e32 v1, 7, v1
	v_cmp_eq_u32_e32 vcc, 0, v9
	v_cndmask_b32_e32 v9, v9, v10, vcc
	v_cndmask_b32_e32 v1, v5, v1, vcc
	v_mov_b32_e32 v5, 0x3b800000
	v_lshlrev_b32_e32 v1, 20, v1
	v_and_b32_e32 v3, 0x80000000, v3
	v_lshl_add_u32 v5, v9, 23, v5
	v_or3_b32 v1, v3, v5, v1
	v_trunc_f32_e32 v1, v1
	s_mov_b32 s12, 0x2f800000
	v_mul_f32_e64 v3, |v1|, s12
	v_floor_f32_e32 v3, v3
	s_mov_b32 s12, 0xcf800000
	v_fma_f32 v5, v3, s12, |v1|
	v_cvt_u32_f32_e32 v5, v5
	v_cvt_u32_f32_e32 v3, v3
	v_ashrrev_i32_e32 v1, 31, v1
	v_xor_b32_e32 v5, v5, v1
	v_xor_b32_e32 v3, v3, v1
	v_sub_co_u32_e32 v9, vcc, v5, v1
	v_subb_co_u32_e32 v10, vcc, v3, v1, vcc
.LBB79_1289:
	s_or_b64 exec, exec, s[6:7]
.LBB79_1290:
	s_mov_b64 s[6:7], -1
.LBB79_1291:
	s_branch .LBB79_1320
.LBB79_1292:
	s_cmp_gt_i32 s15, 22
	s_cbranch_scc0 .LBB79_1302
; %bb.1293:
	s_cmp_lt_i32 s15, 24
	s_cbranch_scc1 .LBB79_1303
; %bb.1294:
	s_cmp_gt_i32 s15, 24
	s_cbranch_scc0 .LBB79_1304
; %bb.1295:
	global_load_ubyte v1, v[14:15], off
	s_movk_i32 s4, 0x7f
	s_mov_b64 s[6:7], 0
	s_waitcnt vmcnt(0)
	v_cmp_lt_i16_e32 vcc, s4, v1
	s_and_saveexec_b64 s[4:5], vcc
	s_xor_b64 s[4:5], exec, s[4:5]
; %bb.1296:
	s_movk_i32 s6, 0x80
	v_cmp_ne_u16_e32 vcc, s6, v1
	s_and_b64 s[6:7], vcc, exec
; %bb.1297:
	s_andn2_saveexec_b64 s[4:5], s[4:5]
; %bb.1298:
	v_cmp_ne_u16_e32 vcc, 0, v1
	s_andn2_b64 s[6:7], s[6:7], exec
	s_and_b64 s[12:13], vcc, exec
	s_or_b64 s[6:7], s[6:7], s[12:13]
; %bb.1299:
	s_or_b64 exec, exec, s[4:5]
	v_mov_b32_e32 v9, 0
	v_mov_b32_e32 v10, 0
	s_and_saveexec_b64 s[4:5], s[6:7]
	s_cbranch_execz .LBB79_1301
; %bb.1300:
	v_lshlrev_b32_e32 v3, 24, v1
	v_and_b32_e32 v1, 0xffff, v1
	v_and_b32_e32 v5, 3, v1
	v_ffbh_u32_e32 v10, v5
	v_min_u32_e32 v10, 32, v10
	v_subrev_u32_e32 v12, 29, v10
	v_bfe_u32 v9, v1, 2, 5
	v_lshlrev_b32_e32 v1, v12, v1
	v_sub_u32_e32 v10, 30, v10
	v_and_b32_e32 v1, 3, v1
	v_cmp_eq_u32_e32 vcc, 0, v9
	v_cndmask_b32_e32 v9, v9, v10, vcc
	v_cndmask_b32_e32 v1, v5, v1, vcc
	v_mov_b32_e32 v5, 0x37800000
	v_lshlrev_b32_e32 v1, 21, v1
	v_and_b32_e32 v3, 0x80000000, v3
	v_lshl_add_u32 v5, v9, 23, v5
	v_or3_b32 v1, v3, v5, v1
	v_trunc_f32_e32 v1, v1
	s_mov_b32 s6, 0x2f800000
	v_mul_f32_e64 v3, |v1|, s6
	v_floor_f32_e32 v3, v3
	s_mov_b32 s6, 0xcf800000
	v_fma_f32 v5, v3, s6, |v1|
	v_cvt_u32_f32_e32 v5, v5
	v_cvt_u32_f32_e32 v3, v3
	v_ashrrev_i32_e32 v1, 31, v1
	v_xor_b32_e32 v5, v5, v1
	v_xor_b32_e32 v3, v3, v1
	v_sub_co_u32_e32 v9, vcc, v5, v1
	v_subb_co_u32_e32 v10, vcc, v3, v1, vcc
.LBB79_1301:
	s_or_b64 exec, exec, s[4:5]
	s_mov_b64 s[4:5], 0
	s_branch .LBB79_1305
.LBB79_1302:
	s_mov_b64 s[4:5], -1
                                        ; implicit-def: $vgpr9_vgpr10
	s_branch .LBB79_1311
.LBB79_1303:
	s_mov_b64 s[4:5], -1
                                        ; implicit-def: $vgpr9_vgpr10
	s_branch .LBB79_1308
.LBB79_1304:
	s_mov_b64 s[4:5], -1
                                        ; implicit-def: $vgpr9_vgpr10
.LBB79_1305:
	s_and_b64 vcc, exec, s[4:5]
	s_cbranch_vccz .LBB79_1307
; %bb.1306:
	global_load_ubyte v1, v[14:15], off
	s_mov_b32 s4, 0x7f800000
	s_brev_b32 s5, 1
	s_mov_b32 s6, 0x2f800000
	s_mov_b32 s7, 0xcf800000
	s_waitcnt vmcnt(0)
	v_lshlrev_b32_e32 v1, 24, v1
	v_and_b32_e32 v3, 0x7f000000, v1
	v_ffbh_u32_e32 v5, v3
	v_min_u32_e32 v5, 32, v5
	v_sub_u32_e64 v5, v5, 4 clamp
	v_lshlrev_b32_e32 v10, v5, v3
	v_lshlrev_b32_e32 v5, 23, v5
	v_lshrrev_b32_e32 v10, 4, v10
	v_add_u32_e32 v9, 0x1000000, v3
	v_sub_u32_e32 v5, v10, v5
	v_ashrrev_i32_e32 v9, 8, v9
	v_add_u32_e32 v5, 0x3c000000, v5
	v_and_or_b32 v5, v9, s4, v5
	v_cmp_ne_u32_e32 vcc, 0, v3
	v_cndmask_b32_e32 v3, 0, v5, vcc
	v_and_or_b32 v1, v1, s5, v3
	v_trunc_f32_e32 v1, v1
	v_mul_f32_e64 v3, |v1|, s6
	v_floor_f32_e32 v3, v3
	v_fma_f32 v5, v3, s7, |v1|
	v_cvt_u32_f32_e32 v5, v5
	v_cvt_u32_f32_e32 v3, v3
	v_ashrrev_i32_e32 v1, 31, v1
	v_xor_b32_e32 v5, v5, v1
	v_xor_b32_e32 v3, v3, v1
	v_sub_co_u32_e32 v9, vcc, v5, v1
	v_subb_co_u32_e32 v10, vcc, v3, v1, vcc
.LBB79_1307:
	s_mov_b64 s[4:5], 0
.LBB79_1308:
	s_andn2_b64 vcc, exec, s[4:5]
	s_cbranch_vccnz .LBB79_1310
; %bb.1309:
	global_load_ubyte v1, v[14:15], off
	s_movk_i32 s4, 0x7f00
	s_brev_b32 s5, 16
	s_brev_b32 s6, 1
	s_mov_b32 s7, 0x2f800000
	s_mov_b32 s12, 0xcf800000
	s_waitcnt vmcnt(0)
	v_lshlrev_b16_e32 v3, 8, v1
	v_lshlrev_b32_e32 v1, 25, v1
	v_lshrrev_b32_e32 v5, 4, v1
	v_and_or_b32 v9, v3, s4, 0.5
	v_or_b32_e32 v5, 0x70000000, v5
	v_add_f32_e32 v9, -0.5, v9
	v_mul_f32_e32 v5, 0x7800000, v5
	v_cmp_gt_u32_e32 vcc, s5, v1
	v_bfe_i32 v3, v3, 0, 16
	v_cndmask_b32_e32 v1, v5, v9, vcc
	v_and_or_b32 v1, v3, s6, v1
	v_trunc_f32_e32 v1, v1
	v_mul_f32_e64 v3, |v1|, s7
	v_floor_f32_e32 v3, v3
	v_fma_f32 v5, v3, s12, |v1|
	v_cvt_u32_f32_e32 v5, v5
	v_cvt_u32_f32_e32 v3, v3
	v_ashrrev_i32_e32 v1, 31, v1
	v_xor_b32_e32 v5, v5, v1
	v_xor_b32_e32 v3, v3, v1
	v_sub_co_u32_e32 v9, vcc, v5, v1
	v_subb_co_u32_e32 v10, vcc, v3, v1, vcc
.LBB79_1310:
	s_mov_b64 s[4:5], 0
	s_mov_b64 s[6:7], -1
.LBB79_1311:
	s_andn2_b64 vcc, exec, s[4:5]
	s_mov_b64 s[4:5], 0
	s_cbranch_vccnz .LBB79_1320
; %bb.1312:
	s_cmp_gt_i32 s15, 14
	s_cbranch_scc0 .LBB79_1315
; %bb.1313:
	s_cmp_eq_u32 s15, 15
	s_cbranch_scc0 .LBB79_1316
; %bb.1314:
	global_load_ushort v1, v[14:15], off
	s_mov_b32 s0, 0x2f800000
	s_mov_b32 s1, 0xcf800000
	s_mov_b64 s[6:7], -1
	s_waitcnt vmcnt(0)
	v_lshlrev_b32_e32 v1, 16, v1
	v_trunc_f32_e32 v1, v1
	v_mul_f32_e64 v3, |v1|, s0
	v_floor_f32_e32 v3, v3
	v_fma_f32 v5, v3, s1, |v1|
	v_cvt_u32_f32_e32 v5, v5
	v_cvt_u32_f32_e32 v3, v3
	v_ashrrev_i32_e32 v1, 31, v1
	s_mov_b64 s[0:1], 0
	v_xor_b32_e32 v5, v5, v1
	v_xor_b32_e32 v3, v3, v1
	v_sub_co_u32_e32 v9, vcc, v5, v1
	v_subb_co_u32_e32 v10, vcc, v3, v1, vcc
	s_branch .LBB79_1317
.LBB79_1315:
	s_mov_b64 s[12:13], -1
                                        ; implicit-def: $vgpr9_vgpr10
	s_branch .LBB79_1318
.LBB79_1316:
	s_mov_b64 s[0:1], -1
                                        ; implicit-def: $vgpr9_vgpr10
.LBB79_1317:
	s_mov_b64 s[12:13], 0
.LBB79_1318:
	s_and_b64 vcc, exec, s[12:13]
	s_cbranch_vccz .LBB79_1320
; %bb.1319:
	s_cmp_lg_u32 s15, 11
	s_mov_b64 s[4:5], -1
	s_cselect_b64 s[0:1], -1, 0
.LBB79_1320:
	s_and_b64 vcc, exec, s[0:1]
	s_cbranch_vccnz .LBB79_1383
; %bb.1321:
	s_andn2_b64 vcc, exec, s[4:5]
	s_cbranch_vccnz .LBB79_1323
.LBB79_1322:
	global_load_ubyte v1, v[14:15], off
	s_mov_b32 s0, 0
	s_waitcnt vmcnt(1)
	v_mov_b32_e32 v10, s0
	s_mov_b64 s[6:7], -1
	s_waitcnt vmcnt(0)
	v_cmp_ne_u16_e32 vcc, 0, v1
	v_cndmask_b32_e64 v9, 0, 1, vcc
.LBB79_1323:
	s_branch .LBB79_1254
.LBB79_1324:
	s_and_b32 s4, 0xffff, s14
	s_cmp_lt_i32 s4, 5
	s_cbranch_scc1 .LBB79_1329
; %bb.1325:
	s_cmp_lt_i32 s4, 8
	s_cbranch_scc1 .LBB79_1330
; %bb.1326:
	;; [unrolled: 3-line block ×3, first 2 shown]
	s_cmp_gt_i32 s4, 9
	s_cbranch_scc0 .LBB79_1332
; %bb.1328:
	global_load_dwordx2 v[9:10], v[14:15], off
	s_movk_i32 s0, 0xffe0
	s_waitcnt vmcnt(0)
	v_trunc_f64_e32 v[9:10], v[9:10]
	v_ldexp_f64 v[16:17], v[9:10], s0
	s_mov_b32 s0, 0
	s_mov_b32 s1, 0xc1f00000
	v_floor_f64_e32 v[16:17], v[16:17]
	v_fma_f64 v[18:19], v[16:17], s[0:1], v[9:10]
	v_cvt_i32_f64_e32 v10, v[16:17]
	s_mov_b64 s[0:1], 0
	v_cvt_u32_f64_e32 v9, v[18:19]
	s_branch .LBB79_1333
.LBB79_1329:
                                        ; implicit-def: $vgpr9_vgpr10
	s_branch .LBB79_1351
.LBB79_1330:
	s_mov_b64 s[0:1], -1
                                        ; implicit-def: $vgpr9_vgpr10
	s_branch .LBB79_1339
.LBB79_1331:
	s_mov_b64 s[0:1], -1
                                        ; implicit-def: $vgpr9_vgpr10
	s_branch .LBB79_1336
.LBB79_1332:
	s_mov_b64 s[0:1], -1
                                        ; implicit-def: $vgpr9_vgpr10
.LBB79_1333:
	s_andn2_b64 vcc, exec, s[0:1]
	s_cbranch_vccnz .LBB79_1335
; %bb.1334:
	global_load_dword v1, v[14:15], off
	s_mov_b32 s0, 0x2f800000
	s_mov_b32 s1, 0xcf800000
	s_waitcnt vmcnt(0)
	v_trunc_f32_e32 v1, v1
	v_mul_f32_e64 v3, |v1|, s0
	v_floor_f32_e32 v3, v3
	v_cvt_u32_f32_e32 v5, v3
	v_fma_f32 v3, v3, s1, |v1|
	v_cvt_u32_f32_e32 v3, v3
	v_ashrrev_i32_e32 v1, 31, v1
	v_xor_b32_e32 v5, v5, v1
	v_xor_b32_e32 v3, v3, v1
	v_sub_co_u32_e32 v9, vcc, v3, v1
	v_subb_co_u32_e32 v10, vcc, v5, v1, vcc
.LBB79_1335:
	s_mov_b64 s[0:1], 0
.LBB79_1336:
	s_andn2_b64 vcc, exec, s[0:1]
	s_cbranch_vccnz .LBB79_1338
; %bb.1337:
	global_load_dword v1, v[14:15], off
	s_waitcnt vmcnt(0)
	v_cvt_f32_f16_e32 v1, v1
	v_cvt_i32_f32_e32 v9, v1
	v_ashrrev_i32_e32 v10, 31, v9
.LBB79_1338:
	s_mov_b64 s[0:1], 0
.LBB79_1339:
	s_andn2_b64 vcc, exec, s[0:1]
	s_cbranch_vccnz .LBB79_1350
; %bb.1340:
	s_cmp_lt_i32 s4, 6
	s_cbranch_scc1 .LBB79_1343
; %bb.1341:
	s_cmp_gt_i32 s4, 6
	s_cbranch_scc0 .LBB79_1344
; %bb.1342:
	global_load_dwordx2 v[9:10], v[14:15], off
	s_movk_i32 s0, 0xffe0
	s_waitcnt vmcnt(0)
	v_trunc_f64_e32 v[9:10], v[9:10]
	v_ldexp_f64 v[16:17], v[9:10], s0
	s_mov_b32 s0, 0
	s_mov_b32 s1, 0xc1f00000
	v_floor_f64_e32 v[16:17], v[16:17]
	v_fma_f64 v[18:19], v[16:17], s[0:1], v[9:10]
	v_cvt_i32_f64_e32 v10, v[16:17]
	s_mov_b64 s[0:1], 0
	v_cvt_u32_f64_e32 v9, v[18:19]
	s_branch .LBB79_1345
.LBB79_1343:
	s_mov_b64 s[0:1], -1
                                        ; implicit-def: $vgpr9_vgpr10
	s_branch .LBB79_1348
.LBB79_1344:
	s_mov_b64 s[0:1], -1
                                        ; implicit-def: $vgpr9_vgpr10
.LBB79_1345:
	s_andn2_b64 vcc, exec, s[0:1]
	s_cbranch_vccnz .LBB79_1347
; %bb.1346:
	global_load_dword v1, v[14:15], off
	s_mov_b32 s0, 0x2f800000
	s_mov_b32 s1, 0xcf800000
	s_waitcnt vmcnt(0)
	v_trunc_f32_e32 v1, v1
	v_mul_f32_e64 v3, |v1|, s0
	v_floor_f32_e32 v3, v3
	v_cvt_u32_f32_e32 v5, v3
	v_fma_f32 v3, v3, s1, |v1|
	v_cvt_u32_f32_e32 v3, v3
	v_ashrrev_i32_e32 v1, 31, v1
	v_xor_b32_e32 v5, v5, v1
	v_xor_b32_e32 v3, v3, v1
	v_sub_co_u32_e32 v9, vcc, v3, v1
	v_subb_co_u32_e32 v10, vcc, v5, v1, vcc
.LBB79_1347:
	s_mov_b64 s[0:1], 0
.LBB79_1348:
	s_andn2_b64 vcc, exec, s[0:1]
	s_cbranch_vccnz .LBB79_1350
; %bb.1349:
	global_load_ushort v1, v[14:15], off
	s_waitcnt vmcnt(0)
	v_cvt_f32_f16_e32 v1, v1
	v_cvt_i32_f32_e32 v9, v1
	v_ashrrev_i32_e32 v10, 31, v9
.LBB79_1350:
	s_cbranch_execnz .LBB79_1370
.LBB79_1351:
	s_cmp_lt_i32 s4, 2
	s_cbranch_scc1 .LBB79_1355
; %bb.1352:
	s_cmp_lt_i32 s4, 3
	s_cbranch_scc1 .LBB79_1356
; %bb.1353:
	s_cmp_gt_i32 s4, 3
	s_cbranch_scc0 .LBB79_1357
; %bb.1354:
	global_load_dwordx2 v[9:10], v[14:15], off
	s_mov_b64 s[0:1], 0
	s_branch .LBB79_1358
.LBB79_1355:
	s_mov_b64 s[0:1], -1
                                        ; implicit-def: $vgpr9_vgpr10
	s_branch .LBB79_1364
.LBB79_1356:
	s_mov_b64 s[0:1], -1
                                        ; implicit-def: $vgpr9_vgpr10
	s_branch .LBB79_1361
.LBB79_1357:
	s_mov_b64 s[0:1], -1
                                        ; implicit-def: $vgpr9_vgpr10
.LBB79_1358:
	s_andn2_b64 vcc, exec, s[0:1]
	s_cbranch_vccnz .LBB79_1360
; %bb.1359:
	global_load_dword v9, v[14:15], off
	s_waitcnt vmcnt(0)
	v_ashrrev_i32_e32 v10, 31, v9
.LBB79_1360:
	s_mov_b64 s[0:1], 0
.LBB79_1361:
	s_andn2_b64 vcc, exec, s[0:1]
	s_cbranch_vccnz .LBB79_1363
; %bb.1362:
	global_load_ushort v1, v[14:15], off
	s_waitcnt vmcnt(0)
	v_bfe_i32 v9, v1, 0, 16
	v_ashrrev_i32_e32 v10, 31, v9
.LBB79_1363:
	s_mov_b64 s[0:1], 0
.LBB79_1364:
	s_andn2_b64 vcc, exec, s[0:1]
	s_cbranch_vccnz .LBB79_1370
; %bb.1365:
	s_cmp_gt_i32 s4, 0
	s_cbranch_scc0 .LBB79_1367
; %bb.1366:
	global_load_sbyte v1, v[14:15], off
	s_mov_b64 s[0:1], 0
	s_waitcnt vmcnt(0)
	v_bfe_i32 v9, v1, 0, 16
	v_ashrrev_i32_e32 v10, 31, v9
	s_branch .LBB79_1368
.LBB79_1367:
	s_mov_b64 s[0:1], -1
                                        ; implicit-def: $vgpr9_vgpr10
.LBB79_1368:
	s_andn2_b64 vcc, exec, s[0:1]
	s_cbranch_vccnz .LBB79_1370
; %bb.1369:
	global_load_ubyte v1, v[14:15], off
	s_mov_b32 s0, 0
	s_waitcnt vmcnt(1)
	v_mov_b32_e32 v10, s0
	s_waitcnt vmcnt(0)
	v_and_b32_e32 v9, 0xffff, v1
.LBB79_1370:
.LBB79_1371:
	v_mov_b32_e32 v1, s11
	v_add_co_u32_e32 v14, vcc, s10, v11
	s_cmp_lt_i32 s14, 11
	v_addc_co_u32_e32 v15, vcc, 0, v1, vcc
	s_cbranch_scc1 .LBB79_1378
; %bb.1372:
	s_and_b32 s15, 0xffff, s14
	s_cmp_gt_i32 s15, 25
	s_mov_b64 s[4:5], 0
	s_cbranch_scc0 .LBB79_1380
; %bb.1373:
	s_cmp_gt_i32 s15, 28
	s_cbranch_scc0 .LBB79_1381
; %bb.1374:
	s_cmp_gt_i32 s15, 43
	;; [unrolled: 3-line block ×3, first 2 shown]
	s_cbranch_scc0 .LBB79_1384
; %bb.1376:
	s_cmp_eq_u32 s15, 46
	s_mov_b64 s[12:13], 0
	s_cbranch_scc0 .LBB79_1385
; %bb.1377:
	global_load_dword v1, v[14:15], off
	s_mov_b32 s0, 0x2f800000
	s_mov_b32 s1, 0xcf800000
	s_mov_b64 s[6:7], -1
	s_waitcnt vmcnt(0)
	v_lshlrev_b32_e32 v1, 16, v1
	v_trunc_f32_e32 v1, v1
	v_mul_f32_e64 v3, |v1|, s0
	v_floor_f32_e32 v3, v3
	v_fma_f32 v5, v3, s1, |v1|
	v_cvt_u32_f32_e32 v5, v5
	v_cvt_u32_f32_e32 v3, v3
	v_ashrrev_i32_e32 v1, 31, v1
	s_mov_b64 s[0:1], 0
	v_xor_b32_e32 v5, v5, v1
	v_xor_b32_e32 v3, v3, v1
	v_sub_co_u32_e32 v11, vcc, v5, v1
	v_subb_co_u32_e32 v12, vcc, v3, v1, vcc
	s_branch .LBB79_1386
.LBB79_1378:
	s_mov_b64 s[6:7], 0
                                        ; implicit-def: $vgpr11_vgpr12
	s_cbranch_execnz .LBB79_1448
.LBB79_1379:
	s_andn2_b64 vcc, exec, s[6:7]
	s_cbranch_vccnz .LBB79_2055
	s_branch .LBB79_1496
.LBB79_1380:
	s_mov_b64 s[12:13], -1
	s_mov_b64 s[6:7], 0
	s_mov_b64 s[0:1], 0
                                        ; implicit-def: $vgpr11_vgpr12
	s_branch .LBB79_1415
.LBB79_1381:
	s_mov_b64 s[12:13], -1
	s_mov_b64 s[6:7], 0
	s_mov_b64 s[0:1], 0
                                        ; implicit-def: $vgpr11_vgpr12
	s_branch .LBB79_1396
.LBB79_1382:
	s_mov_b64 s[12:13], -1
	s_mov_b64 s[6:7], 0
	s_mov_b64 s[0:1], 0
                                        ; implicit-def: $vgpr11_vgpr12
	s_branch .LBB79_1391
.LBB79_1383:
	s_trap 2
	s_or_b64 s[2:3], s[2:3], exec
	s_cbranch_execz .LBB79_1322
	s_branch .LBB79_1323
.LBB79_1384:
	s_mov_b64 s[12:13], -1
	s_mov_b64 s[6:7], 0
	s_mov_b64 s[0:1], 0
                                        ; implicit-def: $vgpr11_vgpr12
	s_branch .LBB79_1386
.LBB79_1385:
	s_mov_b64 s[0:1], -1
                                        ; implicit-def: $vgpr11_vgpr12
	s_mov_b64 s[6:7], 0
.LBB79_1386:
	s_and_b64 vcc, exec, s[12:13]
	s_cbranch_vccz .LBB79_1390
; %bb.1387:
	s_cmp_eq_u32 s15, 44
	s_cbranch_scc0 .LBB79_1389
; %bb.1388:
	global_load_ubyte v1, v[14:15], off
	s_mov_b32 s0, 0x2f800000
	s_mov_b32 s1, 0xcf800000
	s_mov_b64 s[6:7], -1
	s_waitcnt vmcnt(0)
	v_lshlrev_b32_e32 v3, 23, v1
	v_trunc_f32_e32 v3, v3
	v_mul_f32_e64 v5, |v3|, s0
	v_floor_f32_e32 v5, v5
	v_fma_f32 v11, v5, s1, |v3|
	v_cvt_u32_f32_e32 v11, v11
	v_cvt_u32_f32_e32 v5, v5
	v_ashrrev_i32_e32 v3, 31, v3
	s_mov_b64 s[0:1], 0
	v_xor_b32_e32 v11, v11, v3
	v_xor_b32_e32 v5, v5, v3
	v_sub_co_u32_e32 v11, vcc, v11, v3
	v_subb_co_u32_e32 v3, vcc, v5, v3, vcc
	v_cmp_ne_u32_e32 vcc, 0, v1
	v_cndmask_b32_e32 v12, 0, v3, vcc
	v_cndmask_b32_e32 v11, 0, v11, vcc
	s_branch .LBB79_1390
.LBB79_1389:
	s_mov_b64 s[0:1], -1
                                        ; implicit-def: $vgpr11_vgpr12
.LBB79_1390:
	s_mov_b64 s[12:13], 0
.LBB79_1391:
	s_and_b64 vcc, exec, s[12:13]
	s_cbranch_vccz .LBB79_1395
; %bb.1392:
	s_cmp_eq_u32 s15, 29
	s_cbranch_scc0 .LBB79_1394
; %bb.1393:
	global_load_dwordx2 v[11:12], v[14:15], off
	s_mov_b64 s[0:1], 0
	s_mov_b64 s[6:7], -1
	s_branch .LBB79_1395
.LBB79_1394:
	s_mov_b64 s[0:1], -1
                                        ; implicit-def: $vgpr11_vgpr12
.LBB79_1395:
	s_mov_b64 s[12:13], 0
.LBB79_1396:
	s_and_b64 vcc, exec, s[12:13]
	s_cbranch_vccz .LBB79_1414
; %bb.1397:
	s_cmp_lt_i32 s15, 27
	s_cbranch_scc1 .LBB79_1400
; %bb.1398:
	s_cmp_gt_i32 s15, 27
	s_cbranch_scc0 .LBB79_1401
; %bb.1399:
	global_load_dword v11, v[14:15], off
	s_waitcnt vmcnt(1)
	v_mov_b32_e32 v12, 0
	s_mov_b64 s[6:7], 0
	s_branch .LBB79_1402
.LBB79_1400:
	s_mov_b64 s[6:7], -1
                                        ; implicit-def: $vgpr11_vgpr12
	s_branch .LBB79_1405
.LBB79_1401:
	s_mov_b64 s[6:7], -1
                                        ; implicit-def: $vgpr11_vgpr12
.LBB79_1402:
	s_andn2_b64 vcc, exec, s[6:7]
	s_cbranch_vccnz .LBB79_1404
; %bb.1403:
	global_load_ushort v1, v[14:15], off
	s_mov_b32 s6, 0
	s_waitcnt vmcnt(1)
	v_mov_b32_e32 v12, s6
	s_waitcnt vmcnt(0)
	v_and_b32_e32 v11, 0xffff, v1
.LBB79_1404:
	s_mov_b64 s[6:7], 0
.LBB79_1405:
	s_andn2_b64 vcc, exec, s[6:7]
	s_cbranch_vccnz .LBB79_1413
; %bb.1406:
	global_load_ubyte v1, v[14:15], off
	s_movk_i32 s6, 0x7f
	s_mov_b64 s[12:13], 0
	s_waitcnt vmcnt(0)
	v_cmp_lt_i16_e32 vcc, s6, v1
	s_and_saveexec_b64 s[6:7], vcc
	s_xor_b64 s[6:7], exec, s[6:7]
; %bb.1407:
	s_movk_i32 s12, 0x80
	v_cmp_ne_u16_e32 vcc, s12, v1
	s_and_b64 s[12:13], vcc, exec
; %bb.1408:
	s_andn2_saveexec_b64 s[6:7], s[6:7]
; %bb.1409:
	v_cmp_ne_u16_e32 vcc, 0, v1
	s_andn2_b64 s[12:13], s[12:13], exec
	s_and_b64 s[16:17], vcc, exec
	s_or_b64 s[12:13], s[12:13], s[16:17]
; %bb.1410:
	s_or_b64 exec, exec, s[6:7]
	v_mov_b32_e32 v11, 0
	v_mov_b32_e32 v12, 0
	s_and_saveexec_b64 s[6:7], s[12:13]
	s_cbranch_execz .LBB79_1412
; %bb.1411:
	v_lshlrev_b32_e32 v3, 24, v1
	v_and_b32_e32 v1, 0xffff, v1
	v_and_b32_e32 v5, 7, v1
	v_ffbh_u32_e32 v12, v5
	v_min_u32_e32 v12, 32, v12
	v_subrev_u32_e32 v16, 28, v12
	v_bfe_u32 v11, v1, 3, 4
	v_lshlrev_b32_e32 v1, v16, v1
	v_sub_u32_e32 v12, 29, v12
	v_and_b32_e32 v1, 7, v1
	v_cmp_eq_u32_e32 vcc, 0, v11
	v_cndmask_b32_e32 v11, v11, v12, vcc
	v_cndmask_b32_e32 v1, v5, v1, vcc
	v_mov_b32_e32 v5, 0x3b800000
	v_lshlrev_b32_e32 v1, 20, v1
	v_and_b32_e32 v3, 0x80000000, v3
	v_lshl_add_u32 v5, v11, 23, v5
	v_or3_b32 v1, v3, v5, v1
	v_trunc_f32_e32 v1, v1
	s_mov_b32 s12, 0x2f800000
	v_mul_f32_e64 v3, |v1|, s12
	v_floor_f32_e32 v3, v3
	s_mov_b32 s12, 0xcf800000
	v_fma_f32 v5, v3, s12, |v1|
	v_cvt_u32_f32_e32 v5, v5
	v_cvt_u32_f32_e32 v3, v3
	v_ashrrev_i32_e32 v1, 31, v1
	v_xor_b32_e32 v5, v5, v1
	v_xor_b32_e32 v3, v3, v1
	v_sub_co_u32_e32 v11, vcc, v5, v1
	v_subb_co_u32_e32 v12, vcc, v3, v1, vcc
.LBB79_1412:
	s_or_b64 exec, exec, s[6:7]
.LBB79_1413:
	s_mov_b64 s[6:7], -1
.LBB79_1414:
	s_mov_b64 s[12:13], 0
.LBB79_1415:
	s_and_b64 vcc, exec, s[12:13]
	s_cbranch_vccz .LBB79_1444
; %bb.1416:
	s_cmp_gt_i32 s15, 22
	s_cbranch_scc0 .LBB79_1426
; %bb.1417:
	s_cmp_lt_i32 s15, 24
	s_cbranch_scc1 .LBB79_1427
; %bb.1418:
	s_cmp_gt_i32 s15, 24
	s_cbranch_scc0 .LBB79_1428
; %bb.1419:
	global_load_ubyte v1, v[14:15], off
	s_movk_i32 s4, 0x7f
	s_mov_b64 s[6:7], 0
	s_waitcnt vmcnt(0)
	v_cmp_lt_i16_e32 vcc, s4, v1
	s_and_saveexec_b64 s[4:5], vcc
	s_xor_b64 s[4:5], exec, s[4:5]
; %bb.1420:
	s_movk_i32 s6, 0x80
	v_cmp_ne_u16_e32 vcc, s6, v1
	s_and_b64 s[6:7], vcc, exec
; %bb.1421:
	s_andn2_saveexec_b64 s[4:5], s[4:5]
; %bb.1422:
	v_cmp_ne_u16_e32 vcc, 0, v1
	s_andn2_b64 s[6:7], s[6:7], exec
	s_and_b64 s[12:13], vcc, exec
	s_or_b64 s[6:7], s[6:7], s[12:13]
; %bb.1423:
	s_or_b64 exec, exec, s[4:5]
	v_mov_b32_e32 v11, 0
	v_mov_b32_e32 v12, 0
	s_and_saveexec_b64 s[4:5], s[6:7]
	s_cbranch_execz .LBB79_1425
; %bb.1424:
	v_lshlrev_b32_e32 v3, 24, v1
	v_and_b32_e32 v1, 0xffff, v1
	v_and_b32_e32 v5, 3, v1
	v_ffbh_u32_e32 v12, v5
	v_min_u32_e32 v12, 32, v12
	v_subrev_u32_e32 v16, 29, v12
	v_bfe_u32 v11, v1, 2, 5
	v_lshlrev_b32_e32 v1, v16, v1
	v_sub_u32_e32 v12, 30, v12
	v_and_b32_e32 v1, 3, v1
	v_cmp_eq_u32_e32 vcc, 0, v11
	v_cndmask_b32_e32 v11, v11, v12, vcc
	v_cndmask_b32_e32 v1, v5, v1, vcc
	v_mov_b32_e32 v5, 0x37800000
	v_lshlrev_b32_e32 v1, 21, v1
	v_and_b32_e32 v3, 0x80000000, v3
	v_lshl_add_u32 v5, v11, 23, v5
	v_or3_b32 v1, v3, v5, v1
	v_trunc_f32_e32 v1, v1
	s_mov_b32 s6, 0x2f800000
	v_mul_f32_e64 v3, |v1|, s6
	v_floor_f32_e32 v3, v3
	s_mov_b32 s6, 0xcf800000
	v_fma_f32 v5, v3, s6, |v1|
	v_cvt_u32_f32_e32 v5, v5
	v_cvt_u32_f32_e32 v3, v3
	v_ashrrev_i32_e32 v1, 31, v1
	v_xor_b32_e32 v5, v5, v1
	v_xor_b32_e32 v3, v3, v1
	v_sub_co_u32_e32 v11, vcc, v5, v1
	v_subb_co_u32_e32 v12, vcc, v3, v1, vcc
.LBB79_1425:
	s_or_b64 exec, exec, s[4:5]
	s_mov_b64 s[4:5], 0
	s_branch .LBB79_1429
.LBB79_1426:
	s_mov_b64 s[4:5], -1
                                        ; implicit-def: $vgpr11_vgpr12
	s_branch .LBB79_1435
.LBB79_1427:
	s_mov_b64 s[4:5], -1
                                        ; implicit-def: $vgpr11_vgpr12
	s_branch .LBB79_1432
.LBB79_1428:
	s_mov_b64 s[4:5], -1
                                        ; implicit-def: $vgpr11_vgpr12
.LBB79_1429:
	s_and_b64 vcc, exec, s[4:5]
	s_cbranch_vccz .LBB79_1431
; %bb.1430:
	global_load_ubyte v1, v[14:15], off
	s_mov_b32 s4, 0x7f800000
	s_brev_b32 s5, 1
	s_mov_b32 s6, 0x2f800000
	s_mov_b32 s7, 0xcf800000
	s_waitcnt vmcnt(0)
	v_lshlrev_b32_e32 v1, 24, v1
	v_and_b32_e32 v3, 0x7f000000, v1
	v_ffbh_u32_e32 v5, v3
	v_min_u32_e32 v5, 32, v5
	v_sub_u32_e64 v5, v5, 4 clamp
	v_lshlrev_b32_e32 v12, v5, v3
	v_lshlrev_b32_e32 v5, 23, v5
	v_lshrrev_b32_e32 v12, 4, v12
	v_add_u32_e32 v11, 0x1000000, v3
	v_sub_u32_e32 v5, v12, v5
	v_ashrrev_i32_e32 v11, 8, v11
	v_add_u32_e32 v5, 0x3c000000, v5
	v_and_or_b32 v5, v11, s4, v5
	v_cmp_ne_u32_e32 vcc, 0, v3
	v_cndmask_b32_e32 v3, 0, v5, vcc
	v_and_or_b32 v1, v1, s5, v3
	v_trunc_f32_e32 v1, v1
	v_mul_f32_e64 v3, |v1|, s6
	v_floor_f32_e32 v3, v3
	v_fma_f32 v5, v3, s7, |v1|
	v_cvt_u32_f32_e32 v5, v5
	v_cvt_u32_f32_e32 v3, v3
	v_ashrrev_i32_e32 v1, 31, v1
	v_xor_b32_e32 v5, v5, v1
	v_xor_b32_e32 v3, v3, v1
	v_sub_co_u32_e32 v11, vcc, v5, v1
	v_subb_co_u32_e32 v12, vcc, v3, v1, vcc
.LBB79_1431:
	s_mov_b64 s[4:5], 0
.LBB79_1432:
	s_andn2_b64 vcc, exec, s[4:5]
	s_cbranch_vccnz .LBB79_1434
; %bb.1433:
	global_load_ubyte v1, v[14:15], off
	s_movk_i32 s4, 0x7f00
	s_brev_b32 s5, 16
	s_brev_b32 s6, 1
	s_mov_b32 s7, 0x2f800000
	s_mov_b32 s12, 0xcf800000
	s_waitcnt vmcnt(0)
	v_lshlrev_b16_e32 v3, 8, v1
	v_lshlrev_b32_e32 v1, 25, v1
	v_lshrrev_b32_e32 v5, 4, v1
	v_and_or_b32 v11, v3, s4, 0.5
	v_or_b32_e32 v5, 0x70000000, v5
	v_add_f32_e32 v11, -0.5, v11
	v_mul_f32_e32 v5, 0x7800000, v5
	v_cmp_gt_u32_e32 vcc, s5, v1
	v_bfe_i32 v3, v3, 0, 16
	v_cndmask_b32_e32 v1, v5, v11, vcc
	v_and_or_b32 v1, v3, s6, v1
	v_trunc_f32_e32 v1, v1
	v_mul_f32_e64 v3, |v1|, s7
	v_floor_f32_e32 v3, v3
	v_fma_f32 v5, v3, s12, |v1|
	v_cvt_u32_f32_e32 v5, v5
	v_cvt_u32_f32_e32 v3, v3
	v_ashrrev_i32_e32 v1, 31, v1
	v_xor_b32_e32 v5, v5, v1
	v_xor_b32_e32 v3, v3, v1
	v_sub_co_u32_e32 v11, vcc, v5, v1
	v_subb_co_u32_e32 v12, vcc, v3, v1, vcc
.LBB79_1434:
	s_mov_b64 s[4:5], 0
	s_mov_b64 s[6:7], -1
.LBB79_1435:
	s_andn2_b64 vcc, exec, s[4:5]
	s_mov_b64 s[4:5], 0
	s_cbranch_vccnz .LBB79_1444
; %bb.1436:
	s_cmp_gt_i32 s15, 14
	s_cbranch_scc0 .LBB79_1439
; %bb.1437:
	s_cmp_eq_u32 s15, 15
	s_cbranch_scc0 .LBB79_1440
; %bb.1438:
	global_load_ushort v1, v[14:15], off
	s_mov_b32 s0, 0x2f800000
	s_mov_b32 s1, 0xcf800000
	s_mov_b64 s[6:7], -1
	s_waitcnt vmcnt(0)
	v_lshlrev_b32_e32 v1, 16, v1
	v_trunc_f32_e32 v1, v1
	v_mul_f32_e64 v3, |v1|, s0
	v_floor_f32_e32 v3, v3
	v_fma_f32 v5, v3, s1, |v1|
	v_cvt_u32_f32_e32 v5, v5
	v_cvt_u32_f32_e32 v3, v3
	v_ashrrev_i32_e32 v1, 31, v1
	s_mov_b64 s[0:1], 0
	v_xor_b32_e32 v5, v5, v1
	v_xor_b32_e32 v3, v3, v1
	v_sub_co_u32_e32 v11, vcc, v5, v1
	v_subb_co_u32_e32 v12, vcc, v3, v1, vcc
	s_branch .LBB79_1441
.LBB79_1439:
	s_mov_b64 s[12:13], -1
                                        ; implicit-def: $vgpr11_vgpr12
	s_branch .LBB79_1442
.LBB79_1440:
	s_mov_b64 s[0:1], -1
                                        ; implicit-def: $vgpr11_vgpr12
.LBB79_1441:
	s_mov_b64 s[12:13], 0
.LBB79_1442:
	s_and_b64 vcc, exec, s[12:13]
	s_cbranch_vccz .LBB79_1444
; %bb.1443:
	s_cmp_lg_u32 s15, 11
	s_mov_b64 s[4:5], -1
	s_cselect_b64 s[0:1], -1, 0
.LBB79_1444:
	s_and_b64 vcc, exec, s[0:1]
	s_cbranch_vccnz .LBB79_1507
; %bb.1445:
	s_andn2_b64 vcc, exec, s[4:5]
	s_cbranch_vccnz .LBB79_1447
.LBB79_1446:
	global_load_ubyte v1, v[14:15], off
	s_mov_b32 s0, 0
	s_waitcnt vmcnt(1)
	v_mov_b32_e32 v12, s0
	s_mov_b64 s[6:7], -1
	s_waitcnt vmcnt(0)
	v_cmp_ne_u16_e32 vcc, 0, v1
	v_cndmask_b32_e64 v11, 0, 1, vcc
.LBB79_1447:
	s_branch .LBB79_1379
.LBB79_1448:
	s_and_b32 s4, 0xffff, s14
	s_cmp_lt_i32 s4, 5
	s_cbranch_scc1 .LBB79_1453
; %bb.1449:
	s_cmp_lt_i32 s4, 8
	s_cbranch_scc1 .LBB79_1454
; %bb.1450:
	;; [unrolled: 3-line block ×3, first 2 shown]
	s_cmp_gt_i32 s4, 9
	s_cbranch_scc0 .LBB79_1456
; %bb.1452:
	global_load_dwordx2 v[11:12], v[14:15], off
	s_movk_i32 s0, 0xffe0
	s_waitcnt vmcnt(0)
	v_trunc_f64_e32 v[11:12], v[11:12]
	v_ldexp_f64 v[16:17], v[11:12], s0
	s_mov_b32 s0, 0
	s_mov_b32 s1, 0xc1f00000
	v_floor_f64_e32 v[16:17], v[16:17]
	v_fma_f64 v[18:19], v[16:17], s[0:1], v[11:12]
	v_cvt_i32_f64_e32 v12, v[16:17]
	s_mov_b64 s[0:1], 0
	v_cvt_u32_f64_e32 v11, v[18:19]
	s_branch .LBB79_1457
.LBB79_1453:
	s_mov_b64 s[0:1], -1
                                        ; implicit-def: $vgpr11_vgpr12
	s_branch .LBB79_1475
.LBB79_1454:
	s_mov_b64 s[0:1], -1
                                        ; implicit-def: $vgpr11_vgpr12
	s_branch .LBB79_1463
.LBB79_1455:
	s_mov_b64 s[0:1], -1
                                        ; implicit-def: $vgpr11_vgpr12
	s_branch .LBB79_1460
.LBB79_1456:
	s_mov_b64 s[0:1], -1
                                        ; implicit-def: $vgpr11_vgpr12
.LBB79_1457:
	s_andn2_b64 vcc, exec, s[0:1]
	s_cbranch_vccnz .LBB79_1459
; %bb.1458:
	global_load_dword v1, v[14:15], off
	s_mov_b32 s0, 0x2f800000
	s_mov_b32 s1, 0xcf800000
	s_waitcnt vmcnt(0)
	v_trunc_f32_e32 v1, v1
	v_mul_f32_e64 v3, |v1|, s0
	v_floor_f32_e32 v3, v3
	v_cvt_u32_f32_e32 v5, v3
	v_fma_f32 v3, v3, s1, |v1|
	v_cvt_u32_f32_e32 v3, v3
	v_ashrrev_i32_e32 v1, 31, v1
	v_xor_b32_e32 v5, v5, v1
	v_xor_b32_e32 v3, v3, v1
	v_sub_co_u32_e32 v11, vcc, v3, v1
	v_subb_co_u32_e32 v12, vcc, v5, v1, vcc
.LBB79_1459:
	s_mov_b64 s[0:1], 0
.LBB79_1460:
	s_andn2_b64 vcc, exec, s[0:1]
	s_cbranch_vccnz .LBB79_1462
; %bb.1461:
	global_load_dword v1, v[14:15], off
	s_waitcnt vmcnt(0)
	v_cvt_f32_f16_e32 v1, v1
	v_cvt_i32_f32_e32 v11, v1
	v_ashrrev_i32_e32 v12, 31, v11
.LBB79_1462:
	s_mov_b64 s[0:1], 0
.LBB79_1463:
	s_andn2_b64 vcc, exec, s[0:1]
	s_cbranch_vccnz .LBB79_1474
; %bb.1464:
	s_cmp_lt_i32 s4, 6
	s_cbranch_scc1 .LBB79_1467
; %bb.1465:
	s_cmp_gt_i32 s4, 6
	s_cbranch_scc0 .LBB79_1468
; %bb.1466:
	global_load_dwordx2 v[11:12], v[14:15], off
	s_movk_i32 s0, 0xffe0
	s_waitcnt vmcnt(0)
	v_trunc_f64_e32 v[11:12], v[11:12]
	v_ldexp_f64 v[16:17], v[11:12], s0
	s_mov_b32 s0, 0
	s_mov_b32 s1, 0xc1f00000
	v_floor_f64_e32 v[16:17], v[16:17]
	v_fma_f64 v[18:19], v[16:17], s[0:1], v[11:12]
	v_cvt_i32_f64_e32 v12, v[16:17]
	s_mov_b64 s[0:1], 0
	v_cvt_u32_f64_e32 v11, v[18:19]
	s_branch .LBB79_1469
.LBB79_1467:
	s_mov_b64 s[0:1], -1
                                        ; implicit-def: $vgpr11_vgpr12
	s_branch .LBB79_1472
.LBB79_1468:
	s_mov_b64 s[0:1], -1
                                        ; implicit-def: $vgpr11_vgpr12
.LBB79_1469:
	s_andn2_b64 vcc, exec, s[0:1]
	s_cbranch_vccnz .LBB79_1471
; %bb.1470:
	global_load_dword v1, v[14:15], off
	s_mov_b32 s0, 0x2f800000
	s_mov_b32 s1, 0xcf800000
	s_waitcnt vmcnt(0)
	v_trunc_f32_e32 v1, v1
	v_mul_f32_e64 v3, |v1|, s0
	v_floor_f32_e32 v3, v3
	v_cvt_u32_f32_e32 v5, v3
	v_fma_f32 v3, v3, s1, |v1|
	v_cvt_u32_f32_e32 v3, v3
	v_ashrrev_i32_e32 v1, 31, v1
	v_xor_b32_e32 v5, v5, v1
	v_xor_b32_e32 v3, v3, v1
	v_sub_co_u32_e32 v11, vcc, v3, v1
	v_subb_co_u32_e32 v12, vcc, v5, v1, vcc
.LBB79_1471:
	s_mov_b64 s[0:1], 0
.LBB79_1472:
	s_andn2_b64 vcc, exec, s[0:1]
	s_cbranch_vccnz .LBB79_1474
; %bb.1473:
	global_load_ushort v1, v[14:15], off
	s_waitcnt vmcnt(0)
	v_cvt_f32_f16_e32 v1, v1
	v_cvt_i32_f32_e32 v11, v1
	v_ashrrev_i32_e32 v12, 31, v11
.LBB79_1474:
	s_mov_b64 s[0:1], 0
.LBB79_1475:
	s_andn2_b64 vcc, exec, s[0:1]
	s_cbranch_vccnz .LBB79_1495
; %bb.1476:
	s_cmp_lt_i32 s4, 2
	s_cbranch_scc1 .LBB79_1480
; %bb.1477:
	s_cmp_lt_i32 s4, 3
	s_cbranch_scc1 .LBB79_1481
; %bb.1478:
	s_cmp_gt_i32 s4, 3
	s_cbranch_scc0 .LBB79_1482
; %bb.1479:
	global_load_dwordx2 v[11:12], v[14:15], off
	s_mov_b64 s[0:1], 0
	s_branch .LBB79_1483
.LBB79_1480:
	s_mov_b64 s[0:1], -1
                                        ; implicit-def: $vgpr11_vgpr12
	s_branch .LBB79_1489
.LBB79_1481:
	s_mov_b64 s[0:1], -1
                                        ; implicit-def: $vgpr11_vgpr12
	s_branch .LBB79_1486
.LBB79_1482:
	s_mov_b64 s[0:1], -1
                                        ; implicit-def: $vgpr11_vgpr12
.LBB79_1483:
	s_andn2_b64 vcc, exec, s[0:1]
	s_cbranch_vccnz .LBB79_1485
; %bb.1484:
	global_load_dword v11, v[14:15], off
	s_waitcnt vmcnt(0)
	v_ashrrev_i32_e32 v12, 31, v11
.LBB79_1485:
	s_mov_b64 s[0:1], 0
.LBB79_1486:
	s_andn2_b64 vcc, exec, s[0:1]
	s_cbranch_vccnz .LBB79_1488
; %bb.1487:
	global_load_ushort v1, v[14:15], off
	s_waitcnt vmcnt(0)
	v_bfe_i32 v11, v1, 0, 16
	v_ashrrev_i32_e32 v12, 31, v11
.LBB79_1488:
	s_mov_b64 s[0:1], 0
.LBB79_1489:
	s_andn2_b64 vcc, exec, s[0:1]
	s_cbranch_vccnz .LBB79_1495
; %bb.1490:
	s_cmp_gt_i32 s4, 0
	s_cbranch_scc0 .LBB79_1492
; %bb.1491:
	global_load_sbyte v1, v[14:15], off
	s_mov_b64 s[0:1], 0
	s_waitcnt vmcnt(0)
	v_bfe_i32 v11, v1, 0, 16
	v_ashrrev_i32_e32 v12, 31, v11
	s_branch .LBB79_1493
.LBB79_1492:
	s_mov_b64 s[0:1], -1
                                        ; implicit-def: $vgpr11_vgpr12
.LBB79_1493:
	s_andn2_b64 vcc, exec, s[0:1]
	s_cbranch_vccnz .LBB79_1495
; %bb.1494:
	global_load_ubyte v1, v[14:15], off
	s_mov_b32 s0, 0
	s_waitcnt vmcnt(1)
	v_mov_b32_e32 v12, s0
	s_waitcnt vmcnt(0)
	v_and_b32_e32 v11, 0xffff, v1
.LBB79_1495:
.LBB79_1496:
	v_mov_b32_e32 v1, s11
	v_add_co_u32_e32 v15, vcc, s10, v13
	s_cmp_lt_i32 s14, 11
	v_addc_co_u32_e32 v16, vcc, 0, v1, vcc
	s_cbranch_scc1 .LBB79_1503
; %bb.1497:
	s_and_b32 s12, 0xffff, s14
	s_cmp_gt_i32 s12, 25
	s_mov_b64 s[4:5], 0
	s_cbranch_scc0 .LBB79_1504
; %bb.1498:
	s_cmp_gt_i32 s12, 28
	s_cbranch_scc0 .LBB79_1505
; %bb.1499:
	s_cmp_gt_i32 s12, 43
	;; [unrolled: 3-line block ×3, first 2 shown]
	s_cbranch_scc0 .LBB79_1508
; %bb.1501:
	s_cmp_eq_u32 s12, 46
	s_mov_b64 s[10:11], 0
	s_cbranch_scc0 .LBB79_1509
; %bb.1502:
	global_load_dword v1, v[15:16], off
	s_mov_b32 s0, 0x2f800000
	s_mov_b32 s1, 0xcf800000
	s_mov_b64 s[6:7], -1
	s_waitcnt vmcnt(0)
	v_lshlrev_b32_e32 v1, 16, v1
	v_trunc_f32_e32 v1, v1
	v_mul_f32_e64 v3, |v1|, s0
	v_floor_f32_e32 v3, v3
	v_fma_f32 v5, v3, s1, |v1|
	v_cvt_u32_f32_e32 v5, v5
	v_cvt_u32_f32_e32 v3, v3
	v_ashrrev_i32_e32 v1, 31, v1
	s_mov_b64 s[0:1], 0
	v_xor_b32_e32 v5, v5, v1
	v_xor_b32_e32 v3, v3, v1
	v_sub_co_u32_e32 v13, vcc, v5, v1
	v_subb_co_u32_e32 v14, vcc, v3, v1, vcc
	s_branch .LBB79_1510
.LBB79_1503:
	s_mov_b64 s[0:1], -1
	s_mov_b64 s[6:7], 0
                                        ; implicit-def: $vgpr13_vgpr14
	s_branch .LBB79_1572
.LBB79_1504:
	s_mov_b64 s[10:11], -1
	s_mov_b64 s[6:7], 0
	s_mov_b64 s[0:1], 0
                                        ; implicit-def: $vgpr13_vgpr14
	s_branch .LBB79_1539
.LBB79_1505:
	s_mov_b64 s[10:11], -1
	s_mov_b64 s[6:7], 0
	s_mov_b64 s[0:1], 0
                                        ; implicit-def: $vgpr13_vgpr14
	s_branch .LBB79_1520
.LBB79_1506:
	s_mov_b64 s[10:11], -1
	s_mov_b64 s[6:7], 0
	s_mov_b64 s[0:1], 0
                                        ; implicit-def: $vgpr13_vgpr14
	s_branch .LBB79_1515
.LBB79_1507:
	s_trap 2
	s_or_b64 s[2:3], s[2:3], exec
	s_cbranch_execz .LBB79_1446
	s_branch .LBB79_1447
.LBB79_1508:
	s_mov_b64 s[10:11], -1
	s_mov_b64 s[6:7], 0
	s_mov_b64 s[0:1], 0
                                        ; implicit-def: $vgpr13_vgpr14
	s_branch .LBB79_1510
.LBB79_1509:
	s_mov_b64 s[0:1], -1
                                        ; implicit-def: $vgpr13_vgpr14
	s_mov_b64 s[6:7], 0
.LBB79_1510:
	s_and_b64 vcc, exec, s[10:11]
	s_cbranch_vccz .LBB79_1514
; %bb.1511:
	s_cmp_eq_u32 s12, 44
	s_cbranch_scc0 .LBB79_1513
; %bb.1512:
	global_load_ubyte v1, v[15:16], off
	s_mov_b32 s0, 0x2f800000
	s_mov_b32 s1, 0xcf800000
	s_mov_b64 s[6:7], -1
	s_waitcnt vmcnt(0)
	v_lshlrev_b32_e32 v3, 23, v1
	v_trunc_f32_e32 v3, v3
	v_mul_f32_e64 v5, |v3|, s0
	v_floor_f32_e32 v5, v5
	v_fma_f32 v13, v5, s1, |v3|
	v_cvt_u32_f32_e32 v13, v13
	v_cvt_u32_f32_e32 v5, v5
	v_ashrrev_i32_e32 v3, 31, v3
	s_mov_b64 s[0:1], 0
	v_xor_b32_e32 v13, v13, v3
	v_xor_b32_e32 v5, v5, v3
	v_sub_co_u32_e32 v13, vcc, v13, v3
	v_subb_co_u32_e32 v3, vcc, v5, v3, vcc
	v_cmp_ne_u32_e32 vcc, 0, v1
	v_cndmask_b32_e32 v14, 0, v3, vcc
	v_cndmask_b32_e32 v13, 0, v13, vcc
	s_branch .LBB79_1514
.LBB79_1513:
	s_mov_b64 s[0:1], -1
                                        ; implicit-def: $vgpr13_vgpr14
.LBB79_1514:
	s_mov_b64 s[10:11], 0
.LBB79_1515:
	s_and_b64 vcc, exec, s[10:11]
	s_cbranch_vccz .LBB79_1519
; %bb.1516:
	s_cmp_eq_u32 s12, 29
	s_cbranch_scc0 .LBB79_1518
; %bb.1517:
	global_load_dwordx2 v[13:14], v[15:16], off
	s_mov_b64 s[0:1], 0
	s_mov_b64 s[6:7], -1
	s_branch .LBB79_1519
.LBB79_1518:
	s_mov_b64 s[0:1], -1
                                        ; implicit-def: $vgpr13_vgpr14
.LBB79_1519:
	s_mov_b64 s[10:11], 0
.LBB79_1520:
	s_and_b64 vcc, exec, s[10:11]
	s_cbranch_vccz .LBB79_1538
; %bb.1521:
	s_cmp_lt_i32 s12, 27
	s_cbranch_scc1 .LBB79_1524
; %bb.1522:
	s_cmp_gt_i32 s12, 27
	s_cbranch_scc0 .LBB79_1525
; %bb.1523:
	global_load_dword v13, v[15:16], off
	s_waitcnt vmcnt(1)
	v_mov_b32_e32 v14, 0
	s_mov_b64 s[6:7], 0
	s_branch .LBB79_1526
.LBB79_1524:
	s_mov_b64 s[6:7], -1
                                        ; implicit-def: $vgpr13_vgpr14
	s_branch .LBB79_1529
.LBB79_1525:
	s_mov_b64 s[6:7], -1
                                        ; implicit-def: $vgpr13_vgpr14
.LBB79_1526:
	s_andn2_b64 vcc, exec, s[6:7]
	s_cbranch_vccnz .LBB79_1528
; %bb.1527:
	global_load_ushort v1, v[15:16], off
	s_mov_b32 s6, 0
	s_waitcnt vmcnt(1)
	v_mov_b32_e32 v14, s6
	s_waitcnt vmcnt(0)
	v_and_b32_e32 v13, 0xffff, v1
.LBB79_1528:
	s_mov_b64 s[6:7], 0
.LBB79_1529:
	s_andn2_b64 vcc, exec, s[6:7]
	s_cbranch_vccnz .LBB79_1537
; %bb.1530:
	global_load_ubyte v1, v[15:16], off
	s_movk_i32 s6, 0x7f
	s_mov_b64 s[10:11], 0
	s_waitcnt vmcnt(0)
	v_cmp_lt_i16_e32 vcc, s6, v1
	s_and_saveexec_b64 s[6:7], vcc
	s_xor_b64 s[6:7], exec, s[6:7]
; %bb.1531:
	s_movk_i32 s10, 0x80
	v_cmp_ne_u16_e32 vcc, s10, v1
	s_and_b64 s[10:11], vcc, exec
; %bb.1532:
	s_andn2_saveexec_b64 s[6:7], s[6:7]
; %bb.1533:
	v_cmp_ne_u16_e32 vcc, 0, v1
	s_andn2_b64 s[10:11], s[10:11], exec
	s_and_b64 s[16:17], vcc, exec
	s_or_b64 s[10:11], s[10:11], s[16:17]
; %bb.1534:
	s_or_b64 exec, exec, s[6:7]
	v_mov_b32_e32 v13, 0
	v_mov_b32_e32 v14, 0
	s_and_saveexec_b64 s[6:7], s[10:11]
	s_cbranch_execz .LBB79_1536
; %bb.1535:
	v_lshlrev_b32_e32 v3, 24, v1
	v_and_b32_e32 v1, 0xffff, v1
	v_and_b32_e32 v5, 7, v1
	v_ffbh_u32_e32 v14, v5
	v_min_u32_e32 v14, 32, v14
	v_subrev_u32_e32 v17, 28, v14
	v_bfe_u32 v13, v1, 3, 4
	v_lshlrev_b32_e32 v1, v17, v1
	v_sub_u32_e32 v14, 29, v14
	v_and_b32_e32 v1, 7, v1
	v_cmp_eq_u32_e32 vcc, 0, v13
	v_cndmask_b32_e32 v13, v13, v14, vcc
	v_cndmask_b32_e32 v1, v5, v1, vcc
	v_mov_b32_e32 v5, 0x3b800000
	v_lshlrev_b32_e32 v1, 20, v1
	v_and_b32_e32 v3, 0x80000000, v3
	v_lshl_add_u32 v5, v13, 23, v5
	v_or3_b32 v1, v3, v5, v1
	v_trunc_f32_e32 v1, v1
	s_mov_b32 s10, 0x2f800000
	v_mul_f32_e64 v3, |v1|, s10
	v_floor_f32_e32 v3, v3
	s_mov_b32 s10, 0xcf800000
	v_fma_f32 v5, v3, s10, |v1|
	v_cvt_u32_f32_e32 v5, v5
	v_cvt_u32_f32_e32 v3, v3
	v_ashrrev_i32_e32 v1, 31, v1
	v_xor_b32_e32 v5, v5, v1
	v_xor_b32_e32 v3, v3, v1
	v_sub_co_u32_e32 v13, vcc, v5, v1
	v_subb_co_u32_e32 v14, vcc, v3, v1, vcc
.LBB79_1536:
	s_or_b64 exec, exec, s[6:7]
.LBB79_1537:
	s_mov_b64 s[6:7], -1
.LBB79_1538:
	s_mov_b64 s[10:11], 0
.LBB79_1539:
	s_and_b64 vcc, exec, s[10:11]
	s_cbranch_vccz .LBB79_1568
; %bb.1540:
	s_cmp_gt_i32 s12, 22
	s_cbranch_scc0 .LBB79_1550
; %bb.1541:
	s_cmp_lt_i32 s12, 24
	s_cbranch_scc1 .LBB79_1551
; %bb.1542:
	s_cmp_gt_i32 s12, 24
	s_cbranch_scc0 .LBB79_1552
; %bb.1543:
	global_load_ubyte v1, v[15:16], off
	s_movk_i32 s4, 0x7f
	s_mov_b64 s[6:7], 0
	s_waitcnt vmcnt(0)
	v_cmp_lt_i16_e32 vcc, s4, v1
	s_and_saveexec_b64 s[4:5], vcc
	s_xor_b64 s[4:5], exec, s[4:5]
; %bb.1544:
	s_movk_i32 s6, 0x80
	v_cmp_ne_u16_e32 vcc, s6, v1
	s_and_b64 s[6:7], vcc, exec
; %bb.1545:
	s_andn2_saveexec_b64 s[4:5], s[4:5]
; %bb.1546:
	v_cmp_ne_u16_e32 vcc, 0, v1
	s_andn2_b64 s[6:7], s[6:7], exec
	s_and_b64 s[10:11], vcc, exec
	s_or_b64 s[6:7], s[6:7], s[10:11]
; %bb.1547:
	s_or_b64 exec, exec, s[4:5]
	v_mov_b32_e32 v13, 0
	v_mov_b32_e32 v14, 0
	s_and_saveexec_b64 s[4:5], s[6:7]
	s_cbranch_execz .LBB79_1549
; %bb.1548:
	v_lshlrev_b32_e32 v3, 24, v1
	v_and_b32_e32 v1, 0xffff, v1
	v_and_b32_e32 v5, 3, v1
	v_ffbh_u32_e32 v14, v5
	v_min_u32_e32 v14, 32, v14
	v_subrev_u32_e32 v17, 29, v14
	v_bfe_u32 v13, v1, 2, 5
	v_lshlrev_b32_e32 v1, v17, v1
	v_sub_u32_e32 v14, 30, v14
	v_and_b32_e32 v1, 3, v1
	v_cmp_eq_u32_e32 vcc, 0, v13
	v_cndmask_b32_e32 v13, v13, v14, vcc
	v_cndmask_b32_e32 v1, v5, v1, vcc
	v_mov_b32_e32 v5, 0x37800000
	v_lshlrev_b32_e32 v1, 21, v1
	v_and_b32_e32 v3, 0x80000000, v3
	v_lshl_add_u32 v5, v13, 23, v5
	v_or3_b32 v1, v3, v5, v1
	v_trunc_f32_e32 v1, v1
	s_mov_b32 s6, 0x2f800000
	v_mul_f32_e64 v3, |v1|, s6
	v_floor_f32_e32 v3, v3
	s_mov_b32 s6, 0xcf800000
	v_fma_f32 v5, v3, s6, |v1|
	v_cvt_u32_f32_e32 v5, v5
	v_cvt_u32_f32_e32 v3, v3
	v_ashrrev_i32_e32 v1, 31, v1
	v_xor_b32_e32 v5, v5, v1
	v_xor_b32_e32 v3, v3, v1
	v_sub_co_u32_e32 v13, vcc, v5, v1
	v_subb_co_u32_e32 v14, vcc, v3, v1, vcc
.LBB79_1549:
	s_or_b64 exec, exec, s[4:5]
	s_mov_b64 s[4:5], 0
	s_branch .LBB79_1553
.LBB79_1550:
	s_mov_b64 s[4:5], -1
                                        ; implicit-def: $vgpr13_vgpr14
	s_branch .LBB79_1559
.LBB79_1551:
	s_mov_b64 s[4:5], -1
                                        ; implicit-def: $vgpr13_vgpr14
	s_branch .LBB79_1556
.LBB79_1552:
	s_mov_b64 s[4:5], -1
                                        ; implicit-def: $vgpr13_vgpr14
.LBB79_1553:
	s_and_b64 vcc, exec, s[4:5]
	s_cbranch_vccz .LBB79_1555
; %bb.1554:
	global_load_ubyte v1, v[15:16], off
	s_mov_b32 s4, 0x7f800000
	s_brev_b32 s5, 1
	s_mov_b32 s6, 0x2f800000
	s_mov_b32 s7, 0xcf800000
	s_waitcnt vmcnt(0)
	v_lshlrev_b32_e32 v1, 24, v1
	v_and_b32_e32 v3, 0x7f000000, v1
	v_ffbh_u32_e32 v5, v3
	v_min_u32_e32 v5, 32, v5
	v_sub_u32_e64 v5, v5, 4 clamp
	v_lshlrev_b32_e32 v14, v5, v3
	v_lshlrev_b32_e32 v5, 23, v5
	v_lshrrev_b32_e32 v14, 4, v14
	v_add_u32_e32 v13, 0x1000000, v3
	v_sub_u32_e32 v5, v14, v5
	v_ashrrev_i32_e32 v13, 8, v13
	v_add_u32_e32 v5, 0x3c000000, v5
	v_and_or_b32 v5, v13, s4, v5
	v_cmp_ne_u32_e32 vcc, 0, v3
	v_cndmask_b32_e32 v3, 0, v5, vcc
	v_and_or_b32 v1, v1, s5, v3
	v_trunc_f32_e32 v1, v1
	v_mul_f32_e64 v3, |v1|, s6
	v_floor_f32_e32 v3, v3
	v_fma_f32 v5, v3, s7, |v1|
	v_cvt_u32_f32_e32 v5, v5
	v_cvt_u32_f32_e32 v3, v3
	v_ashrrev_i32_e32 v1, 31, v1
	v_xor_b32_e32 v5, v5, v1
	v_xor_b32_e32 v3, v3, v1
	v_sub_co_u32_e32 v13, vcc, v5, v1
	v_subb_co_u32_e32 v14, vcc, v3, v1, vcc
.LBB79_1555:
	s_mov_b64 s[4:5], 0
.LBB79_1556:
	s_andn2_b64 vcc, exec, s[4:5]
	s_cbranch_vccnz .LBB79_1558
; %bb.1557:
	global_load_ubyte v1, v[15:16], off
	s_movk_i32 s4, 0x7f00
	s_brev_b32 s5, 16
	s_brev_b32 s6, 1
	s_mov_b32 s7, 0x2f800000
	s_mov_b32 s10, 0xcf800000
	s_waitcnt vmcnt(0)
	v_lshlrev_b16_e32 v3, 8, v1
	v_lshlrev_b32_e32 v1, 25, v1
	v_lshrrev_b32_e32 v5, 4, v1
	v_and_or_b32 v13, v3, s4, 0.5
	v_or_b32_e32 v5, 0x70000000, v5
	v_add_f32_e32 v13, -0.5, v13
	v_mul_f32_e32 v5, 0x7800000, v5
	v_cmp_gt_u32_e32 vcc, s5, v1
	v_bfe_i32 v3, v3, 0, 16
	v_cndmask_b32_e32 v1, v5, v13, vcc
	v_and_or_b32 v1, v3, s6, v1
	v_trunc_f32_e32 v1, v1
	v_mul_f32_e64 v3, |v1|, s7
	v_floor_f32_e32 v3, v3
	v_fma_f32 v5, v3, s10, |v1|
	v_cvt_u32_f32_e32 v5, v5
	v_cvt_u32_f32_e32 v3, v3
	v_ashrrev_i32_e32 v1, 31, v1
	v_xor_b32_e32 v5, v5, v1
	v_xor_b32_e32 v3, v3, v1
	v_sub_co_u32_e32 v13, vcc, v5, v1
	v_subb_co_u32_e32 v14, vcc, v3, v1, vcc
.LBB79_1558:
	s_mov_b64 s[4:5], 0
	s_mov_b64 s[6:7], -1
.LBB79_1559:
	s_andn2_b64 vcc, exec, s[4:5]
	s_mov_b64 s[4:5], 0
	s_cbranch_vccnz .LBB79_1568
; %bb.1560:
	s_cmp_gt_i32 s12, 14
	s_cbranch_scc0 .LBB79_1563
; %bb.1561:
	s_cmp_eq_u32 s12, 15
	s_cbranch_scc0 .LBB79_1564
; %bb.1562:
	global_load_ushort v1, v[15:16], off
	s_mov_b32 s0, 0x2f800000
	s_mov_b32 s1, 0xcf800000
	s_mov_b64 s[6:7], -1
	s_waitcnt vmcnt(0)
	v_lshlrev_b32_e32 v1, 16, v1
	v_trunc_f32_e32 v1, v1
	v_mul_f32_e64 v3, |v1|, s0
	v_floor_f32_e32 v3, v3
	v_fma_f32 v5, v3, s1, |v1|
	v_cvt_u32_f32_e32 v5, v5
	v_cvt_u32_f32_e32 v3, v3
	v_ashrrev_i32_e32 v1, 31, v1
	s_mov_b64 s[0:1], 0
	v_xor_b32_e32 v5, v5, v1
	v_xor_b32_e32 v3, v3, v1
	v_sub_co_u32_e32 v13, vcc, v5, v1
	v_subb_co_u32_e32 v14, vcc, v3, v1, vcc
	s_branch .LBB79_1565
.LBB79_1563:
	s_mov_b64 s[10:11], -1
                                        ; implicit-def: $vgpr13_vgpr14
	s_branch .LBB79_1566
.LBB79_1564:
	s_mov_b64 s[0:1], -1
                                        ; implicit-def: $vgpr13_vgpr14
.LBB79_1565:
	s_mov_b64 s[10:11], 0
.LBB79_1566:
	s_and_b64 vcc, exec, s[10:11]
	s_cbranch_vccz .LBB79_1568
; %bb.1567:
	s_cmp_lg_u32 s12, 11
	s_mov_b64 s[4:5], -1
	s_cselect_b64 s[0:1], -1, 0
.LBB79_1568:
	s_and_b64 vcc, exec, s[0:1]
	s_cbranch_vccnz .LBB79_2101
; %bb.1569:
	s_andn2_b64 vcc, exec, s[4:5]
	s_cbranch_vccnz .LBB79_1571
.LBB79_1570:
	global_load_ubyte v1, v[15:16], off
	s_mov_b32 s0, 0
	s_waitcnt vmcnt(1)
	v_mov_b32_e32 v14, s0
	s_mov_b64 s[6:7], -1
	s_waitcnt vmcnt(0)
	v_cmp_ne_u16_e32 vcc, 0, v1
	v_cndmask_b32_e64 v13, 0, 1, vcc
.LBB79_1571:
	s_mov_b64 s[0:1], 0
.LBB79_1572:
	s_and_b64 vcc, exec, s[0:1]
	s_cbranch_vccz .LBB79_1621
; %bb.1573:
	s_and_b32 s4, 0xffff, s14
	s_cmp_lt_i32 s4, 5
	s_cbranch_scc1 .LBB79_1578
; %bb.1574:
	s_cmp_lt_i32 s4, 8
	s_cbranch_scc1 .LBB79_1579
; %bb.1575:
	s_cmp_lt_i32 s4, 9
	s_cbranch_scc1 .LBB79_1580
; %bb.1576:
	s_cmp_gt_i32 s4, 9
	s_cbranch_scc0 .LBB79_1581
; %bb.1577:
	global_load_dwordx2 v[13:14], v[15:16], off
	s_movk_i32 s0, 0xffe0
	s_waitcnt vmcnt(0)
	v_trunc_f64_e32 v[13:14], v[13:14]
	v_ldexp_f64 v[17:18], v[13:14], s0
	s_mov_b32 s0, 0
	s_mov_b32 s1, 0xc1f00000
	v_floor_f64_e32 v[17:18], v[17:18]
	v_fma_f64 v[19:20], v[17:18], s[0:1], v[13:14]
	v_cvt_i32_f64_e32 v14, v[17:18]
	s_mov_b64 s[0:1], 0
	v_cvt_u32_f64_e32 v13, v[19:20]
	s_branch .LBB79_1582
.LBB79_1578:
	s_mov_b64 s[0:1], -1
                                        ; implicit-def: $vgpr13_vgpr14
	s_branch .LBB79_1600
.LBB79_1579:
	s_mov_b64 s[0:1], -1
                                        ; implicit-def: $vgpr13_vgpr14
	s_branch .LBB79_1588
.LBB79_1580:
	s_mov_b64 s[0:1], -1
                                        ; implicit-def: $vgpr13_vgpr14
	s_branch .LBB79_1585
.LBB79_1581:
	s_mov_b64 s[0:1], -1
                                        ; implicit-def: $vgpr13_vgpr14
.LBB79_1582:
	s_andn2_b64 vcc, exec, s[0:1]
	s_cbranch_vccnz .LBB79_1584
; %bb.1583:
	global_load_dword v1, v[15:16], off
	s_mov_b32 s0, 0x2f800000
	s_mov_b32 s1, 0xcf800000
	s_waitcnt vmcnt(0)
	v_trunc_f32_e32 v1, v1
	v_mul_f32_e64 v3, |v1|, s0
	v_floor_f32_e32 v3, v3
	v_cvt_u32_f32_e32 v5, v3
	v_fma_f32 v3, v3, s1, |v1|
	v_cvt_u32_f32_e32 v3, v3
	v_ashrrev_i32_e32 v1, 31, v1
	v_xor_b32_e32 v5, v5, v1
	v_xor_b32_e32 v3, v3, v1
	v_sub_co_u32_e32 v13, vcc, v3, v1
	v_subb_co_u32_e32 v14, vcc, v5, v1, vcc
.LBB79_1584:
	s_mov_b64 s[0:1], 0
.LBB79_1585:
	s_andn2_b64 vcc, exec, s[0:1]
	s_cbranch_vccnz .LBB79_1587
; %bb.1586:
	global_load_dword v1, v[15:16], off
	s_waitcnt vmcnt(0)
	v_cvt_f32_f16_e32 v1, v1
	v_cvt_i32_f32_e32 v13, v1
	v_ashrrev_i32_e32 v14, 31, v13
.LBB79_1587:
	s_mov_b64 s[0:1], 0
.LBB79_1588:
	s_andn2_b64 vcc, exec, s[0:1]
	s_cbranch_vccnz .LBB79_1599
; %bb.1589:
	s_cmp_lt_i32 s4, 6
	s_cbranch_scc1 .LBB79_1592
; %bb.1590:
	s_cmp_gt_i32 s4, 6
	s_cbranch_scc0 .LBB79_1593
; %bb.1591:
	global_load_dwordx2 v[13:14], v[15:16], off
	s_movk_i32 s0, 0xffe0
	s_waitcnt vmcnt(0)
	v_trunc_f64_e32 v[13:14], v[13:14]
	v_ldexp_f64 v[17:18], v[13:14], s0
	s_mov_b32 s0, 0
	s_mov_b32 s1, 0xc1f00000
	v_floor_f64_e32 v[17:18], v[17:18]
	v_fma_f64 v[19:20], v[17:18], s[0:1], v[13:14]
	v_cvt_i32_f64_e32 v14, v[17:18]
	s_mov_b64 s[0:1], 0
	v_cvt_u32_f64_e32 v13, v[19:20]
	s_branch .LBB79_1594
.LBB79_1592:
	s_mov_b64 s[0:1], -1
                                        ; implicit-def: $vgpr13_vgpr14
	s_branch .LBB79_1597
.LBB79_1593:
	s_mov_b64 s[0:1], -1
                                        ; implicit-def: $vgpr13_vgpr14
.LBB79_1594:
	s_andn2_b64 vcc, exec, s[0:1]
	s_cbranch_vccnz .LBB79_1596
; %bb.1595:
	global_load_dword v1, v[15:16], off
	s_mov_b32 s0, 0x2f800000
	s_mov_b32 s1, 0xcf800000
	s_waitcnt vmcnt(0)
	v_trunc_f32_e32 v1, v1
	v_mul_f32_e64 v3, |v1|, s0
	v_floor_f32_e32 v3, v3
	v_cvt_u32_f32_e32 v5, v3
	v_fma_f32 v3, v3, s1, |v1|
	v_cvt_u32_f32_e32 v3, v3
	v_ashrrev_i32_e32 v1, 31, v1
	v_xor_b32_e32 v5, v5, v1
	v_xor_b32_e32 v3, v3, v1
	v_sub_co_u32_e32 v13, vcc, v3, v1
	v_subb_co_u32_e32 v14, vcc, v5, v1, vcc
.LBB79_1596:
	s_mov_b64 s[0:1], 0
.LBB79_1597:
	s_andn2_b64 vcc, exec, s[0:1]
	s_cbranch_vccnz .LBB79_1599
; %bb.1598:
	global_load_ushort v1, v[15:16], off
	s_waitcnt vmcnt(0)
	v_cvt_f32_f16_e32 v1, v1
	v_cvt_i32_f32_e32 v13, v1
	v_ashrrev_i32_e32 v14, 31, v13
.LBB79_1599:
	s_mov_b64 s[0:1], 0
.LBB79_1600:
	s_andn2_b64 vcc, exec, s[0:1]
	s_cbranch_vccnz .LBB79_1620
; %bb.1601:
	s_cmp_lt_i32 s4, 2
	s_cbranch_scc1 .LBB79_1605
; %bb.1602:
	s_cmp_lt_i32 s4, 3
	s_cbranch_scc1 .LBB79_1606
; %bb.1603:
	s_cmp_gt_i32 s4, 3
	s_cbranch_scc0 .LBB79_1607
; %bb.1604:
	global_load_dwordx2 v[13:14], v[15:16], off
	s_mov_b64 s[0:1], 0
	s_branch .LBB79_1608
.LBB79_1605:
	s_mov_b64 s[0:1], -1
                                        ; implicit-def: $vgpr13_vgpr14
	s_branch .LBB79_1614
.LBB79_1606:
	s_mov_b64 s[0:1], -1
                                        ; implicit-def: $vgpr13_vgpr14
	s_branch .LBB79_1611
.LBB79_1607:
	s_mov_b64 s[0:1], -1
                                        ; implicit-def: $vgpr13_vgpr14
.LBB79_1608:
	s_andn2_b64 vcc, exec, s[0:1]
	s_cbranch_vccnz .LBB79_1610
; %bb.1609:
	global_load_dword v13, v[15:16], off
	s_waitcnt vmcnt(0)
	v_ashrrev_i32_e32 v14, 31, v13
.LBB79_1610:
	s_mov_b64 s[0:1], 0
.LBB79_1611:
	s_andn2_b64 vcc, exec, s[0:1]
	s_cbranch_vccnz .LBB79_1613
; %bb.1612:
	global_load_ushort v1, v[15:16], off
	s_waitcnt vmcnt(0)
	v_bfe_i32 v13, v1, 0, 16
	v_ashrrev_i32_e32 v14, 31, v13
.LBB79_1613:
	s_mov_b64 s[0:1], 0
.LBB79_1614:
	s_andn2_b64 vcc, exec, s[0:1]
	s_cbranch_vccnz .LBB79_1620
; %bb.1615:
	s_cmp_gt_i32 s4, 0
	s_cbranch_scc0 .LBB79_1617
; %bb.1616:
	global_load_sbyte v1, v[15:16], off
	s_mov_b64 s[0:1], 0
	s_waitcnt vmcnt(0)
	v_bfe_i32 v13, v1, 0, 16
	v_ashrrev_i32_e32 v14, 31, v13
	s_branch .LBB79_1618
.LBB79_1617:
	s_mov_b64 s[0:1], -1
                                        ; implicit-def: $vgpr13_vgpr14
.LBB79_1618:
	s_andn2_b64 vcc, exec, s[0:1]
	s_cbranch_vccnz .LBB79_1620
; %bb.1619:
	global_load_ubyte v1, v[15:16], off
	s_mov_b32 s0, 0
	s_waitcnt vmcnt(1)
	v_mov_b32_e32 v14, s0
	s_waitcnt vmcnt(0)
	v_and_b32_e32 v13, 0xffff, v1
.LBB79_1620:
	s_mov_b64 s[6:7], -1
.LBB79_1621:
	s_andn2_b64 vcc, exec, s[6:7]
	s_cbranch_vccnz .LBB79_2055
; %bb.1622:
	s_load_dword s0, s[34:35], 0x168
	s_load_dwordx2 s[4:5], s[34:35], 0x160
	s_waitcnt vmcnt(0)
	v_cmp_gt_u64_e32 vcc, 64, v[7:8]
	v_mov_b32_e32 v1, s9
	s_waitcnt lgkmcnt(0)
	s_and_b32 s16, s0, 0xff
	v_lshlrev_b64 v[15:16], v7, s[4:5]
	s_cmp_lt_i32 s16, 11
	v_cndmask_b32_e32 v8, 0, v16, vcc
	v_cndmask_b32_e32 v7, 0, v15, vcc
	v_add_co_u32_e32 v5, vcc, s8, v6
	v_addc_co_u32_e32 v6, vcc, 0, v1, vcc
	s_cbranch_scc1 .LBB79_1700
; %bb.1623:
	s_and_b32 s17, 0xffff, s16
	s_mov_b64 s[12:13], -1
	s_mov_b64 s[6:7], 0
	s_cmp_gt_i32 s17, 25
	s_mov_b64 s[10:11], 0
	s_mov_b64 s[0:1], 0
	s_cbranch_scc0 .LBB79_1656
; %bb.1624:
	s_cmp_gt_i32 s17, 28
	s_cbranch_scc0 .LBB79_1639
; %bb.1625:
	s_cmp_gt_i32 s17, 43
	s_cbranch_scc0 .LBB79_1635
; %bb.1626:
	s_cmp_gt_i32 s17, 45
	s_cbranch_scc0 .LBB79_1629
; %bb.1627:
	s_mov_b64 s[0:1], -1
	s_mov_b64 s[12:13], 0
	s_cmp_eq_u32 s17, 46
	s_cbranch_scc0 .LBB79_1629
; %bb.1628:
	v_xor_b32_e32 v3, v7, v8
	v_ffbh_i32_e32 v1, v8
	v_ashrrev_i32_e32 v3, 31, v3
	v_add_u32_e32 v1, -1, v1
	v_add_u32_e32 v3, 32, v3
	v_min_u32_e32 v1, v1, v3
	v_lshlrev_b64 v[15:16], v1, v[7:8]
	v_sub_u32_e32 v1, 32, v1
	v_min_u32_e32 v3, 1, v15
	v_or_b32_e32 v3, v16, v3
	v_cvt_f32_i32_e32 v3, v3
	s_movk_i32 s0, 0x7fff
	s_mov_b64 s[10:11], -1
	v_ldexp_f32 v1, v3, v1
	v_bfe_u32 v3, v1, 16, 1
	v_add3_u32 v1, v1, v3, s0
	v_lshrrev_b32_e32 v1, 16, v1
	global_store_dword v[5:6], v1, off
	s_mov_b64 s[0:1], 0
.LBB79_1629:
	s_and_b64 vcc, exec, s[12:13]
	s_cbranch_vccz .LBB79_1634
; %bb.1630:
	s_cmp_eq_u32 s17, 44
	s_mov_b64 s[0:1], -1
	s_cbranch_scc0 .LBB79_1634
; %bb.1631:
	v_xor_b32_e32 v3, v7, v8
	v_ffbh_i32_e32 v1, v8
	v_ashrrev_i32_e32 v3, 31, v3
	v_add_u32_e32 v1, -1, v1
	v_add_u32_e32 v3, 32, v3
	v_min_u32_e32 v1, v1, v3
	v_lshlrev_b64 v[15:16], v1, v[7:8]
	v_sub_u32_e32 v1, 32, v1
	v_min_u32_e32 v3, 1, v15
	v_or_b32_e32 v3, v16, v3
	v_cvt_f32_i32_e32 v3, v3
	s_movk_i32 s0, 0xff
	v_mov_b32_e32 v15, 0xff
	v_ldexp_f32 v1, v3, v1
	v_bfe_u32 v3, v1, 23, 8
	v_cmp_ne_u32_e32 vcc, s0, v3
	s_and_saveexec_b64 s[10:11], vcc
; %bb.1632:
	s_mov_b32 s0, 0x3fffff
	v_lshrrev_b32_e32 v15, 23, v1
	v_and_b32_e32 v16, 0x400000, v1
	v_and_or_b32 v1, v1, s0, v3
	v_cmp_ne_u32_e32 vcc, 0, v16
	v_cmp_ne_u32_e64 s[0:1], 0, v1
	s_and_b64 s[0:1], vcc, s[0:1]
	v_cndmask_b32_e64 v1, 0, 1, s[0:1]
	v_add_u32_e32 v15, v15, v1
; %bb.1633:
	s_or_b64 exec, exec, s[10:11]
	s_mov_b64 s[0:1], 0
	s_mov_b64 s[10:11], -1
	global_store_byte v[5:6], v15, off
.LBB79_1634:
	s_mov_b64 s[12:13], 0
.LBB79_1635:
	s_and_b64 vcc, exec, s[12:13]
	s_cbranch_vccz .LBB79_1638
; %bb.1636:
	s_cmp_eq_u32 s17, 29
	s_mov_b64 s[0:1], -1
	s_cbranch_scc0 .LBB79_1638
; %bb.1637:
	global_store_dwordx2 v[5:6], v[7:8], off
	s_mov_b64 s[0:1], 0
	s_mov_b64 s[10:11], -1
.LBB79_1638:
	s_mov_b64 s[12:13], 0
.LBB79_1639:
	s_and_b64 vcc, exec, s[12:13]
	s_cbranch_vccz .LBB79_1655
; %bb.1640:
	s_cmp_lt_i32 s17, 27
	s_mov_b64 s[10:11], -1
	s_cbranch_scc1 .LBB79_1646
; %bb.1641:
	s_cmp_gt_i32 s17, 27
	s_cbranch_scc0 .LBB79_1643
; %bb.1642:
	s_mov_b64 s[10:11], 0
	global_store_dword v[5:6], v7, off
.LBB79_1643:
	s_andn2_b64 vcc, exec, s[10:11]
	s_cbranch_vccnz .LBB79_1645
; %bb.1644:
	global_store_short v[5:6], v7, off
.LBB79_1645:
	s_mov_b64 s[10:11], 0
.LBB79_1646:
	s_andn2_b64 vcc, exec, s[10:11]
	s_cbranch_vccnz .LBB79_1654
; %bb.1647:
	v_xor_b32_e32 v3, v7, v8
	v_ffbh_i32_e32 v1, v8
	v_ashrrev_i32_e32 v3, 31, v3
	v_add_u32_e32 v1, -1, v1
	v_add_u32_e32 v3, 32, v3
	v_min_u32_e32 v1, v1, v3
	v_lshlrev_b64 v[15:16], v1, v[7:8]
	v_sub_u32_e32 v1, 32, v1
	v_min_u32_e32 v3, 1, v15
	v_or_b32_e32 v3, v16, v3
	v_cvt_f32_i32_e32 v3, v3
	s_mov_b32 s10, 0x43800000
	v_mov_b32_e32 v15, 0x80
	v_ldexp_f32 v1, v3, v1
	v_and_b32_e32 v3, 0x7fffffff, v1
	v_cmp_gt_u32_e32 vcc, s10, v3
	s_and_saveexec_b64 s[10:11], vcc
	s_cbranch_execz .LBB79_1653
; %bb.1648:
	s_mov_b32 s12, 0x3bffffff
	v_cmp_lt_u32_e32 vcc, s12, v3
	s_mov_b64 s[12:13], 0
                                        ; implicit-def: $vgpr3
	s_and_saveexec_b64 s[14:15], vcc
	s_xor_b64 s[14:15], exec, s[14:15]
	s_cbranch_execz .LBB79_2102
; %bb.1649:
	v_bfe_u32 v3, v1, 20, 1
	s_mov_b32 s18, 0x487ffff
	v_add3_u32 v3, v1, v3, s18
	s_mov_b64 s[12:13], exec
	v_lshrrev_b32_e32 v3, 20, v3
	s_andn2_saveexec_b64 s[14:15], s[14:15]
	s_cbranch_execnz .LBB79_2103
.LBB79_1650:
	s_or_b64 exec, exec, s[14:15]
	v_mov_b32_e32 v15, 0
	s_and_saveexec_b64 s[14:15], s[12:13]
.LBB79_1651:
	v_lshrrev_b32_e32 v1, 24, v1
	s_movk_i32 s12, 0x80
	v_and_or_b32 v15, v1, s12, v3
.LBB79_1652:
	s_or_b64 exec, exec, s[14:15]
.LBB79_1653:
	s_or_b64 exec, exec, s[10:11]
	global_store_byte v[5:6], v15, off
.LBB79_1654:
	s_mov_b64 s[10:11], -1
.LBB79_1655:
	s_mov_b64 s[12:13], 0
.LBB79_1656:
	s_and_b64 vcc, exec, s[12:13]
	s_cbranch_vccz .LBB79_1696
; %bb.1657:
	s_cmp_gt_i32 s17, 22
	s_mov_b64 s[6:7], -1
	s_cbranch_scc0 .LBB79_1689
; %bb.1658:
	s_cmp_lt_i32 s17, 24
	s_cbranch_scc1 .LBB79_1678
; %bb.1659:
	s_cmp_gt_i32 s17, 24
	s_cbranch_scc0 .LBB79_1667
; %bb.1660:
	v_xor_b32_e32 v3, v7, v8
	v_ffbh_i32_e32 v1, v8
	v_ashrrev_i32_e32 v3, 31, v3
	v_add_u32_e32 v1, -1, v1
	v_add_u32_e32 v3, 32, v3
	v_min_u32_e32 v1, v1, v3
	v_lshlrev_b64 v[15:16], v1, v[7:8]
	v_sub_u32_e32 v1, 32, v1
	v_min_u32_e32 v3, 1, v15
	v_or_b32_e32 v3, v16, v3
	v_cvt_f32_i32_e32 v3, v3
	s_mov_b32 s6, 0x47800000
	v_mov_b32_e32 v15, 0x80
	v_ldexp_f32 v1, v3, v1
	v_and_b32_e32 v3, 0x7fffffff, v1
	v_cmp_gt_u32_e32 vcc, s6, v3
	s_and_saveexec_b64 s[6:7], vcc
	s_cbranch_execz .LBB79_1666
; %bb.1661:
	s_mov_b32 s10, 0x37ffffff
	v_cmp_lt_u32_e32 vcc, s10, v3
	s_mov_b64 s[10:11], 0
                                        ; implicit-def: $vgpr3
	s_and_saveexec_b64 s[12:13], vcc
	s_xor_b64 s[12:13], exec, s[12:13]
	s_cbranch_execz .LBB79_2105
; %bb.1662:
	v_bfe_u32 v3, v1, 21, 1
	s_mov_b32 s14, 0x88fffff
	v_add3_u32 v3, v1, v3, s14
	s_mov_b64 s[10:11], exec
	v_lshrrev_b32_e32 v3, 21, v3
	s_andn2_saveexec_b64 s[12:13], s[12:13]
	s_cbranch_execnz .LBB79_2106
.LBB79_1663:
	s_or_b64 exec, exec, s[12:13]
	v_mov_b32_e32 v15, 0
	s_and_saveexec_b64 s[12:13], s[10:11]
.LBB79_1664:
	v_lshrrev_b32_e32 v1, 24, v1
	s_movk_i32 s10, 0x80
	v_and_or_b32 v15, v1, s10, v3
.LBB79_1665:
	s_or_b64 exec, exec, s[12:13]
.LBB79_1666:
	s_or_b64 exec, exec, s[6:7]
	s_mov_b64 s[6:7], 0
	global_store_byte v[5:6], v15, off
.LBB79_1667:
	s_and_b64 vcc, exec, s[6:7]
	s_cbranch_vccz .LBB79_1677
; %bb.1668:
	v_xor_b32_e32 v3, v7, v8
	v_ffbh_i32_e32 v1, v8
	v_ashrrev_i32_e32 v3, 31, v3
	v_add_u32_e32 v1, -1, v1
	v_add_u32_e32 v3, 32, v3
	v_min_u32_e32 v1, v1, v3
	v_lshlrev_b64 v[15:16], v1, v[7:8]
	v_sub_u32_e32 v1, 32, v1
	v_min_u32_e32 v3, 1, v15
	v_or_b32_e32 v3, v16, v3
	v_cvt_f32_i32_e32 v3, v3
	s_mov_b32 s6, 0x43f00000
	v_ldexp_f32 v1, v3, v1
	v_and_b32_e32 v15, 0x7fffffff, v1
	v_cmp_gt_u32_e32 vcc, s6, v15
                                        ; implicit-def: $vgpr3
	s_and_saveexec_b64 s[6:7], vcc
	s_xor_b64 s[6:7], exec, s[6:7]
	s_cbranch_execz .LBB79_1674
; %bb.1669:
	s_mov_b32 s10, 0x3c7fffff
	v_cmp_lt_u32_e32 vcc, s10, v15
                                        ; implicit-def: $vgpr3
	s_and_saveexec_b64 s[10:11], vcc
	s_xor_b64 s[10:11], exec, s[10:11]
; %bb.1670:
	v_bfe_u32 v3, v1, 20, 1
	s_mov_b32 s12, 0x407ffff
	v_add3_u32 v3, v1, v3, s12
	v_lshrrev_b32_e32 v15, 20, v3
	v_and_b32_e32 v3, 0xff00000, v3
	s_mov_b32 s12, 0x7f00000
	v_mov_b32_e32 v16, 0x7e
	v_cmp_ne_u32_e32 vcc, s12, v3
	v_cndmask_b32_e32 v3, v16, v15, vcc
; %bb.1671:
	s_andn2_saveexec_b64 s[10:11], s[10:11]
; %bb.1672:
	s_mov_b32 s12, 0x46800000
	v_add_f32_e64 v3, |v1|, s12
; %bb.1673:
	s_or_b64 exec, exec, s[10:11]
                                        ; implicit-def: $vgpr15
.LBB79_1674:
	s_andn2_saveexec_b64 s[6:7], s[6:7]
; %bb.1675:
	s_mov_b32 s10, 0x7f800000
	v_mov_b32_e32 v3, 0x7e
	v_mov_b32_e32 v16, 0x7f
	v_cmp_lt_u32_e32 vcc, s10, v15
	v_cndmask_b32_e32 v3, v3, v16, vcc
; %bb.1676:
	s_or_b64 exec, exec, s[6:7]
	v_lshrrev_b32_e32 v1, 24, v1
	s_movk_i32 s6, 0x80
	v_and_or_b32 v1, v1, s6, v3
	global_store_byte v[5:6], v1, off
.LBB79_1677:
	s_mov_b64 s[6:7], 0
.LBB79_1678:
	s_andn2_b64 vcc, exec, s[6:7]
	s_cbranch_vccnz .LBB79_1688
; %bb.1679:
	v_xor_b32_e32 v3, v7, v8
	v_ffbh_i32_e32 v1, v8
	v_ashrrev_i32_e32 v3, 31, v3
	v_add_u32_e32 v1, -1, v1
	v_add_u32_e32 v3, 32, v3
	v_min_u32_e32 v1, v1, v3
	v_lshlrev_b64 v[15:16], v1, v[7:8]
	v_sub_u32_e32 v1, 32, v1
	v_min_u32_e32 v3, 1, v15
	v_or_b32_e32 v3, v16, v3
	v_cvt_f32_i32_e32 v3, v3
	s_mov_b32 s6, 0x47800000
	v_ldexp_f32 v1, v3, v1
	v_and_b32_e32 v15, 0x7fffffff, v1
	v_cmp_gt_u32_e32 vcc, s6, v15
                                        ; implicit-def: $vgpr3
	s_and_saveexec_b64 s[6:7], vcc
	s_xor_b64 s[6:7], exec, s[6:7]
	s_cbranch_execz .LBB79_1685
; %bb.1680:
	s_mov_b32 s10, 0x387fffff
	v_cmp_lt_u32_e32 vcc, s10, v15
                                        ; implicit-def: $vgpr3
	s_and_saveexec_b64 s[10:11], vcc
	s_xor_b64 s[10:11], exec, s[10:11]
; %bb.1681:
	v_bfe_u32 v3, v1, 21, 1
	s_mov_b32 s12, 0x80fffff
	v_add3_u32 v3, v1, v3, s12
	v_lshrrev_b32_e32 v3, 21, v3
; %bb.1682:
	s_andn2_saveexec_b64 s[10:11], s[10:11]
; %bb.1683:
	s_mov_b32 s12, 0x43000000
	v_add_f32_e64 v3, |v1|, s12
; %bb.1684:
	s_or_b64 exec, exec, s[10:11]
                                        ; implicit-def: $vgpr15
.LBB79_1685:
	s_andn2_saveexec_b64 s[6:7], s[6:7]
; %bb.1686:
	s_mov_b32 s10, 0x7f800000
	v_mov_b32_e32 v3, 0x7c
	v_mov_b32_e32 v16, 0x7f
	v_cmp_lt_u32_e32 vcc, s10, v15
	v_cndmask_b32_e32 v3, v3, v16, vcc
; %bb.1687:
	s_or_b64 exec, exec, s[6:7]
	v_lshrrev_b32_e32 v1, 24, v1
	s_movk_i32 s6, 0x80
	v_and_or_b32 v1, v1, s6, v3
	global_store_byte v[5:6], v1, off
.LBB79_1688:
	s_mov_b64 s[6:7], 0
	s_mov_b64 s[10:11], -1
.LBB79_1689:
	s_andn2_b64 vcc, exec, s[6:7]
	s_mov_b64 s[6:7], 0
	s_cbranch_vccnz .LBB79_1696
; %bb.1690:
	s_cmp_gt_i32 s17, 14
	s_mov_b64 s[12:13], -1
	s_cbranch_scc0 .LBB79_1694
; %bb.1691:
	s_cmp_eq_u32 s17, 15
	s_mov_b64 s[0:1], -1
	s_cbranch_scc0 .LBB79_1693
; %bb.1692:
	v_xor_b32_e32 v3, v7, v8
	v_ffbh_i32_e32 v1, v8
	v_ashrrev_i32_e32 v3, 31, v3
	v_add_u32_e32 v1, -1, v1
	v_add_u32_e32 v3, 32, v3
	v_min_u32_e32 v1, v1, v3
	v_lshlrev_b64 v[15:16], v1, v[7:8]
	v_sub_u32_e32 v1, 32, v1
	v_min_u32_e32 v3, 1, v15
	v_or_b32_e32 v3, v16, v3
	v_cvt_f32_i32_e32 v3, v3
	s_movk_i32 s0, 0x7fff
	s_mov_b64 s[10:11], -1
	v_ldexp_f32 v1, v3, v1
	v_bfe_u32 v3, v1, 16, 1
	v_add3_u32 v1, v1, v3, s0
	global_store_short_d16_hi v[5:6], v1, off
	s_mov_b64 s[0:1], 0
.LBB79_1693:
	s_mov_b64 s[12:13], 0
.LBB79_1694:
	s_and_b64 vcc, exec, s[12:13]
	s_cbranch_vccz .LBB79_1696
; %bb.1695:
	s_cmp_lg_u32 s17, 11
	s_mov_b64 s[6:7], -1
	s_cselect_b64 s[0:1], -1, 0
.LBB79_1696:
	s_and_b64 vcc, exec, s[0:1]
	s_cbranch_vccnz .LBB79_2104
; %bb.1697:
	s_andn2_b64 vcc, exec, s[6:7]
	s_cbranch_vccnz .LBB79_1699
.LBB79_1698:
	v_cmp_ne_u64_e32 vcc, 0, v[7:8]
	s_mov_b64 s[10:11], -1
	v_cndmask_b32_e64 v1, 0, 1, vcc
	global_store_byte v[5:6], v1, off
.LBB79_1699:
	s_mov_b64 s[0:1], 0
	s_branch .LBB79_1701
.LBB79_1700:
	s_mov_b64 s[0:1], -1
	s_mov_b64 s[10:11], 0
.LBB79_1701:
	s_and_b64 vcc, exec, s[0:1]
	s_cbranch_vccz .LBB79_1740
; %bb.1702:
	s_and_b32 s6, 0xffff, s16
	s_cmp_lt_i32 s6, 5
	s_mov_b64 s[0:1], -1
	s_cbranch_scc1 .LBB79_1723
; %bb.1703:
	s_cmp_lt_i32 s6, 8
	s_cbranch_scc1 .LBB79_1713
; %bb.1704:
	s_cmp_lt_i32 s6, 9
	s_cbranch_scc1 .LBB79_1710
; %bb.1705:
	s_cmp_gt_i32 s6, 9
	s_cbranch_scc0 .LBB79_1707
; %bb.1706:
	v_cvt_f64_i32_e32 v[15:16], v8
	v_cvt_f64_u32_e32 v[17:18], v7
	s_mov_b64 s[0:1], 0
	v_ldexp_f64 v[15:16], v[15:16], 32
	v_add_f64 v[15:16], v[15:16], v[17:18]
	v_mov_b32_e32 v17, 0
	v_mov_b32_e32 v18, v17
	global_store_dwordx4 v[5:6], v[15:18], off
.LBB79_1707:
	s_andn2_b64 vcc, exec, s[0:1]
	s_cbranch_vccnz .LBB79_1709
; %bb.1708:
	v_xor_b32_e32 v3, v7, v8
	v_ffbh_i32_e32 v1, v8
	v_ashrrev_i32_e32 v3, 31, v3
	v_add_u32_e32 v1, -1, v1
	v_add_u32_e32 v3, 32, v3
	v_min_u32_e32 v1, v1, v3
	v_lshlrev_b64 v[15:16], v1, v[7:8]
	v_sub_u32_e32 v1, 32, v1
	v_min_u32_e32 v3, 1, v15
	v_or_b32_e32 v3, v16, v3
	v_cvt_f32_i32_e32 v3, v3
	v_mov_b32_e32 v16, 0
	v_ldexp_f32 v15, v3, v1
	global_store_dwordx2 v[5:6], v[15:16], off
.LBB79_1709:
	s_mov_b64 s[0:1], 0
.LBB79_1710:
	s_andn2_b64 vcc, exec, s[0:1]
	s_cbranch_vccnz .LBB79_1712
; %bb.1711:
	v_xor_b32_e32 v3, v7, v8
	v_ffbh_i32_e32 v1, v8
	v_ashrrev_i32_e32 v3, 31, v3
	v_add_u32_e32 v1, -1, v1
	v_add_u32_e32 v3, 32, v3
	v_min_u32_e32 v1, v1, v3
	v_lshlrev_b64 v[15:16], v1, v[7:8]
	v_sub_u32_e32 v1, 32, v1
	v_min_u32_e32 v3, 1, v15
	v_or_b32_e32 v3, v16, v3
	v_cvt_f32_i32_e32 v3, v3
	v_ldexp_f32 v1, v3, v1
	v_cvt_f16_f32_e32 v1, v1
	global_store_dword v[5:6], v1, off
.LBB79_1712:
	s_mov_b64 s[0:1], 0
.LBB79_1713:
	s_andn2_b64 vcc, exec, s[0:1]
	s_cbranch_vccnz .LBB79_1722
; %bb.1714:
	s_cmp_lt_i32 s6, 6
	s_mov_b64 s[0:1], -1
	s_cbranch_scc1 .LBB79_1720
; %bb.1715:
	s_cmp_gt_i32 s6, 6
	s_cbranch_scc0 .LBB79_1717
; %bb.1716:
	v_cvt_f64_i32_e32 v[15:16], v8
	v_cvt_f64_u32_e32 v[17:18], v7
	s_mov_b64 s[0:1], 0
	v_ldexp_f64 v[15:16], v[15:16], 32
	v_add_f64 v[15:16], v[15:16], v[17:18]
	global_store_dwordx2 v[5:6], v[15:16], off
.LBB79_1717:
	s_andn2_b64 vcc, exec, s[0:1]
	s_cbranch_vccnz .LBB79_1719
; %bb.1718:
	v_xor_b32_e32 v3, v7, v8
	v_ffbh_i32_e32 v1, v8
	v_ashrrev_i32_e32 v3, 31, v3
	v_add_u32_e32 v1, -1, v1
	v_add_u32_e32 v3, 32, v3
	v_min_u32_e32 v1, v1, v3
	v_lshlrev_b64 v[15:16], v1, v[7:8]
	v_sub_u32_e32 v1, 32, v1
	v_min_u32_e32 v3, 1, v15
	v_or_b32_e32 v3, v16, v3
	v_cvt_f32_i32_e32 v3, v3
	v_ldexp_f32 v1, v3, v1
	global_store_dword v[5:6], v1, off
.LBB79_1719:
	s_mov_b64 s[0:1], 0
.LBB79_1720:
	s_andn2_b64 vcc, exec, s[0:1]
	s_cbranch_vccnz .LBB79_1722
; %bb.1721:
	v_xor_b32_e32 v3, v7, v8
	v_ffbh_i32_e32 v1, v8
	v_ashrrev_i32_e32 v3, 31, v3
	v_add_u32_e32 v1, -1, v1
	v_add_u32_e32 v3, 32, v3
	v_min_u32_e32 v1, v1, v3
	v_lshlrev_b64 v[15:16], v1, v[7:8]
	v_sub_u32_e32 v1, 32, v1
	v_min_u32_e32 v3, 1, v15
	v_or_b32_e32 v3, v16, v3
	v_cvt_f32_i32_e32 v3, v3
	v_ldexp_f32 v1, v3, v1
	v_cvt_f16_f32_e32 v1, v1
	global_store_short v[5:6], v1, off
.LBB79_1722:
	s_mov_b64 s[0:1], 0
.LBB79_1723:
	s_andn2_b64 vcc, exec, s[0:1]
	s_cbranch_vccnz .LBB79_1739
; %bb.1724:
	s_cmp_lt_i32 s6, 2
	s_mov_b64 s[0:1], -1
	s_cbranch_scc1 .LBB79_1734
; %bb.1725:
	s_cmp_lt_i32 s6, 3
	s_cbranch_scc1 .LBB79_1731
; %bb.1726:
	s_cmp_gt_i32 s6, 3
	s_cbranch_scc0 .LBB79_1728
; %bb.1727:
	global_store_dwordx2 v[5:6], v[7:8], off
	s_mov_b64 s[0:1], 0
.LBB79_1728:
	s_andn2_b64 vcc, exec, s[0:1]
	s_cbranch_vccnz .LBB79_1730
; %bb.1729:
	global_store_dword v[5:6], v7, off
.LBB79_1730:
	s_mov_b64 s[0:1], 0
.LBB79_1731:
	s_andn2_b64 vcc, exec, s[0:1]
	s_cbranch_vccnz .LBB79_1733
; %bb.1732:
	global_store_short v[5:6], v7, off
.LBB79_1733:
	s_mov_b64 s[0:1], 0
.LBB79_1734:
	s_andn2_b64 vcc, exec, s[0:1]
	s_cbranch_vccnz .LBB79_1739
; %bb.1735:
	s_cmp_gt_i32 s6, 0
	s_mov_b64 s[0:1], -1
	s_cbranch_scc0 .LBB79_1737
; %bb.1736:
	global_store_byte v[5:6], v7, off
	s_mov_b64 s[0:1], 0
.LBB79_1737:
	s_andn2_b64 vcc, exec, s[0:1]
	s_cbranch_vccnz .LBB79_1739
; %bb.1738:
	global_store_byte v[5:6], v7, off
.LBB79_1739:
	s_mov_b64 s[10:11], -1
.LBB79_1740:
	s_andn2_b64 vcc, exec, s[10:11]
	s_cbranch_vccnz .LBB79_2055
; %bb.1741:
	v_lshlrev_b64 v[5:6], v9, s[4:5]
	v_cmp_gt_u64_e32 vcc, 64, v[9:10]
	v_mov_b32_e32 v1, s9
	v_cndmask_b32_e32 v6, 0, v6, vcc
	v_cndmask_b32_e32 v5, 0, v5, vcc
	s_and_b32 s17, 0xffff, s16
	v_add_co_u32_e32 v3, vcc, s8, v4
	s_cmp_lt_i32 s17, 11
	v_addc_co_u32_e32 v4, vcc, 0, v1, vcc
	s_cbranch_scc1 .LBB79_1819
; %bb.1742:
	s_mov_b64 s[12:13], -1
	s_mov_b64 s[6:7], 0
	s_cmp_gt_i32 s17, 25
	s_mov_b64 s[10:11], 0
	s_mov_b64 s[0:1], 0
	s_cbranch_scc0 .LBB79_1775
; %bb.1743:
	s_cmp_gt_i32 s17, 28
	s_cbranch_scc0 .LBB79_1758
; %bb.1744:
	s_cmp_gt_i32 s17, 43
	;; [unrolled: 3-line block ×3, first 2 shown]
	s_cbranch_scc0 .LBB79_1748
; %bb.1746:
	s_mov_b64 s[0:1], -1
	s_mov_b64 s[12:13], 0
	s_cmp_eq_u32 s17, 46
	s_cbranch_scc0 .LBB79_1748
; %bb.1747:
	v_xor_b32_e32 v7, v5, v6
	v_ffbh_i32_e32 v1, v6
	v_ashrrev_i32_e32 v7, 31, v7
	v_add_u32_e32 v1, -1, v1
	v_add_u32_e32 v7, 32, v7
	v_min_u32_e32 v1, v1, v7
	v_lshlrev_b64 v[7:8], v1, v[5:6]
	v_sub_u32_e32 v1, 32, v1
	v_min_u32_e32 v7, 1, v7
	v_or_b32_e32 v7, v8, v7
	v_cvt_f32_i32_e32 v7, v7
	s_movk_i32 s0, 0x7fff
	s_mov_b64 s[10:11], -1
	v_ldexp_f32 v1, v7, v1
	v_bfe_u32 v7, v1, 16, 1
	v_add3_u32 v1, v1, v7, s0
	v_lshrrev_b32_e32 v1, 16, v1
	global_store_dword v[3:4], v1, off
	s_mov_b64 s[0:1], 0
.LBB79_1748:
	s_and_b64 vcc, exec, s[12:13]
	s_cbranch_vccz .LBB79_1753
; %bb.1749:
	s_cmp_eq_u32 s17, 44
	s_mov_b64 s[0:1], -1
	s_cbranch_scc0 .LBB79_1753
; %bb.1750:
	v_xor_b32_e32 v7, v5, v6
	v_ffbh_i32_e32 v1, v6
	v_ashrrev_i32_e32 v7, 31, v7
	v_add_u32_e32 v1, -1, v1
	v_add_u32_e32 v7, 32, v7
	v_min_u32_e32 v1, v1, v7
	v_lshlrev_b64 v[7:8], v1, v[5:6]
	v_sub_u32_e32 v1, 32, v1
	v_min_u32_e32 v7, 1, v7
	v_or_b32_e32 v7, v8, v7
	v_cvt_f32_i32_e32 v7, v7
	s_movk_i32 s0, 0xff
	v_mov_b32_e32 v8, 0xff
	v_ldexp_f32 v1, v7, v1
	v_bfe_u32 v7, v1, 23, 8
	v_cmp_ne_u32_e32 vcc, s0, v7
	s_and_saveexec_b64 s[10:11], vcc
; %bb.1751:
	s_mov_b32 s0, 0x3fffff
	v_lshrrev_b32_e32 v8, 23, v1
	v_and_b32_e32 v9, 0x400000, v1
	v_and_or_b32 v1, v1, s0, v7
	v_cmp_ne_u32_e32 vcc, 0, v9
	v_cmp_ne_u32_e64 s[0:1], 0, v1
	s_and_b64 s[0:1], vcc, s[0:1]
	v_cndmask_b32_e64 v1, 0, 1, s[0:1]
	v_add_u32_e32 v8, v8, v1
; %bb.1752:
	s_or_b64 exec, exec, s[10:11]
	s_mov_b64 s[0:1], 0
	s_mov_b64 s[10:11], -1
	global_store_byte v[3:4], v8, off
.LBB79_1753:
	s_mov_b64 s[12:13], 0
.LBB79_1754:
	s_and_b64 vcc, exec, s[12:13]
	s_cbranch_vccz .LBB79_1757
; %bb.1755:
	s_cmp_eq_u32 s17, 29
	s_mov_b64 s[0:1], -1
	s_cbranch_scc0 .LBB79_1757
; %bb.1756:
	global_store_dwordx2 v[3:4], v[5:6], off
	s_mov_b64 s[0:1], 0
	s_mov_b64 s[10:11], -1
.LBB79_1757:
	s_mov_b64 s[12:13], 0
.LBB79_1758:
	s_and_b64 vcc, exec, s[12:13]
	s_cbranch_vccz .LBB79_1774
; %bb.1759:
	s_cmp_lt_i32 s17, 27
	s_mov_b64 s[10:11], -1
	s_cbranch_scc1 .LBB79_1765
; %bb.1760:
	s_cmp_gt_i32 s17, 27
	s_cbranch_scc0 .LBB79_1762
; %bb.1761:
	s_mov_b64 s[10:11], 0
	global_store_dword v[3:4], v5, off
.LBB79_1762:
	s_andn2_b64 vcc, exec, s[10:11]
	s_cbranch_vccnz .LBB79_1764
; %bb.1763:
	global_store_short v[3:4], v5, off
.LBB79_1764:
	s_mov_b64 s[10:11], 0
.LBB79_1765:
	s_andn2_b64 vcc, exec, s[10:11]
	s_cbranch_vccnz .LBB79_1773
; %bb.1766:
	v_xor_b32_e32 v7, v5, v6
	v_ffbh_i32_e32 v1, v6
	v_ashrrev_i32_e32 v7, 31, v7
	v_add_u32_e32 v1, -1, v1
	v_add_u32_e32 v7, 32, v7
	v_min_u32_e32 v1, v1, v7
	v_lshlrev_b64 v[7:8], v1, v[5:6]
	v_sub_u32_e32 v1, 32, v1
	v_min_u32_e32 v7, 1, v7
	v_or_b32_e32 v7, v8, v7
	v_cvt_f32_i32_e32 v7, v7
	s_mov_b32 s10, 0x43800000
	v_mov_b32_e32 v8, 0x80
	v_ldexp_f32 v1, v7, v1
	v_and_b32_e32 v7, 0x7fffffff, v1
	v_cmp_gt_u32_e32 vcc, s10, v7
	s_and_saveexec_b64 s[10:11], vcc
	s_cbranch_execz .LBB79_1772
; %bb.1767:
	s_mov_b32 s12, 0x3bffffff
	v_cmp_lt_u32_e32 vcc, s12, v7
	s_mov_b64 s[12:13], 0
                                        ; implicit-def: $vgpr7
	s_and_saveexec_b64 s[14:15], vcc
	s_xor_b64 s[14:15], exec, s[14:15]
	s_cbranch_execz .LBB79_2107
; %bb.1768:
	v_bfe_u32 v7, v1, 20, 1
	s_mov_b32 s18, 0x487ffff
	v_add3_u32 v7, v1, v7, s18
	s_mov_b64 s[12:13], exec
	v_lshrrev_b32_e32 v7, 20, v7
	s_andn2_saveexec_b64 s[14:15], s[14:15]
	s_cbranch_execnz .LBB79_2108
.LBB79_1769:
	s_or_b64 exec, exec, s[14:15]
	v_mov_b32_e32 v8, 0
	s_and_saveexec_b64 s[14:15], s[12:13]
.LBB79_1770:
	v_lshrrev_b32_e32 v1, 24, v1
	s_movk_i32 s12, 0x80
	v_and_or_b32 v8, v1, s12, v7
.LBB79_1771:
	s_or_b64 exec, exec, s[14:15]
.LBB79_1772:
	s_or_b64 exec, exec, s[10:11]
	global_store_byte v[3:4], v8, off
.LBB79_1773:
	s_mov_b64 s[10:11], -1
.LBB79_1774:
	s_mov_b64 s[12:13], 0
.LBB79_1775:
	s_and_b64 vcc, exec, s[12:13]
	s_cbranch_vccz .LBB79_1815
; %bb.1776:
	s_cmp_gt_i32 s17, 22
	s_mov_b64 s[6:7], -1
	s_cbranch_scc0 .LBB79_1808
; %bb.1777:
	s_cmp_lt_i32 s17, 24
	s_cbranch_scc1 .LBB79_1797
; %bb.1778:
	s_cmp_gt_i32 s17, 24
	s_cbranch_scc0 .LBB79_1786
; %bb.1779:
	v_xor_b32_e32 v7, v5, v6
	v_ffbh_i32_e32 v1, v6
	v_ashrrev_i32_e32 v7, 31, v7
	v_add_u32_e32 v1, -1, v1
	v_add_u32_e32 v7, 32, v7
	v_min_u32_e32 v1, v1, v7
	v_lshlrev_b64 v[7:8], v1, v[5:6]
	v_sub_u32_e32 v1, 32, v1
	v_min_u32_e32 v7, 1, v7
	v_or_b32_e32 v7, v8, v7
	v_cvt_f32_i32_e32 v7, v7
	s_mov_b32 s6, 0x47800000
	v_mov_b32_e32 v8, 0x80
	v_ldexp_f32 v1, v7, v1
	v_and_b32_e32 v7, 0x7fffffff, v1
	v_cmp_gt_u32_e32 vcc, s6, v7
	s_and_saveexec_b64 s[6:7], vcc
	s_cbranch_execz .LBB79_1785
; %bb.1780:
	s_mov_b32 s10, 0x37ffffff
	v_cmp_lt_u32_e32 vcc, s10, v7
	s_mov_b64 s[10:11], 0
                                        ; implicit-def: $vgpr7
	s_and_saveexec_b64 s[12:13], vcc
	s_xor_b64 s[12:13], exec, s[12:13]
	s_cbranch_execz .LBB79_2110
; %bb.1781:
	v_bfe_u32 v7, v1, 21, 1
	s_mov_b32 s14, 0x88fffff
	v_add3_u32 v7, v1, v7, s14
	s_mov_b64 s[10:11], exec
	v_lshrrev_b32_e32 v7, 21, v7
	s_andn2_saveexec_b64 s[12:13], s[12:13]
	s_cbranch_execnz .LBB79_2111
.LBB79_1782:
	s_or_b64 exec, exec, s[12:13]
	v_mov_b32_e32 v8, 0
	s_and_saveexec_b64 s[12:13], s[10:11]
.LBB79_1783:
	v_lshrrev_b32_e32 v1, 24, v1
	s_movk_i32 s10, 0x80
	v_and_or_b32 v8, v1, s10, v7
.LBB79_1784:
	s_or_b64 exec, exec, s[12:13]
.LBB79_1785:
	s_or_b64 exec, exec, s[6:7]
	s_mov_b64 s[6:7], 0
	global_store_byte v[3:4], v8, off
.LBB79_1786:
	s_and_b64 vcc, exec, s[6:7]
	s_cbranch_vccz .LBB79_1796
; %bb.1787:
	v_xor_b32_e32 v7, v5, v6
	v_ffbh_i32_e32 v1, v6
	v_ashrrev_i32_e32 v7, 31, v7
	v_add_u32_e32 v1, -1, v1
	v_add_u32_e32 v7, 32, v7
	v_min_u32_e32 v1, v1, v7
	v_lshlrev_b64 v[7:8], v1, v[5:6]
	v_sub_u32_e32 v1, 32, v1
	v_min_u32_e32 v7, 1, v7
	v_or_b32_e32 v7, v8, v7
	v_cvt_f32_i32_e32 v7, v7
	s_mov_b32 s6, 0x43f00000
	v_ldexp_f32 v1, v7, v1
	v_and_b32_e32 v8, 0x7fffffff, v1
	v_cmp_gt_u32_e32 vcc, s6, v8
                                        ; implicit-def: $vgpr7
	s_and_saveexec_b64 s[6:7], vcc
	s_xor_b64 s[6:7], exec, s[6:7]
	s_cbranch_execz .LBB79_1793
; %bb.1788:
	s_mov_b32 s10, 0x3c7fffff
	v_cmp_lt_u32_e32 vcc, s10, v8
                                        ; implicit-def: $vgpr7
	s_and_saveexec_b64 s[10:11], vcc
	s_xor_b64 s[10:11], exec, s[10:11]
; %bb.1789:
	v_bfe_u32 v7, v1, 20, 1
	s_mov_b32 s12, 0x407ffff
	v_add3_u32 v7, v1, v7, s12
	v_lshrrev_b32_e32 v8, 20, v7
	v_and_b32_e32 v7, 0xff00000, v7
	s_mov_b32 s12, 0x7f00000
	v_mov_b32_e32 v9, 0x7e
	v_cmp_ne_u32_e32 vcc, s12, v7
	v_cndmask_b32_e32 v7, v9, v8, vcc
; %bb.1790:
	s_andn2_saveexec_b64 s[10:11], s[10:11]
; %bb.1791:
	s_mov_b32 s12, 0x46800000
	v_add_f32_e64 v7, |v1|, s12
; %bb.1792:
	s_or_b64 exec, exec, s[10:11]
                                        ; implicit-def: $vgpr8
.LBB79_1793:
	s_andn2_saveexec_b64 s[6:7], s[6:7]
; %bb.1794:
	s_mov_b32 s10, 0x7f800000
	v_mov_b32_e32 v7, 0x7e
	v_mov_b32_e32 v9, 0x7f
	v_cmp_lt_u32_e32 vcc, s10, v8
	v_cndmask_b32_e32 v7, v7, v9, vcc
; %bb.1795:
	s_or_b64 exec, exec, s[6:7]
	v_lshrrev_b32_e32 v1, 24, v1
	s_movk_i32 s6, 0x80
	v_and_or_b32 v1, v1, s6, v7
	global_store_byte v[3:4], v1, off
.LBB79_1796:
	s_mov_b64 s[6:7], 0
.LBB79_1797:
	s_andn2_b64 vcc, exec, s[6:7]
	s_cbranch_vccnz .LBB79_1807
; %bb.1798:
	v_xor_b32_e32 v7, v5, v6
	v_ffbh_i32_e32 v1, v6
	v_ashrrev_i32_e32 v7, 31, v7
	v_add_u32_e32 v1, -1, v1
	v_add_u32_e32 v7, 32, v7
	v_min_u32_e32 v1, v1, v7
	v_lshlrev_b64 v[7:8], v1, v[5:6]
	v_sub_u32_e32 v1, 32, v1
	v_min_u32_e32 v7, 1, v7
	v_or_b32_e32 v7, v8, v7
	v_cvt_f32_i32_e32 v7, v7
	s_mov_b32 s6, 0x47800000
	v_ldexp_f32 v1, v7, v1
	v_and_b32_e32 v8, 0x7fffffff, v1
	v_cmp_gt_u32_e32 vcc, s6, v8
                                        ; implicit-def: $vgpr7
	s_and_saveexec_b64 s[6:7], vcc
	s_xor_b64 s[6:7], exec, s[6:7]
	s_cbranch_execz .LBB79_1804
; %bb.1799:
	s_mov_b32 s10, 0x387fffff
	v_cmp_lt_u32_e32 vcc, s10, v8
                                        ; implicit-def: $vgpr7
	s_and_saveexec_b64 s[10:11], vcc
	s_xor_b64 s[10:11], exec, s[10:11]
; %bb.1800:
	v_bfe_u32 v7, v1, 21, 1
	s_mov_b32 s12, 0x80fffff
	v_add3_u32 v7, v1, v7, s12
	v_lshrrev_b32_e32 v7, 21, v7
; %bb.1801:
	s_andn2_saveexec_b64 s[10:11], s[10:11]
; %bb.1802:
	s_mov_b32 s12, 0x43000000
	v_add_f32_e64 v7, |v1|, s12
; %bb.1803:
	s_or_b64 exec, exec, s[10:11]
                                        ; implicit-def: $vgpr8
.LBB79_1804:
	s_andn2_saveexec_b64 s[6:7], s[6:7]
; %bb.1805:
	s_mov_b32 s10, 0x7f800000
	v_mov_b32_e32 v7, 0x7c
	v_mov_b32_e32 v9, 0x7f
	v_cmp_lt_u32_e32 vcc, s10, v8
	v_cndmask_b32_e32 v7, v7, v9, vcc
; %bb.1806:
	s_or_b64 exec, exec, s[6:7]
	v_lshrrev_b32_e32 v1, 24, v1
	s_movk_i32 s6, 0x80
	v_and_or_b32 v1, v1, s6, v7
	global_store_byte v[3:4], v1, off
.LBB79_1807:
	s_mov_b64 s[6:7], 0
	s_mov_b64 s[10:11], -1
.LBB79_1808:
	s_andn2_b64 vcc, exec, s[6:7]
	s_mov_b64 s[6:7], 0
	s_cbranch_vccnz .LBB79_1815
; %bb.1809:
	s_cmp_gt_i32 s17, 14
	s_mov_b64 s[12:13], -1
	s_cbranch_scc0 .LBB79_1813
; %bb.1810:
	s_cmp_eq_u32 s17, 15
	s_mov_b64 s[0:1], -1
	s_cbranch_scc0 .LBB79_1812
; %bb.1811:
	v_xor_b32_e32 v7, v5, v6
	v_ffbh_i32_e32 v1, v6
	v_ashrrev_i32_e32 v7, 31, v7
	v_add_u32_e32 v1, -1, v1
	v_add_u32_e32 v7, 32, v7
	v_min_u32_e32 v1, v1, v7
	v_lshlrev_b64 v[7:8], v1, v[5:6]
	v_sub_u32_e32 v1, 32, v1
	v_min_u32_e32 v7, 1, v7
	v_or_b32_e32 v7, v8, v7
	v_cvt_f32_i32_e32 v7, v7
	s_movk_i32 s0, 0x7fff
	s_mov_b64 s[10:11], -1
	v_ldexp_f32 v1, v7, v1
	v_bfe_u32 v7, v1, 16, 1
	v_add3_u32 v1, v1, v7, s0
	global_store_short_d16_hi v[3:4], v1, off
	s_mov_b64 s[0:1], 0
.LBB79_1812:
	s_mov_b64 s[12:13], 0
.LBB79_1813:
	s_and_b64 vcc, exec, s[12:13]
	s_cbranch_vccz .LBB79_1815
; %bb.1814:
	s_cmp_lg_u32 s17, 11
	s_mov_b64 s[6:7], -1
	s_cselect_b64 s[0:1], -1, 0
.LBB79_1815:
	s_and_b64 vcc, exec, s[0:1]
	s_cbranch_vccnz .LBB79_2109
; %bb.1816:
	s_andn2_b64 vcc, exec, s[6:7]
	s_cbranch_vccnz .LBB79_1818
.LBB79_1817:
	v_cmp_ne_u64_e32 vcc, 0, v[5:6]
	s_mov_b64 s[10:11], -1
	v_cndmask_b32_e64 v1, 0, 1, vcc
	global_store_byte v[3:4], v1, off
.LBB79_1818:
	s_mov_b64 s[0:1], 0
	s_branch .LBB79_1820
.LBB79_1819:
	s_mov_b64 s[0:1], -1
	s_mov_b64 s[10:11], 0
.LBB79_1820:
	s_and_b64 vcc, exec, s[0:1]
	s_cbranch_vccz .LBB79_1859
; %bb.1821:
	s_cmp_lt_i32 s17, 5
	s_mov_b64 s[0:1], -1
	s_cbranch_scc1 .LBB79_1842
; %bb.1822:
	s_cmp_lt_i32 s17, 8
	s_cbranch_scc1 .LBB79_1832
; %bb.1823:
	s_cmp_lt_i32 s17, 9
	s_cbranch_scc1 .LBB79_1829
; %bb.1824:
	s_cmp_gt_i32 s17, 9
	s_cbranch_scc0 .LBB79_1826
; %bb.1825:
	v_cvt_f64_i32_e32 v[7:8], v6
	v_cvt_f64_u32_e32 v[9:10], v5
	s_mov_b64 s[0:1], 0
	v_ldexp_f64 v[7:8], v[7:8], 32
	v_add_f64 v[7:8], v[7:8], v[9:10]
	v_mov_b32_e32 v9, 0
	v_mov_b32_e32 v10, v9
	global_store_dwordx4 v[3:4], v[7:10], off
.LBB79_1826:
	s_andn2_b64 vcc, exec, s[0:1]
	s_cbranch_vccnz .LBB79_1828
; %bb.1827:
	v_xor_b32_e32 v7, v5, v6
	v_ffbh_i32_e32 v1, v6
	v_ashrrev_i32_e32 v7, 31, v7
	v_add_u32_e32 v1, -1, v1
	v_add_u32_e32 v7, 32, v7
	v_min_u32_e32 v1, v1, v7
	v_lshlrev_b64 v[7:8], v1, v[5:6]
	v_sub_u32_e32 v1, 32, v1
	v_min_u32_e32 v7, 1, v7
	v_or_b32_e32 v7, v8, v7
	v_cvt_f32_i32_e32 v7, v7
	v_mov_b32_e32 v8, 0
	v_ldexp_f32 v7, v7, v1
	global_store_dwordx2 v[3:4], v[7:8], off
.LBB79_1828:
	s_mov_b64 s[0:1], 0
.LBB79_1829:
	s_andn2_b64 vcc, exec, s[0:1]
	s_cbranch_vccnz .LBB79_1831
; %bb.1830:
	v_xor_b32_e32 v7, v5, v6
	v_ffbh_i32_e32 v1, v6
	v_ashrrev_i32_e32 v7, 31, v7
	v_add_u32_e32 v1, -1, v1
	v_add_u32_e32 v7, 32, v7
	v_min_u32_e32 v1, v1, v7
	v_lshlrev_b64 v[7:8], v1, v[5:6]
	v_sub_u32_e32 v1, 32, v1
	v_min_u32_e32 v7, 1, v7
	v_or_b32_e32 v7, v8, v7
	v_cvt_f32_i32_e32 v7, v7
	v_ldexp_f32 v1, v7, v1
	v_cvt_f16_f32_e32 v1, v1
	global_store_dword v[3:4], v1, off
.LBB79_1831:
	s_mov_b64 s[0:1], 0
.LBB79_1832:
	s_andn2_b64 vcc, exec, s[0:1]
	s_cbranch_vccnz .LBB79_1841
; %bb.1833:
	s_cmp_lt_i32 s17, 6
	s_mov_b64 s[0:1], -1
	s_cbranch_scc1 .LBB79_1839
; %bb.1834:
	s_cmp_gt_i32 s17, 6
	s_cbranch_scc0 .LBB79_1836
; %bb.1835:
	v_cvt_f64_i32_e32 v[7:8], v6
	v_cvt_f64_u32_e32 v[9:10], v5
	s_mov_b64 s[0:1], 0
	v_ldexp_f64 v[7:8], v[7:8], 32
	v_add_f64 v[7:8], v[7:8], v[9:10]
	global_store_dwordx2 v[3:4], v[7:8], off
.LBB79_1836:
	s_andn2_b64 vcc, exec, s[0:1]
	s_cbranch_vccnz .LBB79_1838
; %bb.1837:
	v_xor_b32_e32 v7, v5, v6
	v_ffbh_i32_e32 v1, v6
	v_ashrrev_i32_e32 v7, 31, v7
	v_add_u32_e32 v1, -1, v1
	v_add_u32_e32 v7, 32, v7
	v_min_u32_e32 v1, v1, v7
	v_lshlrev_b64 v[7:8], v1, v[5:6]
	v_sub_u32_e32 v1, 32, v1
	v_min_u32_e32 v7, 1, v7
	v_or_b32_e32 v7, v8, v7
	v_cvt_f32_i32_e32 v7, v7
	v_ldexp_f32 v1, v7, v1
	global_store_dword v[3:4], v1, off
.LBB79_1838:
	s_mov_b64 s[0:1], 0
.LBB79_1839:
	s_andn2_b64 vcc, exec, s[0:1]
	s_cbranch_vccnz .LBB79_1841
; %bb.1840:
	v_xor_b32_e32 v7, v5, v6
	v_ffbh_i32_e32 v1, v6
	v_ashrrev_i32_e32 v7, 31, v7
	v_add_u32_e32 v1, -1, v1
	v_add_u32_e32 v7, 32, v7
	v_min_u32_e32 v1, v1, v7
	v_lshlrev_b64 v[7:8], v1, v[5:6]
	v_sub_u32_e32 v1, 32, v1
	v_min_u32_e32 v7, 1, v7
	v_or_b32_e32 v7, v8, v7
	v_cvt_f32_i32_e32 v7, v7
	v_ldexp_f32 v1, v7, v1
	v_cvt_f16_f32_e32 v1, v1
	global_store_short v[3:4], v1, off
.LBB79_1841:
	s_mov_b64 s[0:1], 0
.LBB79_1842:
	s_andn2_b64 vcc, exec, s[0:1]
	s_cbranch_vccnz .LBB79_1858
; %bb.1843:
	s_cmp_lt_i32 s17, 2
	s_mov_b64 s[0:1], -1
	s_cbranch_scc1 .LBB79_1853
; %bb.1844:
	s_cmp_lt_i32 s17, 3
	s_cbranch_scc1 .LBB79_1850
; %bb.1845:
	s_cmp_gt_i32 s17, 3
	s_cbranch_scc0 .LBB79_1847
; %bb.1846:
	global_store_dwordx2 v[3:4], v[5:6], off
	s_mov_b64 s[0:1], 0
.LBB79_1847:
	s_andn2_b64 vcc, exec, s[0:1]
	s_cbranch_vccnz .LBB79_1849
; %bb.1848:
	global_store_dword v[3:4], v5, off
.LBB79_1849:
	s_mov_b64 s[0:1], 0
.LBB79_1850:
	s_andn2_b64 vcc, exec, s[0:1]
	s_cbranch_vccnz .LBB79_1852
; %bb.1851:
	global_store_short v[3:4], v5, off
.LBB79_1852:
	s_mov_b64 s[0:1], 0
.LBB79_1853:
	s_andn2_b64 vcc, exec, s[0:1]
	s_cbranch_vccnz .LBB79_1858
; %bb.1854:
	s_cmp_gt_i32 s17, 0
	s_mov_b64 s[0:1], -1
	s_cbranch_scc0 .LBB79_1856
; %bb.1855:
	global_store_byte v[3:4], v5, off
	s_mov_b64 s[0:1], 0
.LBB79_1856:
	s_andn2_b64 vcc, exec, s[0:1]
	s_cbranch_vccnz .LBB79_1858
; %bb.1857:
	global_store_byte v[3:4], v5, off
.LBB79_1858:
	s_mov_b64 s[10:11], -1
.LBB79_1859:
	s_andn2_b64 vcc, exec, s[10:11]
	s_cbranch_vccnz .LBB79_2055
; %bb.1860:
	v_lshlrev_b64 v[3:4], v11, s[4:5]
	v_cmp_gt_u64_e32 vcc, 64, v[11:12]
	v_mov_b32_e32 v5, s9
	v_cndmask_b32_e32 v4, 0, v4, vcc
	v_cndmask_b32_e32 v3, 0, v3, vcc
	v_add_co_u32_e32 v1, vcc, s8, v2
	s_cmp_lt_i32 s17, 11
	v_addc_co_u32_e32 v2, vcc, 0, v5, vcc
	s_cbranch_scc1 .LBB79_1938
; %bb.1861:
	s_mov_b64 s[12:13], -1
	s_mov_b64 s[6:7], 0
	s_cmp_gt_i32 s17, 25
	s_mov_b64 s[10:11], 0
	s_mov_b64 s[0:1], 0
	s_cbranch_scc0 .LBB79_1894
; %bb.1862:
	s_cmp_gt_i32 s17, 28
	s_cbranch_scc0 .LBB79_1877
; %bb.1863:
	s_cmp_gt_i32 s17, 43
	;; [unrolled: 3-line block ×3, first 2 shown]
	s_cbranch_scc0 .LBB79_1867
; %bb.1865:
	s_mov_b64 s[0:1], -1
	s_mov_b64 s[12:13], 0
	s_cmp_eq_u32 s17, 46
	s_cbranch_scc0 .LBB79_1867
; %bb.1866:
	v_xor_b32_e32 v6, v3, v4
	v_ffbh_i32_e32 v5, v4
	v_ashrrev_i32_e32 v6, 31, v6
	v_add_u32_e32 v5, -1, v5
	v_add_u32_e32 v6, 32, v6
	v_min_u32_e32 v7, v5, v6
	v_lshlrev_b64 v[5:6], v7, v[3:4]
	s_movk_i32 s0, 0x7fff
	v_min_u32_e32 v5, 1, v5
	v_or_b32_e32 v5, v6, v5
	v_cvt_f32_i32_e32 v5, v5
	v_sub_u32_e32 v6, 32, v7
	s_mov_b64 s[10:11], -1
	v_ldexp_f32 v5, v5, v6
	v_bfe_u32 v6, v5, 16, 1
	v_add3_u32 v5, v5, v6, s0
	v_lshrrev_b32_e32 v5, 16, v5
	global_store_dword v[1:2], v5, off
	s_mov_b64 s[0:1], 0
.LBB79_1867:
	s_and_b64 vcc, exec, s[12:13]
	s_cbranch_vccz .LBB79_1872
; %bb.1868:
	s_cmp_eq_u32 s17, 44
	s_mov_b64 s[0:1], -1
	s_cbranch_scc0 .LBB79_1872
; %bb.1869:
	v_xor_b32_e32 v6, v3, v4
	v_ffbh_i32_e32 v5, v4
	v_ashrrev_i32_e32 v6, 31, v6
	v_add_u32_e32 v5, -1, v5
	v_add_u32_e32 v6, 32, v6
	v_min_u32_e32 v7, v5, v6
	v_lshlrev_b64 v[5:6], v7, v[3:4]
	s_movk_i32 s0, 0xff
	v_min_u32_e32 v5, 1, v5
	v_or_b32_e32 v5, v6, v5
	v_cvt_f32_i32_e32 v5, v5
	v_sub_u32_e32 v6, 32, v7
	v_mov_b32_e32 v7, 0xff
	v_ldexp_f32 v5, v5, v6
	v_bfe_u32 v6, v5, 23, 8
	v_cmp_ne_u32_e32 vcc, s0, v6
	s_and_saveexec_b64 s[10:11], vcc
; %bb.1870:
	s_mov_b32 s0, 0x3fffff
	v_lshrrev_b32_e32 v7, 23, v5
	v_and_b32_e32 v8, 0x400000, v5
	v_and_or_b32 v5, v5, s0, v6
	v_cmp_ne_u32_e32 vcc, 0, v8
	v_cmp_ne_u32_e64 s[0:1], 0, v5
	s_and_b64 s[0:1], vcc, s[0:1]
	v_cndmask_b32_e64 v5, 0, 1, s[0:1]
	v_add_u32_e32 v7, v7, v5
; %bb.1871:
	s_or_b64 exec, exec, s[10:11]
	s_mov_b64 s[0:1], 0
	s_mov_b64 s[10:11], -1
	global_store_byte v[1:2], v7, off
.LBB79_1872:
	s_mov_b64 s[12:13], 0
.LBB79_1873:
	s_and_b64 vcc, exec, s[12:13]
	s_cbranch_vccz .LBB79_1876
; %bb.1874:
	s_cmp_eq_u32 s17, 29
	s_mov_b64 s[0:1], -1
	s_cbranch_scc0 .LBB79_1876
; %bb.1875:
	global_store_dwordx2 v[1:2], v[3:4], off
	s_mov_b64 s[0:1], 0
	s_mov_b64 s[10:11], -1
.LBB79_1876:
	s_mov_b64 s[12:13], 0
.LBB79_1877:
	s_and_b64 vcc, exec, s[12:13]
	s_cbranch_vccz .LBB79_1893
; %bb.1878:
	s_cmp_lt_i32 s17, 27
	s_mov_b64 s[10:11], -1
	s_cbranch_scc1 .LBB79_1884
; %bb.1879:
	s_cmp_gt_i32 s17, 27
	s_cbranch_scc0 .LBB79_1881
; %bb.1880:
	s_mov_b64 s[10:11], 0
	global_store_dword v[1:2], v3, off
.LBB79_1881:
	s_andn2_b64 vcc, exec, s[10:11]
	s_cbranch_vccnz .LBB79_1883
; %bb.1882:
	global_store_short v[1:2], v3, off
.LBB79_1883:
	s_mov_b64 s[10:11], 0
.LBB79_1884:
	s_andn2_b64 vcc, exec, s[10:11]
	s_cbranch_vccnz .LBB79_1892
; %bb.1885:
	v_xor_b32_e32 v6, v3, v4
	v_ffbh_i32_e32 v5, v4
	v_ashrrev_i32_e32 v6, 31, v6
	v_add_u32_e32 v5, -1, v5
	v_add_u32_e32 v6, 32, v6
	v_min_u32_e32 v7, v5, v6
	v_lshlrev_b64 v[5:6], v7, v[3:4]
	s_mov_b32 s10, 0x43800000
	v_min_u32_e32 v5, 1, v5
	v_or_b32_e32 v5, v6, v5
	v_cvt_f32_i32_e32 v5, v5
	v_sub_u32_e32 v6, 32, v7
	v_mov_b32_e32 v7, 0x80
	v_ldexp_f32 v5, v5, v6
	v_and_b32_e32 v6, 0x7fffffff, v5
	v_cmp_gt_u32_e32 vcc, s10, v6
	s_and_saveexec_b64 s[10:11], vcc
	s_cbranch_execz .LBB79_1891
; %bb.1886:
	s_mov_b32 s12, 0x3bffffff
	v_cmp_lt_u32_e32 vcc, s12, v6
	s_mov_b64 s[12:13], 0
                                        ; implicit-def: $vgpr6
	s_and_saveexec_b64 s[14:15], vcc
	s_xor_b64 s[14:15], exec, s[14:15]
	s_cbranch_execz .LBB79_2112
; %bb.1887:
	v_bfe_u32 v6, v5, 20, 1
	s_mov_b32 s18, 0x487ffff
	v_add3_u32 v6, v5, v6, s18
	s_mov_b64 s[12:13], exec
	v_lshrrev_b32_e32 v6, 20, v6
	s_andn2_saveexec_b64 s[14:15], s[14:15]
	s_cbranch_execnz .LBB79_2113
.LBB79_1888:
	s_or_b64 exec, exec, s[14:15]
	v_mov_b32_e32 v7, 0
	s_and_saveexec_b64 s[14:15], s[12:13]
.LBB79_1889:
	v_lshrrev_b32_e32 v5, 24, v5
	s_movk_i32 s12, 0x80
	v_and_or_b32 v7, v5, s12, v6
.LBB79_1890:
	s_or_b64 exec, exec, s[14:15]
.LBB79_1891:
	s_or_b64 exec, exec, s[10:11]
	global_store_byte v[1:2], v7, off
.LBB79_1892:
	s_mov_b64 s[10:11], -1
.LBB79_1893:
	s_mov_b64 s[12:13], 0
.LBB79_1894:
	s_and_b64 vcc, exec, s[12:13]
	s_cbranch_vccz .LBB79_1934
; %bb.1895:
	s_cmp_gt_i32 s17, 22
	s_mov_b64 s[6:7], -1
	s_cbranch_scc0 .LBB79_1927
; %bb.1896:
	s_cmp_lt_i32 s17, 24
	s_cbranch_scc1 .LBB79_1916
; %bb.1897:
	s_cmp_gt_i32 s17, 24
	s_cbranch_scc0 .LBB79_1905
; %bb.1898:
	v_xor_b32_e32 v6, v3, v4
	v_ffbh_i32_e32 v5, v4
	v_ashrrev_i32_e32 v6, 31, v6
	v_add_u32_e32 v5, -1, v5
	v_add_u32_e32 v6, 32, v6
	v_min_u32_e32 v7, v5, v6
	v_lshlrev_b64 v[5:6], v7, v[3:4]
	s_mov_b32 s6, 0x47800000
	v_min_u32_e32 v5, 1, v5
	v_or_b32_e32 v5, v6, v5
	v_cvt_f32_i32_e32 v5, v5
	v_sub_u32_e32 v6, 32, v7
	v_mov_b32_e32 v7, 0x80
	v_ldexp_f32 v5, v5, v6
	v_and_b32_e32 v6, 0x7fffffff, v5
	v_cmp_gt_u32_e32 vcc, s6, v6
	s_and_saveexec_b64 s[6:7], vcc
	s_cbranch_execz .LBB79_1904
; %bb.1899:
	s_mov_b32 s10, 0x37ffffff
	v_cmp_lt_u32_e32 vcc, s10, v6
	s_mov_b64 s[10:11], 0
                                        ; implicit-def: $vgpr6
	s_and_saveexec_b64 s[12:13], vcc
	s_xor_b64 s[12:13], exec, s[12:13]
	s_cbranch_execz .LBB79_2115
; %bb.1900:
	v_bfe_u32 v6, v5, 21, 1
	s_mov_b32 s14, 0x88fffff
	v_add3_u32 v6, v5, v6, s14
	s_mov_b64 s[10:11], exec
	v_lshrrev_b32_e32 v6, 21, v6
	s_andn2_saveexec_b64 s[12:13], s[12:13]
	s_cbranch_execnz .LBB79_2116
.LBB79_1901:
	s_or_b64 exec, exec, s[12:13]
	v_mov_b32_e32 v7, 0
	s_and_saveexec_b64 s[12:13], s[10:11]
.LBB79_1902:
	v_lshrrev_b32_e32 v5, 24, v5
	s_movk_i32 s10, 0x80
	v_and_or_b32 v7, v5, s10, v6
.LBB79_1903:
	s_or_b64 exec, exec, s[12:13]
.LBB79_1904:
	s_or_b64 exec, exec, s[6:7]
	s_mov_b64 s[6:7], 0
	global_store_byte v[1:2], v7, off
.LBB79_1905:
	s_and_b64 vcc, exec, s[6:7]
	s_cbranch_vccz .LBB79_1915
; %bb.1906:
	v_xor_b32_e32 v6, v3, v4
	v_ffbh_i32_e32 v5, v4
	v_ashrrev_i32_e32 v6, 31, v6
	v_add_u32_e32 v5, -1, v5
	v_add_u32_e32 v6, 32, v6
	v_min_u32_e32 v7, v5, v6
	v_lshlrev_b64 v[5:6], v7, v[3:4]
	s_mov_b32 s6, 0x43f00000
	v_min_u32_e32 v5, 1, v5
	v_or_b32_e32 v5, v6, v5
	v_cvt_f32_i32_e32 v5, v5
	v_sub_u32_e32 v6, 32, v7
	v_ldexp_f32 v5, v5, v6
	v_and_b32_e32 v7, 0x7fffffff, v5
	v_cmp_gt_u32_e32 vcc, s6, v7
                                        ; implicit-def: $vgpr6
	s_and_saveexec_b64 s[6:7], vcc
	s_xor_b64 s[6:7], exec, s[6:7]
	s_cbranch_execz .LBB79_1912
; %bb.1907:
	s_mov_b32 s10, 0x3c7fffff
	v_cmp_lt_u32_e32 vcc, s10, v7
                                        ; implicit-def: $vgpr6
	s_and_saveexec_b64 s[10:11], vcc
	s_xor_b64 s[10:11], exec, s[10:11]
; %bb.1908:
	v_bfe_u32 v6, v5, 20, 1
	s_mov_b32 s12, 0x407ffff
	v_add3_u32 v6, v5, v6, s12
	v_lshrrev_b32_e32 v7, 20, v6
	v_and_b32_e32 v6, 0xff00000, v6
	s_mov_b32 s12, 0x7f00000
	v_mov_b32_e32 v8, 0x7e
	v_cmp_ne_u32_e32 vcc, s12, v6
	v_cndmask_b32_e32 v6, v8, v7, vcc
; %bb.1909:
	s_andn2_saveexec_b64 s[10:11], s[10:11]
; %bb.1910:
	s_mov_b32 s12, 0x46800000
	v_add_f32_e64 v6, |v5|, s12
; %bb.1911:
	s_or_b64 exec, exec, s[10:11]
                                        ; implicit-def: $vgpr7
.LBB79_1912:
	s_andn2_saveexec_b64 s[6:7], s[6:7]
; %bb.1913:
	s_mov_b32 s10, 0x7f800000
	v_mov_b32_e32 v6, 0x7e
	v_mov_b32_e32 v8, 0x7f
	v_cmp_lt_u32_e32 vcc, s10, v7
	v_cndmask_b32_e32 v6, v6, v8, vcc
; %bb.1914:
	s_or_b64 exec, exec, s[6:7]
	v_lshrrev_b32_e32 v5, 24, v5
	s_movk_i32 s6, 0x80
	v_and_or_b32 v5, v5, s6, v6
	global_store_byte v[1:2], v5, off
.LBB79_1915:
	s_mov_b64 s[6:7], 0
.LBB79_1916:
	s_andn2_b64 vcc, exec, s[6:7]
	s_cbranch_vccnz .LBB79_1926
; %bb.1917:
	v_xor_b32_e32 v6, v3, v4
	v_ffbh_i32_e32 v5, v4
	v_ashrrev_i32_e32 v6, 31, v6
	v_add_u32_e32 v5, -1, v5
	v_add_u32_e32 v6, 32, v6
	v_min_u32_e32 v7, v5, v6
	v_lshlrev_b64 v[5:6], v7, v[3:4]
	s_mov_b32 s6, 0x47800000
	v_min_u32_e32 v5, 1, v5
	v_or_b32_e32 v5, v6, v5
	v_cvt_f32_i32_e32 v5, v5
	v_sub_u32_e32 v6, 32, v7
	v_ldexp_f32 v5, v5, v6
	v_and_b32_e32 v7, 0x7fffffff, v5
	v_cmp_gt_u32_e32 vcc, s6, v7
                                        ; implicit-def: $vgpr6
	s_and_saveexec_b64 s[6:7], vcc
	s_xor_b64 s[6:7], exec, s[6:7]
	s_cbranch_execz .LBB79_1923
; %bb.1918:
	s_mov_b32 s10, 0x387fffff
	v_cmp_lt_u32_e32 vcc, s10, v7
                                        ; implicit-def: $vgpr6
	s_and_saveexec_b64 s[10:11], vcc
	s_xor_b64 s[10:11], exec, s[10:11]
; %bb.1919:
	v_bfe_u32 v6, v5, 21, 1
	s_mov_b32 s12, 0x80fffff
	v_add3_u32 v6, v5, v6, s12
	v_lshrrev_b32_e32 v6, 21, v6
; %bb.1920:
	s_andn2_saveexec_b64 s[10:11], s[10:11]
; %bb.1921:
	s_mov_b32 s12, 0x43000000
	v_add_f32_e64 v6, |v5|, s12
; %bb.1922:
	s_or_b64 exec, exec, s[10:11]
                                        ; implicit-def: $vgpr7
.LBB79_1923:
	s_andn2_saveexec_b64 s[6:7], s[6:7]
; %bb.1924:
	s_mov_b32 s10, 0x7f800000
	v_mov_b32_e32 v6, 0x7c
	v_mov_b32_e32 v8, 0x7f
	v_cmp_lt_u32_e32 vcc, s10, v7
	v_cndmask_b32_e32 v6, v6, v8, vcc
; %bb.1925:
	s_or_b64 exec, exec, s[6:7]
	v_lshrrev_b32_e32 v5, 24, v5
	s_movk_i32 s6, 0x80
	v_and_or_b32 v5, v5, s6, v6
	global_store_byte v[1:2], v5, off
.LBB79_1926:
	s_mov_b64 s[6:7], 0
	s_mov_b64 s[10:11], -1
.LBB79_1927:
	s_andn2_b64 vcc, exec, s[6:7]
	s_mov_b64 s[6:7], 0
	s_cbranch_vccnz .LBB79_1934
; %bb.1928:
	s_cmp_gt_i32 s17, 14
	s_mov_b64 s[12:13], -1
	s_cbranch_scc0 .LBB79_1932
; %bb.1929:
	s_cmp_eq_u32 s17, 15
	s_mov_b64 s[0:1], -1
	s_cbranch_scc0 .LBB79_1931
; %bb.1930:
	v_xor_b32_e32 v6, v3, v4
	v_ffbh_i32_e32 v5, v4
	v_ashrrev_i32_e32 v6, 31, v6
	v_add_u32_e32 v5, -1, v5
	v_add_u32_e32 v6, 32, v6
	v_min_u32_e32 v7, v5, v6
	v_lshlrev_b64 v[5:6], v7, v[3:4]
	s_movk_i32 s0, 0x7fff
	v_min_u32_e32 v5, 1, v5
	v_or_b32_e32 v5, v6, v5
	v_cvt_f32_i32_e32 v5, v5
	v_sub_u32_e32 v6, 32, v7
	s_mov_b64 s[10:11], -1
	v_ldexp_f32 v5, v5, v6
	v_bfe_u32 v6, v5, 16, 1
	v_add3_u32 v5, v5, v6, s0
	global_store_short_d16_hi v[1:2], v5, off
	s_mov_b64 s[0:1], 0
.LBB79_1931:
	s_mov_b64 s[12:13], 0
.LBB79_1932:
	s_and_b64 vcc, exec, s[12:13]
	s_cbranch_vccz .LBB79_1934
; %bb.1933:
	s_cmp_lg_u32 s17, 11
	s_mov_b64 s[6:7], -1
	s_cselect_b64 s[0:1], -1, 0
.LBB79_1934:
	s_and_b64 vcc, exec, s[0:1]
	s_cbranch_vccnz .LBB79_2114
; %bb.1935:
	s_andn2_b64 vcc, exec, s[6:7]
	s_cbranch_vccnz .LBB79_1937
.LBB79_1936:
	v_cmp_ne_u64_e32 vcc, 0, v[3:4]
	s_mov_b64 s[10:11], -1
	v_cndmask_b32_e64 v5, 0, 1, vcc
	global_store_byte v[1:2], v5, off
.LBB79_1937:
	s_mov_b64 s[0:1], 0
	s_branch .LBB79_1939
.LBB79_1938:
	s_mov_b64 s[0:1], -1
	s_mov_b64 s[10:11], 0
.LBB79_1939:
	s_and_b64 vcc, exec, s[0:1]
	s_cbranch_vccz .LBB79_1978
; %bb.1940:
	s_cmp_lt_i32 s17, 5
	s_mov_b64 s[0:1], -1
	s_cbranch_scc1 .LBB79_1961
; %bb.1941:
	s_cmp_lt_i32 s17, 8
	s_cbranch_scc1 .LBB79_1951
; %bb.1942:
	s_cmp_lt_i32 s17, 9
	s_cbranch_scc1 .LBB79_1948
; %bb.1943:
	s_cmp_gt_i32 s17, 9
	s_cbranch_scc0 .LBB79_1945
; %bb.1944:
	v_cvt_f64_i32_e32 v[5:6], v4
	v_cvt_f64_u32_e32 v[7:8], v3
	s_mov_b64 s[0:1], 0
	v_ldexp_f64 v[5:6], v[5:6], 32
	v_add_f64 v[5:6], v[5:6], v[7:8]
	v_mov_b32_e32 v7, 0
	v_mov_b32_e32 v8, v7
	global_store_dwordx4 v[1:2], v[5:8], off
.LBB79_1945:
	s_andn2_b64 vcc, exec, s[0:1]
	s_cbranch_vccnz .LBB79_1947
; %bb.1946:
	v_xor_b32_e32 v6, v3, v4
	v_ffbh_i32_e32 v5, v4
	v_ashrrev_i32_e32 v6, 31, v6
	v_add_u32_e32 v5, -1, v5
	v_add_u32_e32 v6, 32, v6
	v_min_u32_e32 v7, v5, v6
	v_lshlrev_b64 v[5:6], v7, v[3:4]
	v_min_u32_e32 v5, 1, v5
	v_or_b32_e32 v5, v6, v5
	v_cvt_f32_i32_e32 v5, v5
	v_sub_u32_e32 v6, 32, v7
	v_ldexp_f32 v5, v5, v6
	v_mov_b32_e32 v6, 0
	global_store_dwordx2 v[1:2], v[5:6], off
.LBB79_1947:
	s_mov_b64 s[0:1], 0
.LBB79_1948:
	s_andn2_b64 vcc, exec, s[0:1]
	s_cbranch_vccnz .LBB79_1950
; %bb.1949:
	v_xor_b32_e32 v6, v3, v4
	v_ffbh_i32_e32 v5, v4
	v_ashrrev_i32_e32 v6, 31, v6
	v_add_u32_e32 v5, -1, v5
	v_add_u32_e32 v6, 32, v6
	v_min_u32_e32 v7, v5, v6
	v_lshlrev_b64 v[5:6], v7, v[3:4]
	v_min_u32_e32 v5, 1, v5
	v_or_b32_e32 v5, v6, v5
	v_cvt_f32_i32_e32 v5, v5
	v_sub_u32_e32 v6, 32, v7
	v_ldexp_f32 v5, v5, v6
	v_cvt_f16_f32_e32 v5, v5
	global_store_dword v[1:2], v5, off
.LBB79_1950:
	s_mov_b64 s[0:1], 0
.LBB79_1951:
	s_andn2_b64 vcc, exec, s[0:1]
	s_cbranch_vccnz .LBB79_1960
; %bb.1952:
	s_cmp_lt_i32 s17, 6
	s_mov_b64 s[0:1], -1
	s_cbranch_scc1 .LBB79_1958
; %bb.1953:
	s_cmp_gt_i32 s17, 6
	s_cbranch_scc0 .LBB79_1955
; %bb.1954:
	v_cvt_f64_i32_e32 v[5:6], v4
	v_cvt_f64_u32_e32 v[7:8], v3
	s_mov_b64 s[0:1], 0
	v_ldexp_f64 v[5:6], v[5:6], 32
	v_add_f64 v[5:6], v[5:6], v[7:8]
	global_store_dwordx2 v[1:2], v[5:6], off
.LBB79_1955:
	s_andn2_b64 vcc, exec, s[0:1]
	s_cbranch_vccnz .LBB79_1957
; %bb.1956:
	v_xor_b32_e32 v6, v3, v4
	v_ffbh_i32_e32 v5, v4
	v_ashrrev_i32_e32 v6, 31, v6
	v_add_u32_e32 v5, -1, v5
	v_add_u32_e32 v6, 32, v6
	v_min_u32_e32 v7, v5, v6
	v_lshlrev_b64 v[5:6], v7, v[3:4]
	v_min_u32_e32 v5, 1, v5
	v_or_b32_e32 v5, v6, v5
	v_cvt_f32_i32_e32 v5, v5
	v_sub_u32_e32 v6, 32, v7
	v_ldexp_f32 v5, v5, v6
	global_store_dword v[1:2], v5, off
.LBB79_1957:
	s_mov_b64 s[0:1], 0
.LBB79_1958:
	s_andn2_b64 vcc, exec, s[0:1]
	s_cbranch_vccnz .LBB79_1960
; %bb.1959:
	v_xor_b32_e32 v6, v3, v4
	v_ffbh_i32_e32 v5, v4
	v_ashrrev_i32_e32 v6, 31, v6
	v_add_u32_e32 v5, -1, v5
	v_add_u32_e32 v6, 32, v6
	v_min_u32_e32 v7, v5, v6
	v_lshlrev_b64 v[5:6], v7, v[3:4]
	v_min_u32_e32 v5, 1, v5
	v_or_b32_e32 v5, v6, v5
	v_cvt_f32_i32_e32 v5, v5
	v_sub_u32_e32 v6, 32, v7
	v_ldexp_f32 v5, v5, v6
	v_cvt_f16_f32_e32 v5, v5
	global_store_short v[1:2], v5, off
.LBB79_1960:
	s_mov_b64 s[0:1], 0
.LBB79_1961:
	s_andn2_b64 vcc, exec, s[0:1]
	s_cbranch_vccnz .LBB79_1977
; %bb.1962:
	s_cmp_lt_i32 s17, 2
	s_mov_b64 s[0:1], -1
	s_cbranch_scc1 .LBB79_1972
; %bb.1963:
	s_cmp_lt_i32 s17, 3
	s_cbranch_scc1 .LBB79_1969
; %bb.1964:
	s_cmp_gt_i32 s17, 3
	s_cbranch_scc0 .LBB79_1966
; %bb.1965:
	global_store_dwordx2 v[1:2], v[3:4], off
	s_mov_b64 s[0:1], 0
.LBB79_1966:
	s_andn2_b64 vcc, exec, s[0:1]
	s_cbranch_vccnz .LBB79_1968
; %bb.1967:
	global_store_dword v[1:2], v3, off
.LBB79_1968:
	s_mov_b64 s[0:1], 0
.LBB79_1969:
	s_andn2_b64 vcc, exec, s[0:1]
	s_cbranch_vccnz .LBB79_1971
; %bb.1970:
	global_store_short v[1:2], v3, off
.LBB79_1971:
	s_mov_b64 s[0:1], 0
.LBB79_1972:
	s_andn2_b64 vcc, exec, s[0:1]
	s_cbranch_vccnz .LBB79_1977
; %bb.1973:
	s_cmp_gt_i32 s17, 0
	s_mov_b64 s[0:1], -1
	s_cbranch_scc0 .LBB79_1975
; %bb.1974:
	global_store_byte v[1:2], v3, off
	s_mov_b64 s[0:1], 0
.LBB79_1975:
	s_andn2_b64 vcc, exec, s[0:1]
	s_cbranch_vccnz .LBB79_1977
; %bb.1976:
	global_store_byte v[1:2], v3, off
.LBB79_1977:
	s_mov_b64 s[10:11], -1
.LBB79_1978:
	s_andn2_b64 vcc, exec, s[10:11]
	s_cbranch_vccnz .LBB79_2055
; %bb.1979:
	v_lshlrev_b64 v[1:2], v13, s[4:5]
	v_cmp_gt_u64_e32 vcc, 64, v[13:14]
	s_cmp_lt_i32 s17, 11
	v_cndmask_b32_e32 v3, 0, v2, vcc
	v_cndmask_b32_e32 v2, 0, v1, vcc
	v_mov_b32_e32 v1, s9
	v_add_co_u32_e32 v0, vcc, s8, v0
	v_addc_co_u32_e32 v1, vcc, 0, v1, vcc
	s_cbranch_scc1 .LBB79_2100
; %bb.1980:
	s_mov_b64 s[6:7], -1
	s_mov_b64 s[4:5], 0
	s_cmp_gt_i32 s17, 25
	s_mov_b64 s[0:1], 0
	s_cbranch_scc0 .LBB79_2013
; %bb.1981:
	s_cmp_gt_i32 s17, 28
	s_cbranch_scc0 .LBB79_1997
; %bb.1982:
	s_cmp_gt_i32 s17, 43
	;; [unrolled: 3-line block ×3, first 2 shown]
	s_cbranch_scc0 .LBB79_1987
; %bb.1984:
	s_cmp_eq_u32 s17, 46
	s_mov_b64 s[0:1], -1
	s_cbranch_scc0 .LBB79_1986
; %bb.1985:
	v_xor_b32_e32 v5, v2, v3
	v_ffbh_i32_e32 v4, v3
	v_ashrrev_i32_e32 v5, 31, v5
	v_add_u32_e32 v4, -1, v4
	v_add_u32_e32 v5, 32, v5
	v_min_u32_e32 v6, v4, v5
	v_lshlrev_b64 v[4:5], v6, v[2:3]
	s_movk_i32 s0, 0x7fff
	v_min_u32_e32 v4, 1, v4
	v_or_b32_e32 v4, v5, v4
	v_cvt_f32_i32_e32 v4, v4
	v_sub_u32_e32 v5, 32, v6
	v_ldexp_f32 v4, v4, v5
	v_bfe_u32 v5, v4, 16, 1
	v_add3_u32 v4, v4, v5, s0
	v_lshrrev_b32_e32 v4, 16, v4
	global_store_dword v[0:1], v4, off
	s_mov_b64 s[0:1], 0
.LBB79_1986:
	s_mov_b64 s[6:7], 0
.LBB79_1987:
	s_and_b64 vcc, exec, s[6:7]
	s_cbranch_vccz .LBB79_1992
; %bb.1988:
	s_cmp_eq_u32 s17, 44
	s_mov_b64 s[0:1], -1
	s_cbranch_scc0 .LBB79_1992
; %bb.1989:
	v_xor_b32_e32 v5, v2, v3
	v_ffbh_i32_e32 v4, v3
	v_ashrrev_i32_e32 v5, 31, v5
	v_add_u32_e32 v4, -1, v4
	v_add_u32_e32 v5, 32, v5
	v_min_u32_e32 v6, v4, v5
	v_lshlrev_b64 v[4:5], v6, v[2:3]
	s_movk_i32 s0, 0xff
	v_min_u32_e32 v4, 1, v4
	v_or_b32_e32 v4, v5, v4
	v_cvt_f32_i32_e32 v4, v4
	v_sub_u32_e32 v5, 32, v6
	v_mov_b32_e32 v6, 0xff
	v_ldexp_f32 v4, v4, v5
	v_bfe_u32 v5, v4, 23, 8
	v_cmp_ne_u32_e32 vcc, s0, v5
	s_and_saveexec_b64 s[6:7], vcc
; %bb.1990:
	s_mov_b32 s0, 0x3fffff
	v_lshrrev_b32_e32 v6, 23, v4
	v_and_b32_e32 v7, 0x400000, v4
	v_and_or_b32 v4, v4, s0, v5
	v_cmp_ne_u32_e32 vcc, 0, v7
	v_cmp_ne_u32_e64 s[0:1], 0, v4
	s_and_b64 s[0:1], vcc, s[0:1]
	v_cndmask_b32_e64 v4, 0, 1, s[0:1]
	v_add_u32_e32 v6, v6, v4
; %bb.1991:
	s_or_b64 exec, exec, s[6:7]
	s_mov_b64 s[0:1], 0
	global_store_byte v[0:1], v6, off
.LBB79_1992:
	s_mov_b64 s[6:7], 0
.LBB79_1993:
	s_and_b64 vcc, exec, s[6:7]
	s_cbranch_vccz .LBB79_1996
; %bb.1994:
	s_cmp_eq_u32 s17, 29
	s_mov_b64 s[0:1], -1
	s_cbranch_scc0 .LBB79_1996
; %bb.1995:
	global_store_dwordx2 v[0:1], v[2:3], off
	s_mov_b64 s[0:1], 0
.LBB79_1996:
	s_mov_b64 s[6:7], 0
.LBB79_1997:
	s_and_b64 vcc, exec, s[6:7]
	s_cbranch_vccz .LBB79_2012
; %bb.1998:
	s_cmp_lt_i32 s17, 27
	s_mov_b64 s[6:7], -1
	s_cbranch_scc1 .LBB79_2004
; %bb.1999:
	s_cmp_gt_i32 s17, 27
	s_cbranch_scc0 .LBB79_2001
; %bb.2000:
	global_store_dword v[0:1], v2, off
	s_mov_b64 s[6:7], 0
.LBB79_2001:
	s_andn2_b64 vcc, exec, s[6:7]
	s_cbranch_vccnz .LBB79_2003
; %bb.2002:
	global_store_short v[0:1], v2, off
.LBB79_2003:
	s_mov_b64 s[6:7], 0
.LBB79_2004:
	s_andn2_b64 vcc, exec, s[6:7]
	s_cbranch_vccnz .LBB79_2012
; %bb.2005:
	v_xor_b32_e32 v5, v2, v3
	v_ffbh_i32_e32 v4, v3
	v_ashrrev_i32_e32 v5, 31, v5
	v_add_u32_e32 v4, -1, v4
	v_add_u32_e32 v5, 32, v5
	v_min_u32_e32 v6, v4, v5
	v_lshlrev_b64 v[4:5], v6, v[2:3]
	s_mov_b32 s6, 0x43800000
	v_min_u32_e32 v4, 1, v4
	v_or_b32_e32 v4, v5, v4
	v_cvt_f32_i32_e32 v4, v4
	v_sub_u32_e32 v5, 32, v6
	v_mov_b32_e32 v6, 0x80
	v_ldexp_f32 v4, v4, v5
	v_and_b32_e32 v5, 0x7fffffff, v4
	v_cmp_gt_u32_e32 vcc, s6, v5
	s_and_saveexec_b64 s[6:7], vcc
	s_cbranch_execz .LBB79_2011
; %bb.2006:
	s_mov_b32 s8, 0x3bffffff
	v_cmp_lt_u32_e32 vcc, s8, v5
	s_mov_b64 s[8:9], 0
                                        ; implicit-def: $vgpr5
	s_and_saveexec_b64 s[10:11], vcc
	s_xor_b64 s[10:11], exec, s[10:11]
	s_cbranch_execz .LBB79_2117
; %bb.2007:
	v_bfe_u32 v5, v4, 20, 1
	s_mov_b32 s12, 0x487ffff
	v_add3_u32 v5, v4, v5, s12
	s_mov_b64 s[8:9], exec
	v_lshrrev_b32_e32 v5, 20, v5
	s_andn2_saveexec_b64 s[10:11], s[10:11]
	s_cbranch_execnz .LBB79_2118
.LBB79_2008:
	s_or_b64 exec, exec, s[10:11]
	v_mov_b32_e32 v6, 0
	s_and_saveexec_b64 s[10:11], s[8:9]
.LBB79_2009:
	v_lshrrev_b32_e32 v4, 24, v4
	s_movk_i32 s8, 0x80
	v_and_or_b32 v6, v4, s8, v5
.LBB79_2010:
	s_or_b64 exec, exec, s[10:11]
.LBB79_2011:
	s_or_b64 exec, exec, s[6:7]
	global_store_byte v[0:1], v6, off
.LBB79_2012:
	s_mov_b64 s[6:7], 0
.LBB79_2013:
	s_and_b64 vcc, exec, s[6:7]
	s_cbranch_vccz .LBB79_2053
; %bb.2014:
	s_cmp_gt_i32 s17, 22
	s_mov_b64 s[4:5], -1
	s_cbranch_scc0 .LBB79_2046
; %bb.2015:
	s_cmp_lt_i32 s17, 24
	s_cbranch_scc1 .LBB79_2035
; %bb.2016:
	s_cmp_gt_i32 s17, 24
	s_cbranch_scc0 .LBB79_2024
; %bb.2017:
	v_xor_b32_e32 v5, v2, v3
	v_ffbh_i32_e32 v4, v3
	v_ashrrev_i32_e32 v5, 31, v5
	v_add_u32_e32 v4, -1, v4
	v_add_u32_e32 v5, 32, v5
	v_min_u32_e32 v6, v4, v5
	v_lshlrev_b64 v[4:5], v6, v[2:3]
	s_mov_b32 s4, 0x47800000
	v_min_u32_e32 v4, 1, v4
	v_or_b32_e32 v4, v5, v4
	v_cvt_f32_i32_e32 v4, v4
	v_sub_u32_e32 v5, 32, v6
	v_mov_b32_e32 v6, 0x80
	v_ldexp_f32 v4, v4, v5
	v_and_b32_e32 v5, 0x7fffffff, v4
	v_cmp_gt_u32_e32 vcc, s4, v5
	s_and_saveexec_b64 s[4:5], vcc
	s_cbranch_execz .LBB79_2023
; %bb.2018:
	s_mov_b32 s6, 0x37ffffff
	v_cmp_lt_u32_e32 vcc, s6, v5
	s_mov_b64 s[6:7], 0
                                        ; implicit-def: $vgpr5
	s_and_saveexec_b64 s[8:9], vcc
	s_xor_b64 s[8:9], exec, s[8:9]
	s_cbranch_execz .LBB79_2120
; %bb.2019:
	v_bfe_u32 v5, v4, 21, 1
	s_mov_b32 s10, 0x88fffff
	v_add3_u32 v5, v4, v5, s10
	s_mov_b64 s[6:7], exec
	v_lshrrev_b32_e32 v5, 21, v5
	s_andn2_saveexec_b64 s[8:9], s[8:9]
	s_cbranch_execnz .LBB79_2121
.LBB79_2020:
	s_or_b64 exec, exec, s[8:9]
	v_mov_b32_e32 v6, 0
	s_and_saveexec_b64 s[8:9], s[6:7]
.LBB79_2021:
	v_lshrrev_b32_e32 v4, 24, v4
	s_movk_i32 s6, 0x80
	v_and_or_b32 v6, v4, s6, v5
.LBB79_2022:
	s_or_b64 exec, exec, s[8:9]
.LBB79_2023:
	s_or_b64 exec, exec, s[4:5]
	s_mov_b64 s[4:5], 0
	global_store_byte v[0:1], v6, off
.LBB79_2024:
	s_and_b64 vcc, exec, s[4:5]
	s_cbranch_vccz .LBB79_2034
; %bb.2025:
	v_xor_b32_e32 v5, v2, v3
	v_ffbh_i32_e32 v4, v3
	v_ashrrev_i32_e32 v5, 31, v5
	v_add_u32_e32 v4, -1, v4
	v_add_u32_e32 v5, 32, v5
	v_min_u32_e32 v6, v4, v5
	v_lshlrev_b64 v[4:5], v6, v[2:3]
	s_mov_b32 s4, 0x43f00000
	v_min_u32_e32 v4, 1, v4
	v_or_b32_e32 v4, v5, v4
	v_cvt_f32_i32_e32 v4, v4
	v_sub_u32_e32 v5, 32, v6
	v_ldexp_f32 v4, v4, v5
	v_and_b32_e32 v6, 0x7fffffff, v4
	v_cmp_gt_u32_e32 vcc, s4, v6
                                        ; implicit-def: $vgpr5
	s_and_saveexec_b64 s[4:5], vcc
	s_xor_b64 s[4:5], exec, s[4:5]
	s_cbranch_execz .LBB79_2031
; %bb.2026:
	s_mov_b32 s6, 0x3c7fffff
	v_cmp_lt_u32_e32 vcc, s6, v6
                                        ; implicit-def: $vgpr5
	s_and_saveexec_b64 s[6:7], vcc
	s_xor_b64 s[6:7], exec, s[6:7]
; %bb.2027:
	v_bfe_u32 v5, v4, 20, 1
	s_mov_b32 s8, 0x407ffff
	v_add3_u32 v5, v4, v5, s8
	v_lshrrev_b32_e32 v6, 20, v5
	v_and_b32_e32 v5, 0xff00000, v5
	s_mov_b32 s8, 0x7f00000
	v_mov_b32_e32 v7, 0x7e
	v_cmp_ne_u32_e32 vcc, s8, v5
	v_cndmask_b32_e32 v5, v7, v6, vcc
; %bb.2028:
	s_andn2_saveexec_b64 s[6:7], s[6:7]
; %bb.2029:
	s_mov_b32 s8, 0x46800000
	v_add_f32_e64 v5, |v4|, s8
; %bb.2030:
	s_or_b64 exec, exec, s[6:7]
                                        ; implicit-def: $vgpr6
.LBB79_2031:
	s_andn2_saveexec_b64 s[4:5], s[4:5]
; %bb.2032:
	s_mov_b32 s6, 0x7f800000
	v_mov_b32_e32 v5, 0x7e
	v_mov_b32_e32 v7, 0x7f
	v_cmp_lt_u32_e32 vcc, s6, v6
	v_cndmask_b32_e32 v5, v5, v7, vcc
; %bb.2033:
	s_or_b64 exec, exec, s[4:5]
	v_lshrrev_b32_e32 v4, 24, v4
	s_movk_i32 s4, 0x80
	v_and_or_b32 v4, v4, s4, v5
	global_store_byte v[0:1], v4, off
.LBB79_2034:
	s_mov_b64 s[4:5], 0
.LBB79_2035:
	s_andn2_b64 vcc, exec, s[4:5]
	s_cbranch_vccnz .LBB79_2045
; %bb.2036:
	v_xor_b32_e32 v5, v2, v3
	v_ffbh_i32_e32 v4, v3
	v_ashrrev_i32_e32 v5, 31, v5
	v_add_u32_e32 v4, -1, v4
	v_add_u32_e32 v5, 32, v5
	v_min_u32_e32 v6, v4, v5
	v_lshlrev_b64 v[4:5], v6, v[2:3]
	s_mov_b32 s4, 0x47800000
	v_min_u32_e32 v4, 1, v4
	v_or_b32_e32 v4, v5, v4
	v_cvt_f32_i32_e32 v4, v4
	v_sub_u32_e32 v5, 32, v6
	v_ldexp_f32 v4, v4, v5
	v_and_b32_e32 v6, 0x7fffffff, v4
	v_cmp_gt_u32_e32 vcc, s4, v6
                                        ; implicit-def: $vgpr5
	s_and_saveexec_b64 s[4:5], vcc
	s_xor_b64 s[4:5], exec, s[4:5]
	s_cbranch_execz .LBB79_2042
; %bb.2037:
	s_mov_b32 s6, 0x387fffff
	v_cmp_lt_u32_e32 vcc, s6, v6
                                        ; implicit-def: $vgpr5
	s_and_saveexec_b64 s[6:7], vcc
	s_xor_b64 s[6:7], exec, s[6:7]
; %bb.2038:
	v_bfe_u32 v5, v4, 21, 1
	s_mov_b32 s8, 0x80fffff
	v_add3_u32 v5, v4, v5, s8
	v_lshrrev_b32_e32 v5, 21, v5
; %bb.2039:
	s_andn2_saveexec_b64 s[6:7], s[6:7]
; %bb.2040:
	s_mov_b32 s8, 0x43000000
	v_add_f32_e64 v5, |v4|, s8
; %bb.2041:
	s_or_b64 exec, exec, s[6:7]
                                        ; implicit-def: $vgpr6
.LBB79_2042:
	s_andn2_saveexec_b64 s[4:5], s[4:5]
; %bb.2043:
	s_mov_b32 s6, 0x7f800000
	v_mov_b32_e32 v5, 0x7c
	v_mov_b32_e32 v7, 0x7f
	v_cmp_lt_u32_e32 vcc, s6, v6
	v_cndmask_b32_e32 v5, v5, v7, vcc
; %bb.2044:
	s_or_b64 exec, exec, s[4:5]
	v_lshrrev_b32_e32 v4, 24, v4
	s_movk_i32 s4, 0x80
	v_and_or_b32 v4, v4, s4, v5
	global_store_byte v[0:1], v4, off
.LBB79_2045:
	s_mov_b64 s[4:5], 0
.LBB79_2046:
	s_andn2_b64 vcc, exec, s[4:5]
	s_mov_b64 s[4:5], 0
	s_cbranch_vccnz .LBB79_2053
; %bb.2047:
	s_cmp_gt_i32 s17, 14
	s_mov_b64 s[6:7], -1
	s_cbranch_scc0 .LBB79_2051
; %bb.2048:
	s_cmp_eq_u32 s17, 15
	s_mov_b64 s[0:1], -1
	s_cbranch_scc0 .LBB79_2050
; %bb.2049:
	v_xor_b32_e32 v5, v2, v3
	v_ffbh_i32_e32 v4, v3
	v_ashrrev_i32_e32 v5, 31, v5
	v_add_u32_e32 v4, -1, v4
	v_add_u32_e32 v5, 32, v5
	v_min_u32_e32 v6, v4, v5
	v_lshlrev_b64 v[4:5], v6, v[2:3]
	s_movk_i32 s0, 0x7fff
	v_min_u32_e32 v4, 1, v4
	v_or_b32_e32 v4, v5, v4
	v_cvt_f32_i32_e32 v4, v4
	v_sub_u32_e32 v5, 32, v6
	v_ldexp_f32 v4, v4, v5
	v_bfe_u32 v5, v4, 16, 1
	v_add3_u32 v4, v4, v5, s0
	global_store_short_d16_hi v[0:1], v4, off
	s_mov_b64 s[0:1], 0
.LBB79_2050:
	s_mov_b64 s[6:7], 0
.LBB79_2051:
	s_and_b64 vcc, exec, s[6:7]
	s_cbranch_vccz .LBB79_2053
; %bb.2052:
	s_cmp_lg_u32 s17, 11
	s_mov_b64 s[4:5], -1
	s_cselect_b64 s[0:1], -1, 0
.LBB79_2053:
	s_and_b64 vcc, exec, s[0:1]
	s_cbranch_vccnz .LBB79_2119
.LBB79_2054:
	s_mov_b64 s[0:1], 0
	s_branch .LBB79_2056
.LBB79_2055:
	s_mov_b64 s[0:1], 0
	s_mov_b64 s[4:5], 0
                                        ; implicit-def: $vgpr0_vgpr1
                                        ; implicit-def: $sgpr16
                                        ; implicit-def: $vgpr2_vgpr3
.LBB79_2056:
	s_and_b64 s[6:7], s[4:5], exec
	s_andn2_b64 s[4:5], s[28:29], exec
	s_and_b64 s[2:3], s[2:3], exec
	s_and_b64 s[0:1], s[0:1], exec
	s_or_b64 s[28:29], s[4:5], s[2:3]
.LBB79_2057:
	s_or_b64 exec, exec, s[30:31]
	s_and_saveexec_b64 s[2:3], s[28:29]
	s_cbranch_execz .LBB79_2060
; %bb.2058:
	; divergent unreachable
	s_or_b64 exec, exec, s[2:3]
	s_and_saveexec_b64 s[2:3], s[6:7]
	s_xor_b64 s[2:3], exec, s[2:3]
	s_cbranch_execnz .LBB79_2061
.LBB79_2059:
	s_or_b64 exec, exec, s[2:3]
	s_and_saveexec_b64 s[2:3], s[0:1]
	s_cbranch_execnz .LBB79_2062
	s_branch .LBB79_2099
.LBB79_2060:
	s_or_b64 exec, exec, s[2:3]
	s_and_saveexec_b64 s[2:3], s[6:7]
	s_xor_b64 s[2:3], exec, s[2:3]
	s_cbranch_execz .LBB79_2059
.LBB79_2061:
	s_waitcnt vmcnt(0)
	v_cmp_ne_u64_e32 vcc, 0, v[2:3]
	v_cndmask_b32_e64 v4, 0, 1, vcc
	global_store_byte v[0:1], v4, off
	s_or_b64 exec, exec, s[2:3]
	s_and_saveexec_b64 s[2:3], s[0:1]
	s_cbranch_execz .LBB79_2099
.LBB79_2062:
	s_sext_i32_i16 s2, s16
	s_cmp_lt_i32 s2, 5
	s_mov_b64 s[0:1], -1
	s_cbranch_scc1 .LBB79_2083
; %bb.2063:
	s_cmp_lt_i32 s2, 8
	s_cbranch_scc1 .LBB79_2073
; %bb.2064:
	s_cmp_lt_i32 s2, 9
	s_cbranch_scc1 .LBB79_2070
; %bb.2065:
	s_cmp_gt_i32 s2, 9
	s_cbranch_scc0 .LBB79_2067
; %bb.2066:
	s_waitcnt vmcnt(0)
	v_cvt_f64_i32_e32 v[4:5], v3
	v_cvt_f64_u32_e32 v[6:7], v2
	s_mov_b64 s[0:1], 0
	v_ldexp_f64 v[4:5], v[4:5], 32
	v_add_f64 v[4:5], v[4:5], v[6:7]
	v_mov_b32_e32 v6, 0
	v_mov_b32_e32 v7, v6
	global_store_dwordx4 v[0:1], v[4:7], off
.LBB79_2067:
	s_andn2_b64 vcc, exec, s[0:1]
	s_cbranch_vccnz .LBB79_2069
; %bb.2068:
	s_waitcnt vmcnt(0)
	v_xor_b32_e32 v5, v2, v3
	v_ffbh_i32_e32 v4, v3
	v_ashrrev_i32_e32 v5, 31, v5
	v_add_u32_e32 v4, -1, v4
	v_add_u32_e32 v5, 32, v5
	v_min_u32_e32 v6, v4, v5
	v_lshlrev_b64 v[4:5], v6, v[2:3]
	v_min_u32_e32 v4, 1, v4
	v_or_b32_e32 v4, v5, v4
	v_cvt_f32_i32_e32 v4, v4
	v_sub_u32_e32 v5, 32, v6
	v_ldexp_f32 v4, v4, v5
	v_mov_b32_e32 v5, 0
	global_store_dwordx2 v[0:1], v[4:5], off
.LBB79_2069:
	s_mov_b64 s[0:1], 0
.LBB79_2070:
	s_andn2_b64 vcc, exec, s[0:1]
	s_cbranch_vccnz .LBB79_2072
; %bb.2071:
	s_waitcnt vmcnt(0)
	v_xor_b32_e32 v5, v2, v3
	v_ffbh_i32_e32 v4, v3
	v_ashrrev_i32_e32 v5, 31, v5
	v_add_u32_e32 v4, -1, v4
	v_add_u32_e32 v5, 32, v5
	v_min_u32_e32 v6, v4, v5
	v_lshlrev_b64 v[4:5], v6, v[2:3]
	v_min_u32_e32 v4, 1, v4
	v_or_b32_e32 v4, v5, v4
	v_cvt_f32_i32_e32 v4, v4
	v_sub_u32_e32 v5, 32, v6
	v_ldexp_f32 v4, v4, v5
	v_cvt_f16_f32_e32 v4, v4
	global_store_dword v[0:1], v4, off
.LBB79_2072:
	s_mov_b64 s[0:1], 0
.LBB79_2073:
	s_andn2_b64 vcc, exec, s[0:1]
	s_cbranch_vccnz .LBB79_2082
; %bb.2074:
	s_sext_i32_i16 s2, s16
	s_cmp_lt_i32 s2, 6
	s_mov_b64 s[0:1], -1
	s_cbranch_scc1 .LBB79_2080
; %bb.2075:
	s_cmp_gt_i32 s2, 6
	s_cbranch_scc0 .LBB79_2077
; %bb.2076:
	s_waitcnt vmcnt(0)
	v_cvt_f64_i32_e32 v[4:5], v3
	v_cvt_f64_u32_e32 v[6:7], v2
	s_mov_b64 s[0:1], 0
	v_ldexp_f64 v[4:5], v[4:5], 32
	v_add_f64 v[4:5], v[4:5], v[6:7]
	global_store_dwordx2 v[0:1], v[4:5], off
.LBB79_2077:
	s_andn2_b64 vcc, exec, s[0:1]
	s_cbranch_vccnz .LBB79_2079
; %bb.2078:
	s_waitcnt vmcnt(0)
	v_xor_b32_e32 v5, v2, v3
	v_ffbh_i32_e32 v4, v3
	v_ashrrev_i32_e32 v5, 31, v5
	v_add_u32_e32 v4, -1, v4
	v_add_u32_e32 v5, 32, v5
	v_min_u32_e32 v6, v4, v5
	v_lshlrev_b64 v[4:5], v6, v[2:3]
	v_min_u32_e32 v4, 1, v4
	v_or_b32_e32 v4, v5, v4
	v_cvt_f32_i32_e32 v4, v4
	v_sub_u32_e32 v5, 32, v6
	v_ldexp_f32 v4, v4, v5
	global_store_dword v[0:1], v4, off
.LBB79_2079:
	s_mov_b64 s[0:1], 0
.LBB79_2080:
	s_andn2_b64 vcc, exec, s[0:1]
	s_cbranch_vccnz .LBB79_2082
; %bb.2081:
	s_waitcnt vmcnt(0)
	v_xor_b32_e32 v5, v2, v3
	v_ffbh_i32_e32 v4, v3
	v_ashrrev_i32_e32 v5, 31, v5
	v_add_u32_e32 v4, -1, v4
	v_add_u32_e32 v5, 32, v5
	v_min_u32_e32 v6, v4, v5
	v_lshlrev_b64 v[4:5], v6, v[2:3]
	v_min_u32_e32 v4, 1, v4
	v_or_b32_e32 v4, v5, v4
	v_cvt_f32_i32_e32 v4, v4
	v_sub_u32_e32 v5, 32, v6
	v_ldexp_f32 v4, v4, v5
	v_cvt_f16_f32_e32 v4, v4
	global_store_short v[0:1], v4, off
.LBB79_2082:
	s_mov_b64 s[0:1], 0
.LBB79_2083:
	s_andn2_b64 vcc, exec, s[0:1]
	s_cbranch_vccnz .LBB79_2099
; %bb.2084:
	s_sext_i32_i16 s2, s16
	s_cmp_lt_i32 s2, 2
	s_mov_b64 s[0:1], -1
	s_cbranch_scc1 .LBB79_2094
; %bb.2085:
	s_cmp_lt_i32 s2, 3
	s_cbranch_scc1 .LBB79_2091
; %bb.2086:
	s_cmp_gt_i32 s2, 3
	s_cbranch_scc0 .LBB79_2088
; %bb.2087:
	s_waitcnt vmcnt(0)
	global_store_dwordx2 v[0:1], v[2:3], off
	s_mov_b64 s[0:1], 0
.LBB79_2088:
	s_andn2_b64 vcc, exec, s[0:1]
	s_cbranch_vccnz .LBB79_2090
; %bb.2089:
	global_store_dword v[0:1], v2, off
.LBB79_2090:
	s_mov_b64 s[0:1], 0
.LBB79_2091:
	s_andn2_b64 vcc, exec, s[0:1]
	s_cbranch_vccnz .LBB79_2093
; %bb.2092:
	global_store_short v[0:1], v2, off
.LBB79_2093:
	s_mov_b64 s[0:1], 0
.LBB79_2094:
	s_andn2_b64 vcc, exec, s[0:1]
	s_cbranch_vccnz .LBB79_2099
; %bb.2095:
	s_sext_i32_i16 s0, s16
	s_cmp_gt_i32 s0, 0
	s_mov_b64 s[0:1], -1
	s_cbranch_scc0 .LBB79_2097
; %bb.2096:
	global_store_byte v[0:1], v2, off
	s_mov_b64 s[0:1], 0
.LBB79_2097:
	s_andn2_b64 vcc, exec, s[0:1]
	s_cbranch_vccnz .LBB79_2099
; %bb.2098:
	global_store_byte v[0:1], v2, off
	s_endpgm
.LBB79_2099:
	s_endpgm
.LBB79_2100:
	s_mov_b64 s[4:5], 0
	s_mov_b64 s[0:1], -1
	s_branch .LBB79_2056
.LBB79_2101:
	s_trap 2
	s_or_b64 s[2:3], s[2:3], exec
	s_cbranch_execz .LBB79_1570
	s_branch .LBB79_1571
.LBB79_2102:
	s_andn2_saveexec_b64 s[14:15], s[14:15]
	s_cbranch_execz .LBB79_1650
.LBB79_2103:
	s_mov_b32 s18, 0x46000000
	v_add_f32_e64 v3, |v1|, s18
	v_and_b32_e32 v3, 0xff, v3
	v_cmp_ne_u32_e32 vcc, 0, v3
	s_andn2_b64 s[12:13], s[12:13], exec
	s_and_b64 s[18:19], vcc, exec
	s_or_b64 s[12:13], s[12:13], s[18:19]
	s_or_b64 exec, exec, s[14:15]
	v_mov_b32_e32 v15, 0
	s_and_saveexec_b64 s[14:15], s[12:13]
	s_cbranch_execnz .LBB79_1651
	s_branch .LBB79_1652
.LBB79_2104:
	s_trap 2
	s_or_b64 s[2:3], s[2:3], exec
	s_cbranch_execz .LBB79_1698
	s_branch .LBB79_1699
.LBB79_2105:
	s_andn2_saveexec_b64 s[12:13], s[12:13]
	s_cbranch_execz .LBB79_1663
.LBB79_2106:
	s_mov_b32 s14, 0x42800000
	v_add_f32_e64 v3, |v1|, s14
	v_and_b32_e32 v3, 0xff, v3
	v_cmp_ne_u32_e32 vcc, 0, v3
	s_andn2_b64 s[10:11], s[10:11], exec
	s_and_b64 s[14:15], vcc, exec
	s_or_b64 s[10:11], s[10:11], s[14:15]
	s_or_b64 exec, exec, s[12:13]
	v_mov_b32_e32 v15, 0
	s_and_saveexec_b64 s[12:13], s[10:11]
	s_cbranch_execnz .LBB79_1664
	s_branch .LBB79_1665
.LBB79_2107:
	s_andn2_saveexec_b64 s[14:15], s[14:15]
	s_cbranch_execz .LBB79_1769
.LBB79_2108:
	s_mov_b32 s18, 0x46000000
	v_add_f32_e64 v7, |v1|, s18
	v_and_b32_e32 v7, 0xff, v7
	v_cmp_ne_u32_e32 vcc, 0, v7
	s_andn2_b64 s[12:13], s[12:13], exec
	s_and_b64 s[18:19], vcc, exec
	s_or_b64 s[12:13], s[12:13], s[18:19]
	s_or_b64 exec, exec, s[14:15]
	v_mov_b32_e32 v8, 0
	s_and_saveexec_b64 s[14:15], s[12:13]
	s_cbranch_execnz .LBB79_1770
	s_branch .LBB79_1771
.LBB79_2109:
	s_trap 2
	s_or_b64 s[2:3], s[2:3], exec
	s_cbranch_execz .LBB79_1817
	s_branch .LBB79_1818
.LBB79_2110:
	s_andn2_saveexec_b64 s[12:13], s[12:13]
	s_cbranch_execz .LBB79_1782
.LBB79_2111:
	s_mov_b32 s14, 0x42800000
	v_add_f32_e64 v7, |v1|, s14
	v_and_b32_e32 v7, 0xff, v7
	v_cmp_ne_u32_e32 vcc, 0, v7
	s_andn2_b64 s[10:11], s[10:11], exec
	s_and_b64 s[14:15], vcc, exec
	s_or_b64 s[10:11], s[10:11], s[14:15]
	s_or_b64 exec, exec, s[12:13]
	v_mov_b32_e32 v8, 0
	s_and_saveexec_b64 s[12:13], s[10:11]
	s_cbranch_execnz .LBB79_1783
	s_branch .LBB79_1784
.LBB79_2112:
	s_andn2_saveexec_b64 s[14:15], s[14:15]
	s_cbranch_execz .LBB79_1888
.LBB79_2113:
	s_mov_b32 s18, 0x46000000
	v_add_f32_e64 v6, |v5|, s18
	v_and_b32_e32 v6, 0xff, v6
	v_cmp_ne_u32_e32 vcc, 0, v6
	s_andn2_b64 s[12:13], s[12:13], exec
	s_and_b64 s[18:19], vcc, exec
	s_or_b64 s[12:13], s[12:13], s[18:19]
	s_or_b64 exec, exec, s[14:15]
	v_mov_b32_e32 v7, 0
	s_and_saveexec_b64 s[14:15], s[12:13]
	s_cbranch_execnz .LBB79_1889
	s_branch .LBB79_1890
.LBB79_2114:
	s_trap 2
	s_or_b64 s[2:3], s[2:3], exec
	s_cbranch_execz .LBB79_1936
	s_branch .LBB79_1937
.LBB79_2115:
	s_andn2_saveexec_b64 s[12:13], s[12:13]
	s_cbranch_execz .LBB79_1901
.LBB79_2116:
	s_mov_b32 s14, 0x42800000
	v_add_f32_e64 v6, |v5|, s14
	v_and_b32_e32 v6, 0xff, v6
	v_cmp_ne_u32_e32 vcc, 0, v6
	s_andn2_b64 s[10:11], s[10:11], exec
	s_and_b64 s[14:15], vcc, exec
	s_or_b64 s[10:11], s[10:11], s[14:15]
	s_or_b64 exec, exec, s[12:13]
	v_mov_b32_e32 v7, 0
	s_and_saveexec_b64 s[12:13], s[10:11]
	s_cbranch_execnz .LBB79_1902
	s_branch .LBB79_1903
.LBB79_2117:
	s_andn2_saveexec_b64 s[10:11], s[10:11]
	s_cbranch_execz .LBB79_2008
.LBB79_2118:
	s_mov_b32 s12, 0x46000000
	v_add_f32_e64 v5, |v4|, s12
	v_and_b32_e32 v5, 0xff, v5
	v_cmp_ne_u32_e32 vcc, 0, v5
	s_andn2_b64 s[8:9], s[8:9], exec
	s_and_b64 s[12:13], vcc, exec
	s_or_b64 s[8:9], s[8:9], s[12:13]
	s_or_b64 exec, exec, s[10:11]
	v_mov_b32_e32 v6, 0
	s_and_saveexec_b64 s[10:11], s[8:9]
	s_cbranch_execnz .LBB79_2009
	s_branch .LBB79_2010
.LBB79_2119:
	s_mov_b64 s[4:5], 0
	s_or_b64 s[2:3], s[2:3], exec
	s_trap 2
	s_branch .LBB79_2054
.LBB79_2120:
	s_andn2_saveexec_b64 s[8:9], s[8:9]
	s_cbranch_execz .LBB79_2020
.LBB79_2121:
	s_mov_b32 s10, 0x42800000
	v_add_f32_e64 v5, |v4|, s10
	v_and_b32_e32 v5, 0xff, v5
	v_cmp_ne_u32_e32 vcc, 0, v5
	s_andn2_b64 s[6:7], s[6:7], exec
	s_and_b64 s[10:11], vcc, exec
	s_or_b64 s[6:7], s[6:7], s[10:11]
	s_or_b64 exec, exec, s[8:9]
	v_mov_b32_e32 v6, 0
	s_and_saveexec_b64 s[8:9], s[6:7]
	s_cbranch_execnz .LBB79_2021
	s_branch .LBB79_2022
	.section	.rodata,"a",@progbits
	.p2align	6, 0x0
	.amdhsa_kernel _ZN2at6native32elementwise_kernel_manual_unrollILi128ELi4EZNS0_15gpu_kernel_implINS0_13AUnaryFunctorIlllZZZNS0_18lshift_kernel_cudaERNS_18TensorIteratorBaseEENKUlvE_clEvENKUlvE2_clEvEUlllE_EEEEvS5_RKT_EUlibE0_EEviT1_
		.amdhsa_group_segment_fixed_size 0
		.amdhsa_private_segment_fixed_size 0
		.amdhsa_kernarg_size 376
		.amdhsa_user_sgpr_count 6
		.amdhsa_user_sgpr_private_segment_buffer 1
		.amdhsa_user_sgpr_dispatch_ptr 0
		.amdhsa_user_sgpr_queue_ptr 0
		.amdhsa_user_sgpr_kernarg_segment_ptr 1
		.amdhsa_user_sgpr_dispatch_id 0
		.amdhsa_user_sgpr_flat_scratch_init 0
		.amdhsa_user_sgpr_private_segment_size 0
		.amdhsa_uses_dynamic_stack 0
		.amdhsa_system_sgpr_private_segment_wavefront_offset 0
		.amdhsa_system_sgpr_workgroup_id_x 1
		.amdhsa_system_sgpr_workgroup_id_y 0
		.amdhsa_system_sgpr_workgroup_id_z 0
		.amdhsa_system_sgpr_workgroup_info 0
		.amdhsa_system_vgpr_workitem_id 0
		.amdhsa_next_free_vgpr 21
		.amdhsa_next_free_sgpr 80
		.amdhsa_reserve_vcc 1
		.amdhsa_reserve_flat_scratch 0
		.amdhsa_float_round_mode_32 0
		.amdhsa_float_round_mode_16_64 0
		.amdhsa_float_denorm_mode_32 3
		.amdhsa_float_denorm_mode_16_64 3
		.amdhsa_dx10_clamp 1
		.amdhsa_ieee_mode 1
		.amdhsa_fp16_overflow 0
		.amdhsa_exception_fp_ieee_invalid_op 0
		.amdhsa_exception_fp_denorm_src 0
		.amdhsa_exception_fp_ieee_div_zero 0
		.amdhsa_exception_fp_ieee_overflow 0
		.amdhsa_exception_fp_ieee_underflow 0
		.amdhsa_exception_fp_ieee_inexact 0
		.amdhsa_exception_int_div_zero 0
	.end_amdhsa_kernel
	.section	.text._ZN2at6native32elementwise_kernel_manual_unrollILi128ELi4EZNS0_15gpu_kernel_implINS0_13AUnaryFunctorIlllZZZNS0_18lshift_kernel_cudaERNS_18TensorIteratorBaseEENKUlvE_clEvENKUlvE2_clEvEUlllE_EEEEvS5_RKT_EUlibE0_EEviT1_,"axG",@progbits,_ZN2at6native32elementwise_kernel_manual_unrollILi128ELi4EZNS0_15gpu_kernel_implINS0_13AUnaryFunctorIlllZZZNS0_18lshift_kernel_cudaERNS_18TensorIteratorBaseEENKUlvE_clEvENKUlvE2_clEvEUlllE_EEEEvS5_RKT_EUlibE0_EEviT1_,comdat
.Lfunc_end79:
	.size	_ZN2at6native32elementwise_kernel_manual_unrollILi128ELi4EZNS0_15gpu_kernel_implINS0_13AUnaryFunctorIlllZZZNS0_18lshift_kernel_cudaERNS_18TensorIteratorBaseEENKUlvE_clEvENKUlvE2_clEvEUlllE_EEEEvS5_RKT_EUlibE0_EEviT1_, .Lfunc_end79-_ZN2at6native32elementwise_kernel_manual_unrollILi128ELi4EZNS0_15gpu_kernel_implINS0_13AUnaryFunctorIlllZZZNS0_18lshift_kernel_cudaERNS_18TensorIteratorBaseEENKUlvE_clEvENKUlvE2_clEvEUlllE_EEEEvS5_RKT_EUlibE0_EEviT1_
                                        ; -- End function
	.set _ZN2at6native32elementwise_kernel_manual_unrollILi128ELi4EZNS0_15gpu_kernel_implINS0_13AUnaryFunctorIlllZZZNS0_18lshift_kernel_cudaERNS_18TensorIteratorBaseEENKUlvE_clEvENKUlvE2_clEvEUlllE_EEEEvS5_RKT_EUlibE0_EEviT1_.num_vgpr, 21
	.set _ZN2at6native32elementwise_kernel_manual_unrollILi128ELi4EZNS0_15gpu_kernel_implINS0_13AUnaryFunctorIlllZZZNS0_18lshift_kernel_cudaERNS_18TensorIteratorBaseEENKUlvE_clEvENKUlvE2_clEvEUlllE_EEEEvS5_RKT_EUlibE0_EEviT1_.num_agpr, 0
	.set _ZN2at6native32elementwise_kernel_manual_unrollILi128ELi4EZNS0_15gpu_kernel_implINS0_13AUnaryFunctorIlllZZZNS0_18lshift_kernel_cudaERNS_18TensorIteratorBaseEENKUlvE_clEvENKUlvE2_clEvEUlllE_EEEEvS5_RKT_EUlibE0_EEviT1_.numbered_sgpr, 80
	.set _ZN2at6native32elementwise_kernel_manual_unrollILi128ELi4EZNS0_15gpu_kernel_implINS0_13AUnaryFunctorIlllZZZNS0_18lshift_kernel_cudaERNS_18TensorIteratorBaseEENKUlvE_clEvENKUlvE2_clEvEUlllE_EEEEvS5_RKT_EUlibE0_EEviT1_.num_named_barrier, 0
	.set _ZN2at6native32elementwise_kernel_manual_unrollILi128ELi4EZNS0_15gpu_kernel_implINS0_13AUnaryFunctorIlllZZZNS0_18lshift_kernel_cudaERNS_18TensorIteratorBaseEENKUlvE_clEvENKUlvE2_clEvEUlllE_EEEEvS5_RKT_EUlibE0_EEviT1_.private_seg_size, 0
	.set _ZN2at6native32elementwise_kernel_manual_unrollILi128ELi4EZNS0_15gpu_kernel_implINS0_13AUnaryFunctorIlllZZZNS0_18lshift_kernel_cudaERNS_18TensorIteratorBaseEENKUlvE_clEvENKUlvE2_clEvEUlllE_EEEEvS5_RKT_EUlibE0_EEviT1_.uses_vcc, 1
	.set _ZN2at6native32elementwise_kernel_manual_unrollILi128ELi4EZNS0_15gpu_kernel_implINS0_13AUnaryFunctorIlllZZZNS0_18lshift_kernel_cudaERNS_18TensorIteratorBaseEENKUlvE_clEvENKUlvE2_clEvEUlllE_EEEEvS5_RKT_EUlibE0_EEviT1_.uses_flat_scratch, 0
	.set _ZN2at6native32elementwise_kernel_manual_unrollILi128ELi4EZNS0_15gpu_kernel_implINS0_13AUnaryFunctorIlllZZZNS0_18lshift_kernel_cudaERNS_18TensorIteratorBaseEENKUlvE_clEvENKUlvE2_clEvEUlllE_EEEEvS5_RKT_EUlibE0_EEviT1_.has_dyn_sized_stack, 0
	.set _ZN2at6native32elementwise_kernel_manual_unrollILi128ELi4EZNS0_15gpu_kernel_implINS0_13AUnaryFunctorIlllZZZNS0_18lshift_kernel_cudaERNS_18TensorIteratorBaseEENKUlvE_clEvENKUlvE2_clEvEUlllE_EEEEvS5_RKT_EUlibE0_EEviT1_.has_recursion, 0
	.set _ZN2at6native32elementwise_kernel_manual_unrollILi128ELi4EZNS0_15gpu_kernel_implINS0_13AUnaryFunctorIlllZZZNS0_18lshift_kernel_cudaERNS_18TensorIteratorBaseEENKUlvE_clEvENKUlvE2_clEvEUlllE_EEEEvS5_RKT_EUlibE0_EEviT1_.has_indirect_call, 0
	.section	.AMDGPU.csdata,"",@progbits
; Kernel info:
; codeLenInByte = 45304
; TotalNumSgprs: 84
; NumVgprs: 21
; ScratchSize: 0
; MemoryBound: 1
; FloatMode: 240
; IeeeMode: 1
; LDSByteSize: 0 bytes/workgroup (compile time only)
; SGPRBlocks: 10
; VGPRBlocks: 5
; NumSGPRsForWavesPerEU: 84
; NumVGPRsForWavesPerEU: 21
; Occupancy: 9
; WaveLimiterHint : 1
; COMPUTE_PGM_RSRC2:SCRATCH_EN: 0
; COMPUTE_PGM_RSRC2:USER_SGPR: 6
; COMPUTE_PGM_RSRC2:TRAP_HANDLER: 0
; COMPUTE_PGM_RSRC2:TGID_X_EN: 1
; COMPUTE_PGM_RSRC2:TGID_Y_EN: 0
; COMPUTE_PGM_RSRC2:TGID_Z_EN: 0
; COMPUTE_PGM_RSRC2:TIDIG_COMP_CNT: 0
	.section	.text._ZN2at6native29vectorized_elementwise_kernelILi16ENS0_13BUnaryFunctorIlllZZZNS0_18lshift_kernel_cudaERNS_18TensorIteratorBaseEENKUlvE_clEvENKUlvE2_clEvEUlllE_EESt5arrayIPcLm2EEEEviT0_T1_,"axG",@progbits,_ZN2at6native29vectorized_elementwise_kernelILi16ENS0_13BUnaryFunctorIlllZZZNS0_18lshift_kernel_cudaERNS_18TensorIteratorBaseEENKUlvE_clEvENKUlvE2_clEvEUlllE_EESt5arrayIPcLm2EEEEviT0_T1_,comdat
	.globl	_ZN2at6native29vectorized_elementwise_kernelILi16ENS0_13BUnaryFunctorIlllZZZNS0_18lshift_kernel_cudaERNS_18TensorIteratorBaseEENKUlvE_clEvENKUlvE2_clEvEUlllE_EESt5arrayIPcLm2EEEEviT0_T1_ ; -- Begin function _ZN2at6native29vectorized_elementwise_kernelILi16ENS0_13BUnaryFunctorIlllZZZNS0_18lshift_kernel_cudaERNS_18TensorIteratorBaseEENKUlvE_clEvENKUlvE2_clEvEUlllE_EESt5arrayIPcLm2EEEEviT0_T1_
	.p2align	8
	.type	_ZN2at6native29vectorized_elementwise_kernelILi16ENS0_13BUnaryFunctorIlllZZZNS0_18lshift_kernel_cudaERNS_18TensorIteratorBaseEENKUlvE_clEvENKUlvE2_clEvEUlllE_EESt5arrayIPcLm2EEEEviT0_T1_,@function
_ZN2at6native29vectorized_elementwise_kernelILi16ENS0_13BUnaryFunctorIlllZZZNS0_18lshift_kernel_cudaERNS_18TensorIteratorBaseEENKUlvE_clEvENKUlvE2_clEvEUlllE_EESt5arrayIPcLm2EEEEviT0_T1_: ; @_ZN2at6native29vectorized_elementwise_kernelILi16ENS0_13BUnaryFunctorIlllZZZNS0_18lshift_kernel_cudaERNS_18TensorIteratorBaseEENKUlvE_clEvENKUlvE2_clEvEUlllE_EESt5arrayIPcLm2EEEEviT0_T1_
; %bb.0:
	s_load_dword s0, s[4:5], 0x0
	s_load_dwordx4 s[8:11], s[4:5], 0x10
	s_load_dwordx2 s[12:13], s[4:5], 0x20
	s_lshl_b32 s2, s6, 10
	s_mov_b64 s[4:5], -1
	s_waitcnt lgkmcnt(0)
	s_sub_i32 s6, s0, s2
	v_cmp_gt_u64_e64 s[0:1], s[8:9], 63
	s_cmpk_gt_i32 s6, 0x3ff
	s_cbranch_scc0 .LBB80_2
; %bb.1:
	s_ashr_i32 s3, s2, 31
	s_lshl_b64 s[4:5], s[2:3], 3
	s_add_u32 s14, s12, s4
	s_addc_u32 s15, s13, s5
	v_lshlrev_b32_e32 v9, 5, v0
	global_load_dwordx4 v[1:4], v9, s[14:15]
	global_load_dwordx4 v[5:8], v9, s[14:15] offset:16
	s_add_u32 s4, s10, s4
	s_addc_u32 s5, s11, s5
	s_waitcnt vmcnt(1)
	v_lshlrev_b64 v[1:2], s8, v[1:2]
	v_lshlrev_b64 v[3:4], s8, v[3:4]
	s_waitcnt vmcnt(0)
	v_lshlrev_b64 v[5:6], s8, v[5:6]
	v_lshlrev_b64 v[7:8], s8, v[7:8]
	v_cndmask_b32_e64 v2, v2, 0, s[0:1]
	v_cndmask_b32_e64 v1, v1, 0, s[0:1]
	;; [unrolled: 1-line block ×8, first 2 shown]
	global_store_dwordx4 v9, v[1:4], s[4:5]
	global_store_dwordx4 v9, v[5:8], s[4:5] offset:16
	s_mov_b64 s[4:5], 0
.LBB80_2:
	s_andn2_b64 vcc, exec, s[4:5]
	s_cbranch_vccnz .LBB80_16
; %bb.3:
	v_mov_b32_e32 v3, 0
	v_mov_b32_e32 v5, 0
	v_cmp_gt_i32_e32 vcc, s6, v0
	v_mov_b32_e32 v4, 0
	v_or_b32_e32 v1, s2, v0
	v_mov_b32_e32 v6, 0
	v_mov_b32_e32 v2, v0
	s_and_saveexec_b64 s[4:5], vcc
	s_cbranch_execz .LBB80_5
; %bb.4:
	v_mov_b32_e32 v2, 0
	v_lshlrev_b64 v[5:6], 3, v[1:2]
	v_mov_b32_e32 v2, s13
	v_add_co_u32_e64 v5, s[0:1], s12, v5
	v_addc_co_u32_e64 v6, s[0:1], v2, v6, s[0:1]
	global_load_dwordx2 v[5:6], v[5:6], off
	v_or_b32_e32 v2, 0x100, v0
.LBB80_5:
	s_or_b64 exec, exec, s[4:5]
	v_cmp_gt_i32_e64 s[0:1], s6, v2
	s_and_saveexec_b64 s[4:5], s[0:1]
	s_cbranch_execz .LBB80_7
; %bb.6:
	v_add_u32_e32 v3, s2, v2
	v_mov_b32_e32 v4, 0
	v_lshlrev_b64 v[3:4], 3, v[3:4]
	v_mov_b32_e32 v7, s13
	v_add_co_u32_e64 v3, s[0:1], s12, v3
	v_addc_co_u32_e64 v4, s[0:1], v7, v4, s[0:1]
	global_load_dwordx2 v[3:4], v[3:4], off
	v_add_u32_e32 v2, 0x100, v2
.LBB80_7:
	s_or_b64 exec, exec, s[4:5]
	v_mov_b32_e32 v7, 0
	v_mov_b32_e32 v11, 0
	;; [unrolled: 1-line block ×4, first 2 shown]
	v_cmp_gt_i32_e64 s[0:1], s6, v2
	s_and_saveexec_b64 s[4:5], s[0:1]
	s_cbranch_execz .LBB80_9
; %bb.8:
	v_add_u32_e32 v9, s2, v2
	v_mov_b32_e32 v10, 0
	v_lshlrev_b64 v[9:10], 3, v[9:10]
	v_mov_b32_e32 v11, s13
	v_add_co_u32_e64 v9, s[0:1], s12, v9
	v_addc_co_u32_e64 v10, s[0:1], v11, v10, s[0:1]
	global_load_dwordx2 v[11:12], v[9:10], off
	v_add_u32_e32 v2, 0x100, v2
.LBB80_9:
	s_or_b64 exec, exec, s[4:5]
	v_cmp_gt_i32_e64 s[0:1], s6, v2
	s_and_saveexec_b64 s[4:5], s[0:1]
	s_cbranch_execz .LBB80_11
; %bb.10:
	v_add_u32_e32 v7, s2, v2
	v_mov_b32_e32 v8, 0
	v_lshlrev_b64 v[7:8], 3, v[7:8]
	v_mov_b32_e32 v2, s13
	v_add_co_u32_e64 v7, s[0:1], s12, v7
	v_addc_co_u32_e64 v8, s[0:1], v2, v8, s[0:1]
	global_load_dwordx2 v[7:8], v[7:8], off
.LBB80_11:
	s_or_b64 exec, exec, s[4:5]
	s_waitcnt vmcnt(0)
	v_lshlrev_b64 v[5:6], s8, v[5:6]
	v_cmp_gt_u64_e64 s[4:5], s[8:9], 63
	v_or_b32_e32 v15, 0x100, v0
	v_cndmask_b32_e64 v2, v5, 0, s[4:5]
	v_cndmask_b32_e32 v13, 0, v2, vcc
	v_lshlrev_b64 v[2:3], s8, v[3:4]
	v_cmp_gt_i32_e64 s[0:1], s6, v15
	v_cndmask_b32_e64 v2, v2, 0, s[4:5]
	v_cndmask_b32_e64 v3, v3, 0, s[4:5]
	v_cndmask_b32_e64 v10, 0, v3, s[0:1]
	v_cndmask_b32_e64 v9, 0, v2, s[0:1]
	v_lshlrev_b64 v[2:3], s8, v[11:12]
	v_or_b32_e32 v4, 0x200, v0
	v_cndmask_b32_e64 v5, v6, 0, s[4:5]
	v_cndmask_b32_e64 v2, v2, 0, s[4:5]
	;; [unrolled: 1-line block ×3, first 2 shown]
	v_cmp_gt_i32_e64 s[0:1], s6, v4
	v_cndmask_b32_e32 v14, 0, v5, vcc
	v_cndmask_b32_e64 v6, 0, v3, s[0:1]
	v_cndmask_b32_e64 v5, 0, v2, s[0:1]
	v_lshlrev_b64 v[2:3], s8, v[7:8]
	v_or_b32_e32 v4, 0x300, v0
	v_cndmask_b32_e64 v2, v2, 0, s[4:5]
	v_cndmask_b32_e64 v3, v3, 0, s[4:5]
	v_cmp_gt_i32_e64 s[0:1], s6, v4
	v_cndmask_b32_e64 v4, 0, v3, s[0:1]
	v_cndmask_b32_e64 v3, 0, v2, s[0:1]
	s_and_saveexec_b64 s[0:1], vcc
	s_cbranch_execnz .LBB80_17
; %bb.12:
	s_or_b64 exec, exec, s[0:1]
	v_cmp_gt_i32_e32 vcc, s6, v0
	s_and_saveexec_b64 s[0:1], vcc
	s_cbranch_execnz .LBB80_18
.LBB80_13:
	s_or_b64 exec, exec, s[0:1]
	v_cmp_gt_i32_e32 vcc, s6, v0
	s_and_saveexec_b64 s[0:1], vcc
	s_cbranch_execnz .LBB80_19
.LBB80_14:
	s_or_b64 exec, exec, s[0:1]
	v_cmp_gt_i32_e32 vcc, s6, v0
	s_and_saveexec_b64 s[0:1], vcc
	s_cbranch_execz .LBB80_16
.LBB80_15:
	v_add_u32_e32 v0, s2, v0
	v_mov_b32_e32 v1, 0
	v_lshlrev_b64 v[0:1], 3, v[0:1]
	v_mov_b32_e32 v2, s11
	v_add_co_u32_e32 v0, vcc, s10, v0
	v_addc_co_u32_e32 v1, vcc, v2, v1, vcc
	global_store_dwordx2 v[0:1], v[3:4], off
.LBB80_16:
	s_endpgm
.LBB80_17:
	v_mov_b32_e32 v2, 0
	v_lshlrev_b64 v[0:1], 3, v[1:2]
	v_mov_b32_e32 v2, s11
	v_add_co_u32_e32 v0, vcc, s10, v0
	v_addc_co_u32_e32 v1, vcc, v2, v1, vcc
	global_store_dwordx2 v[0:1], v[13:14], off
	v_mov_b32_e32 v0, v15
	s_or_b64 exec, exec, s[0:1]
	v_cmp_gt_i32_e32 vcc, s6, v0
	s_and_saveexec_b64 s[0:1], vcc
	s_cbranch_execz .LBB80_13
.LBB80_18:
	v_add_u32_e32 v1, s2, v0
	v_mov_b32_e32 v2, 0
	v_lshlrev_b64 v[1:2], 3, v[1:2]
	v_mov_b32_e32 v7, s11
	v_add_co_u32_e32 v1, vcc, s10, v1
	v_addc_co_u32_e32 v2, vcc, v7, v2, vcc
	v_add_u32_e32 v0, 0x100, v0
	global_store_dwordx2 v[1:2], v[9:10], off
	s_or_b64 exec, exec, s[0:1]
	v_cmp_gt_i32_e32 vcc, s6, v0
	s_and_saveexec_b64 s[0:1], vcc
	s_cbranch_execz .LBB80_14
.LBB80_19:
	v_add_u32_e32 v1, s2, v0
	v_mov_b32_e32 v2, 0
	v_lshlrev_b64 v[1:2], 3, v[1:2]
	v_mov_b32_e32 v7, s11
	v_add_co_u32_e32 v1, vcc, s10, v1
	v_addc_co_u32_e32 v2, vcc, v7, v2, vcc
	v_add_u32_e32 v0, 0x100, v0
	global_store_dwordx2 v[1:2], v[5:6], off
	s_or_b64 exec, exec, s[0:1]
	v_cmp_gt_i32_e32 vcc, s6, v0
	s_and_saveexec_b64 s[0:1], vcc
	s_cbranch_execnz .LBB80_15
	s_branch .LBB80_16
	.section	.rodata,"a",@progbits
	.p2align	6, 0x0
	.amdhsa_kernel _ZN2at6native29vectorized_elementwise_kernelILi16ENS0_13BUnaryFunctorIlllZZZNS0_18lshift_kernel_cudaERNS_18TensorIteratorBaseEENKUlvE_clEvENKUlvE2_clEvEUlllE_EESt5arrayIPcLm2EEEEviT0_T1_
		.amdhsa_group_segment_fixed_size 0
		.amdhsa_private_segment_fixed_size 0
		.amdhsa_kernarg_size 40
		.amdhsa_user_sgpr_count 6
		.amdhsa_user_sgpr_private_segment_buffer 1
		.amdhsa_user_sgpr_dispatch_ptr 0
		.amdhsa_user_sgpr_queue_ptr 0
		.amdhsa_user_sgpr_kernarg_segment_ptr 1
		.amdhsa_user_sgpr_dispatch_id 0
		.amdhsa_user_sgpr_flat_scratch_init 0
		.amdhsa_user_sgpr_private_segment_size 0
		.amdhsa_uses_dynamic_stack 0
		.amdhsa_system_sgpr_private_segment_wavefront_offset 0
		.amdhsa_system_sgpr_workgroup_id_x 1
		.amdhsa_system_sgpr_workgroup_id_y 0
		.amdhsa_system_sgpr_workgroup_id_z 0
		.amdhsa_system_sgpr_workgroup_info 0
		.amdhsa_system_vgpr_workitem_id 0
		.amdhsa_next_free_vgpr 16
		.amdhsa_next_free_sgpr 16
		.amdhsa_reserve_vcc 1
		.amdhsa_reserve_flat_scratch 0
		.amdhsa_float_round_mode_32 0
		.amdhsa_float_round_mode_16_64 0
		.amdhsa_float_denorm_mode_32 3
		.amdhsa_float_denorm_mode_16_64 3
		.amdhsa_dx10_clamp 1
		.amdhsa_ieee_mode 1
		.amdhsa_fp16_overflow 0
		.amdhsa_exception_fp_ieee_invalid_op 0
		.amdhsa_exception_fp_denorm_src 0
		.amdhsa_exception_fp_ieee_div_zero 0
		.amdhsa_exception_fp_ieee_overflow 0
		.amdhsa_exception_fp_ieee_underflow 0
		.amdhsa_exception_fp_ieee_inexact 0
		.amdhsa_exception_int_div_zero 0
	.end_amdhsa_kernel
	.section	.text._ZN2at6native29vectorized_elementwise_kernelILi16ENS0_13BUnaryFunctorIlllZZZNS0_18lshift_kernel_cudaERNS_18TensorIteratorBaseEENKUlvE_clEvENKUlvE2_clEvEUlllE_EESt5arrayIPcLm2EEEEviT0_T1_,"axG",@progbits,_ZN2at6native29vectorized_elementwise_kernelILi16ENS0_13BUnaryFunctorIlllZZZNS0_18lshift_kernel_cudaERNS_18TensorIteratorBaseEENKUlvE_clEvENKUlvE2_clEvEUlllE_EESt5arrayIPcLm2EEEEviT0_T1_,comdat
.Lfunc_end80:
	.size	_ZN2at6native29vectorized_elementwise_kernelILi16ENS0_13BUnaryFunctorIlllZZZNS0_18lshift_kernel_cudaERNS_18TensorIteratorBaseEENKUlvE_clEvENKUlvE2_clEvEUlllE_EESt5arrayIPcLm2EEEEviT0_T1_, .Lfunc_end80-_ZN2at6native29vectorized_elementwise_kernelILi16ENS0_13BUnaryFunctorIlllZZZNS0_18lshift_kernel_cudaERNS_18TensorIteratorBaseEENKUlvE_clEvENKUlvE2_clEvEUlllE_EESt5arrayIPcLm2EEEEviT0_T1_
                                        ; -- End function
	.set _ZN2at6native29vectorized_elementwise_kernelILi16ENS0_13BUnaryFunctorIlllZZZNS0_18lshift_kernel_cudaERNS_18TensorIteratorBaseEENKUlvE_clEvENKUlvE2_clEvEUlllE_EESt5arrayIPcLm2EEEEviT0_T1_.num_vgpr, 16
	.set _ZN2at6native29vectorized_elementwise_kernelILi16ENS0_13BUnaryFunctorIlllZZZNS0_18lshift_kernel_cudaERNS_18TensorIteratorBaseEENKUlvE_clEvENKUlvE2_clEvEUlllE_EESt5arrayIPcLm2EEEEviT0_T1_.num_agpr, 0
	.set _ZN2at6native29vectorized_elementwise_kernelILi16ENS0_13BUnaryFunctorIlllZZZNS0_18lshift_kernel_cudaERNS_18TensorIteratorBaseEENKUlvE_clEvENKUlvE2_clEvEUlllE_EESt5arrayIPcLm2EEEEviT0_T1_.numbered_sgpr, 16
	.set _ZN2at6native29vectorized_elementwise_kernelILi16ENS0_13BUnaryFunctorIlllZZZNS0_18lshift_kernel_cudaERNS_18TensorIteratorBaseEENKUlvE_clEvENKUlvE2_clEvEUlllE_EESt5arrayIPcLm2EEEEviT0_T1_.num_named_barrier, 0
	.set _ZN2at6native29vectorized_elementwise_kernelILi16ENS0_13BUnaryFunctorIlllZZZNS0_18lshift_kernel_cudaERNS_18TensorIteratorBaseEENKUlvE_clEvENKUlvE2_clEvEUlllE_EESt5arrayIPcLm2EEEEviT0_T1_.private_seg_size, 0
	.set _ZN2at6native29vectorized_elementwise_kernelILi16ENS0_13BUnaryFunctorIlllZZZNS0_18lshift_kernel_cudaERNS_18TensorIteratorBaseEENKUlvE_clEvENKUlvE2_clEvEUlllE_EESt5arrayIPcLm2EEEEviT0_T1_.uses_vcc, 1
	.set _ZN2at6native29vectorized_elementwise_kernelILi16ENS0_13BUnaryFunctorIlllZZZNS0_18lshift_kernel_cudaERNS_18TensorIteratorBaseEENKUlvE_clEvENKUlvE2_clEvEUlllE_EESt5arrayIPcLm2EEEEviT0_T1_.uses_flat_scratch, 0
	.set _ZN2at6native29vectorized_elementwise_kernelILi16ENS0_13BUnaryFunctorIlllZZZNS0_18lshift_kernel_cudaERNS_18TensorIteratorBaseEENKUlvE_clEvENKUlvE2_clEvEUlllE_EESt5arrayIPcLm2EEEEviT0_T1_.has_dyn_sized_stack, 0
	.set _ZN2at6native29vectorized_elementwise_kernelILi16ENS0_13BUnaryFunctorIlllZZZNS0_18lshift_kernel_cudaERNS_18TensorIteratorBaseEENKUlvE_clEvENKUlvE2_clEvEUlllE_EESt5arrayIPcLm2EEEEviT0_T1_.has_recursion, 0
	.set _ZN2at6native29vectorized_elementwise_kernelILi16ENS0_13BUnaryFunctorIlllZZZNS0_18lshift_kernel_cudaERNS_18TensorIteratorBaseEENKUlvE_clEvENKUlvE2_clEvEUlllE_EESt5arrayIPcLm2EEEEviT0_T1_.has_indirect_call, 0
	.section	.AMDGPU.csdata,"",@progbits
; Kernel info:
; codeLenInByte = 1028
; TotalNumSgprs: 20
; NumVgprs: 16
; ScratchSize: 0
; MemoryBound: 0
; FloatMode: 240
; IeeeMode: 1
; LDSByteSize: 0 bytes/workgroup (compile time only)
; SGPRBlocks: 2
; VGPRBlocks: 3
; NumSGPRsForWavesPerEU: 20
; NumVGPRsForWavesPerEU: 16
; Occupancy: 10
; WaveLimiterHint : 0
; COMPUTE_PGM_RSRC2:SCRATCH_EN: 0
; COMPUTE_PGM_RSRC2:USER_SGPR: 6
; COMPUTE_PGM_RSRC2:TRAP_HANDLER: 0
; COMPUTE_PGM_RSRC2:TGID_X_EN: 1
; COMPUTE_PGM_RSRC2:TGID_Y_EN: 0
; COMPUTE_PGM_RSRC2:TGID_Z_EN: 0
; COMPUTE_PGM_RSRC2:TIDIG_COMP_CNT: 0
	.section	.text._ZN2at6native29vectorized_elementwise_kernelILi8ENS0_13BUnaryFunctorIlllZZZNS0_18lshift_kernel_cudaERNS_18TensorIteratorBaseEENKUlvE_clEvENKUlvE2_clEvEUlllE_EESt5arrayIPcLm2EEEEviT0_T1_,"axG",@progbits,_ZN2at6native29vectorized_elementwise_kernelILi8ENS0_13BUnaryFunctorIlllZZZNS0_18lshift_kernel_cudaERNS_18TensorIteratorBaseEENKUlvE_clEvENKUlvE2_clEvEUlllE_EESt5arrayIPcLm2EEEEviT0_T1_,comdat
	.globl	_ZN2at6native29vectorized_elementwise_kernelILi8ENS0_13BUnaryFunctorIlllZZZNS0_18lshift_kernel_cudaERNS_18TensorIteratorBaseEENKUlvE_clEvENKUlvE2_clEvEUlllE_EESt5arrayIPcLm2EEEEviT0_T1_ ; -- Begin function _ZN2at6native29vectorized_elementwise_kernelILi8ENS0_13BUnaryFunctorIlllZZZNS0_18lshift_kernel_cudaERNS_18TensorIteratorBaseEENKUlvE_clEvENKUlvE2_clEvEUlllE_EESt5arrayIPcLm2EEEEviT0_T1_
	.p2align	8
	.type	_ZN2at6native29vectorized_elementwise_kernelILi8ENS0_13BUnaryFunctorIlllZZZNS0_18lshift_kernel_cudaERNS_18TensorIteratorBaseEENKUlvE_clEvENKUlvE2_clEvEUlllE_EESt5arrayIPcLm2EEEEviT0_T1_,@function
_ZN2at6native29vectorized_elementwise_kernelILi8ENS0_13BUnaryFunctorIlllZZZNS0_18lshift_kernel_cudaERNS_18TensorIteratorBaseEENKUlvE_clEvENKUlvE2_clEvEUlllE_EESt5arrayIPcLm2EEEEviT0_T1_: ; @_ZN2at6native29vectorized_elementwise_kernelILi8ENS0_13BUnaryFunctorIlllZZZNS0_18lshift_kernel_cudaERNS_18TensorIteratorBaseEENKUlvE_clEvENKUlvE2_clEvEUlllE_EESt5arrayIPcLm2EEEEviT0_T1_
; %bb.0:
	s_load_dword s0, s[4:5], 0x0
	s_load_dwordx4 s[8:11], s[4:5], 0x10
	s_load_dwordx2 s[12:13], s[4:5], 0x20
	s_lshl_b32 s2, s6, 10
	s_mov_b64 s[4:5], -1
	s_waitcnt lgkmcnt(0)
	s_sub_i32 s6, s0, s2
	v_cmp_gt_u64_e64 s[0:1], s[8:9], 63
	s_cmpk_gt_i32 s6, 0x3ff
	s_cbranch_scc0 .LBB81_2
; %bb.1:
	s_ashr_i32 s3, s2, 31
	s_lshl_b64 s[4:5], s[2:3], 3
	s_add_u32 s14, s12, s4
	s_addc_u32 s15, s13, s5
	v_lshlrev_b32_e32 v9, 5, v0
	global_load_dwordx4 v[1:4], v9, s[14:15]
	global_load_dwordx4 v[5:8], v9, s[14:15] offset:16
	s_add_u32 s4, s10, s4
	s_addc_u32 s5, s11, s5
	s_waitcnt vmcnt(1)
	v_lshlrev_b64 v[1:2], s8, v[1:2]
	v_lshlrev_b64 v[3:4], s8, v[3:4]
	s_waitcnt vmcnt(0)
	v_lshlrev_b64 v[5:6], s8, v[5:6]
	v_lshlrev_b64 v[7:8], s8, v[7:8]
	v_cndmask_b32_e64 v2, v2, 0, s[0:1]
	v_cndmask_b32_e64 v1, v1, 0, s[0:1]
	;; [unrolled: 1-line block ×8, first 2 shown]
	global_store_dwordx4 v9, v[1:4], s[4:5]
	global_store_dwordx4 v9, v[5:8], s[4:5] offset:16
	s_mov_b64 s[4:5], 0
.LBB81_2:
	s_andn2_b64 vcc, exec, s[4:5]
	s_cbranch_vccnz .LBB81_16
; %bb.3:
	v_mov_b32_e32 v3, 0
	v_mov_b32_e32 v5, 0
	v_cmp_gt_i32_e32 vcc, s6, v0
	v_mov_b32_e32 v4, 0
	v_or_b32_e32 v1, s2, v0
	v_mov_b32_e32 v6, 0
	v_mov_b32_e32 v2, v0
	s_and_saveexec_b64 s[4:5], vcc
	s_cbranch_execz .LBB81_5
; %bb.4:
	v_mov_b32_e32 v2, 0
	v_lshlrev_b64 v[5:6], 3, v[1:2]
	v_mov_b32_e32 v2, s13
	v_add_co_u32_e64 v5, s[0:1], s12, v5
	v_addc_co_u32_e64 v6, s[0:1], v2, v6, s[0:1]
	global_load_dwordx2 v[5:6], v[5:6], off
	v_or_b32_e32 v2, 0x100, v0
.LBB81_5:
	s_or_b64 exec, exec, s[4:5]
	v_cmp_gt_i32_e64 s[0:1], s6, v2
	s_and_saveexec_b64 s[4:5], s[0:1]
	s_cbranch_execz .LBB81_7
; %bb.6:
	v_add_u32_e32 v3, s2, v2
	v_mov_b32_e32 v4, 0
	v_lshlrev_b64 v[3:4], 3, v[3:4]
	v_mov_b32_e32 v7, s13
	v_add_co_u32_e64 v3, s[0:1], s12, v3
	v_addc_co_u32_e64 v4, s[0:1], v7, v4, s[0:1]
	global_load_dwordx2 v[3:4], v[3:4], off
	v_add_u32_e32 v2, 0x100, v2
.LBB81_7:
	s_or_b64 exec, exec, s[4:5]
	v_mov_b32_e32 v7, 0
	v_mov_b32_e32 v11, 0
	v_mov_b32_e32 v8, 0
	v_mov_b32_e32 v12, 0
	v_cmp_gt_i32_e64 s[0:1], s6, v2
	s_and_saveexec_b64 s[4:5], s[0:1]
	s_cbranch_execz .LBB81_9
; %bb.8:
	v_add_u32_e32 v9, s2, v2
	v_mov_b32_e32 v10, 0
	v_lshlrev_b64 v[9:10], 3, v[9:10]
	v_mov_b32_e32 v11, s13
	v_add_co_u32_e64 v9, s[0:1], s12, v9
	v_addc_co_u32_e64 v10, s[0:1], v11, v10, s[0:1]
	global_load_dwordx2 v[11:12], v[9:10], off
	v_add_u32_e32 v2, 0x100, v2
.LBB81_9:
	s_or_b64 exec, exec, s[4:5]
	v_cmp_gt_i32_e64 s[0:1], s6, v2
	s_and_saveexec_b64 s[4:5], s[0:1]
	s_cbranch_execz .LBB81_11
; %bb.10:
	v_add_u32_e32 v7, s2, v2
	v_mov_b32_e32 v8, 0
	v_lshlrev_b64 v[7:8], 3, v[7:8]
	v_mov_b32_e32 v2, s13
	v_add_co_u32_e64 v7, s[0:1], s12, v7
	v_addc_co_u32_e64 v8, s[0:1], v2, v8, s[0:1]
	global_load_dwordx2 v[7:8], v[7:8], off
.LBB81_11:
	s_or_b64 exec, exec, s[4:5]
	s_waitcnt vmcnt(0)
	v_lshlrev_b64 v[5:6], s8, v[5:6]
	v_cmp_gt_u64_e64 s[4:5], s[8:9], 63
	v_or_b32_e32 v15, 0x100, v0
	v_cndmask_b32_e64 v2, v5, 0, s[4:5]
	v_cndmask_b32_e32 v13, 0, v2, vcc
	v_lshlrev_b64 v[2:3], s8, v[3:4]
	v_cmp_gt_i32_e64 s[0:1], s6, v15
	v_cndmask_b32_e64 v2, v2, 0, s[4:5]
	v_cndmask_b32_e64 v3, v3, 0, s[4:5]
	;; [unrolled: 1-line block ×4, first 2 shown]
	v_lshlrev_b64 v[2:3], s8, v[11:12]
	v_or_b32_e32 v4, 0x200, v0
	v_cndmask_b32_e64 v5, v6, 0, s[4:5]
	v_cndmask_b32_e64 v2, v2, 0, s[4:5]
	;; [unrolled: 1-line block ×3, first 2 shown]
	v_cmp_gt_i32_e64 s[0:1], s6, v4
	v_cndmask_b32_e32 v14, 0, v5, vcc
	v_cndmask_b32_e64 v6, 0, v3, s[0:1]
	v_cndmask_b32_e64 v5, 0, v2, s[0:1]
	v_lshlrev_b64 v[2:3], s8, v[7:8]
	v_or_b32_e32 v4, 0x300, v0
	v_cndmask_b32_e64 v2, v2, 0, s[4:5]
	v_cndmask_b32_e64 v3, v3, 0, s[4:5]
	v_cmp_gt_i32_e64 s[0:1], s6, v4
	v_cndmask_b32_e64 v4, 0, v3, s[0:1]
	v_cndmask_b32_e64 v3, 0, v2, s[0:1]
	s_and_saveexec_b64 s[0:1], vcc
	s_cbranch_execnz .LBB81_17
; %bb.12:
	s_or_b64 exec, exec, s[0:1]
	v_cmp_gt_i32_e32 vcc, s6, v0
	s_and_saveexec_b64 s[0:1], vcc
	s_cbranch_execnz .LBB81_18
.LBB81_13:
	s_or_b64 exec, exec, s[0:1]
	v_cmp_gt_i32_e32 vcc, s6, v0
	s_and_saveexec_b64 s[0:1], vcc
	s_cbranch_execnz .LBB81_19
.LBB81_14:
	s_or_b64 exec, exec, s[0:1]
	v_cmp_gt_i32_e32 vcc, s6, v0
	s_and_saveexec_b64 s[0:1], vcc
	s_cbranch_execz .LBB81_16
.LBB81_15:
	v_add_u32_e32 v0, s2, v0
	v_mov_b32_e32 v1, 0
	v_lshlrev_b64 v[0:1], 3, v[0:1]
	v_mov_b32_e32 v2, s11
	v_add_co_u32_e32 v0, vcc, s10, v0
	v_addc_co_u32_e32 v1, vcc, v2, v1, vcc
	global_store_dwordx2 v[0:1], v[3:4], off
.LBB81_16:
	s_endpgm
.LBB81_17:
	v_mov_b32_e32 v2, 0
	v_lshlrev_b64 v[0:1], 3, v[1:2]
	v_mov_b32_e32 v2, s11
	v_add_co_u32_e32 v0, vcc, s10, v0
	v_addc_co_u32_e32 v1, vcc, v2, v1, vcc
	global_store_dwordx2 v[0:1], v[13:14], off
	v_mov_b32_e32 v0, v15
	s_or_b64 exec, exec, s[0:1]
	v_cmp_gt_i32_e32 vcc, s6, v0
	s_and_saveexec_b64 s[0:1], vcc
	s_cbranch_execz .LBB81_13
.LBB81_18:
	v_add_u32_e32 v1, s2, v0
	v_mov_b32_e32 v2, 0
	v_lshlrev_b64 v[1:2], 3, v[1:2]
	v_mov_b32_e32 v7, s11
	v_add_co_u32_e32 v1, vcc, s10, v1
	v_addc_co_u32_e32 v2, vcc, v7, v2, vcc
	v_add_u32_e32 v0, 0x100, v0
	global_store_dwordx2 v[1:2], v[9:10], off
	s_or_b64 exec, exec, s[0:1]
	v_cmp_gt_i32_e32 vcc, s6, v0
	s_and_saveexec_b64 s[0:1], vcc
	s_cbranch_execz .LBB81_14
.LBB81_19:
	v_add_u32_e32 v1, s2, v0
	v_mov_b32_e32 v2, 0
	v_lshlrev_b64 v[1:2], 3, v[1:2]
	v_mov_b32_e32 v7, s11
	v_add_co_u32_e32 v1, vcc, s10, v1
	v_addc_co_u32_e32 v2, vcc, v7, v2, vcc
	v_add_u32_e32 v0, 0x100, v0
	global_store_dwordx2 v[1:2], v[5:6], off
	s_or_b64 exec, exec, s[0:1]
	v_cmp_gt_i32_e32 vcc, s6, v0
	s_and_saveexec_b64 s[0:1], vcc
	s_cbranch_execnz .LBB81_15
	s_branch .LBB81_16
	.section	.rodata,"a",@progbits
	.p2align	6, 0x0
	.amdhsa_kernel _ZN2at6native29vectorized_elementwise_kernelILi8ENS0_13BUnaryFunctorIlllZZZNS0_18lshift_kernel_cudaERNS_18TensorIteratorBaseEENKUlvE_clEvENKUlvE2_clEvEUlllE_EESt5arrayIPcLm2EEEEviT0_T1_
		.amdhsa_group_segment_fixed_size 0
		.amdhsa_private_segment_fixed_size 0
		.amdhsa_kernarg_size 40
		.amdhsa_user_sgpr_count 6
		.amdhsa_user_sgpr_private_segment_buffer 1
		.amdhsa_user_sgpr_dispatch_ptr 0
		.amdhsa_user_sgpr_queue_ptr 0
		.amdhsa_user_sgpr_kernarg_segment_ptr 1
		.amdhsa_user_sgpr_dispatch_id 0
		.amdhsa_user_sgpr_flat_scratch_init 0
		.amdhsa_user_sgpr_private_segment_size 0
		.amdhsa_uses_dynamic_stack 0
		.amdhsa_system_sgpr_private_segment_wavefront_offset 0
		.amdhsa_system_sgpr_workgroup_id_x 1
		.amdhsa_system_sgpr_workgroup_id_y 0
		.amdhsa_system_sgpr_workgroup_id_z 0
		.amdhsa_system_sgpr_workgroup_info 0
		.amdhsa_system_vgpr_workitem_id 0
		.amdhsa_next_free_vgpr 16
		.amdhsa_next_free_sgpr 16
		.amdhsa_reserve_vcc 1
		.amdhsa_reserve_flat_scratch 0
		.amdhsa_float_round_mode_32 0
		.amdhsa_float_round_mode_16_64 0
		.amdhsa_float_denorm_mode_32 3
		.amdhsa_float_denorm_mode_16_64 3
		.amdhsa_dx10_clamp 1
		.amdhsa_ieee_mode 1
		.amdhsa_fp16_overflow 0
		.amdhsa_exception_fp_ieee_invalid_op 0
		.amdhsa_exception_fp_denorm_src 0
		.amdhsa_exception_fp_ieee_div_zero 0
		.amdhsa_exception_fp_ieee_overflow 0
		.amdhsa_exception_fp_ieee_underflow 0
		.amdhsa_exception_fp_ieee_inexact 0
		.amdhsa_exception_int_div_zero 0
	.end_amdhsa_kernel
	.section	.text._ZN2at6native29vectorized_elementwise_kernelILi8ENS0_13BUnaryFunctorIlllZZZNS0_18lshift_kernel_cudaERNS_18TensorIteratorBaseEENKUlvE_clEvENKUlvE2_clEvEUlllE_EESt5arrayIPcLm2EEEEviT0_T1_,"axG",@progbits,_ZN2at6native29vectorized_elementwise_kernelILi8ENS0_13BUnaryFunctorIlllZZZNS0_18lshift_kernel_cudaERNS_18TensorIteratorBaseEENKUlvE_clEvENKUlvE2_clEvEUlllE_EESt5arrayIPcLm2EEEEviT0_T1_,comdat
.Lfunc_end81:
	.size	_ZN2at6native29vectorized_elementwise_kernelILi8ENS0_13BUnaryFunctorIlllZZZNS0_18lshift_kernel_cudaERNS_18TensorIteratorBaseEENKUlvE_clEvENKUlvE2_clEvEUlllE_EESt5arrayIPcLm2EEEEviT0_T1_, .Lfunc_end81-_ZN2at6native29vectorized_elementwise_kernelILi8ENS0_13BUnaryFunctorIlllZZZNS0_18lshift_kernel_cudaERNS_18TensorIteratorBaseEENKUlvE_clEvENKUlvE2_clEvEUlllE_EESt5arrayIPcLm2EEEEviT0_T1_
                                        ; -- End function
	.set _ZN2at6native29vectorized_elementwise_kernelILi8ENS0_13BUnaryFunctorIlllZZZNS0_18lshift_kernel_cudaERNS_18TensorIteratorBaseEENKUlvE_clEvENKUlvE2_clEvEUlllE_EESt5arrayIPcLm2EEEEviT0_T1_.num_vgpr, 16
	.set _ZN2at6native29vectorized_elementwise_kernelILi8ENS0_13BUnaryFunctorIlllZZZNS0_18lshift_kernel_cudaERNS_18TensorIteratorBaseEENKUlvE_clEvENKUlvE2_clEvEUlllE_EESt5arrayIPcLm2EEEEviT0_T1_.num_agpr, 0
	.set _ZN2at6native29vectorized_elementwise_kernelILi8ENS0_13BUnaryFunctorIlllZZZNS0_18lshift_kernel_cudaERNS_18TensorIteratorBaseEENKUlvE_clEvENKUlvE2_clEvEUlllE_EESt5arrayIPcLm2EEEEviT0_T1_.numbered_sgpr, 16
	.set _ZN2at6native29vectorized_elementwise_kernelILi8ENS0_13BUnaryFunctorIlllZZZNS0_18lshift_kernel_cudaERNS_18TensorIteratorBaseEENKUlvE_clEvENKUlvE2_clEvEUlllE_EESt5arrayIPcLm2EEEEviT0_T1_.num_named_barrier, 0
	.set _ZN2at6native29vectorized_elementwise_kernelILi8ENS0_13BUnaryFunctorIlllZZZNS0_18lshift_kernel_cudaERNS_18TensorIteratorBaseEENKUlvE_clEvENKUlvE2_clEvEUlllE_EESt5arrayIPcLm2EEEEviT0_T1_.private_seg_size, 0
	.set _ZN2at6native29vectorized_elementwise_kernelILi8ENS0_13BUnaryFunctorIlllZZZNS0_18lshift_kernel_cudaERNS_18TensorIteratorBaseEENKUlvE_clEvENKUlvE2_clEvEUlllE_EESt5arrayIPcLm2EEEEviT0_T1_.uses_vcc, 1
	.set _ZN2at6native29vectorized_elementwise_kernelILi8ENS0_13BUnaryFunctorIlllZZZNS0_18lshift_kernel_cudaERNS_18TensorIteratorBaseEENKUlvE_clEvENKUlvE2_clEvEUlllE_EESt5arrayIPcLm2EEEEviT0_T1_.uses_flat_scratch, 0
	.set _ZN2at6native29vectorized_elementwise_kernelILi8ENS0_13BUnaryFunctorIlllZZZNS0_18lshift_kernel_cudaERNS_18TensorIteratorBaseEENKUlvE_clEvENKUlvE2_clEvEUlllE_EESt5arrayIPcLm2EEEEviT0_T1_.has_dyn_sized_stack, 0
	.set _ZN2at6native29vectorized_elementwise_kernelILi8ENS0_13BUnaryFunctorIlllZZZNS0_18lshift_kernel_cudaERNS_18TensorIteratorBaseEENKUlvE_clEvENKUlvE2_clEvEUlllE_EESt5arrayIPcLm2EEEEviT0_T1_.has_recursion, 0
	.set _ZN2at6native29vectorized_elementwise_kernelILi8ENS0_13BUnaryFunctorIlllZZZNS0_18lshift_kernel_cudaERNS_18TensorIteratorBaseEENKUlvE_clEvENKUlvE2_clEvEUlllE_EESt5arrayIPcLm2EEEEviT0_T1_.has_indirect_call, 0
	.section	.AMDGPU.csdata,"",@progbits
; Kernel info:
; codeLenInByte = 1028
; TotalNumSgprs: 20
; NumVgprs: 16
; ScratchSize: 0
; MemoryBound: 0
; FloatMode: 240
; IeeeMode: 1
; LDSByteSize: 0 bytes/workgroup (compile time only)
; SGPRBlocks: 2
; VGPRBlocks: 3
; NumSGPRsForWavesPerEU: 20
; NumVGPRsForWavesPerEU: 16
; Occupancy: 10
; WaveLimiterHint : 0
; COMPUTE_PGM_RSRC2:SCRATCH_EN: 0
; COMPUTE_PGM_RSRC2:USER_SGPR: 6
; COMPUTE_PGM_RSRC2:TRAP_HANDLER: 0
; COMPUTE_PGM_RSRC2:TGID_X_EN: 1
; COMPUTE_PGM_RSRC2:TGID_Y_EN: 0
; COMPUTE_PGM_RSRC2:TGID_Z_EN: 0
; COMPUTE_PGM_RSRC2:TIDIG_COMP_CNT: 0
	.section	.text._ZN2at6native29vectorized_elementwise_kernelILi4ENS0_13BUnaryFunctorIlllZZZNS0_18lshift_kernel_cudaERNS_18TensorIteratorBaseEENKUlvE_clEvENKUlvE2_clEvEUlllE_EESt5arrayIPcLm2EEEEviT0_T1_,"axG",@progbits,_ZN2at6native29vectorized_elementwise_kernelILi4ENS0_13BUnaryFunctorIlllZZZNS0_18lshift_kernel_cudaERNS_18TensorIteratorBaseEENKUlvE_clEvENKUlvE2_clEvEUlllE_EESt5arrayIPcLm2EEEEviT0_T1_,comdat
	.globl	_ZN2at6native29vectorized_elementwise_kernelILi4ENS0_13BUnaryFunctorIlllZZZNS0_18lshift_kernel_cudaERNS_18TensorIteratorBaseEENKUlvE_clEvENKUlvE2_clEvEUlllE_EESt5arrayIPcLm2EEEEviT0_T1_ ; -- Begin function _ZN2at6native29vectorized_elementwise_kernelILi4ENS0_13BUnaryFunctorIlllZZZNS0_18lshift_kernel_cudaERNS_18TensorIteratorBaseEENKUlvE_clEvENKUlvE2_clEvEUlllE_EESt5arrayIPcLm2EEEEviT0_T1_
	.p2align	8
	.type	_ZN2at6native29vectorized_elementwise_kernelILi4ENS0_13BUnaryFunctorIlllZZZNS0_18lshift_kernel_cudaERNS_18TensorIteratorBaseEENKUlvE_clEvENKUlvE2_clEvEUlllE_EESt5arrayIPcLm2EEEEviT0_T1_,@function
_ZN2at6native29vectorized_elementwise_kernelILi4ENS0_13BUnaryFunctorIlllZZZNS0_18lshift_kernel_cudaERNS_18TensorIteratorBaseEENKUlvE_clEvENKUlvE2_clEvEUlllE_EESt5arrayIPcLm2EEEEviT0_T1_: ; @_ZN2at6native29vectorized_elementwise_kernelILi4ENS0_13BUnaryFunctorIlllZZZNS0_18lshift_kernel_cudaERNS_18TensorIteratorBaseEENKUlvE_clEvENKUlvE2_clEvEUlllE_EESt5arrayIPcLm2EEEEviT0_T1_
; %bb.0:
	s_load_dword s0, s[4:5], 0x0
	s_load_dwordx4 s[8:11], s[4:5], 0x10
	s_load_dwordx2 s[12:13], s[4:5], 0x20
	s_lshl_b32 s2, s6, 10
	s_mov_b64 s[4:5], -1
	s_waitcnt lgkmcnt(0)
	s_sub_i32 s6, s0, s2
	v_cmp_gt_u64_e64 s[0:1], s[8:9], 63
	s_cmpk_gt_i32 s6, 0x3ff
	s_cbranch_scc0 .LBB82_2
; %bb.1:
	s_ashr_i32 s3, s2, 31
	s_lshl_b64 s[4:5], s[2:3], 3
	s_add_u32 s14, s12, s4
	s_addc_u32 s15, s13, s5
	v_lshlrev_b32_e32 v9, 5, v0
	global_load_dwordx4 v[1:4], v9, s[14:15]
	global_load_dwordx4 v[5:8], v9, s[14:15] offset:16
	s_add_u32 s4, s10, s4
	s_addc_u32 s5, s11, s5
	s_waitcnt vmcnt(1)
	v_lshlrev_b64 v[1:2], s8, v[1:2]
	v_lshlrev_b64 v[3:4], s8, v[3:4]
	s_waitcnt vmcnt(0)
	v_lshlrev_b64 v[5:6], s8, v[5:6]
	v_lshlrev_b64 v[7:8], s8, v[7:8]
	v_cndmask_b32_e64 v2, v2, 0, s[0:1]
	v_cndmask_b32_e64 v1, v1, 0, s[0:1]
	;; [unrolled: 1-line block ×8, first 2 shown]
	global_store_dwordx4 v9, v[1:4], s[4:5]
	global_store_dwordx4 v9, v[5:8], s[4:5] offset:16
	s_mov_b64 s[4:5], 0
.LBB82_2:
	s_andn2_b64 vcc, exec, s[4:5]
	s_cbranch_vccnz .LBB82_16
; %bb.3:
	v_mov_b32_e32 v3, 0
	v_mov_b32_e32 v5, 0
	v_cmp_gt_i32_e32 vcc, s6, v0
	v_mov_b32_e32 v4, 0
	v_or_b32_e32 v1, s2, v0
	v_mov_b32_e32 v6, 0
	v_mov_b32_e32 v2, v0
	s_and_saveexec_b64 s[4:5], vcc
	s_cbranch_execz .LBB82_5
; %bb.4:
	v_mov_b32_e32 v2, 0
	v_lshlrev_b64 v[5:6], 3, v[1:2]
	v_mov_b32_e32 v2, s13
	v_add_co_u32_e64 v5, s[0:1], s12, v5
	v_addc_co_u32_e64 v6, s[0:1], v2, v6, s[0:1]
	global_load_dwordx2 v[5:6], v[5:6], off
	v_or_b32_e32 v2, 0x100, v0
.LBB82_5:
	s_or_b64 exec, exec, s[4:5]
	v_cmp_gt_i32_e64 s[0:1], s6, v2
	s_and_saveexec_b64 s[4:5], s[0:1]
	s_cbranch_execz .LBB82_7
; %bb.6:
	v_add_u32_e32 v3, s2, v2
	v_mov_b32_e32 v4, 0
	v_lshlrev_b64 v[3:4], 3, v[3:4]
	v_mov_b32_e32 v7, s13
	v_add_co_u32_e64 v3, s[0:1], s12, v3
	v_addc_co_u32_e64 v4, s[0:1], v7, v4, s[0:1]
	global_load_dwordx2 v[3:4], v[3:4], off
	v_add_u32_e32 v2, 0x100, v2
.LBB82_7:
	s_or_b64 exec, exec, s[4:5]
	v_mov_b32_e32 v7, 0
	v_mov_b32_e32 v11, 0
	;; [unrolled: 1-line block ×4, first 2 shown]
	v_cmp_gt_i32_e64 s[0:1], s6, v2
	s_and_saveexec_b64 s[4:5], s[0:1]
	s_cbranch_execz .LBB82_9
; %bb.8:
	v_add_u32_e32 v9, s2, v2
	v_mov_b32_e32 v10, 0
	v_lshlrev_b64 v[9:10], 3, v[9:10]
	v_mov_b32_e32 v11, s13
	v_add_co_u32_e64 v9, s[0:1], s12, v9
	v_addc_co_u32_e64 v10, s[0:1], v11, v10, s[0:1]
	global_load_dwordx2 v[11:12], v[9:10], off
	v_add_u32_e32 v2, 0x100, v2
.LBB82_9:
	s_or_b64 exec, exec, s[4:5]
	v_cmp_gt_i32_e64 s[0:1], s6, v2
	s_and_saveexec_b64 s[4:5], s[0:1]
	s_cbranch_execz .LBB82_11
; %bb.10:
	v_add_u32_e32 v7, s2, v2
	v_mov_b32_e32 v8, 0
	v_lshlrev_b64 v[7:8], 3, v[7:8]
	v_mov_b32_e32 v2, s13
	v_add_co_u32_e64 v7, s[0:1], s12, v7
	v_addc_co_u32_e64 v8, s[0:1], v2, v8, s[0:1]
	global_load_dwordx2 v[7:8], v[7:8], off
.LBB82_11:
	s_or_b64 exec, exec, s[4:5]
	s_waitcnt vmcnt(0)
	v_lshlrev_b64 v[5:6], s8, v[5:6]
	v_cmp_gt_u64_e64 s[4:5], s[8:9], 63
	v_or_b32_e32 v15, 0x100, v0
	v_cndmask_b32_e64 v2, v5, 0, s[4:5]
	v_cndmask_b32_e32 v13, 0, v2, vcc
	v_lshlrev_b64 v[2:3], s8, v[3:4]
	v_cmp_gt_i32_e64 s[0:1], s6, v15
	v_cndmask_b32_e64 v2, v2, 0, s[4:5]
	v_cndmask_b32_e64 v3, v3, 0, s[4:5]
	;; [unrolled: 1-line block ×4, first 2 shown]
	v_lshlrev_b64 v[2:3], s8, v[11:12]
	v_or_b32_e32 v4, 0x200, v0
	v_cndmask_b32_e64 v5, v6, 0, s[4:5]
	v_cndmask_b32_e64 v2, v2, 0, s[4:5]
	;; [unrolled: 1-line block ×3, first 2 shown]
	v_cmp_gt_i32_e64 s[0:1], s6, v4
	v_cndmask_b32_e32 v14, 0, v5, vcc
	v_cndmask_b32_e64 v6, 0, v3, s[0:1]
	v_cndmask_b32_e64 v5, 0, v2, s[0:1]
	v_lshlrev_b64 v[2:3], s8, v[7:8]
	v_or_b32_e32 v4, 0x300, v0
	v_cndmask_b32_e64 v2, v2, 0, s[4:5]
	v_cndmask_b32_e64 v3, v3, 0, s[4:5]
	v_cmp_gt_i32_e64 s[0:1], s6, v4
	v_cndmask_b32_e64 v4, 0, v3, s[0:1]
	v_cndmask_b32_e64 v3, 0, v2, s[0:1]
	s_and_saveexec_b64 s[0:1], vcc
	s_cbranch_execnz .LBB82_17
; %bb.12:
	s_or_b64 exec, exec, s[0:1]
	v_cmp_gt_i32_e32 vcc, s6, v0
	s_and_saveexec_b64 s[0:1], vcc
	s_cbranch_execnz .LBB82_18
.LBB82_13:
	s_or_b64 exec, exec, s[0:1]
	v_cmp_gt_i32_e32 vcc, s6, v0
	s_and_saveexec_b64 s[0:1], vcc
	s_cbranch_execnz .LBB82_19
.LBB82_14:
	s_or_b64 exec, exec, s[0:1]
	v_cmp_gt_i32_e32 vcc, s6, v0
	s_and_saveexec_b64 s[0:1], vcc
	s_cbranch_execz .LBB82_16
.LBB82_15:
	v_add_u32_e32 v0, s2, v0
	v_mov_b32_e32 v1, 0
	v_lshlrev_b64 v[0:1], 3, v[0:1]
	v_mov_b32_e32 v2, s11
	v_add_co_u32_e32 v0, vcc, s10, v0
	v_addc_co_u32_e32 v1, vcc, v2, v1, vcc
	global_store_dwordx2 v[0:1], v[3:4], off
.LBB82_16:
	s_endpgm
.LBB82_17:
	v_mov_b32_e32 v2, 0
	v_lshlrev_b64 v[0:1], 3, v[1:2]
	v_mov_b32_e32 v2, s11
	v_add_co_u32_e32 v0, vcc, s10, v0
	v_addc_co_u32_e32 v1, vcc, v2, v1, vcc
	global_store_dwordx2 v[0:1], v[13:14], off
	v_mov_b32_e32 v0, v15
	s_or_b64 exec, exec, s[0:1]
	v_cmp_gt_i32_e32 vcc, s6, v0
	s_and_saveexec_b64 s[0:1], vcc
	s_cbranch_execz .LBB82_13
.LBB82_18:
	v_add_u32_e32 v1, s2, v0
	v_mov_b32_e32 v2, 0
	v_lshlrev_b64 v[1:2], 3, v[1:2]
	v_mov_b32_e32 v7, s11
	v_add_co_u32_e32 v1, vcc, s10, v1
	v_addc_co_u32_e32 v2, vcc, v7, v2, vcc
	v_add_u32_e32 v0, 0x100, v0
	global_store_dwordx2 v[1:2], v[9:10], off
	s_or_b64 exec, exec, s[0:1]
	v_cmp_gt_i32_e32 vcc, s6, v0
	s_and_saveexec_b64 s[0:1], vcc
	s_cbranch_execz .LBB82_14
.LBB82_19:
	v_add_u32_e32 v1, s2, v0
	v_mov_b32_e32 v2, 0
	v_lshlrev_b64 v[1:2], 3, v[1:2]
	v_mov_b32_e32 v7, s11
	v_add_co_u32_e32 v1, vcc, s10, v1
	v_addc_co_u32_e32 v2, vcc, v7, v2, vcc
	v_add_u32_e32 v0, 0x100, v0
	global_store_dwordx2 v[1:2], v[5:6], off
	s_or_b64 exec, exec, s[0:1]
	v_cmp_gt_i32_e32 vcc, s6, v0
	s_and_saveexec_b64 s[0:1], vcc
	s_cbranch_execnz .LBB82_15
	s_branch .LBB82_16
	.section	.rodata,"a",@progbits
	.p2align	6, 0x0
	.amdhsa_kernel _ZN2at6native29vectorized_elementwise_kernelILi4ENS0_13BUnaryFunctorIlllZZZNS0_18lshift_kernel_cudaERNS_18TensorIteratorBaseEENKUlvE_clEvENKUlvE2_clEvEUlllE_EESt5arrayIPcLm2EEEEviT0_T1_
		.amdhsa_group_segment_fixed_size 0
		.amdhsa_private_segment_fixed_size 0
		.amdhsa_kernarg_size 40
		.amdhsa_user_sgpr_count 6
		.amdhsa_user_sgpr_private_segment_buffer 1
		.amdhsa_user_sgpr_dispatch_ptr 0
		.amdhsa_user_sgpr_queue_ptr 0
		.amdhsa_user_sgpr_kernarg_segment_ptr 1
		.amdhsa_user_sgpr_dispatch_id 0
		.amdhsa_user_sgpr_flat_scratch_init 0
		.amdhsa_user_sgpr_private_segment_size 0
		.amdhsa_uses_dynamic_stack 0
		.amdhsa_system_sgpr_private_segment_wavefront_offset 0
		.amdhsa_system_sgpr_workgroup_id_x 1
		.amdhsa_system_sgpr_workgroup_id_y 0
		.amdhsa_system_sgpr_workgroup_id_z 0
		.amdhsa_system_sgpr_workgroup_info 0
		.amdhsa_system_vgpr_workitem_id 0
		.amdhsa_next_free_vgpr 16
		.amdhsa_next_free_sgpr 16
		.amdhsa_reserve_vcc 1
		.amdhsa_reserve_flat_scratch 0
		.amdhsa_float_round_mode_32 0
		.amdhsa_float_round_mode_16_64 0
		.amdhsa_float_denorm_mode_32 3
		.amdhsa_float_denorm_mode_16_64 3
		.amdhsa_dx10_clamp 1
		.amdhsa_ieee_mode 1
		.amdhsa_fp16_overflow 0
		.amdhsa_exception_fp_ieee_invalid_op 0
		.amdhsa_exception_fp_denorm_src 0
		.amdhsa_exception_fp_ieee_div_zero 0
		.amdhsa_exception_fp_ieee_overflow 0
		.amdhsa_exception_fp_ieee_underflow 0
		.amdhsa_exception_fp_ieee_inexact 0
		.amdhsa_exception_int_div_zero 0
	.end_amdhsa_kernel
	.section	.text._ZN2at6native29vectorized_elementwise_kernelILi4ENS0_13BUnaryFunctorIlllZZZNS0_18lshift_kernel_cudaERNS_18TensorIteratorBaseEENKUlvE_clEvENKUlvE2_clEvEUlllE_EESt5arrayIPcLm2EEEEviT0_T1_,"axG",@progbits,_ZN2at6native29vectorized_elementwise_kernelILi4ENS0_13BUnaryFunctorIlllZZZNS0_18lshift_kernel_cudaERNS_18TensorIteratorBaseEENKUlvE_clEvENKUlvE2_clEvEUlllE_EESt5arrayIPcLm2EEEEviT0_T1_,comdat
.Lfunc_end82:
	.size	_ZN2at6native29vectorized_elementwise_kernelILi4ENS0_13BUnaryFunctorIlllZZZNS0_18lshift_kernel_cudaERNS_18TensorIteratorBaseEENKUlvE_clEvENKUlvE2_clEvEUlllE_EESt5arrayIPcLm2EEEEviT0_T1_, .Lfunc_end82-_ZN2at6native29vectorized_elementwise_kernelILi4ENS0_13BUnaryFunctorIlllZZZNS0_18lshift_kernel_cudaERNS_18TensorIteratorBaseEENKUlvE_clEvENKUlvE2_clEvEUlllE_EESt5arrayIPcLm2EEEEviT0_T1_
                                        ; -- End function
	.set _ZN2at6native29vectorized_elementwise_kernelILi4ENS0_13BUnaryFunctorIlllZZZNS0_18lshift_kernel_cudaERNS_18TensorIteratorBaseEENKUlvE_clEvENKUlvE2_clEvEUlllE_EESt5arrayIPcLm2EEEEviT0_T1_.num_vgpr, 16
	.set _ZN2at6native29vectorized_elementwise_kernelILi4ENS0_13BUnaryFunctorIlllZZZNS0_18lshift_kernel_cudaERNS_18TensorIteratorBaseEENKUlvE_clEvENKUlvE2_clEvEUlllE_EESt5arrayIPcLm2EEEEviT0_T1_.num_agpr, 0
	.set _ZN2at6native29vectorized_elementwise_kernelILi4ENS0_13BUnaryFunctorIlllZZZNS0_18lshift_kernel_cudaERNS_18TensorIteratorBaseEENKUlvE_clEvENKUlvE2_clEvEUlllE_EESt5arrayIPcLm2EEEEviT0_T1_.numbered_sgpr, 16
	.set _ZN2at6native29vectorized_elementwise_kernelILi4ENS0_13BUnaryFunctorIlllZZZNS0_18lshift_kernel_cudaERNS_18TensorIteratorBaseEENKUlvE_clEvENKUlvE2_clEvEUlllE_EESt5arrayIPcLm2EEEEviT0_T1_.num_named_barrier, 0
	.set _ZN2at6native29vectorized_elementwise_kernelILi4ENS0_13BUnaryFunctorIlllZZZNS0_18lshift_kernel_cudaERNS_18TensorIteratorBaseEENKUlvE_clEvENKUlvE2_clEvEUlllE_EESt5arrayIPcLm2EEEEviT0_T1_.private_seg_size, 0
	.set _ZN2at6native29vectorized_elementwise_kernelILi4ENS0_13BUnaryFunctorIlllZZZNS0_18lshift_kernel_cudaERNS_18TensorIteratorBaseEENKUlvE_clEvENKUlvE2_clEvEUlllE_EESt5arrayIPcLm2EEEEviT0_T1_.uses_vcc, 1
	.set _ZN2at6native29vectorized_elementwise_kernelILi4ENS0_13BUnaryFunctorIlllZZZNS0_18lshift_kernel_cudaERNS_18TensorIteratorBaseEENKUlvE_clEvENKUlvE2_clEvEUlllE_EESt5arrayIPcLm2EEEEviT0_T1_.uses_flat_scratch, 0
	.set _ZN2at6native29vectorized_elementwise_kernelILi4ENS0_13BUnaryFunctorIlllZZZNS0_18lshift_kernel_cudaERNS_18TensorIteratorBaseEENKUlvE_clEvENKUlvE2_clEvEUlllE_EESt5arrayIPcLm2EEEEviT0_T1_.has_dyn_sized_stack, 0
	.set _ZN2at6native29vectorized_elementwise_kernelILi4ENS0_13BUnaryFunctorIlllZZZNS0_18lshift_kernel_cudaERNS_18TensorIteratorBaseEENKUlvE_clEvENKUlvE2_clEvEUlllE_EESt5arrayIPcLm2EEEEviT0_T1_.has_recursion, 0
	.set _ZN2at6native29vectorized_elementwise_kernelILi4ENS0_13BUnaryFunctorIlllZZZNS0_18lshift_kernel_cudaERNS_18TensorIteratorBaseEENKUlvE_clEvENKUlvE2_clEvEUlllE_EESt5arrayIPcLm2EEEEviT0_T1_.has_indirect_call, 0
	.section	.AMDGPU.csdata,"",@progbits
; Kernel info:
; codeLenInByte = 1028
; TotalNumSgprs: 20
; NumVgprs: 16
; ScratchSize: 0
; MemoryBound: 0
; FloatMode: 240
; IeeeMode: 1
; LDSByteSize: 0 bytes/workgroup (compile time only)
; SGPRBlocks: 2
; VGPRBlocks: 3
; NumSGPRsForWavesPerEU: 20
; NumVGPRsForWavesPerEU: 16
; Occupancy: 10
; WaveLimiterHint : 0
; COMPUTE_PGM_RSRC2:SCRATCH_EN: 0
; COMPUTE_PGM_RSRC2:USER_SGPR: 6
; COMPUTE_PGM_RSRC2:TRAP_HANDLER: 0
; COMPUTE_PGM_RSRC2:TGID_X_EN: 1
; COMPUTE_PGM_RSRC2:TGID_Y_EN: 0
; COMPUTE_PGM_RSRC2:TGID_Z_EN: 0
; COMPUTE_PGM_RSRC2:TIDIG_COMP_CNT: 0
	.section	.text._ZN2at6native29vectorized_elementwise_kernelILi2ENS0_13BUnaryFunctorIlllZZZNS0_18lshift_kernel_cudaERNS_18TensorIteratorBaseEENKUlvE_clEvENKUlvE2_clEvEUlllE_EESt5arrayIPcLm2EEEEviT0_T1_,"axG",@progbits,_ZN2at6native29vectorized_elementwise_kernelILi2ENS0_13BUnaryFunctorIlllZZZNS0_18lshift_kernel_cudaERNS_18TensorIteratorBaseEENKUlvE_clEvENKUlvE2_clEvEUlllE_EESt5arrayIPcLm2EEEEviT0_T1_,comdat
	.globl	_ZN2at6native29vectorized_elementwise_kernelILi2ENS0_13BUnaryFunctorIlllZZZNS0_18lshift_kernel_cudaERNS_18TensorIteratorBaseEENKUlvE_clEvENKUlvE2_clEvEUlllE_EESt5arrayIPcLm2EEEEviT0_T1_ ; -- Begin function _ZN2at6native29vectorized_elementwise_kernelILi2ENS0_13BUnaryFunctorIlllZZZNS0_18lshift_kernel_cudaERNS_18TensorIteratorBaseEENKUlvE_clEvENKUlvE2_clEvEUlllE_EESt5arrayIPcLm2EEEEviT0_T1_
	.p2align	8
	.type	_ZN2at6native29vectorized_elementwise_kernelILi2ENS0_13BUnaryFunctorIlllZZZNS0_18lshift_kernel_cudaERNS_18TensorIteratorBaseEENKUlvE_clEvENKUlvE2_clEvEUlllE_EESt5arrayIPcLm2EEEEviT0_T1_,@function
_ZN2at6native29vectorized_elementwise_kernelILi2ENS0_13BUnaryFunctorIlllZZZNS0_18lshift_kernel_cudaERNS_18TensorIteratorBaseEENKUlvE_clEvENKUlvE2_clEvEUlllE_EESt5arrayIPcLm2EEEEviT0_T1_: ; @_ZN2at6native29vectorized_elementwise_kernelILi2ENS0_13BUnaryFunctorIlllZZZNS0_18lshift_kernel_cudaERNS_18TensorIteratorBaseEENKUlvE_clEvENKUlvE2_clEvEUlllE_EESt5arrayIPcLm2EEEEviT0_T1_
; %bb.0:
	s_load_dword s0, s[4:5], 0x0
	s_load_dwordx4 s[8:11], s[4:5], 0x10
	s_load_dwordx2 s[12:13], s[4:5], 0x20
	s_lshl_b32 s2, s6, 10
	s_mov_b64 s[4:5], -1
	s_waitcnt lgkmcnt(0)
	s_sub_i32 s6, s0, s2
	v_cmp_gt_u64_e64 s[0:1], s[8:9], 63
	s_cmpk_gt_i32 s6, 0x3ff
	s_cbranch_scc0 .LBB83_2
; %bb.1:
	s_ashr_i32 s3, s2, 31
	s_lshl_b64 s[4:5], s[2:3], 3
	s_add_u32 s14, s12, s4
	s_addc_u32 s15, s13, s5
	v_lshlrev_b32_e32 v11, 4, v0
	v_mov_b32_e32 v1, s15
	v_add_co_u32_e32 v5, vcc, s14, v11
	v_addc_co_u32_e32 v6, vcc, 0, v1, vcc
	v_add_co_u32_e32 v5, vcc, 0x1000, v5
	global_load_dwordx4 v[1:4], v11, s[14:15]
	v_addc_co_u32_e32 v6, vcc, 0, v6, vcc
	global_load_dwordx4 v[5:8], v[5:6], off
	s_add_u32 s4, s10, s4
	s_addc_u32 s5, s11, s5
	v_mov_b32_e32 v9, s5
	v_add_co_u32_e32 v10, vcc, s4, v11
	v_addc_co_u32_e32 v12, vcc, 0, v9, vcc
	v_add_co_u32_e32 v9, vcc, 0x1000, v10
	v_addc_co_u32_e32 v10, vcc, 0, v12, vcc
	s_waitcnt vmcnt(1)
	v_lshlrev_b64 v[1:2], s8, v[1:2]
	v_lshlrev_b64 v[3:4], s8, v[3:4]
	v_cndmask_b32_e64 v2, v2, 0, s[0:1]
	s_waitcnt vmcnt(0)
	v_lshlrev_b64 v[5:6], s8, v[5:6]
	v_lshlrev_b64 v[7:8], s8, v[7:8]
	v_cndmask_b32_e64 v1, v1, 0, s[0:1]
	v_cndmask_b32_e64 v4, v4, 0, s[0:1]
	v_cndmask_b32_e64 v3, v3, 0, s[0:1]
	global_store_dwordx4 v11, v[1:4], s[4:5]
	s_mov_b64 s[4:5], 0
	v_cndmask_b32_e64 v2, v6, 0, s[0:1]
	v_cndmask_b32_e64 v1, v5, 0, s[0:1]
	;; [unrolled: 1-line block ×4, first 2 shown]
	global_store_dwordx4 v[9:10], v[1:4], off
.LBB83_2:
	s_andn2_b64 vcc, exec, s[4:5]
	s_cbranch_vccnz .LBB83_16
; %bb.3:
	v_mov_b32_e32 v3, 0
	v_mov_b32_e32 v5, 0
	v_cmp_gt_i32_e32 vcc, s6, v0
	v_mov_b32_e32 v4, 0
	v_or_b32_e32 v1, s2, v0
	v_mov_b32_e32 v6, 0
	v_mov_b32_e32 v2, v0
	s_and_saveexec_b64 s[4:5], vcc
	s_cbranch_execz .LBB83_5
; %bb.4:
	v_mov_b32_e32 v2, 0
	v_lshlrev_b64 v[5:6], 3, v[1:2]
	v_mov_b32_e32 v2, s13
	v_add_co_u32_e64 v5, s[0:1], s12, v5
	v_addc_co_u32_e64 v6, s[0:1], v2, v6, s[0:1]
	global_load_dwordx2 v[5:6], v[5:6], off
	v_or_b32_e32 v2, 0x100, v0
.LBB83_5:
	s_or_b64 exec, exec, s[4:5]
	v_cmp_gt_i32_e64 s[0:1], s6, v2
	s_and_saveexec_b64 s[4:5], s[0:1]
	s_cbranch_execz .LBB83_7
; %bb.6:
	v_add_u32_e32 v3, s2, v2
	v_mov_b32_e32 v4, 0
	v_lshlrev_b64 v[3:4], 3, v[3:4]
	v_mov_b32_e32 v7, s13
	v_add_co_u32_e64 v3, s[0:1], s12, v3
	v_addc_co_u32_e64 v4, s[0:1], v7, v4, s[0:1]
	global_load_dwordx2 v[3:4], v[3:4], off
	v_add_u32_e32 v2, 0x100, v2
.LBB83_7:
	s_or_b64 exec, exec, s[4:5]
	v_mov_b32_e32 v7, 0
	v_mov_b32_e32 v11, 0
	;; [unrolled: 1-line block ×4, first 2 shown]
	v_cmp_gt_i32_e64 s[0:1], s6, v2
	s_and_saveexec_b64 s[4:5], s[0:1]
	s_cbranch_execz .LBB83_9
; %bb.8:
	v_add_u32_e32 v9, s2, v2
	v_mov_b32_e32 v10, 0
	v_lshlrev_b64 v[9:10], 3, v[9:10]
	v_mov_b32_e32 v11, s13
	v_add_co_u32_e64 v9, s[0:1], s12, v9
	v_addc_co_u32_e64 v10, s[0:1], v11, v10, s[0:1]
	global_load_dwordx2 v[11:12], v[9:10], off
	v_add_u32_e32 v2, 0x100, v2
.LBB83_9:
	s_or_b64 exec, exec, s[4:5]
	v_cmp_gt_i32_e64 s[0:1], s6, v2
	s_and_saveexec_b64 s[4:5], s[0:1]
	s_cbranch_execz .LBB83_11
; %bb.10:
	v_add_u32_e32 v7, s2, v2
	v_mov_b32_e32 v8, 0
	v_lshlrev_b64 v[7:8], 3, v[7:8]
	v_mov_b32_e32 v2, s13
	v_add_co_u32_e64 v7, s[0:1], s12, v7
	v_addc_co_u32_e64 v8, s[0:1], v2, v8, s[0:1]
	global_load_dwordx2 v[7:8], v[7:8], off
.LBB83_11:
	s_or_b64 exec, exec, s[4:5]
	s_waitcnt vmcnt(0)
	v_lshlrev_b64 v[5:6], s8, v[5:6]
	v_cmp_gt_u64_e64 s[4:5], s[8:9], 63
	v_or_b32_e32 v15, 0x100, v0
	v_cndmask_b32_e64 v2, v5, 0, s[4:5]
	v_cndmask_b32_e32 v13, 0, v2, vcc
	v_lshlrev_b64 v[2:3], s8, v[3:4]
	v_cmp_gt_i32_e64 s[0:1], s6, v15
	v_cndmask_b32_e64 v2, v2, 0, s[4:5]
	v_cndmask_b32_e64 v3, v3, 0, s[4:5]
	;; [unrolled: 1-line block ×4, first 2 shown]
	v_lshlrev_b64 v[2:3], s8, v[11:12]
	v_or_b32_e32 v4, 0x200, v0
	v_cndmask_b32_e64 v5, v6, 0, s[4:5]
	v_cndmask_b32_e64 v2, v2, 0, s[4:5]
	;; [unrolled: 1-line block ×3, first 2 shown]
	v_cmp_gt_i32_e64 s[0:1], s6, v4
	v_cndmask_b32_e32 v14, 0, v5, vcc
	v_cndmask_b32_e64 v6, 0, v3, s[0:1]
	v_cndmask_b32_e64 v5, 0, v2, s[0:1]
	v_lshlrev_b64 v[2:3], s8, v[7:8]
	v_or_b32_e32 v4, 0x300, v0
	v_cndmask_b32_e64 v2, v2, 0, s[4:5]
	v_cndmask_b32_e64 v3, v3, 0, s[4:5]
	v_cmp_gt_i32_e64 s[0:1], s6, v4
	v_cndmask_b32_e64 v4, 0, v3, s[0:1]
	v_cndmask_b32_e64 v3, 0, v2, s[0:1]
	s_and_saveexec_b64 s[0:1], vcc
	s_cbranch_execnz .LBB83_17
; %bb.12:
	s_or_b64 exec, exec, s[0:1]
	v_cmp_gt_i32_e32 vcc, s6, v0
	s_and_saveexec_b64 s[0:1], vcc
	s_cbranch_execnz .LBB83_18
.LBB83_13:
	s_or_b64 exec, exec, s[0:1]
	v_cmp_gt_i32_e32 vcc, s6, v0
	s_and_saveexec_b64 s[0:1], vcc
	s_cbranch_execnz .LBB83_19
.LBB83_14:
	s_or_b64 exec, exec, s[0:1]
	v_cmp_gt_i32_e32 vcc, s6, v0
	s_and_saveexec_b64 s[0:1], vcc
	s_cbranch_execz .LBB83_16
.LBB83_15:
	v_add_u32_e32 v0, s2, v0
	v_mov_b32_e32 v1, 0
	v_lshlrev_b64 v[0:1], 3, v[0:1]
	v_mov_b32_e32 v2, s11
	v_add_co_u32_e32 v0, vcc, s10, v0
	v_addc_co_u32_e32 v1, vcc, v2, v1, vcc
	global_store_dwordx2 v[0:1], v[3:4], off
.LBB83_16:
	s_endpgm
.LBB83_17:
	v_mov_b32_e32 v2, 0
	v_lshlrev_b64 v[0:1], 3, v[1:2]
	v_mov_b32_e32 v2, s11
	v_add_co_u32_e32 v0, vcc, s10, v0
	v_addc_co_u32_e32 v1, vcc, v2, v1, vcc
	global_store_dwordx2 v[0:1], v[13:14], off
	v_mov_b32_e32 v0, v15
	s_or_b64 exec, exec, s[0:1]
	v_cmp_gt_i32_e32 vcc, s6, v0
	s_and_saveexec_b64 s[0:1], vcc
	s_cbranch_execz .LBB83_13
.LBB83_18:
	v_add_u32_e32 v1, s2, v0
	v_mov_b32_e32 v2, 0
	v_lshlrev_b64 v[1:2], 3, v[1:2]
	v_mov_b32_e32 v7, s11
	v_add_co_u32_e32 v1, vcc, s10, v1
	v_addc_co_u32_e32 v2, vcc, v7, v2, vcc
	v_add_u32_e32 v0, 0x100, v0
	global_store_dwordx2 v[1:2], v[9:10], off
	s_or_b64 exec, exec, s[0:1]
	v_cmp_gt_i32_e32 vcc, s6, v0
	s_and_saveexec_b64 s[0:1], vcc
	s_cbranch_execz .LBB83_14
.LBB83_19:
	v_add_u32_e32 v1, s2, v0
	v_mov_b32_e32 v2, 0
	v_lshlrev_b64 v[1:2], 3, v[1:2]
	v_mov_b32_e32 v7, s11
	v_add_co_u32_e32 v1, vcc, s10, v1
	v_addc_co_u32_e32 v2, vcc, v7, v2, vcc
	v_add_u32_e32 v0, 0x100, v0
	global_store_dwordx2 v[1:2], v[5:6], off
	s_or_b64 exec, exec, s[0:1]
	v_cmp_gt_i32_e32 vcc, s6, v0
	s_and_saveexec_b64 s[0:1], vcc
	s_cbranch_execnz .LBB83_15
	s_branch .LBB83_16
	.section	.rodata,"a",@progbits
	.p2align	6, 0x0
	.amdhsa_kernel _ZN2at6native29vectorized_elementwise_kernelILi2ENS0_13BUnaryFunctorIlllZZZNS0_18lshift_kernel_cudaERNS_18TensorIteratorBaseEENKUlvE_clEvENKUlvE2_clEvEUlllE_EESt5arrayIPcLm2EEEEviT0_T1_
		.amdhsa_group_segment_fixed_size 0
		.amdhsa_private_segment_fixed_size 0
		.amdhsa_kernarg_size 40
		.amdhsa_user_sgpr_count 6
		.amdhsa_user_sgpr_private_segment_buffer 1
		.amdhsa_user_sgpr_dispatch_ptr 0
		.amdhsa_user_sgpr_queue_ptr 0
		.amdhsa_user_sgpr_kernarg_segment_ptr 1
		.amdhsa_user_sgpr_dispatch_id 0
		.amdhsa_user_sgpr_flat_scratch_init 0
		.amdhsa_user_sgpr_private_segment_size 0
		.amdhsa_uses_dynamic_stack 0
		.amdhsa_system_sgpr_private_segment_wavefront_offset 0
		.amdhsa_system_sgpr_workgroup_id_x 1
		.amdhsa_system_sgpr_workgroup_id_y 0
		.amdhsa_system_sgpr_workgroup_id_z 0
		.amdhsa_system_sgpr_workgroup_info 0
		.amdhsa_system_vgpr_workitem_id 0
		.amdhsa_next_free_vgpr 16
		.amdhsa_next_free_sgpr 16
		.amdhsa_reserve_vcc 1
		.amdhsa_reserve_flat_scratch 0
		.amdhsa_float_round_mode_32 0
		.amdhsa_float_round_mode_16_64 0
		.amdhsa_float_denorm_mode_32 3
		.amdhsa_float_denorm_mode_16_64 3
		.amdhsa_dx10_clamp 1
		.amdhsa_ieee_mode 1
		.amdhsa_fp16_overflow 0
		.amdhsa_exception_fp_ieee_invalid_op 0
		.amdhsa_exception_fp_denorm_src 0
		.amdhsa_exception_fp_ieee_div_zero 0
		.amdhsa_exception_fp_ieee_overflow 0
		.amdhsa_exception_fp_ieee_underflow 0
		.amdhsa_exception_fp_ieee_inexact 0
		.amdhsa_exception_int_div_zero 0
	.end_amdhsa_kernel
	.section	.text._ZN2at6native29vectorized_elementwise_kernelILi2ENS0_13BUnaryFunctorIlllZZZNS0_18lshift_kernel_cudaERNS_18TensorIteratorBaseEENKUlvE_clEvENKUlvE2_clEvEUlllE_EESt5arrayIPcLm2EEEEviT0_T1_,"axG",@progbits,_ZN2at6native29vectorized_elementwise_kernelILi2ENS0_13BUnaryFunctorIlllZZZNS0_18lshift_kernel_cudaERNS_18TensorIteratorBaseEENKUlvE_clEvENKUlvE2_clEvEUlllE_EESt5arrayIPcLm2EEEEviT0_T1_,comdat
.Lfunc_end83:
	.size	_ZN2at6native29vectorized_elementwise_kernelILi2ENS0_13BUnaryFunctorIlllZZZNS0_18lshift_kernel_cudaERNS_18TensorIteratorBaseEENKUlvE_clEvENKUlvE2_clEvEUlllE_EESt5arrayIPcLm2EEEEviT0_T1_, .Lfunc_end83-_ZN2at6native29vectorized_elementwise_kernelILi2ENS0_13BUnaryFunctorIlllZZZNS0_18lshift_kernel_cudaERNS_18TensorIteratorBaseEENKUlvE_clEvENKUlvE2_clEvEUlllE_EESt5arrayIPcLm2EEEEviT0_T1_
                                        ; -- End function
	.set _ZN2at6native29vectorized_elementwise_kernelILi2ENS0_13BUnaryFunctorIlllZZZNS0_18lshift_kernel_cudaERNS_18TensorIteratorBaseEENKUlvE_clEvENKUlvE2_clEvEUlllE_EESt5arrayIPcLm2EEEEviT0_T1_.num_vgpr, 16
	.set _ZN2at6native29vectorized_elementwise_kernelILi2ENS0_13BUnaryFunctorIlllZZZNS0_18lshift_kernel_cudaERNS_18TensorIteratorBaseEENKUlvE_clEvENKUlvE2_clEvEUlllE_EESt5arrayIPcLm2EEEEviT0_T1_.num_agpr, 0
	.set _ZN2at6native29vectorized_elementwise_kernelILi2ENS0_13BUnaryFunctorIlllZZZNS0_18lshift_kernel_cudaERNS_18TensorIteratorBaseEENKUlvE_clEvENKUlvE2_clEvEUlllE_EESt5arrayIPcLm2EEEEviT0_T1_.numbered_sgpr, 16
	.set _ZN2at6native29vectorized_elementwise_kernelILi2ENS0_13BUnaryFunctorIlllZZZNS0_18lshift_kernel_cudaERNS_18TensorIteratorBaseEENKUlvE_clEvENKUlvE2_clEvEUlllE_EESt5arrayIPcLm2EEEEviT0_T1_.num_named_barrier, 0
	.set _ZN2at6native29vectorized_elementwise_kernelILi2ENS0_13BUnaryFunctorIlllZZZNS0_18lshift_kernel_cudaERNS_18TensorIteratorBaseEENKUlvE_clEvENKUlvE2_clEvEUlllE_EESt5arrayIPcLm2EEEEviT0_T1_.private_seg_size, 0
	.set _ZN2at6native29vectorized_elementwise_kernelILi2ENS0_13BUnaryFunctorIlllZZZNS0_18lshift_kernel_cudaERNS_18TensorIteratorBaseEENKUlvE_clEvENKUlvE2_clEvEUlllE_EESt5arrayIPcLm2EEEEviT0_T1_.uses_vcc, 1
	.set _ZN2at6native29vectorized_elementwise_kernelILi2ENS0_13BUnaryFunctorIlllZZZNS0_18lshift_kernel_cudaERNS_18TensorIteratorBaseEENKUlvE_clEvENKUlvE2_clEvEUlllE_EESt5arrayIPcLm2EEEEviT0_T1_.uses_flat_scratch, 0
	.set _ZN2at6native29vectorized_elementwise_kernelILi2ENS0_13BUnaryFunctorIlllZZZNS0_18lshift_kernel_cudaERNS_18TensorIteratorBaseEENKUlvE_clEvENKUlvE2_clEvEUlllE_EESt5arrayIPcLm2EEEEviT0_T1_.has_dyn_sized_stack, 0
	.set _ZN2at6native29vectorized_elementwise_kernelILi2ENS0_13BUnaryFunctorIlllZZZNS0_18lshift_kernel_cudaERNS_18TensorIteratorBaseEENKUlvE_clEvENKUlvE2_clEvEUlllE_EESt5arrayIPcLm2EEEEviT0_T1_.has_recursion, 0
	.set _ZN2at6native29vectorized_elementwise_kernelILi2ENS0_13BUnaryFunctorIlllZZZNS0_18lshift_kernel_cudaERNS_18TensorIteratorBaseEENKUlvE_clEvENKUlvE2_clEvEUlllE_EESt5arrayIPcLm2EEEEviT0_T1_.has_indirect_call, 0
	.section	.AMDGPU.csdata,"",@progbits
; Kernel info:
; codeLenInByte = 1076
; TotalNumSgprs: 20
; NumVgprs: 16
; ScratchSize: 0
; MemoryBound: 0
; FloatMode: 240
; IeeeMode: 1
; LDSByteSize: 0 bytes/workgroup (compile time only)
; SGPRBlocks: 2
; VGPRBlocks: 3
; NumSGPRsForWavesPerEU: 20
; NumVGPRsForWavesPerEU: 16
; Occupancy: 10
; WaveLimiterHint : 1
; COMPUTE_PGM_RSRC2:SCRATCH_EN: 0
; COMPUTE_PGM_RSRC2:USER_SGPR: 6
; COMPUTE_PGM_RSRC2:TRAP_HANDLER: 0
; COMPUTE_PGM_RSRC2:TGID_X_EN: 1
; COMPUTE_PGM_RSRC2:TGID_Y_EN: 0
; COMPUTE_PGM_RSRC2:TGID_Z_EN: 0
; COMPUTE_PGM_RSRC2:TIDIG_COMP_CNT: 0
	.section	.text._ZN2at6native27unrolled_elementwise_kernelINS0_13BUnaryFunctorIlllZZZNS0_18lshift_kernel_cudaERNS_18TensorIteratorBaseEENKUlvE_clEvENKUlvE2_clEvEUlllE_EESt5arrayIPcLm2EELi4E23TrivialOffsetCalculatorILi1EjESD_NS0_6memory15LoadWithoutCastENSE_16StoreWithoutCastEEEviT_T0_T2_T3_T4_T5_,"axG",@progbits,_ZN2at6native27unrolled_elementwise_kernelINS0_13BUnaryFunctorIlllZZZNS0_18lshift_kernel_cudaERNS_18TensorIteratorBaseEENKUlvE_clEvENKUlvE2_clEvEUlllE_EESt5arrayIPcLm2EELi4E23TrivialOffsetCalculatorILi1EjESD_NS0_6memory15LoadWithoutCastENSE_16StoreWithoutCastEEEviT_T0_T2_T3_T4_T5_,comdat
	.globl	_ZN2at6native27unrolled_elementwise_kernelINS0_13BUnaryFunctorIlllZZZNS0_18lshift_kernel_cudaERNS_18TensorIteratorBaseEENKUlvE_clEvENKUlvE2_clEvEUlllE_EESt5arrayIPcLm2EELi4E23TrivialOffsetCalculatorILi1EjESD_NS0_6memory15LoadWithoutCastENSE_16StoreWithoutCastEEEviT_T0_T2_T3_T4_T5_ ; -- Begin function _ZN2at6native27unrolled_elementwise_kernelINS0_13BUnaryFunctorIlllZZZNS0_18lshift_kernel_cudaERNS_18TensorIteratorBaseEENKUlvE_clEvENKUlvE2_clEvEUlllE_EESt5arrayIPcLm2EELi4E23TrivialOffsetCalculatorILi1EjESD_NS0_6memory15LoadWithoutCastENSE_16StoreWithoutCastEEEviT_T0_T2_T3_T4_T5_
	.p2align	8
	.type	_ZN2at6native27unrolled_elementwise_kernelINS0_13BUnaryFunctorIlllZZZNS0_18lshift_kernel_cudaERNS_18TensorIteratorBaseEENKUlvE_clEvENKUlvE2_clEvEUlllE_EESt5arrayIPcLm2EELi4E23TrivialOffsetCalculatorILi1EjESD_NS0_6memory15LoadWithoutCastENSE_16StoreWithoutCastEEEviT_T0_T2_T3_T4_T5_,@function
_ZN2at6native27unrolled_elementwise_kernelINS0_13BUnaryFunctorIlllZZZNS0_18lshift_kernel_cudaERNS_18TensorIteratorBaseEENKUlvE_clEvENKUlvE2_clEvEUlllE_EESt5arrayIPcLm2EELi4E23TrivialOffsetCalculatorILi1EjESD_NS0_6memory15LoadWithoutCastENSE_16StoreWithoutCastEEEviT_T0_T2_T3_T4_T5_: ; @_ZN2at6native27unrolled_elementwise_kernelINS0_13BUnaryFunctorIlllZZZNS0_18lshift_kernel_cudaERNS_18TensorIteratorBaseEENKUlvE_clEvENKUlvE2_clEvEUlllE_EESt5arrayIPcLm2EELi4E23TrivialOffsetCalculatorILi1EjESD_NS0_6memory15LoadWithoutCastENSE_16StoreWithoutCastEEEviT_T0_T2_T3_T4_T5_
; %bb.0:
	s_load_dword s0, s[4:5], 0x0
	s_load_dwordx2 s[2:3], s[4:5], 0x20
	s_lshl_b32 s12, s6, 10
	v_mov_b32_e32 v3, 0
	v_mov_b32_e32 v5, 0
	s_waitcnt lgkmcnt(0)
	s_sub_i32 s13, s0, s12
	v_cmp_gt_i32_e32 vcc, s13, v0
	v_mov_b32_e32 v4, 0
	v_or_b32_e32 v1, s12, v0
	v_mov_b32_e32 v6, 0
	v_mov_b32_e32 v2, v0
	s_and_saveexec_b64 s[6:7], vcc
	s_cbranch_execz .LBB84_2
; %bb.1:
	v_mov_b32_e32 v2, 0
	v_lshlrev_b64 v[5:6], 3, v[1:2]
	v_mov_b32_e32 v2, s3
	v_add_co_u32_e64 v5, s[0:1], s2, v5
	v_addc_co_u32_e64 v6, s[0:1], v2, v6, s[0:1]
	global_load_dwordx2 v[5:6], v[5:6], off
	v_or_b32_e32 v2, 0x100, v0
.LBB84_2:
	s_or_b64 exec, exec, s[6:7]
	s_load_dwordx4 s[8:11], s[4:5], 0x10
	v_cmp_gt_i32_e64 s[0:1], s13, v2
	s_and_saveexec_b64 s[4:5], s[0:1]
	s_cbranch_execz .LBB84_4
; %bb.3:
	v_add_u32_e32 v3, s12, v2
	v_mov_b32_e32 v4, 0
	v_lshlrev_b64 v[3:4], 3, v[3:4]
	v_mov_b32_e32 v7, s3
	v_add_co_u32_e64 v3, s[0:1], s2, v3
	v_addc_co_u32_e64 v4, s[0:1], v7, v4, s[0:1]
	global_load_dwordx2 v[3:4], v[3:4], off
	v_add_u32_e32 v2, 0x100, v2
.LBB84_4:
	s_or_b64 exec, exec, s[4:5]
	v_mov_b32_e32 v7, 0
	v_mov_b32_e32 v11, 0
	;; [unrolled: 1-line block ×4, first 2 shown]
	v_cmp_gt_i32_e64 s[0:1], s13, v2
	s_and_saveexec_b64 s[4:5], s[0:1]
	s_cbranch_execz .LBB84_6
; %bb.5:
	v_add_u32_e32 v9, s12, v2
	v_mov_b32_e32 v10, 0
	v_lshlrev_b64 v[9:10], 3, v[9:10]
	v_mov_b32_e32 v11, s3
	v_add_co_u32_e64 v9, s[0:1], s2, v9
	v_addc_co_u32_e64 v10, s[0:1], v11, v10, s[0:1]
	global_load_dwordx2 v[11:12], v[9:10], off
	v_add_u32_e32 v2, 0x100, v2
.LBB84_6:
	s_or_b64 exec, exec, s[4:5]
	v_cmp_gt_i32_e64 s[0:1], s13, v2
	s_and_saveexec_b64 s[4:5], s[0:1]
	s_cbranch_execz .LBB84_8
; %bb.7:
	v_add_u32_e32 v7, s12, v2
	v_mov_b32_e32 v8, 0
	v_lshlrev_b64 v[7:8], 3, v[7:8]
	v_mov_b32_e32 v2, s3
	v_add_co_u32_e64 v7, s[0:1], s2, v7
	v_addc_co_u32_e64 v8, s[0:1], v2, v8, s[0:1]
	global_load_dwordx2 v[7:8], v[7:8], off
.LBB84_8:
	s_or_b64 exec, exec, s[4:5]
	s_waitcnt vmcnt(0) lgkmcnt(0)
	v_lshlrev_b64 v[5:6], s8, v[5:6]
	v_cmp_gt_u64_e64 s[2:3], s[8:9], 63
	v_or_b32_e32 v15, 0x100, v0
	v_cndmask_b32_e64 v2, v5, 0, s[2:3]
	v_cndmask_b32_e32 v13, 0, v2, vcc
	v_lshlrev_b64 v[2:3], s8, v[3:4]
	v_cmp_gt_i32_e64 s[0:1], s13, v15
	v_cndmask_b32_e64 v2, v2, 0, s[2:3]
	v_cndmask_b32_e64 v3, v3, 0, s[2:3]
	v_cndmask_b32_e64 v10, 0, v3, s[0:1]
	v_cndmask_b32_e64 v9, 0, v2, s[0:1]
	v_lshlrev_b64 v[2:3], s8, v[11:12]
	v_or_b32_e32 v4, 0x200, v0
	v_cndmask_b32_e64 v5, v6, 0, s[2:3]
	v_cndmask_b32_e64 v2, v2, 0, s[2:3]
	;; [unrolled: 1-line block ×3, first 2 shown]
	v_cmp_gt_i32_e64 s[0:1], s13, v4
	v_cndmask_b32_e32 v14, 0, v5, vcc
	v_cndmask_b32_e64 v6, 0, v3, s[0:1]
	v_cndmask_b32_e64 v5, 0, v2, s[0:1]
	v_lshlrev_b64 v[2:3], s8, v[7:8]
	v_or_b32_e32 v4, 0x300, v0
	v_cndmask_b32_e64 v2, v2, 0, s[2:3]
	v_cndmask_b32_e64 v3, v3, 0, s[2:3]
	v_cmp_gt_i32_e64 s[0:1], s13, v4
	v_cndmask_b32_e64 v4, 0, v3, s[0:1]
	v_cndmask_b32_e64 v3, 0, v2, s[0:1]
	s_and_saveexec_b64 s[0:1], vcc
	s_cbranch_execnz .LBB84_13
; %bb.9:
	s_or_b64 exec, exec, s[0:1]
	v_cmp_gt_i32_e32 vcc, s13, v0
	s_and_saveexec_b64 s[0:1], vcc
	s_cbranch_execnz .LBB84_14
.LBB84_10:
	s_or_b64 exec, exec, s[0:1]
	v_cmp_gt_i32_e32 vcc, s13, v0
	s_and_saveexec_b64 s[0:1], vcc
	s_cbranch_execnz .LBB84_15
.LBB84_11:
	s_or_b64 exec, exec, s[0:1]
	v_cmp_gt_i32_e32 vcc, s13, v0
	s_and_saveexec_b64 s[0:1], vcc
	s_cbranch_execnz .LBB84_16
.LBB84_12:
	s_endpgm
.LBB84_13:
	v_mov_b32_e32 v2, 0
	v_lshlrev_b64 v[0:1], 3, v[1:2]
	v_mov_b32_e32 v2, s11
	v_add_co_u32_e32 v0, vcc, s10, v0
	v_addc_co_u32_e32 v1, vcc, v2, v1, vcc
	global_store_dwordx2 v[0:1], v[13:14], off
	v_mov_b32_e32 v0, v15
	s_or_b64 exec, exec, s[0:1]
	v_cmp_gt_i32_e32 vcc, s13, v0
	s_and_saveexec_b64 s[0:1], vcc
	s_cbranch_execz .LBB84_10
.LBB84_14:
	v_add_u32_e32 v2, 0x100, v0
	v_add_u32_e32 v0, s12, v0
	v_mov_b32_e32 v1, 0
	v_lshlrev_b64 v[0:1], 3, v[0:1]
	v_mov_b32_e32 v7, s11
	v_add_co_u32_e32 v0, vcc, s10, v0
	v_addc_co_u32_e32 v1, vcc, v7, v1, vcc
	global_store_dwordx2 v[0:1], v[9:10], off
	v_mov_b32_e32 v0, v2
	s_or_b64 exec, exec, s[0:1]
	v_cmp_gt_i32_e32 vcc, s13, v0
	s_and_saveexec_b64 s[0:1], vcc
	s_cbranch_execz .LBB84_11
.LBB84_15:
	v_add_u32_e32 v2, 0x100, v0
	v_add_u32_e32 v0, s12, v0
	v_mov_b32_e32 v1, 0
	v_lshlrev_b64 v[0:1], 3, v[0:1]
	v_mov_b32_e32 v7, s11
	v_add_co_u32_e32 v0, vcc, s10, v0
	v_addc_co_u32_e32 v1, vcc, v7, v1, vcc
	global_store_dwordx2 v[0:1], v[5:6], off
	v_mov_b32_e32 v0, v2
	s_or_b64 exec, exec, s[0:1]
	v_cmp_gt_i32_e32 vcc, s13, v0
	s_and_saveexec_b64 s[0:1], vcc
	s_cbranch_execz .LBB84_12
.LBB84_16:
	v_add_u32_e32 v0, s12, v0
	v_mov_b32_e32 v1, 0
	v_lshlrev_b64 v[0:1], 3, v[0:1]
	v_mov_b32_e32 v2, s11
	v_add_co_u32_e32 v0, vcc, s10, v0
	v_addc_co_u32_e32 v1, vcc, v2, v1, vcc
	global_store_dwordx2 v[0:1], v[3:4], off
	s_endpgm
	.section	.rodata,"a",@progbits
	.p2align	6, 0x0
	.amdhsa_kernel _ZN2at6native27unrolled_elementwise_kernelINS0_13BUnaryFunctorIlllZZZNS0_18lshift_kernel_cudaERNS_18TensorIteratorBaseEENKUlvE_clEvENKUlvE2_clEvEUlllE_EESt5arrayIPcLm2EELi4E23TrivialOffsetCalculatorILi1EjESD_NS0_6memory15LoadWithoutCastENSE_16StoreWithoutCastEEEviT_T0_T2_T3_T4_T5_
		.amdhsa_group_segment_fixed_size 0
		.amdhsa_private_segment_fixed_size 0
		.amdhsa_kernarg_size 44
		.amdhsa_user_sgpr_count 6
		.amdhsa_user_sgpr_private_segment_buffer 1
		.amdhsa_user_sgpr_dispatch_ptr 0
		.amdhsa_user_sgpr_queue_ptr 0
		.amdhsa_user_sgpr_kernarg_segment_ptr 1
		.amdhsa_user_sgpr_dispatch_id 0
		.amdhsa_user_sgpr_flat_scratch_init 0
		.amdhsa_user_sgpr_private_segment_size 0
		.amdhsa_uses_dynamic_stack 0
		.amdhsa_system_sgpr_private_segment_wavefront_offset 0
		.amdhsa_system_sgpr_workgroup_id_x 1
		.amdhsa_system_sgpr_workgroup_id_y 0
		.amdhsa_system_sgpr_workgroup_id_z 0
		.amdhsa_system_sgpr_workgroup_info 0
		.amdhsa_system_vgpr_workitem_id 0
		.amdhsa_next_free_vgpr 16
		.amdhsa_next_free_sgpr 14
		.amdhsa_reserve_vcc 1
		.amdhsa_reserve_flat_scratch 0
		.amdhsa_float_round_mode_32 0
		.amdhsa_float_round_mode_16_64 0
		.amdhsa_float_denorm_mode_32 3
		.amdhsa_float_denorm_mode_16_64 3
		.amdhsa_dx10_clamp 1
		.amdhsa_ieee_mode 1
		.amdhsa_fp16_overflow 0
		.amdhsa_exception_fp_ieee_invalid_op 0
		.amdhsa_exception_fp_denorm_src 0
		.amdhsa_exception_fp_ieee_div_zero 0
		.amdhsa_exception_fp_ieee_overflow 0
		.amdhsa_exception_fp_ieee_underflow 0
		.amdhsa_exception_fp_ieee_inexact 0
		.amdhsa_exception_int_div_zero 0
	.end_amdhsa_kernel
	.section	.text._ZN2at6native27unrolled_elementwise_kernelINS0_13BUnaryFunctorIlllZZZNS0_18lshift_kernel_cudaERNS_18TensorIteratorBaseEENKUlvE_clEvENKUlvE2_clEvEUlllE_EESt5arrayIPcLm2EELi4E23TrivialOffsetCalculatorILi1EjESD_NS0_6memory15LoadWithoutCastENSE_16StoreWithoutCastEEEviT_T0_T2_T3_T4_T5_,"axG",@progbits,_ZN2at6native27unrolled_elementwise_kernelINS0_13BUnaryFunctorIlllZZZNS0_18lshift_kernel_cudaERNS_18TensorIteratorBaseEENKUlvE_clEvENKUlvE2_clEvEUlllE_EESt5arrayIPcLm2EELi4E23TrivialOffsetCalculatorILi1EjESD_NS0_6memory15LoadWithoutCastENSE_16StoreWithoutCastEEEviT_T0_T2_T3_T4_T5_,comdat
.Lfunc_end84:
	.size	_ZN2at6native27unrolled_elementwise_kernelINS0_13BUnaryFunctorIlllZZZNS0_18lshift_kernel_cudaERNS_18TensorIteratorBaseEENKUlvE_clEvENKUlvE2_clEvEUlllE_EESt5arrayIPcLm2EELi4E23TrivialOffsetCalculatorILi1EjESD_NS0_6memory15LoadWithoutCastENSE_16StoreWithoutCastEEEviT_T0_T2_T3_T4_T5_, .Lfunc_end84-_ZN2at6native27unrolled_elementwise_kernelINS0_13BUnaryFunctorIlllZZZNS0_18lshift_kernel_cudaERNS_18TensorIteratorBaseEENKUlvE_clEvENKUlvE2_clEvEUlllE_EESt5arrayIPcLm2EELi4E23TrivialOffsetCalculatorILi1EjESD_NS0_6memory15LoadWithoutCastENSE_16StoreWithoutCastEEEviT_T0_T2_T3_T4_T5_
                                        ; -- End function
	.set _ZN2at6native27unrolled_elementwise_kernelINS0_13BUnaryFunctorIlllZZZNS0_18lshift_kernel_cudaERNS_18TensorIteratorBaseEENKUlvE_clEvENKUlvE2_clEvEUlllE_EESt5arrayIPcLm2EELi4E23TrivialOffsetCalculatorILi1EjESD_NS0_6memory15LoadWithoutCastENSE_16StoreWithoutCastEEEviT_T0_T2_T3_T4_T5_.num_vgpr, 16
	.set _ZN2at6native27unrolled_elementwise_kernelINS0_13BUnaryFunctorIlllZZZNS0_18lshift_kernel_cudaERNS_18TensorIteratorBaseEENKUlvE_clEvENKUlvE2_clEvEUlllE_EESt5arrayIPcLm2EELi4E23TrivialOffsetCalculatorILi1EjESD_NS0_6memory15LoadWithoutCastENSE_16StoreWithoutCastEEEviT_T0_T2_T3_T4_T5_.num_agpr, 0
	.set _ZN2at6native27unrolled_elementwise_kernelINS0_13BUnaryFunctorIlllZZZNS0_18lshift_kernel_cudaERNS_18TensorIteratorBaseEENKUlvE_clEvENKUlvE2_clEvEUlllE_EESt5arrayIPcLm2EELi4E23TrivialOffsetCalculatorILi1EjESD_NS0_6memory15LoadWithoutCastENSE_16StoreWithoutCastEEEviT_T0_T2_T3_T4_T5_.numbered_sgpr, 14
	.set _ZN2at6native27unrolled_elementwise_kernelINS0_13BUnaryFunctorIlllZZZNS0_18lshift_kernel_cudaERNS_18TensorIteratorBaseEENKUlvE_clEvENKUlvE2_clEvEUlllE_EESt5arrayIPcLm2EELi4E23TrivialOffsetCalculatorILi1EjESD_NS0_6memory15LoadWithoutCastENSE_16StoreWithoutCastEEEviT_T0_T2_T3_T4_T5_.num_named_barrier, 0
	.set _ZN2at6native27unrolled_elementwise_kernelINS0_13BUnaryFunctorIlllZZZNS0_18lshift_kernel_cudaERNS_18TensorIteratorBaseEENKUlvE_clEvENKUlvE2_clEvEUlllE_EESt5arrayIPcLm2EELi4E23TrivialOffsetCalculatorILi1EjESD_NS0_6memory15LoadWithoutCastENSE_16StoreWithoutCastEEEviT_T0_T2_T3_T4_T5_.private_seg_size, 0
	.set _ZN2at6native27unrolled_elementwise_kernelINS0_13BUnaryFunctorIlllZZZNS0_18lshift_kernel_cudaERNS_18TensorIteratorBaseEENKUlvE_clEvENKUlvE2_clEvEUlllE_EESt5arrayIPcLm2EELi4E23TrivialOffsetCalculatorILi1EjESD_NS0_6memory15LoadWithoutCastENSE_16StoreWithoutCastEEEviT_T0_T2_T3_T4_T5_.uses_vcc, 1
	.set _ZN2at6native27unrolled_elementwise_kernelINS0_13BUnaryFunctorIlllZZZNS0_18lshift_kernel_cudaERNS_18TensorIteratorBaseEENKUlvE_clEvENKUlvE2_clEvEUlllE_EESt5arrayIPcLm2EELi4E23TrivialOffsetCalculatorILi1EjESD_NS0_6memory15LoadWithoutCastENSE_16StoreWithoutCastEEEviT_T0_T2_T3_T4_T5_.uses_flat_scratch, 0
	.set _ZN2at6native27unrolled_elementwise_kernelINS0_13BUnaryFunctorIlllZZZNS0_18lshift_kernel_cudaERNS_18TensorIteratorBaseEENKUlvE_clEvENKUlvE2_clEvEUlllE_EESt5arrayIPcLm2EELi4E23TrivialOffsetCalculatorILi1EjESD_NS0_6memory15LoadWithoutCastENSE_16StoreWithoutCastEEEviT_T0_T2_T3_T4_T5_.has_dyn_sized_stack, 0
	.set _ZN2at6native27unrolled_elementwise_kernelINS0_13BUnaryFunctorIlllZZZNS0_18lshift_kernel_cudaERNS_18TensorIteratorBaseEENKUlvE_clEvENKUlvE2_clEvEUlllE_EESt5arrayIPcLm2EELi4E23TrivialOffsetCalculatorILi1EjESD_NS0_6memory15LoadWithoutCastENSE_16StoreWithoutCastEEEviT_T0_T2_T3_T4_T5_.has_recursion, 0
	.set _ZN2at6native27unrolled_elementwise_kernelINS0_13BUnaryFunctorIlllZZZNS0_18lshift_kernel_cudaERNS_18TensorIteratorBaseEENKUlvE_clEvENKUlvE2_clEvEUlllE_EESt5arrayIPcLm2EELi4E23TrivialOffsetCalculatorILi1EjESD_NS0_6memory15LoadWithoutCastENSE_16StoreWithoutCastEEEviT_T0_T2_T3_T4_T5_.has_indirect_call, 0
	.section	.AMDGPU.csdata,"",@progbits
; Kernel info:
; codeLenInByte = 840
; TotalNumSgprs: 18
; NumVgprs: 16
; ScratchSize: 0
; MemoryBound: 0
; FloatMode: 240
; IeeeMode: 1
; LDSByteSize: 0 bytes/workgroup (compile time only)
; SGPRBlocks: 2
; VGPRBlocks: 3
; NumSGPRsForWavesPerEU: 18
; NumVGPRsForWavesPerEU: 16
; Occupancy: 10
; WaveLimiterHint : 0
; COMPUTE_PGM_RSRC2:SCRATCH_EN: 0
; COMPUTE_PGM_RSRC2:USER_SGPR: 6
; COMPUTE_PGM_RSRC2:TRAP_HANDLER: 0
; COMPUTE_PGM_RSRC2:TGID_X_EN: 1
; COMPUTE_PGM_RSRC2:TGID_Y_EN: 0
; COMPUTE_PGM_RSRC2:TGID_Z_EN: 0
; COMPUTE_PGM_RSRC2:TIDIG_COMP_CNT: 0
	.section	.text._ZN2at6native32elementwise_kernel_manual_unrollILi128ELi4EZNS0_22gpu_kernel_impl_nocastINS0_13BUnaryFunctorIlllZZZNS0_18lshift_kernel_cudaERNS_18TensorIteratorBaseEENKUlvE_clEvENKUlvE2_clEvEUlllE_EEEEvS5_RKT_EUlibE_EEviT1_,"axG",@progbits,_ZN2at6native32elementwise_kernel_manual_unrollILi128ELi4EZNS0_22gpu_kernel_impl_nocastINS0_13BUnaryFunctorIlllZZZNS0_18lshift_kernel_cudaERNS_18TensorIteratorBaseEENKUlvE_clEvENKUlvE2_clEvEUlllE_EEEEvS5_RKT_EUlibE_EEviT1_,comdat
	.globl	_ZN2at6native32elementwise_kernel_manual_unrollILi128ELi4EZNS0_22gpu_kernel_impl_nocastINS0_13BUnaryFunctorIlllZZZNS0_18lshift_kernel_cudaERNS_18TensorIteratorBaseEENKUlvE_clEvENKUlvE2_clEvEUlllE_EEEEvS5_RKT_EUlibE_EEviT1_ ; -- Begin function _ZN2at6native32elementwise_kernel_manual_unrollILi128ELi4EZNS0_22gpu_kernel_impl_nocastINS0_13BUnaryFunctorIlllZZZNS0_18lshift_kernel_cudaERNS_18TensorIteratorBaseEENKUlvE_clEvENKUlvE2_clEvEUlllE_EEEEvS5_RKT_EUlibE_EEviT1_
	.p2align	8
	.type	_ZN2at6native32elementwise_kernel_manual_unrollILi128ELi4EZNS0_22gpu_kernel_impl_nocastINS0_13BUnaryFunctorIlllZZZNS0_18lshift_kernel_cudaERNS_18TensorIteratorBaseEENKUlvE_clEvENKUlvE2_clEvEUlllE_EEEEvS5_RKT_EUlibE_EEviT1_,@function
_ZN2at6native32elementwise_kernel_manual_unrollILi128ELi4EZNS0_22gpu_kernel_impl_nocastINS0_13BUnaryFunctorIlllZZZNS0_18lshift_kernel_cudaERNS_18TensorIteratorBaseEENKUlvE_clEvENKUlvE2_clEvEUlllE_EEEEvS5_RKT_EUlibE_EEviT1_: ; @_ZN2at6native32elementwise_kernel_manual_unrollILi128ELi4EZNS0_22gpu_kernel_impl_nocastINS0_13BUnaryFunctorIlllZZZNS0_18lshift_kernel_cudaERNS_18TensorIteratorBaseEENKUlvE_clEvENKUlvE2_clEvEUlllE_EEEEvS5_RKT_EUlibE_EEviT1_
; %bb.0:
	s_load_dword s59, s[4:5], 0x0
	s_load_dword s33, s[4:5], 0x8
	s_add_u32 s34, s4, 8
	s_addc_u32 s35, s5, 0
	v_lshl_or_b32 v7, s6, 9, v0
	v_or_b32_e32 v13, 0x180, v7
	s_waitcnt lgkmcnt(0)
	s_add_i32 s58, s33, -1
	s_cmp_gt_u32 s58, 1
	v_cmp_le_i32_e32 vcc, s59, v13
	s_cselect_b64 s[36:37], -1, 0
	s_and_saveexec_b64 s[0:1], vcc
	s_xor_b64 s[38:39], exec, s[0:1]
	s_cbranch_execz .LBB85_7
; %bb.1:
	s_cmp_lg_u32 s33, 0
	s_load_dwordx4 s[20:23], s[34:35], 0x4
	s_load_dwordx2 s[44:45], s[34:35], 0x14
	s_load_dwordx2 s[40:41], s[34:35], 0x160
	s_load_dwordx4 s[24:27], s[34:35], 0xc4
	s_load_dwordx4 s[16:19], s[34:35], 0x148
	s_cselect_b64 s[50:51], -1, 0
	s_add_u32 s48, s34, 0xc4
	s_addc_u32 s49, s35, 0
	s_min_u32 s60, s58, 15
	s_cmp_gt_u32 s33, 1
	s_waitcnt lgkmcnt(0)
	v_cmp_gt_u64_e64 s[42:43], s[40:41], 63
	s_cselect_b64 s[46:47], -1, 0
	v_cmp_gt_i32_e32 vcc, s59, v7
	s_and_saveexec_b64 s[52:53], vcc
	s_cbranch_execz .LBB85_14
; %bb.2:
	s_andn2_b64 vcc, exec, s[36:37]
	s_cbranch_vccnz .LBB85_21
; %bb.3:
	s_andn2_b64 vcc, exec, s[50:51]
	s_cbranch_vccnz .LBB85_73
; %bb.4:
	s_add_i32 s61, s60, 1
	s_cmp_eq_u32 s58, 2
	s_cbranch_scc1 .LBB85_75
; %bb.5:
	s_and_b32 s41, s61, 28
	v_mov_b32_e32 v2, 0
	s_mov_b32 s62, 0
	s_mov_b64 s[54:55], s[34:35]
	s_mov_b64 s[56:57], s[48:49]
	v_mov_b32_e32 v0, 0
	v_mov_b32_e32 v1, v7
.LBB85_6:                               ; =>This Inner Loop Header: Depth=1
	s_load_dwordx8 s[8:15], s[54:55], 0x4
	s_load_dwordx4 s[28:31], s[54:55], 0x24
	s_load_dwordx8 s[0:7], s[56:57], 0x0
	s_add_u32 s54, s54, 48
	s_addc_u32 s55, s55, 0
	s_waitcnt lgkmcnt(0)
	v_mul_hi_u32 v3, s9, v1
	s_add_i32 s62, s62, 4
	s_add_u32 s56, s56, 32
	s_addc_u32 s57, s57, 0
	v_add_u32_e32 v3, v1, v3
	v_lshrrev_b32_e32 v3, s10, v3
	v_mul_lo_u32 v4, v3, s8
	v_mul_hi_u32 v5, s12, v3
	s_cmp_lg_u32 s41, s62
	v_sub_u32_e32 v1, v1, v4
	v_add_u32_e32 v4, v3, v5
	v_mul_lo_u32 v5, v1, s0
	v_mul_lo_u32 v6, v1, s1
	v_lshrrev_b32_e32 v1, s13, v4
	v_mul_lo_u32 v4, v1, s11
	v_mul_hi_u32 v8, s15, v1
	v_sub_u32_e32 v3, v3, v4
	v_add_u32_e32 v4, v1, v8
	v_lshrrev_b32_e32 v4, s28, v4
	v_mul_hi_u32 v9, s30, v4
	v_mul_lo_u32 v10, v4, s14
	v_mul_lo_u32 v8, v3, s2
	;; [unrolled: 1-line block ×3, first 2 shown]
	v_sub_u32_e32 v10, v1, v10
	v_add_u32_e32 v1, v4, v9
	v_lshrrev_b32_e32 v1, s31, v1
	v_mul_lo_u32 v9, v1, s29
	v_mul_lo_u32 v11, v10, s4
	;; [unrolled: 1-line block ×3, first 2 shown]
	v_add3_u32 v0, v5, v0, v8
	v_sub_u32_e32 v4, v4, v9
	v_mul_lo_u32 v9, v4, s6
	v_mul_lo_u32 v4, v4, s7
	v_add3_u32 v2, v6, v2, v3
	v_add3_u32 v0, v11, v0, v9
	;; [unrolled: 1-line block ×3, first 2 shown]
	s_cbranch_scc1 .LBB85_6
	s_branch .LBB85_76
.LBB85_7:
	s_andn2_saveexec_b64 s[0:1], s[38:39]
	s_cbranch_execz .LBB85_101
.LBB85_8:
	v_cndmask_b32_e64 v0, 0, 1, s[36:37]
	v_cmp_ne_u32_e64 s[0:1], 1, v0
	s_andn2_b64 vcc, exec, s[36:37]
	s_cbranch_vccnz .LBB85_20
; %bb.9:
	s_cmp_lg_u32 s33, 0
	s_mov_b32 s26, 0
	s_cbranch_scc0 .LBB85_23
; %bb.10:
	s_min_u32 s27, s58, 15
	s_add_i32 s27, s27, 1
	s_cmp_eq_u32 s58, 2
	s_cbranch_scc1 .LBB85_24
; %bb.11:
	s_and_b32 s26, s27, 28
	s_add_u32 s2, s34, 0xc4
	s_addc_u32 s3, s35, 0
	v_mov_b32_e32 v2, 0
	s_mov_b32 s28, 0
	s_mov_b64 s[24:25], s[34:35]
	v_mov_b32_e32 v0, 0
	v_mov_b32_e32 v1, v7
.LBB85_12:                              ; =>This Inner Loop Header: Depth=1
	s_load_dwordx8 s[12:19], s[24:25], 0x4
	s_load_dwordx4 s[20:23], s[24:25], 0x24
	s_load_dwordx8 s[4:11], s[2:3], 0x0
	s_add_u32 s24, s24, 48
	s_addc_u32 s25, s25, 0
	s_waitcnt lgkmcnt(0)
	v_mul_hi_u32 v3, s13, v1
	s_add_i32 s28, s28, 4
	s_add_u32 s2, s2, 32
	s_addc_u32 s3, s3, 0
	v_add_u32_e32 v3, v1, v3
	v_lshrrev_b32_e32 v3, s14, v3
	v_mul_lo_u32 v4, v3, s12
	v_mul_hi_u32 v5, s16, v3
	s_cmp_lg_u32 s26, s28
	v_sub_u32_e32 v1, v1, v4
	v_add_u32_e32 v4, v3, v5
	v_mul_lo_u32 v5, v1, s4
	v_mul_lo_u32 v6, v1, s5
	v_lshrrev_b32_e32 v1, s17, v4
	v_mul_lo_u32 v4, v1, s15
	v_mul_hi_u32 v8, s19, v1
	v_sub_u32_e32 v3, v3, v4
	v_add_u32_e32 v4, v1, v8
	v_lshrrev_b32_e32 v4, s20, v4
	v_mul_hi_u32 v9, s22, v4
	v_mul_lo_u32 v10, v4, s18
	v_mul_lo_u32 v8, v3, s6
	;; [unrolled: 1-line block ×3, first 2 shown]
	v_sub_u32_e32 v10, v1, v10
	v_add_u32_e32 v1, v4, v9
	v_lshrrev_b32_e32 v1, s23, v1
	v_mul_lo_u32 v9, v1, s21
	v_mul_lo_u32 v11, v10, s8
	;; [unrolled: 1-line block ×3, first 2 shown]
	v_add3_u32 v0, v5, v0, v8
	v_sub_u32_e32 v4, v4, v9
	v_mul_lo_u32 v9, v4, s10
	v_mul_lo_u32 v4, v4, s11
	v_add3_u32 v2, v6, v2, v3
	v_add3_u32 v0, v11, v0, v9
	v_add3_u32 v2, v10, v2, v4
	s_cbranch_scc1 .LBB85_12
; %bb.13:
	s_and_b32 s6, s27, 3
	s_cmp_eq_u32 s6, 0
	s_cbranch_scc0 .LBB85_25
	s_branch .LBB85_27
.LBB85_14:
	s_or_b64 exec, exec, s[52:53]
	v_cmp_gt_i32_e32 vcc, s59, v7
	s_and_saveexec_b64 s[52:53], vcc
	s_cbranch_execz .LBB85_83
.LBB85_15:
	s_andn2_b64 vcc, exec, s[36:37]
	s_cbranch_vccnz .LBB85_22
; %bb.16:
	s_andn2_b64 vcc, exec, s[50:51]
	s_cbranch_vccnz .LBB85_74
; %bb.17:
	s_add_i32 s61, s60, 1
	s_cmp_eq_u32 s58, 2
	s_cbranch_scc1 .LBB85_91
; %bb.18:
	s_and_b32 s41, s61, 28
	v_mov_b32_e32 v2, 0
	s_mov_b32 s62, 0
	s_mov_b64 s[54:55], s[34:35]
	s_mov_b64 s[56:57], s[48:49]
	v_mov_b32_e32 v0, 0
	v_mov_b32_e32 v1, v7
.LBB85_19:                              ; =>This Inner Loop Header: Depth=1
	s_load_dwordx8 s[8:15], s[54:55], 0x4
	s_load_dwordx4 s[28:31], s[54:55], 0x24
	s_load_dwordx8 s[0:7], s[56:57], 0x0
	s_add_u32 s54, s54, 48
	s_addc_u32 s55, s55, 0
	s_waitcnt lgkmcnt(0)
	v_mul_hi_u32 v3, s9, v1
	s_add_i32 s62, s62, 4
	s_add_u32 s56, s56, 32
	s_addc_u32 s57, s57, 0
	v_add_u32_e32 v3, v1, v3
	v_lshrrev_b32_e32 v3, s10, v3
	v_mul_lo_u32 v4, v3, s8
	v_mul_hi_u32 v5, s12, v3
	s_cmp_eq_u32 s41, s62
	v_sub_u32_e32 v1, v1, v4
	v_add_u32_e32 v4, v3, v5
	v_mul_lo_u32 v5, v1, s0
	v_mul_lo_u32 v6, v1, s1
	v_lshrrev_b32_e32 v1, s13, v4
	v_mul_lo_u32 v4, v1, s11
	v_mul_hi_u32 v8, s15, v1
	v_sub_u32_e32 v3, v3, v4
	v_add_u32_e32 v4, v1, v8
	v_lshrrev_b32_e32 v4, s28, v4
	v_mul_hi_u32 v9, s30, v4
	v_mul_lo_u32 v10, v4, s14
	v_mul_lo_u32 v8, v3, s2
	v_mul_lo_u32 v3, v3, s3
	v_sub_u32_e32 v10, v1, v10
	v_add_u32_e32 v1, v4, v9
	v_lshrrev_b32_e32 v1, s31, v1
	v_mul_lo_u32 v9, v1, s29
	v_mul_lo_u32 v11, v10, s4
	;; [unrolled: 1-line block ×3, first 2 shown]
	v_add3_u32 v0, v5, v0, v8
	v_sub_u32_e32 v4, v4, v9
	v_mul_lo_u32 v9, v4, s6
	v_mul_lo_u32 v4, v4, s7
	v_add3_u32 v2, v6, v2, v3
	v_add3_u32 v0, v11, v0, v9
	v_add3_u32 v2, v10, v2, v4
	s_cbranch_scc0 .LBB85_19
	s_branch .LBB85_92
.LBB85_20:
                                        ; implicit-def: $vgpr0
                                        ; implicit-def: $vgpr2
	s_branch .LBB85_28
.LBB85_21:
                                        ; implicit-def: $vgpr0
                                        ; implicit-def: $vgpr2
	s_branch .LBB85_80
.LBB85_22:
                                        ; implicit-def: $vgpr0
                                        ; implicit-def: $vgpr2
	s_branch .LBB85_96
.LBB85_23:
	v_mov_b32_e32 v0, 0
	v_mov_b32_e32 v2, 0
	s_branch .LBB85_27
.LBB85_24:
	v_mov_b32_e32 v0, 0
	v_mov_b32_e32 v2, 0
	;; [unrolled: 1-line block ×3, first 2 shown]
	s_and_b32 s6, s27, 3
	s_cmp_eq_u32 s6, 0
	s_cbranch_scc1 .LBB85_27
.LBB85_25:
	s_lshl_b32 s2, s26, 3
	s_add_u32 s2, s34, s2
	s_addc_u32 s3, s35, 0
	s_add_u32 s2, s2, 0xc4
	s_addc_u32 s3, s3, 0
	s_mul_i32 s4, s26, 12
	s_add_u32 s4, s34, s4
	s_addc_u32 s5, s35, 0
.LBB85_26:                              ; =>This Inner Loop Header: Depth=1
	s_load_dwordx2 s[8:9], s[4:5], 0x4
	s_load_dword s7, s[4:5], 0xc
	s_load_dwordx2 s[10:11], s[2:3], 0x0
	s_add_u32 s4, s4, 12
	s_addc_u32 s5, s5, 0
	s_waitcnt lgkmcnt(0)
	v_mul_hi_u32 v4, s9, v1
	s_add_u32 s2, s2, 8
	s_addc_u32 s3, s3, 0
	s_add_i32 s6, s6, -1
	v_add_u32_e32 v4, v1, v4
	v_lshrrev_b32_e32 v4, s7, v4
	v_mul_lo_u32 v5, v4, s8
	s_cmp_lg_u32 s6, 0
	v_sub_u32_e32 v5, v1, v5
	v_mad_u64_u32 v[0:1], s[8:9], v5, s10, v[0:1]
	v_mad_u64_u32 v[2:3], s[8:9], v5, s11, v[2:3]
	v_mov_b32_e32 v1, v4
	s_cbranch_scc1 .LBB85_26
.LBB85_27:
	s_cbranch_execnz .LBB85_30
.LBB85_28:
	s_load_dwordx4 s[4:7], s[34:35], 0x4
	s_load_dwordx2 s[2:3], s[34:35], 0xc4
	s_cmp_lt_u32 s33, 2
	s_waitcnt lgkmcnt(0)
	v_mul_hi_u32 v0, s5, v7
	v_add_u32_e32 v0, v7, v0
	v_lshrrev_b32_e32 v1, s6, v0
	v_mul_lo_u32 v0, v1, s4
	v_sub_u32_e32 v2, v7, v0
	v_mul_lo_u32 v0, v2, s2
	v_mul_lo_u32 v2, v2, s3
	s_cbranch_scc1 .LBB85_30
; %bb.29:
	s_load_dwordx4 s[4:7], s[34:35], 0x10
	s_load_dwordx2 s[2:3], s[34:35], 0xcc
	s_waitcnt lgkmcnt(0)
	v_mul_hi_u32 v3, s5, v1
	v_add_u32_e32 v3, v1, v3
	v_lshrrev_b32_e32 v3, s6, v3
	v_mul_lo_u32 v3, v3, s4
	v_sub_u32_e32 v3, v1, v3
	v_mad_u64_u32 v[0:1], s[4:5], v3, s2, v[0:1]
	v_mad_u64_u32 v[2:3], s[2:3], v3, s3, v[2:3]
.LBB85_30:
	s_and_b64 vcc, exec, s[0:1]
	v_add_u32_e32 v1, 0x80, v7
	s_cbranch_vccnz .LBB85_36
; %bb.31:
	s_cmp_lg_u32 s33, 0
	s_mov_b32 s26, 0
	s_cbranch_scc0 .LBB85_37
; %bb.32:
	s_min_u32 s27, s58, 15
	s_add_i32 s27, s27, 1
	s_cmp_eq_u32 s58, 2
	s_cbranch_scc1 .LBB85_38
; %bb.33:
	s_and_b32 s26, s27, 28
	s_add_u32 s2, s34, 0xc4
	s_addc_u32 s3, s35, 0
	v_mov_b32_e32 v5, 0
	s_mov_b32 s28, 0
	s_mov_b64 s[24:25], s[34:35]
	v_mov_b32_e32 v3, 0
	v_mov_b32_e32 v4, v1
.LBB85_34:                              ; =>This Inner Loop Header: Depth=1
	s_load_dwordx8 s[12:19], s[24:25], 0x4
	s_load_dwordx4 s[20:23], s[24:25], 0x24
	s_load_dwordx8 s[4:11], s[2:3], 0x0
	s_add_u32 s24, s24, 48
	s_addc_u32 s25, s25, 0
	s_waitcnt lgkmcnt(0)
	v_mul_hi_u32 v6, s13, v4
	s_add_i32 s28, s28, 4
	s_add_u32 s2, s2, 32
	s_addc_u32 s3, s3, 0
	v_add_u32_e32 v6, v4, v6
	v_lshrrev_b32_e32 v6, s14, v6
	v_mul_lo_u32 v8, v6, s12
	v_mul_hi_u32 v9, s16, v6
	s_cmp_lg_u32 s26, s28
	v_sub_u32_e32 v4, v4, v8
	v_add_u32_e32 v8, v6, v9
	v_mul_lo_u32 v9, v4, s4
	v_mul_lo_u32 v10, v4, s5
	v_lshrrev_b32_e32 v4, s17, v8
	v_mul_lo_u32 v8, v4, s15
	v_mul_hi_u32 v11, s19, v4
	v_sub_u32_e32 v6, v6, v8
	v_add_u32_e32 v8, v4, v11
	v_lshrrev_b32_e32 v8, s20, v8
	v_mul_hi_u32 v12, s22, v8
	v_mul_lo_u32 v14, v8, s18
	v_mul_lo_u32 v11, v6, s6
	;; [unrolled: 1-line block ×3, first 2 shown]
	v_sub_u32_e32 v14, v4, v14
	v_add_u32_e32 v4, v8, v12
	v_lshrrev_b32_e32 v4, s23, v4
	v_mul_lo_u32 v12, v4, s21
	v_mul_lo_u32 v15, v14, s8
	;; [unrolled: 1-line block ×3, first 2 shown]
	v_add3_u32 v3, v9, v3, v11
	v_sub_u32_e32 v8, v8, v12
	v_mul_lo_u32 v12, v8, s10
	v_mul_lo_u32 v8, v8, s11
	v_add3_u32 v5, v10, v5, v6
	v_add3_u32 v3, v15, v3, v12
	;; [unrolled: 1-line block ×3, first 2 shown]
	s_cbranch_scc1 .LBB85_34
; %bb.35:
	s_and_b32 s6, s27, 3
	s_cmp_eq_u32 s6, 0
	s_cbranch_scc0 .LBB85_39
	s_branch .LBB85_41
.LBB85_36:
                                        ; implicit-def: $vgpr3
                                        ; implicit-def: $vgpr5
	s_branch .LBB85_42
.LBB85_37:
	v_mov_b32_e32 v3, 0
	v_mov_b32_e32 v5, 0
	s_branch .LBB85_41
.LBB85_38:
	v_mov_b32_e32 v3, 0
	v_mov_b32_e32 v5, 0
	;; [unrolled: 1-line block ×3, first 2 shown]
	s_and_b32 s6, s27, 3
	s_cmp_eq_u32 s6, 0
	s_cbranch_scc1 .LBB85_41
.LBB85_39:
	s_lshl_b32 s2, s26, 3
	s_add_u32 s2, s34, s2
	s_addc_u32 s3, s35, 0
	s_add_u32 s2, s2, 0xc4
	s_addc_u32 s3, s3, 0
	s_mul_i32 s4, s26, 12
	s_add_u32 s4, s34, s4
	s_addc_u32 s5, s35, 0
.LBB85_40:                              ; =>This Inner Loop Header: Depth=1
	s_load_dwordx2 s[8:9], s[4:5], 0x4
	s_load_dword s7, s[4:5], 0xc
	s_load_dwordx2 s[10:11], s[2:3], 0x0
	s_add_u32 s4, s4, 12
	s_addc_u32 s5, s5, 0
	s_waitcnt lgkmcnt(0)
	v_mul_hi_u32 v8, s9, v4
	s_add_u32 s2, s2, 8
	s_addc_u32 s3, s3, 0
	s_add_i32 s6, s6, -1
	v_add_u32_e32 v8, v4, v8
	v_lshrrev_b32_e32 v8, s7, v8
	v_mul_lo_u32 v9, v8, s8
	s_cmp_lg_u32 s6, 0
	v_sub_u32_e32 v9, v4, v9
	v_mad_u64_u32 v[3:4], s[8:9], v9, s10, v[3:4]
	v_mad_u64_u32 v[5:6], s[8:9], v9, s11, v[5:6]
	v_mov_b32_e32 v4, v8
	s_cbranch_scc1 .LBB85_40
.LBB85_41:
	s_cbranch_execnz .LBB85_44
.LBB85_42:
	s_load_dwordx4 s[4:7], s[34:35], 0x4
	s_load_dwordx2 s[2:3], s[34:35], 0xc4
	s_cmp_lt_u32 s33, 2
	s_waitcnt lgkmcnt(0)
	v_mul_hi_u32 v3, s5, v1
	v_add_u32_e32 v3, v1, v3
	v_lshrrev_b32_e32 v4, s6, v3
	v_mul_lo_u32 v3, v4, s4
	v_sub_u32_e32 v1, v1, v3
	v_mul_lo_u32 v3, v1, s2
	v_mul_lo_u32 v5, v1, s3
	s_cbranch_scc1 .LBB85_44
; %bb.43:
	s_load_dwordx4 s[4:7], s[34:35], 0x10
	s_load_dwordx2 s[2:3], s[34:35], 0xcc
	s_waitcnt lgkmcnt(0)
	v_mul_hi_u32 v1, s5, v4
	v_add_u32_e32 v1, v4, v1
	v_lshrrev_b32_e32 v1, s6, v1
	v_mul_lo_u32 v1, v1, s4
	v_sub_u32_e32 v1, v4, v1
	v_mad_u64_u32 v[3:4], s[4:5], v1, s2, v[3:4]
	v_mad_u64_u32 v[5:6], s[2:3], v1, s3, v[5:6]
.LBB85_44:
	s_and_b64 vcc, exec, s[0:1]
	v_add_u32_e32 v1, 0x100, v7
	s_cbranch_vccnz .LBB85_50
; %bb.45:
	s_cmp_lg_u32 s33, 0
	s_mov_b32 s26, 0
	s_cbranch_scc0 .LBB85_51
; %bb.46:
	s_min_u32 s27, s58, 15
	s_add_i32 s27, s27, 1
	s_cmp_eq_u32 s58, 2
	s_cbranch_scc1 .LBB85_52
; %bb.47:
	s_and_b32 s26, s27, 28
	s_add_u32 s2, s34, 0xc4
	s_addc_u32 s3, s35, 0
	v_mov_b32_e32 v8, 0
	s_mov_b32 s28, 0
	s_mov_b64 s[24:25], s[34:35]
	v_mov_b32_e32 v6, 0
	v_mov_b32_e32 v4, v1
.LBB85_48:                              ; =>This Inner Loop Header: Depth=1
	s_load_dwordx8 s[12:19], s[24:25], 0x4
	s_load_dwordx4 s[20:23], s[24:25], 0x24
	s_load_dwordx8 s[4:11], s[2:3], 0x0
	s_add_u32 s24, s24, 48
	s_addc_u32 s25, s25, 0
	s_waitcnt lgkmcnt(0)
	v_mul_hi_u32 v7, s13, v4
	s_add_i32 s28, s28, 4
	s_add_u32 s2, s2, 32
	s_addc_u32 s3, s3, 0
	v_add_u32_e32 v7, v4, v7
	v_lshrrev_b32_e32 v7, s14, v7
	v_mul_lo_u32 v9, v7, s12
	v_mul_hi_u32 v10, s16, v7
	s_cmp_lg_u32 s26, s28
	v_sub_u32_e32 v4, v4, v9
	v_add_u32_e32 v9, v7, v10
	v_mul_lo_u32 v10, v4, s4
	v_mul_lo_u32 v11, v4, s5
	v_lshrrev_b32_e32 v4, s17, v9
	v_mul_lo_u32 v9, v4, s15
	v_mul_hi_u32 v12, s19, v4
	v_sub_u32_e32 v7, v7, v9
	v_add_u32_e32 v9, v4, v12
	v_lshrrev_b32_e32 v9, s20, v9
	v_mul_hi_u32 v14, s22, v9
	v_mul_lo_u32 v15, v9, s18
	v_mul_lo_u32 v12, v7, s6
	;; [unrolled: 1-line block ×3, first 2 shown]
	v_sub_u32_e32 v15, v4, v15
	v_add_u32_e32 v4, v9, v14
	v_lshrrev_b32_e32 v4, s23, v4
	v_mul_lo_u32 v14, v4, s21
	v_mul_lo_u32 v16, v15, s8
	;; [unrolled: 1-line block ×3, first 2 shown]
	v_add3_u32 v6, v10, v6, v12
	v_sub_u32_e32 v9, v9, v14
	v_mul_lo_u32 v14, v9, s10
	v_mul_lo_u32 v9, v9, s11
	v_add3_u32 v7, v11, v8, v7
	v_add3_u32 v6, v16, v6, v14
	;; [unrolled: 1-line block ×3, first 2 shown]
	s_cbranch_scc1 .LBB85_48
; %bb.49:
	s_and_b32 s6, s27, 3
	s_cmp_eq_u32 s6, 0
	s_cbranch_scc0 .LBB85_53
	s_branch .LBB85_55
.LBB85_50:
                                        ; implicit-def: $vgpr6
                                        ; implicit-def: $vgpr8
	s_branch .LBB85_56
.LBB85_51:
	v_mov_b32_e32 v6, 0
	v_mov_b32_e32 v8, 0
	s_branch .LBB85_55
.LBB85_52:
	v_mov_b32_e32 v6, 0
	v_mov_b32_e32 v8, 0
	;; [unrolled: 1-line block ×3, first 2 shown]
	s_and_b32 s6, s27, 3
	s_cmp_eq_u32 s6, 0
	s_cbranch_scc1 .LBB85_55
.LBB85_53:
	s_lshl_b32 s2, s26, 3
	s_add_u32 s2, s34, s2
	s_addc_u32 s3, s35, 0
	s_add_u32 s2, s2, 0xc4
	s_addc_u32 s3, s3, 0
	s_mul_i32 s4, s26, 12
	s_add_u32 s4, s34, s4
	s_addc_u32 s5, s35, 0
.LBB85_54:                              ; =>This Inner Loop Header: Depth=1
	s_load_dwordx2 s[8:9], s[4:5], 0x4
	s_load_dword s7, s[4:5], 0xc
	s_load_dwordx2 s[10:11], s[2:3], 0x0
	s_add_u32 s4, s4, 12
	s_addc_u32 s5, s5, 0
	s_waitcnt lgkmcnt(0)
	v_mul_hi_u32 v7, s9, v4
	s_add_u32 s2, s2, 8
	s_addc_u32 s3, s3, 0
	s_add_i32 s6, s6, -1
	v_add_u32_e32 v7, v4, v7
	v_lshrrev_b32_e32 v10, s7, v7
	v_mul_lo_u32 v7, v10, s8
	s_cmp_lg_u32 s6, 0
	v_sub_u32_e32 v4, v4, v7
	v_mad_u64_u32 v[6:7], s[8:9], v4, s10, v[6:7]
	v_mad_u64_u32 v[8:9], s[8:9], v4, s11, v[8:9]
	v_mov_b32_e32 v4, v10
	s_cbranch_scc1 .LBB85_54
.LBB85_55:
	s_cbranch_execnz .LBB85_58
.LBB85_56:
	s_load_dwordx4 s[4:7], s[34:35], 0x4
	s_load_dwordx2 s[2:3], s[34:35], 0xc4
	s_cmp_lt_u32 s33, 2
	s_waitcnt lgkmcnt(0)
	v_mul_hi_u32 v4, s5, v1
	v_add_u32_e32 v4, v1, v4
	v_lshrrev_b32_e32 v4, s6, v4
	v_mul_lo_u32 v6, v4, s4
	v_sub_u32_e32 v1, v1, v6
	v_mul_lo_u32 v6, v1, s2
	v_mul_lo_u32 v8, v1, s3
	s_cbranch_scc1 .LBB85_58
; %bb.57:
	s_load_dwordx4 s[4:7], s[34:35], 0x10
	s_load_dwordx2 s[2:3], s[34:35], 0xcc
	s_waitcnt lgkmcnt(0)
	v_mul_hi_u32 v1, s5, v4
	v_add_u32_e32 v1, v4, v1
	v_lshrrev_b32_e32 v1, s6, v1
	v_mul_lo_u32 v1, v1, s4
	v_sub_u32_e32 v1, v4, v1
	v_mad_u64_u32 v[6:7], s[4:5], v1, s2, v[6:7]
	v_mad_u64_u32 v[8:9], s[2:3], v1, s3, v[8:9]
.LBB85_58:
	s_and_b64 vcc, exec, s[0:1]
	s_cbranch_vccnz .LBB85_64
; %bb.59:
	s_cmp_lg_u32 s33, 0
	s_mov_b32 s24, 0
	s_cbranch_scc0 .LBB85_65
; %bb.60:
	s_min_u32 s25, s58, 15
	s_add_i32 s25, s25, 1
	s_cmp_eq_u32 s58, 2
	s_cbranch_scc1 .LBB85_66
; %bb.61:
	s_and_b32 s24, s25, 28
	s_add_u32 s20, s34, 0xc4
	s_addc_u32 s21, s35, 0
	v_mov_b32_e32 v11, 0
	s_mov_b32 s26, 0
	s_mov_b64 s[22:23], s[34:35]
	v_mov_b32_e32 v9, 0
	v_mov_b32_e32 v1, v13
.LBB85_62:                              ; =>This Inner Loop Header: Depth=1
	s_load_dwordx8 s[8:15], s[22:23], 0x4
	s_load_dwordx4 s[16:19], s[22:23], 0x24
	s_load_dwordx8 s[0:7], s[20:21], 0x0
	s_add_u32 s22, s22, 48
	s_addc_u32 s23, s23, 0
	s_waitcnt lgkmcnt(0)
	v_mul_hi_u32 v4, s9, v1
	s_add_i32 s26, s26, 4
	s_add_u32 s20, s20, 32
	s_addc_u32 s21, s21, 0
	v_add_u32_e32 v4, v1, v4
	v_lshrrev_b32_e32 v4, s10, v4
	v_mul_lo_u32 v7, v4, s8
	v_mul_hi_u32 v10, s12, v4
	s_cmp_lg_u32 s24, s26
	v_sub_u32_e32 v1, v1, v7
	v_add_u32_e32 v7, v4, v10
	v_mul_lo_u32 v10, v1, s0
	v_mul_lo_u32 v12, v1, s1
	v_lshrrev_b32_e32 v1, s13, v7
	v_mul_lo_u32 v7, v1, s11
	v_mul_hi_u32 v14, s15, v1
	v_sub_u32_e32 v4, v4, v7
	v_add_u32_e32 v7, v1, v14
	v_lshrrev_b32_e32 v7, s16, v7
	v_mul_hi_u32 v15, s18, v7
	v_mul_lo_u32 v16, v7, s14
	v_mul_lo_u32 v14, v4, s2
	;; [unrolled: 1-line block ×3, first 2 shown]
	v_sub_u32_e32 v16, v1, v16
	v_add_u32_e32 v1, v7, v15
	v_lshrrev_b32_e32 v1, s19, v1
	v_mul_lo_u32 v15, v1, s17
	v_mul_lo_u32 v17, v16, s4
	;; [unrolled: 1-line block ×3, first 2 shown]
	v_add3_u32 v9, v10, v9, v14
	v_sub_u32_e32 v7, v7, v15
	v_mul_lo_u32 v15, v7, s6
	v_mul_lo_u32 v7, v7, s7
	v_add3_u32 v4, v12, v11, v4
	v_add3_u32 v9, v17, v9, v15
	;; [unrolled: 1-line block ×3, first 2 shown]
	s_cbranch_scc1 .LBB85_62
; %bb.63:
	s_and_b32 s4, s25, 3
	s_cmp_eq_u32 s4, 0
	s_cbranch_scc0 .LBB85_67
	s_branch .LBB85_69
.LBB85_64:
                                        ; implicit-def: $vgpr9
                                        ; implicit-def: $vgpr11
	s_branch .LBB85_70
.LBB85_65:
	v_mov_b32_e32 v9, 0
	v_mov_b32_e32 v11, 0
	s_branch .LBB85_69
.LBB85_66:
	v_mov_b32_e32 v9, 0
	v_mov_b32_e32 v11, 0
	;; [unrolled: 1-line block ×3, first 2 shown]
	s_and_b32 s4, s25, 3
	s_cmp_eq_u32 s4, 0
	s_cbranch_scc1 .LBB85_69
.LBB85_67:
	s_lshl_b32 s0, s24, 3
	s_add_u32 s0, s34, s0
	s_addc_u32 s1, s35, 0
	s_add_u32 s0, s0, 0xc4
	s_addc_u32 s1, s1, 0
	s_mul_i32 s2, s24, 12
	s_add_u32 s2, s34, s2
	s_addc_u32 s3, s35, 0
.LBB85_68:                              ; =>This Inner Loop Header: Depth=1
	s_load_dwordx2 s[6:7], s[2:3], 0x4
	s_load_dword s5, s[2:3], 0xc
	s_load_dwordx2 s[8:9], s[0:1], 0x0
	s_add_u32 s2, s2, 12
	s_addc_u32 s3, s3, 0
	s_waitcnt lgkmcnt(0)
	v_mul_hi_u32 v4, s7, v1
	s_add_u32 s0, s0, 8
	s_addc_u32 s1, s1, 0
	s_add_i32 s4, s4, -1
	v_add_u32_e32 v4, v1, v4
	v_lshrrev_b32_e32 v4, s5, v4
	v_mul_lo_u32 v7, v4, s6
	s_cmp_lg_u32 s4, 0
	v_sub_u32_e32 v1, v1, v7
	v_mad_u64_u32 v[9:10], s[6:7], v1, s8, v[9:10]
	v_mad_u64_u32 v[11:12], s[6:7], v1, s9, v[11:12]
	v_mov_b32_e32 v1, v4
	s_cbranch_scc1 .LBB85_68
.LBB85_69:
	s_cbranch_execnz .LBB85_72
.LBB85_70:
	s_load_dwordx4 s[0:3], s[34:35], 0x4
	s_load_dwordx2 s[4:5], s[34:35], 0xc4
	s_cmp_lt_u32 s33, 2
	s_waitcnt lgkmcnt(0)
	v_mul_hi_u32 v1, s1, v13
	v_add_u32_e32 v1, v13, v1
	v_lshrrev_b32_e32 v1, s2, v1
	v_mul_lo_u32 v4, v1, s0
	v_sub_u32_e32 v4, v13, v4
	v_mul_lo_u32 v9, v4, s4
	v_mul_lo_u32 v11, v4, s5
	s_cbranch_scc1 .LBB85_72
; %bb.71:
	s_load_dwordx4 s[0:3], s[34:35], 0x10
	s_load_dwordx2 s[4:5], s[34:35], 0xcc
	s_waitcnt lgkmcnt(0)
	v_mul_hi_u32 v4, s1, v1
	v_add_u32_e32 v4, v1, v4
	v_lshrrev_b32_e32 v4, s2, v4
	v_mul_lo_u32 v4, v4, s0
	v_sub_u32_e32 v1, v1, v4
	v_mad_u64_u32 v[9:10], s[0:1], v1, s4, v[9:10]
	v_mad_u64_u32 v[11:12], s[0:1], v1, s5, v[11:12]
.LBB85_72:
	s_load_dwordx4 s[0:3], s[34:35], 0x148
	s_load_dwordx2 s[4:5], s[34:35], 0x160
	s_waitcnt lgkmcnt(0)
	global_load_dwordx2 v[12:13], v2, s[2:3]
	global_load_dwordx2 v[14:15], v5, s[2:3]
	;; [unrolled: 1-line block ×4, first 2 shown]
	v_cmp_gt_u64_e64 s[2:3], s[4:5], 63
	s_waitcnt vmcnt(3)
	v_lshlrev_b64 v[1:2], s4, v[12:13]
	s_waitcnt vmcnt(2)
	v_lshlrev_b64 v[4:5], s4, v[14:15]
	;; [unrolled: 2-line block ×4, first 2 shown]
	v_cndmask_b32_e64 v2, v2, 0, s[2:3]
	v_cndmask_b32_e64 v1, v1, 0, s[2:3]
	;; [unrolled: 1-line block ×8, first 2 shown]
	global_store_dwordx2 v0, v[1:2], s[0:1]
	global_store_dwordx2 v3, v[4:5], s[0:1]
	;; [unrolled: 1-line block ×4, first 2 shown]
	s_endpgm
.LBB85_73:
	v_mov_b32_e32 v0, 0
	v_mov_b32_e32 v2, 0
	s_branch .LBB85_79
.LBB85_74:
	v_mov_b32_e32 v0, 0
	v_mov_b32_e32 v2, 0
	s_branch .LBB85_95
.LBB85_75:
	s_mov_b32 s41, 0
	v_mov_b32_e32 v0, 0
	v_mov_b32_e32 v2, 0
	;; [unrolled: 1-line block ×3, first 2 shown]
.LBB85_76:
	s_and_b32 s4, s61, 3
	s_cmp_eq_u32 s4, 0
	s_cbranch_scc1 .LBB85_79
; %bb.77:
	s_lshl_b32 s0, s41, 3
	s_add_u32 s0, s34, s0
	s_addc_u32 s1, s35, 0
	s_add_u32 s0, s0, 0xc4
	s_addc_u32 s1, s1, 0
	s_mul_i32 s2, s41, 12
	s_add_u32 s2, s34, s2
	s_addc_u32 s3, s35, 0
.LBB85_78:                              ; =>This Inner Loop Header: Depth=1
	s_load_dwordx2 s[6:7], s[2:3], 0x4
	s_load_dword s5, s[2:3], 0xc
	s_load_dwordx2 s[8:9], s[0:1], 0x0
	s_add_u32 s2, s2, 12
	s_addc_u32 s3, s3, 0
	s_waitcnt lgkmcnt(0)
	v_mul_hi_u32 v3, s7, v1
	s_add_u32 s0, s0, 8
	s_addc_u32 s1, s1, 0
	s_add_i32 s4, s4, -1
	v_add_u32_e32 v3, v1, v3
	v_lshrrev_b32_e32 v4, s5, v3
	v_mul_lo_u32 v3, v4, s6
	s_cmp_lg_u32 s4, 0
	v_sub_u32_e32 v3, v1, v3
	v_mad_u64_u32 v[0:1], s[6:7], v3, s8, v[0:1]
	v_mad_u64_u32 v[2:3], s[6:7], v3, s9, v[2:3]
	v_mov_b32_e32 v1, v4
	s_cbranch_scc1 .LBB85_78
.LBB85_79:
	s_cbranch_execnz .LBB85_82
.LBB85_80:
	v_mul_hi_u32 v0, s21, v7
	s_andn2_b64 vcc, exec, s[46:47]
	v_add_u32_e32 v0, v7, v0
	v_lshrrev_b32_e32 v1, s22, v0
	v_mul_lo_u32 v0, v1, s20
	v_sub_u32_e32 v2, v7, v0
	v_mul_lo_u32 v0, v2, s24
	v_mul_lo_u32 v2, v2, s25
	s_cbranch_vccnz .LBB85_82
; %bb.81:
	v_mul_hi_u32 v3, s44, v1
	v_add_u32_e32 v3, v1, v3
	v_lshrrev_b32_e32 v3, s45, v3
	v_mul_lo_u32 v3, v3, s23
	v_sub_u32_e32 v3, v1, v3
	v_mad_u64_u32 v[0:1], s[0:1], v3, s26, v[0:1]
	v_mad_u64_u32 v[2:3], s[0:1], v3, s27, v[2:3]
.LBB85_82:
	global_load_dwordx2 v[1:2], v2, s[18:19]
	v_add_u32_e32 v7, 0x80, v7
	s_waitcnt vmcnt(0)
	v_lshlrev_b64 v[1:2], s40, v[1:2]
	v_cndmask_b32_e64 v2, v2, 0, s[42:43]
	v_cndmask_b32_e64 v1, v1, 0, s[42:43]
	global_store_dwordx2 v0, v[1:2], s[16:17]
	s_or_b64 exec, exec, s[52:53]
	v_cmp_gt_i32_e32 vcc, s59, v7
	s_and_saveexec_b64 s[52:53], vcc
	s_cbranch_execnz .LBB85_15
.LBB85_83:
	s_or_b64 exec, exec, s[52:53]
	v_cmp_gt_i32_e32 vcc, s59, v7
	s_and_saveexec_b64 s[52:53], vcc
	s_cbranch_execz .LBB85_99
.LBB85_84:
	s_andn2_b64 vcc, exec, s[36:37]
	s_cbranch_vccnz .LBB85_89
; %bb.85:
	s_andn2_b64 vcc, exec, s[50:51]
	s_cbranch_vccnz .LBB85_90
; %bb.86:
	s_add_i32 s61, s60, 1
	s_cmp_eq_u32 s58, 2
	s_cbranch_scc1 .LBB85_102
; %bb.87:
	s_and_b32 s41, s61, 28
	v_mov_b32_e32 v2, 0
	s_mov_b32 s62, 0
	s_mov_b64 s[54:55], s[34:35]
	s_mov_b64 s[56:57], s[48:49]
	v_mov_b32_e32 v0, 0
	v_mov_b32_e32 v1, v7
.LBB85_88:                              ; =>This Inner Loop Header: Depth=1
	s_load_dwordx8 s[8:15], s[54:55], 0x4
	s_load_dwordx4 s[28:31], s[54:55], 0x24
	s_load_dwordx8 s[0:7], s[56:57], 0x0
	s_add_u32 s54, s54, 48
	s_addc_u32 s55, s55, 0
	s_waitcnt lgkmcnt(0)
	v_mul_hi_u32 v3, s9, v1
	s_add_i32 s62, s62, 4
	s_add_u32 s56, s56, 32
	s_addc_u32 s57, s57, 0
	v_add_u32_e32 v3, v1, v3
	v_lshrrev_b32_e32 v3, s10, v3
	v_mul_lo_u32 v4, v3, s8
	v_mul_hi_u32 v5, s12, v3
	s_cmp_eq_u32 s41, s62
	v_sub_u32_e32 v1, v1, v4
	v_add_u32_e32 v4, v3, v5
	v_mul_lo_u32 v5, v1, s0
	v_mul_lo_u32 v6, v1, s1
	v_lshrrev_b32_e32 v1, s13, v4
	v_mul_lo_u32 v4, v1, s11
	v_mul_hi_u32 v8, s15, v1
	v_sub_u32_e32 v3, v3, v4
	v_add_u32_e32 v4, v1, v8
	v_lshrrev_b32_e32 v4, s28, v4
	v_mul_hi_u32 v9, s30, v4
	v_mul_lo_u32 v10, v4, s14
	v_mul_lo_u32 v8, v3, s2
	;; [unrolled: 1-line block ×3, first 2 shown]
	v_sub_u32_e32 v10, v1, v10
	v_add_u32_e32 v1, v4, v9
	v_lshrrev_b32_e32 v1, s31, v1
	v_mul_lo_u32 v9, v1, s29
	v_mul_lo_u32 v11, v10, s4
	;; [unrolled: 1-line block ×3, first 2 shown]
	v_add3_u32 v0, v5, v0, v8
	v_sub_u32_e32 v4, v4, v9
	v_mul_lo_u32 v9, v4, s6
	v_mul_lo_u32 v4, v4, s7
	v_add3_u32 v2, v6, v2, v3
	v_add3_u32 v0, v11, v0, v9
	v_add3_u32 v2, v10, v2, v4
	s_cbranch_scc0 .LBB85_88
	s_branch .LBB85_103
.LBB85_89:
                                        ; implicit-def: $vgpr0
                                        ; implicit-def: $vgpr2
	s_branch .LBB85_107
.LBB85_90:
	v_mov_b32_e32 v0, 0
	v_mov_b32_e32 v2, 0
	s_branch .LBB85_106
.LBB85_91:
	s_mov_b32 s41, 0
	v_mov_b32_e32 v0, 0
	v_mov_b32_e32 v2, 0
	v_mov_b32_e32 v1, v7
.LBB85_92:
	s_and_b32 s4, s61, 3
	s_cmp_eq_u32 s4, 0
	s_cbranch_scc1 .LBB85_95
; %bb.93:
	s_lshl_b32 s0, s41, 3
	s_add_u32 s0, s34, s0
	s_addc_u32 s1, s35, 0
	s_add_u32 s0, s0, 0xc4
	s_addc_u32 s1, s1, 0
	s_mul_i32 s2, s41, 12
	s_add_u32 s2, s34, s2
	s_addc_u32 s3, s35, 0
.LBB85_94:                              ; =>This Inner Loop Header: Depth=1
	s_load_dwordx2 s[6:7], s[2:3], 0x4
	s_load_dword s5, s[2:3], 0xc
	s_load_dwordx2 s[8:9], s[0:1], 0x0
	s_add_u32 s2, s2, 12
	s_addc_u32 s3, s3, 0
	s_waitcnt lgkmcnt(0)
	v_mul_hi_u32 v3, s7, v1
	s_add_u32 s0, s0, 8
	s_addc_u32 s1, s1, 0
	s_add_i32 s4, s4, -1
	v_add_u32_e32 v3, v1, v3
	v_lshrrev_b32_e32 v4, s5, v3
	v_mul_lo_u32 v3, v4, s6
	s_cmp_lg_u32 s4, 0
	v_sub_u32_e32 v3, v1, v3
	v_mad_u64_u32 v[0:1], s[6:7], v3, s8, v[0:1]
	v_mad_u64_u32 v[2:3], s[6:7], v3, s9, v[2:3]
	v_mov_b32_e32 v1, v4
	s_cbranch_scc1 .LBB85_94
.LBB85_95:
	s_cbranch_execnz .LBB85_98
.LBB85_96:
	v_mul_hi_u32 v0, s21, v7
	s_andn2_b64 vcc, exec, s[46:47]
	v_add_u32_e32 v0, v7, v0
	v_lshrrev_b32_e32 v1, s22, v0
	v_mul_lo_u32 v0, v1, s20
	v_sub_u32_e32 v2, v7, v0
	v_mul_lo_u32 v0, v2, s24
	v_mul_lo_u32 v2, v2, s25
	s_cbranch_vccnz .LBB85_98
; %bb.97:
	v_mul_hi_u32 v3, s44, v1
	v_add_u32_e32 v3, v1, v3
	v_lshrrev_b32_e32 v3, s45, v3
	v_mul_lo_u32 v3, v3, s23
	v_sub_u32_e32 v3, v1, v3
	v_mad_u64_u32 v[0:1], s[0:1], v3, s26, v[0:1]
	v_mad_u64_u32 v[2:3], s[0:1], v3, s27, v[2:3]
.LBB85_98:
	global_load_dwordx2 v[1:2], v2, s[18:19]
	v_add_u32_e32 v7, 0x80, v7
	s_waitcnt vmcnt(0)
	v_lshlrev_b64 v[1:2], s40, v[1:2]
	v_cndmask_b32_e64 v2, v2, 0, s[42:43]
	v_cndmask_b32_e64 v1, v1, 0, s[42:43]
	global_store_dwordx2 v0, v[1:2], s[16:17]
	s_or_b64 exec, exec, s[52:53]
	v_cmp_gt_i32_e32 vcc, s59, v7
	s_and_saveexec_b64 s[52:53], vcc
	s_cbranch_execnz .LBB85_84
.LBB85_99:
	s_or_b64 exec, exec, s[52:53]
	v_cmp_gt_i32_e32 vcc, s59, v7
	s_and_saveexec_b64 s[52:53], vcc
	s_cbranch_execnz .LBB85_110
.LBB85_100:
	s_or_b64 exec, exec, s[52:53]
                                        ; implicit-def: $vgpr13
                                        ; implicit-def: $vgpr7
	s_andn2_saveexec_b64 s[0:1], s[38:39]
	s_cbranch_execnz .LBB85_8
.LBB85_101:
	s_endpgm
.LBB85_102:
	s_mov_b32 s41, 0
	v_mov_b32_e32 v0, 0
	v_mov_b32_e32 v2, 0
	v_mov_b32_e32 v1, v7
.LBB85_103:
	s_and_b32 s4, s61, 3
	s_cmp_eq_u32 s4, 0
	s_cbranch_scc1 .LBB85_106
; %bb.104:
	s_lshl_b32 s0, s41, 3
	s_add_u32 s0, s34, s0
	s_addc_u32 s1, s35, 0
	s_add_u32 s0, s0, 0xc4
	s_addc_u32 s1, s1, 0
	s_mul_i32 s2, s41, 12
	s_add_u32 s2, s34, s2
	s_addc_u32 s3, s35, 0
.LBB85_105:                             ; =>This Inner Loop Header: Depth=1
	s_load_dwordx2 s[6:7], s[2:3], 0x4
	s_load_dword s5, s[2:3], 0xc
	s_load_dwordx2 s[8:9], s[0:1], 0x0
	s_add_u32 s2, s2, 12
	s_addc_u32 s3, s3, 0
	s_waitcnt lgkmcnt(0)
	v_mul_hi_u32 v3, s7, v1
	s_add_u32 s0, s0, 8
	s_addc_u32 s1, s1, 0
	s_add_i32 s4, s4, -1
	v_add_u32_e32 v3, v1, v3
	v_lshrrev_b32_e32 v4, s5, v3
	v_mul_lo_u32 v3, v4, s6
	s_cmp_lg_u32 s4, 0
	v_sub_u32_e32 v3, v1, v3
	v_mad_u64_u32 v[0:1], s[6:7], v3, s8, v[0:1]
	v_mad_u64_u32 v[2:3], s[6:7], v3, s9, v[2:3]
	v_mov_b32_e32 v1, v4
	s_cbranch_scc1 .LBB85_105
.LBB85_106:
	s_cbranch_execnz .LBB85_109
.LBB85_107:
	v_mul_hi_u32 v0, s21, v7
	s_andn2_b64 vcc, exec, s[46:47]
	v_add_u32_e32 v0, v7, v0
	v_lshrrev_b32_e32 v1, s22, v0
	v_mul_lo_u32 v0, v1, s20
	v_sub_u32_e32 v2, v7, v0
	v_mul_lo_u32 v0, v2, s24
	v_mul_lo_u32 v2, v2, s25
	s_cbranch_vccnz .LBB85_109
; %bb.108:
	v_mul_hi_u32 v3, s44, v1
	v_add_u32_e32 v3, v1, v3
	v_lshrrev_b32_e32 v3, s45, v3
	v_mul_lo_u32 v3, v3, s23
	v_sub_u32_e32 v3, v1, v3
	v_mad_u64_u32 v[0:1], s[0:1], v3, s26, v[0:1]
	v_mad_u64_u32 v[2:3], s[0:1], v3, s27, v[2:3]
.LBB85_109:
	global_load_dwordx2 v[1:2], v2, s[18:19]
	v_add_u32_e32 v7, 0x80, v7
	s_waitcnt vmcnt(0)
	v_lshlrev_b64 v[1:2], s40, v[1:2]
	v_cndmask_b32_e64 v2, v2, 0, s[42:43]
	v_cndmask_b32_e64 v1, v1, 0, s[42:43]
	global_store_dwordx2 v0, v[1:2], s[16:17]
	s_or_b64 exec, exec, s[52:53]
	v_cmp_gt_i32_e32 vcc, s59, v7
	s_and_saveexec_b64 s[52:53], vcc
	s_cbranch_execz .LBB85_100
.LBB85_110:
	s_andn2_b64 vcc, exec, s[36:37]
	s_cbranch_vccnz .LBB85_115
; %bb.111:
	s_andn2_b64 vcc, exec, s[50:51]
	s_cbranch_vccnz .LBB85_116
; %bb.112:
	s_add_i32 s60, s60, 1
	s_cmp_eq_u32 s58, 2
	s_cbranch_scc1 .LBB85_117
; %bb.113:
	s_and_b32 s41, s60, 28
	v_mov_b32_e32 v2, 0
	s_mov_b32 s54, 0
	s_mov_b64 s[50:51], s[34:35]
	v_mov_b32_e32 v0, 0
	v_mov_b32_e32 v1, v7
.LBB85_114:                             ; =>This Inner Loop Header: Depth=1
	s_load_dwordx8 s[8:15], s[50:51], 0x4
	s_load_dwordx4 s[28:31], s[50:51], 0x24
	s_load_dwordx8 s[0:7], s[48:49], 0x0
	s_add_u32 s50, s50, 48
	s_addc_u32 s51, s51, 0
	s_waitcnt lgkmcnt(0)
	v_mul_hi_u32 v3, s9, v1
	s_add_i32 s54, s54, 4
	s_add_u32 s48, s48, 32
	s_addc_u32 s49, s49, 0
	v_add_u32_e32 v3, v1, v3
	v_lshrrev_b32_e32 v3, s10, v3
	v_mul_lo_u32 v4, v3, s8
	v_mul_hi_u32 v5, s12, v3
	s_cmp_eq_u32 s41, s54
	v_sub_u32_e32 v1, v1, v4
	v_add_u32_e32 v4, v3, v5
	v_mul_lo_u32 v5, v1, s0
	v_mul_lo_u32 v6, v1, s1
	v_lshrrev_b32_e32 v1, s13, v4
	v_mul_lo_u32 v4, v1, s11
	v_mul_hi_u32 v8, s15, v1
	v_sub_u32_e32 v3, v3, v4
	v_add_u32_e32 v4, v1, v8
	v_lshrrev_b32_e32 v4, s28, v4
	v_mul_hi_u32 v9, s30, v4
	v_mul_lo_u32 v10, v4, s14
	v_mul_lo_u32 v8, v3, s2
	;; [unrolled: 1-line block ×3, first 2 shown]
	v_sub_u32_e32 v10, v1, v10
	v_add_u32_e32 v1, v4, v9
	v_lshrrev_b32_e32 v1, s31, v1
	v_mul_lo_u32 v9, v1, s29
	v_mul_lo_u32 v11, v10, s4
	;; [unrolled: 1-line block ×3, first 2 shown]
	v_add3_u32 v0, v5, v0, v8
	v_sub_u32_e32 v4, v4, v9
	v_mul_lo_u32 v9, v4, s6
	v_mul_lo_u32 v4, v4, s7
	v_add3_u32 v2, v6, v2, v3
	v_add3_u32 v0, v11, v0, v9
	;; [unrolled: 1-line block ×3, first 2 shown]
	s_cbranch_scc0 .LBB85_114
	s_branch .LBB85_118
.LBB85_115:
                                        ; implicit-def: $vgpr0
                                        ; implicit-def: $vgpr2
	s_branch .LBB85_122
.LBB85_116:
	v_mov_b32_e32 v0, 0
	v_mov_b32_e32 v2, 0
	s_branch .LBB85_121
.LBB85_117:
	s_mov_b32 s41, 0
	v_mov_b32_e32 v0, 0
	v_mov_b32_e32 v2, 0
	;; [unrolled: 1-line block ×3, first 2 shown]
.LBB85_118:
	s_and_b32 s4, s60, 3
	s_cmp_eq_u32 s4, 0
	s_cbranch_scc1 .LBB85_121
; %bb.119:
	s_lshl_b32 s0, s41, 3
	s_add_u32 s0, s34, s0
	s_addc_u32 s1, s35, 0
	s_add_u32 s0, s0, 0xc4
	s_addc_u32 s1, s1, 0
	s_mul_i32 s2, s41, 12
	s_add_u32 s2, s34, s2
	s_addc_u32 s3, s35, 0
.LBB85_120:                             ; =>This Inner Loop Header: Depth=1
	s_load_dwordx2 s[6:7], s[2:3], 0x4
	s_load_dword s5, s[2:3], 0xc
	s_load_dwordx2 s[8:9], s[0:1], 0x0
	s_add_u32 s2, s2, 12
	s_addc_u32 s3, s3, 0
	s_waitcnt lgkmcnt(0)
	v_mul_hi_u32 v3, s7, v1
	s_add_u32 s0, s0, 8
	s_addc_u32 s1, s1, 0
	s_add_i32 s4, s4, -1
	v_add_u32_e32 v3, v1, v3
	v_lshrrev_b32_e32 v4, s5, v3
	v_mul_lo_u32 v3, v4, s6
	s_cmp_lg_u32 s4, 0
	v_sub_u32_e32 v3, v1, v3
	v_mad_u64_u32 v[0:1], s[6:7], v3, s8, v[0:1]
	v_mad_u64_u32 v[2:3], s[6:7], v3, s9, v[2:3]
	v_mov_b32_e32 v1, v4
	s_cbranch_scc1 .LBB85_120
.LBB85_121:
	s_cbranch_execnz .LBB85_124
.LBB85_122:
	v_mul_hi_u32 v0, s21, v7
	s_andn2_b64 vcc, exec, s[46:47]
	v_add_u32_e32 v0, v7, v0
	v_lshrrev_b32_e32 v1, s22, v0
	v_mul_lo_u32 v0, v1, s20
	v_sub_u32_e32 v2, v7, v0
	v_mul_lo_u32 v0, v2, s24
	v_mul_lo_u32 v2, v2, s25
	s_cbranch_vccnz .LBB85_124
; %bb.123:
	v_mul_hi_u32 v3, s44, v1
	v_add_u32_e32 v3, v1, v3
	v_lshrrev_b32_e32 v3, s45, v3
	v_mul_lo_u32 v3, v3, s23
	v_sub_u32_e32 v3, v1, v3
	v_mad_u64_u32 v[0:1], s[0:1], v3, s26, v[0:1]
	v_mad_u64_u32 v[2:3], s[0:1], v3, s27, v[2:3]
.LBB85_124:
	global_load_dwordx2 v[1:2], v2, s[18:19]
	s_waitcnt vmcnt(0)
	v_lshlrev_b64 v[1:2], s40, v[1:2]
	v_cndmask_b32_e64 v2, v2, 0, s[42:43]
	v_cndmask_b32_e64 v1, v1, 0, s[42:43]
	global_store_dwordx2 v0, v[1:2], s[16:17]
	s_or_b64 exec, exec, s[52:53]
                                        ; implicit-def: $vgpr13
                                        ; implicit-def: $vgpr7
	s_andn2_saveexec_b64 s[0:1], s[38:39]
	s_cbranch_execz .LBB85_101
	s_branch .LBB85_8
	.section	.rodata,"a",@progbits
	.p2align	6, 0x0
	.amdhsa_kernel _ZN2at6native32elementwise_kernel_manual_unrollILi128ELi4EZNS0_22gpu_kernel_impl_nocastINS0_13BUnaryFunctorIlllZZZNS0_18lshift_kernel_cudaERNS_18TensorIteratorBaseEENKUlvE_clEvENKUlvE2_clEvEUlllE_EEEEvS5_RKT_EUlibE_EEviT1_
		.amdhsa_group_segment_fixed_size 0
		.amdhsa_private_segment_fixed_size 0
		.amdhsa_kernarg_size 368
		.amdhsa_user_sgpr_count 6
		.amdhsa_user_sgpr_private_segment_buffer 1
		.amdhsa_user_sgpr_dispatch_ptr 0
		.amdhsa_user_sgpr_queue_ptr 0
		.amdhsa_user_sgpr_kernarg_segment_ptr 1
		.amdhsa_user_sgpr_dispatch_id 0
		.amdhsa_user_sgpr_flat_scratch_init 0
		.amdhsa_user_sgpr_private_segment_size 0
		.amdhsa_uses_dynamic_stack 0
		.amdhsa_system_sgpr_private_segment_wavefront_offset 0
		.amdhsa_system_sgpr_workgroup_id_x 1
		.amdhsa_system_sgpr_workgroup_id_y 0
		.amdhsa_system_sgpr_workgroup_id_z 0
		.amdhsa_system_sgpr_workgroup_info 0
		.amdhsa_system_vgpr_workitem_id 0
		.amdhsa_next_free_vgpr 20
		.amdhsa_next_free_sgpr 63
		.amdhsa_reserve_vcc 1
		.amdhsa_reserve_flat_scratch 0
		.amdhsa_float_round_mode_32 0
		.amdhsa_float_round_mode_16_64 0
		.amdhsa_float_denorm_mode_32 3
		.amdhsa_float_denorm_mode_16_64 3
		.amdhsa_dx10_clamp 1
		.amdhsa_ieee_mode 1
		.amdhsa_fp16_overflow 0
		.amdhsa_exception_fp_ieee_invalid_op 0
		.amdhsa_exception_fp_denorm_src 0
		.amdhsa_exception_fp_ieee_div_zero 0
		.amdhsa_exception_fp_ieee_overflow 0
		.amdhsa_exception_fp_ieee_underflow 0
		.amdhsa_exception_fp_ieee_inexact 0
		.amdhsa_exception_int_div_zero 0
	.end_amdhsa_kernel
	.section	.text._ZN2at6native32elementwise_kernel_manual_unrollILi128ELi4EZNS0_22gpu_kernel_impl_nocastINS0_13BUnaryFunctorIlllZZZNS0_18lshift_kernel_cudaERNS_18TensorIteratorBaseEENKUlvE_clEvENKUlvE2_clEvEUlllE_EEEEvS5_RKT_EUlibE_EEviT1_,"axG",@progbits,_ZN2at6native32elementwise_kernel_manual_unrollILi128ELi4EZNS0_22gpu_kernel_impl_nocastINS0_13BUnaryFunctorIlllZZZNS0_18lshift_kernel_cudaERNS_18TensorIteratorBaseEENKUlvE_clEvENKUlvE2_clEvEUlllE_EEEEvS5_RKT_EUlibE_EEviT1_,comdat
.Lfunc_end85:
	.size	_ZN2at6native32elementwise_kernel_manual_unrollILi128ELi4EZNS0_22gpu_kernel_impl_nocastINS0_13BUnaryFunctorIlllZZZNS0_18lshift_kernel_cudaERNS_18TensorIteratorBaseEENKUlvE_clEvENKUlvE2_clEvEUlllE_EEEEvS5_RKT_EUlibE_EEviT1_, .Lfunc_end85-_ZN2at6native32elementwise_kernel_manual_unrollILi128ELi4EZNS0_22gpu_kernel_impl_nocastINS0_13BUnaryFunctorIlllZZZNS0_18lshift_kernel_cudaERNS_18TensorIteratorBaseEENKUlvE_clEvENKUlvE2_clEvEUlllE_EEEEvS5_RKT_EUlibE_EEviT1_
                                        ; -- End function
	.set _ZN2at6native32elementwise_kernel_manual_unrollILi128ELi4EZNS0_22gpu_kernel_impl_nocastINS0_13BUnaryFunctorIlllZZZNS0_18lshift_kernel_cudaERNS_18TensorIteratorBaseEENKUlvE_clEvENKUlvE2_clEvEUlllE_EEEEvS5_RKT_EUlibE_EEviT1_.num_vgpr, 20
	.set _ZN2at6native32elementwise_kernel_manual_unrollILi128ELi4EZNS0_22gpu_kernel_impl_nocastINS0_13BUnaryFunctorIlllZZZNS0_18lshift_kernel_cudaERNS_18TensorIteratorBaseEENKUlvE_clEvENKUlvE2_clEvEUlllE_EEEEvS5_RKT_EUlibE_EEviT1_.num_agpr, 0
	.set _ZN2at6native32elementwise_kernel_manual_unrollILi128ELi4EZNS0_22gpu_kernel_impl_nocastINS0_13BUnaryFunctorIlllZZZNS0_18lshift_kernel_cudaERNS_18TensorIteratorBaseEENKUlvE_clEvENKUlvE2_clEvEUlllE_EEEEvS5_RKT_EUlibE_EEviT1_.numbered_sgpr, 63
	.set _ZN2at6native32elementwise_kernel_manual_unrollILi128ELi4EZNS0_22gpu_kernel_impl_nocastINS0_13BUnaryFunctorIlllZZZNS0_18lshift_kernel_cudaERNS_18TensorIteratorBaseEENKUlvE_clEvENKUlvE2_clEvEUlllE_EEEEvS5_RKT_EUlibE_EEviT1_.num_named_barrier, 0
	.set _ZN2at6native32elementwise_kernel_manual_unrollILi128ELi4EZNS0_22gpu_kernel_impl_nocastINS0_13BUnaryFunctorIlllZZZNS0_18lshift_kernel_cudaERNS_18TensorIteratorBaseEENKUlvE_clEvENKUlvE2_clEvEUlllE_EEEEvS5_RKT_EUlibE_EEviT1_.private_seg_size, 0
	.set _ZN2at6native32elementwise_kernel_manual_unrollILi128ELi4EZNS0_22gpu_kernel_impl_nocastINS0_13BUnaryFunctorIlllZZZNS0_18lshift_kernel_cudaERNS_18TensorIteratorBaseEENKUlvE_clEvENKUlvE2_clEvEUlllE_EEEEvS5_RKT_EUlibE_EEviT1_.uses_vcc, 1
	.set _ZN2at6native32elementwise_kernel_manual_unrollILi128ELi4EZNS0_22gpu_kernel_impl_nocastINS0_13BUnaryFunctorIlllZZZNS0_18lshift_kernel_cudaERNS_18TensorIteratorBaseEENKUlvE_clEvENKUlvE2_clEvEUlllE_EEEEvS5_RKT_EUlibE_EEviT1_.uses_flat_scratch, 0
	.set _ZN2at6native32elementwise_kernel_manual_unrollILi128ELi4EZNS0_22gpu_kernel_impl_nocastINS0_13BUnaryFunctorIlllZZZNS0_18lshift_kernel_cudaERNS_18TensorIteratorBaseEENKUlvE_clEvENKUlvE2_clEvEUlllE_EEEEvS5_RKT_EUlibE_EEviT1_.has_dyn_sized_stack, 0
	.set _ZN2at6native32elementwise_kernel_manual_unrollILi128ELi4EZNS0_22gpu_kernel_impl_nocastINS0_13BUnaryFunctorIlllZZZNS0_18lshift_kernel_cudaERNS_18TensorIteratorBaseEENKUlvE_clEvENKUlvE2_clEvEUlllE_EEEEvS5_RKT_EUlibE_EEviT1_.has_recursion, 0
	.set _ZN2at6native32elementwise_kernel_manual_unrollILi128ELi4EZNS0_22gpu_kernel_impl_nocastINS0_13BUnaryFunctorIlllZZZNS0_18lshift_kernel_cudaERNS_18TensorIteratorBaseEENKUlvE_clEvENKUlvE2_clEvEUlllE_EEEEvS5_RKT_EUlibE_EEviT1_.has_indirect_call, 0
	.section	.AMDGPU.csdata,"",@progbits
; Kernel info:
; codeLenInByte = 5860
; TotalNumSgprs: 67
; NumVgprs: 20
; ScratchSize: 0
; MemoryBound: 0
; FloatMode: 240
; IeeeMode: 1
; LDSByteSize: 0 bytes/workgroup (compile time only)
; SGPRBlocks: 8
; VGPRBlocks: 4
; NumSGPRsForWavesPerEU: 67
; NumVGPRsForWavesPerEU: 20
; Occupancy: 10
; WaveLimiterHint : 1
; COMPUTE_PGM_RSRC2:SCRATCH_EN: 0
; COMPUTE_PGM_RSRC2:USER_SGPR: 6
; COMPUTE_PGM_RSRC2:TRAP_HANDLER: 0
; COMPUTE_PGM_RSRC2:TGID_X_EN: 1
; COMPUTE_PGM_RSRC2:TGID_Y_EN: 0
; COMPUTE_PGM_RSRC2:TGID_Z_EN: 0
; COMPUTE_PGM_RSRC2:TIDIG_COMP_CNT: 0
	.section	.text._ZN2at6native32elementwise_kernel_manual_unrollILi128ELi4EZNS0_15gpu_kernel_implINS0_13BUnaryFunctorIlllZZZNS0_18lshift_kernel_cudaERNS_18TensorIteratorBaseEENKUlvE_clEvENKUlvE2_clEvEUlllE_EEEEvS5_RKT_EUlibE_EEviT1_,"axG",@progbits,_ZN2at6native32elementwise_kernel_manual_unrollILi128ELi4EZNS0_15gpu_kernel_implINS0_13BUnaryFunctorIlllZZZNS0_18lshift_kernel_cudaERNS_18TensorIteratorBaseEENKUlvE_clEvENKUlvE2_clEvEUlllE_EEEEvS5_RKT_EUlibE_EEviT1_,comdat
	.globl	_ZN2at6native32elementwise_kernel_manual_unrollILi128ELi4EZNS0_15gpu_kernel_implINS0_13BUnaryFunctorIlllZZZNS0_18lshift_kernel_cudaERNS_18TensorIteratorBaseEENKUlvE_clEvENKUlvE2_clEvEUlllE_EEEEvS5_RKT_EUlibE_EEviT1_ ; -- Begin function _ZN2at6native32elementwise_kernel_manual_unrollILi128ELi4EZNS0_15gpu_kernel_implINS0_13BUnaryFunctorIlllZZZNS0_18lshift_kernel_cudaERNS_18TensorIteratorBaseEENKUlvE_clEvENKUlvE2_clEvEUlllE_EEEEvS5_RKT_EUlibE_EEviT1_
	.p2align	8
	.type	_ZN2at6native32elementwise_kernel_manual_unrollILi128ELi4EZNS0_15gpu_kernel_implINS0_13BUnaryFunctorIlllZZZNS0_18lshift_kernel_cudaERNS_18TensorIteratorBaseEENKUlvE_clEvENKUlvE2_clEvEUlllE_EEEEvS5_RKT_EUlibE_EEviT1_,@function
_ZN2at6native32elementwise_kernel_manual_unrollILi128ELi4EZNS0_15gpu_kernel_implINS0_13BUnaryFunctorIlllZZZNS0_18lshift_kernel_cudaERNS_18TensorIteratorBaseEENKUlvE_clEvENKUlvE2_clEvEUlllE_EEEEvS5_RKT_EUlibE_EEviT1_: ; @_ZN2at6native32elementwise_kernel_manual_unrollILi128ELi4EZNS0_15gpu_kernel_implINS0_13BUnaryFunctorIlllZZZNS0_18lshift_kernel_cudaERNS_18TensorIteratorBaseEENKUlvE_clEvENKUlvE2_clEvEUlllE_EEEEvS5_RKT_EUlibE_EEviT1_
; %bb.0:
	s_load_dword s33, s[4:5], 0x30
	s_load_dwordx2 s[12:13], s[4:5], 0x18
	s_load_dwordx2 s[2:3], s[4:5], 0x28
	s_load_dword s42, s[4:5], 0x0
	s_load_dwordx4 s[8:11], s[4:5], 0x8
	v_lshl_or_b32 v10, s6, 9, v0
	v_or_b32_e32 v0, 0x180, v10
	s_waitcnt lgkmcnt(0)
	s_bfe_u32 s46, s33, 0x80008
	v_cmp_le_i32_e32 vcc, s42, v0
	s_mov_b64 s[4:5], 0
	s_mov_b64 s[14:15], 0
	s_and_saveexec_b64 s[0:1], vcc
	s_xor_b64 s[6:7], exec, s[0:1]
	s_cbranch_execz .LBB86_1011
; %bb.1:
	v_cmp_gt_u64_e64 s[14:15], s[2:3], 63
	v_cmp_gt_i32_e32 vcc, s42, v10
	s_mov_b64 s[22:23], -1
	s_mov_b64 s[24:25], 0
	s_mov_b64 s[18:19], 0
	;; [unrolled: 1-line block ×3, first 2 shown]
	s_and_saveexec_b64 s[20:21], vcc
	s_cbranch_execz .LBB86_248
; %bb.2:
	v_mul_lo_u32 v0, v10, s13
	v_mov_b32_e32 v1, s11
	s_and_b32 s22, 0xffff, s46
	s_cmp_lt_i32 s22, 11
	v_ashrrev_i32_e32 v2, 31, v0
	v_add_co_u32_e32 v0, vcc, s10, v0
	v_addc_co_u32_e32 v1, vcc, v1, v2, vcc
	s_cbranch_scc1 .LBB86_9
; %bb.3:
	s_cmp_gt_i32 s22, 25
	s_cbranch_scc0 .LBB86_18
; %bb.4:
	s_cmp_gt_i32 s22, 28
	s_cbranch_scc0 .LBB86_22
	;; [unrolled: 3-line block ×4, first 2 shown]
; %bb.7:
	s_cmp_eq_u32 s22, 46
	s_cbranch_scc0 .LBB86_28
; %bb.8:
	global_load_dword v2, v[0:1], off
	s_mov_b32 s0, 0x2f800000
	s_mov_b32 s1, 0xcf800000
	s_waitcnt vmcnt(0)
	v_lshlrev_b32_e32 v2, 16, v2
	v_trunc_f32_e32 v2, v2
	v_mul_f32_e64 v3, |v2|, s0
	v_floor_f32_e32 v3, v3
	v_fma_f32 v4, v3, s1, |v2|
	v_cvt_u32_f32_e32 v4, v4
	v_cvt_u32_f32_e32 v3, v3
	v_ashrrev_i32_e32 v5, 31, v2
	s_mov_b64 s[0:1], -1
	v_xor_b32_e32 v2, v4, v5
	v_xor_b32_e32 v3, v3, v5
	v_sub_co_u32_e32 v2, vcc, v2, v5
	v_subb_co_u32_e32 v3, vcc, v3, v5, vcc
	s_branch .LBB86_30
.LBB86_9:
                                        ; implicit-def: $vgpr2_vgpr3
	s_mov_b64 s[0:1], 0
	s_cbranch_execnz .LBB86_199
.LBB86_10:
	s_andn2_b64 vcc, exec, s[0:1]
	s_cbranch_vccnz .LBB86_246
.LBB86_11:
	s_waitcnt vmcnt(0)
	v_lshlrev_b64 v[0:1], s2, v[2:3]
	v_mul_lo_u32 v2, v10, s12
	v_mov_b32_e32 v4, s9
	s_and_b32 s28, s33, 0xff
	v_cndmask_b32_e64 v1, v1, 0, s[14:15]
	v_ashrrev_i32_e32 v3, 31, v2
	v_add_co_u32_e32 v2, vcc, s8, v2
	v_cndmask_b32_e64 v0, v0, 0, s[14:15]
	s_cmp_lt_i32 s28, 11
	v_addc_co_u32_e32 v3, vcc, v4, v3, vcc
	s_cbranch_scc1 .LBB86_19
; %bb.12:
	s_and_b32 s29, 0xffff, s28
	s_cmp_gt_i32 s29, 25
	s_cbranch_scc0 .LBB86_23
; %bb.13:
	s_cmp_gt_i32 s29, 28
	s_cbranch_scc0 .LBB86_25
; %bb.14:
	;; [unrolled: 3-line block ×4, first 2 shown]
	s_mov_b64 s[22:23], 0
	s_mov_b64 s[0:1], -1
	s_cmp_eq_u32 s29, 46
	s_mov_b64 s[16:17], 0
	s_cbranch_scc0 .LBB86_34
; %bb.17:
	v_xor_b32_e32 v5, v0, v1
	v_ffbh_i32_e32 v4, v1
	v_ashrrev_i32_e32 v5, 31, v5
	v_add_u32_e32 v4, -1, v4
	v_add_u32_e32 v5, 32, v5
	v_min_u32_e32 v6, v4, v5
	v_lshlrev_b64 v[4:5], v6, v[0:1]
	s_movk_i32 s0, 0x7fff
	v_min_u32_e32 v4, 1, v4
	v_or_b32_e32 v4, v5, v4
	v_cvt_f32_i32_e32 v4, v4
	v_sub_u32_e32 v5, 32, v6
	s_mov_b64 s[16:17], -1
	v_ldexp_f32 v4, v4, v5
	v_bfe_u32 v5, v4, 16, 1
	v_add3_u32 v4, v4, v5, s0
	v_lshrrev_b32_e32 v4, 16, v4
	global_store_dword v[2:3], v4, off
	s_mov_b64 s[0:1], 0
	s_branch .LBB86_34
.LBB86_18:
	s_mov_b64 s[0:1], 0
                                        ; implicit-def: $vgpr2_vgpr3
	s_cbranch_execnz .LBB86_168
	s_branch .LBB86_198
.LBB86_19:
	s_mov_b64 s[0:1], 0
	s_mov_b64 s[16:17], 0
	s_cbranch_execnz .LBB86_103
.LBB86_20:
	s_andn2_b64 vcc, exec, s[16:17]
	s_cbranch_vccnz .LBB86_141
.LBB86_21:
	v_add_u32_e32 v10, 0x80, v10
	s_mov_b64 s[22:23], -1
	s_branch .LBB86_247
.LBB86_22:
	s_mov_b64 s[16:17], -1
	s_mov_b64 s[0:1], 0
                                        ; implicit-def: $vgpr2_vgpr3
	s_branch .LBB86_149
.LBB86_23:
	s_mov_b64 s[22:23], -1
	s_mov_b64 s[0:1], 0
	s_mov_b64 s[16:17], 0
	s_branch .LBB86_61
.LBB86_24:
	s_mov_b64 s[16:17], -1
	s_mov_b64 s[0:1], 0
                                        ; implicit-def: $vgpr2_vgpr3
	s_branch .LBB86_144
.LBB86_25:
	s_mov_b64 s[22:23], -1
	s_mov_b64 s[0:1], 0
	s_mov_b64 s[16:17], 0
	s_branch .LBB86_44
.LBB86_26:
	s_mov_b64 s[16:17], -1
	s_branch .LBB86_29
.LBB86_27:
	s_mov_b64 s[22:23], -1
	s_mov_b64 s[0:1], 0
	s_mov_b64 s[16:17], 0
	s_branch .LBB86_40
.LBB86_28:
	s_mov_b64 s[18:19], -1
.LBB86_29:
	s_mov_b64 s[0:1], 0
                                        ; implicit-def: $vgpr2_vgpr3
.LBB86_30:
	s_and_b64 vcc, exec, s[16:17]
	s_cbranch_vccz .LBB86_143
; %bb.31:
	s_cmp_eq_u32 s22, 44
	s_cbranch_scc0 .LBB86_142
; %bb.32:
	global_load_ubyte v2, v[0:1], off
	s_mov_b32 s0, 0x2f800000
	s_mov_b32 s1, 0xcf800000
	s_mov_b64 s[18:19], 0
	s_waitcnt vmcnt(0)
	v_lshlrev_b32_e32 v3, 23, v2
	v_trunc_f32_e32 v3, v3
	v_mul_f32_e64 v4, |v3|, s0
	v_floor_f32_e32 v4, v4
	v_fma_f32 v5, v4, s1, |v3|
	v_cvt_u32_f32_e32 v5, v5
	v_cvt_u32_f32_e32 v4, v4
	v_ashrrev_i32_e32 v3, 31, v3
	s_mov_b64 s[0:1], -1
	v_xor_b32_e32 v5, v5, v3
	v_xor_b32_e32 v4, v4, v3
	v_sub_co_u32_e32 v5, vcc, v5, v3
	v_subb_co_u32_e32 v3, vcc, v4, v3, vcc
	v_cmp_ne_u32_e32 vcc, 0, v2
	v_cndmask_b32_e32 v3, 0, v3, vcc
	v_cndmask_b32_e32 v2, 0, v5, vcc
	s_branch .LBB86_143
.LBB86_33:
	s_mov_b64 s[22:23], -1
	s_mov_b64 s[0:1], 0
	s_mov_b64 s[16:17], 0
.LBB86_34:
	s_and_b64 vcc, exec, s[22:23]
	s_cbranch_vccz .LBB86_39
; %bb.35:
	s_cmp_eq_u32 s29, 44
	s_mov_b64 s[0:1], -1
	s_cbranch_scc0 .LBB86_39
; %bb.36:
	v_xor_b32_e32 v5, v0, v1
	v_ffbh_i32_e32 v4, v1
	v_ashrrev_i32_e32 v5, 31, v5
	v_add_u32_e32 v4, -1, v4
	v_add_u32_e32 v5, 32, v5
	v_min_u32_e32 v6, v4, v5
	v_lshlrev_b64 v[4:5], v6, v[0:1]
	s_movk_i32 s0, 0xff
	v_min_u32_e32 v4, 1, v4
	v_or_b32_e32 v4, v5, v4
	v_cvt_f32_i32_e32 v4, v4
	v_sub_u32_e32 v5, 32, v6
	v_mov_b32_e32 v6, 0xff
	v_ldexp_f32 v4, v4, v5
	v_bfe_u32 v5, v4, 23, 8
	v_cmp_ne_u32_e32 vcc, s0, v5
	s_and_saveexec_b64 s[16:17], vcc
; %bb.37:
	s_mov_b32 s0, 0x3fffff
	v_lshrrev_b32_e32 v6, 23, v4
	v_and_b32_e32 v7, 0x400000, v4
	v_and_or_b32 v4, v4, s0, v5
	v_cmp_ne_u32_e32 vcc, 0, v7
	v_cmp_ne_u32_e64 s[0:1], 0, v4
	s_and_b64 s[0:1], vcc, s[0:1]
	v_cndmask_b32_e64 v4, 0, 1, s[0:1]
	v_add_u32_e32 v6, v6, v4
; %bb.38:
	s_or_b64 exec, exec, s[16:17]
	s_mov_b64 s[16:17], -1
	s_mov_b64 s[0:1], 0
	global_store_byte v[2:3], v6, off
.LBB86_39:
	s_mov_b64 s[22:23], 0
.LBB86_40:
	s_and_b64 vcc, exec, s[22:23]
	s_cbranch_vccz .LBB86_43
; %bb.41:
	s_cmp_eq_u32 s29, 29
	s_mov_b64 s[0:1], -1
	s_cbranch_scc0 .LBB86_43
; %bb.42:
	global_store_dwordx2 v[2:3], v[0:1], off
	s_mov_b64 s[16:17], -1
	s_mov_b64 s[0:1], 0
.LBB86_43:
	s_mov_b64 s[22:23], 0
.LBB86_44:
	s_and_b64 vcc, exec, s[22:23]
	s_cbranch_vccz .LBB86_60
; %bb.45:
	s_cmp_lt_i32 s29, 27
	s_mov_b64 s[16:17], -1
	s_cbranch_scc1 .LBB86_51
; %bb.46:
	s_cmp_gt_i32 s29, 27
	s_cbranch_scc0 .LBB86_48
; %bb.47:
	s_mov_b64 s[16:17], 0
	global_store_dword v[2:3], v0, off
.LBB86_48:
	s_andn2_b64 vcc, exec, s[16:17]
	s_cbranch_vccnz .LBB86_50
; %bb.49:
	global_store_short v[2:3], v0, off
.LBB86_50:
	s_mov_b64 s[16:17], 0
.LBB86_51:
	s_andn2_b64 vcc, exec, s[16:17]
	s_cbranch_vccnz .LBB86_59
; %bb.52:
	v_xor_b32_e32 v5, v0, v1
	v_ffbh_i32_e32 v4, v1
	v_ashrrev_i32_e32 v5, 31, v5
	v_add_u32_e32 v4, -1, v4
	v_add_u32_e32 v5, 32, v5
	v_min_u32_e32 v6, v4, v5
	v_lshlrev_b64 v[4:5], v6, v[0:1]
	s_mov_b32 s16, 0x43800000
	v_min_u32_e32 v4, 1, v4
	v_or_b32_e32 v4, v5, v4
	v_cvt_f32_i32_e32 v4, v4
	v_sub_u32_e32 v5, 32, v6
	v_mov_b32_e32 v6, 0x80
	v_ldexp_f32 v4, v4, v5
	v_and_b32_e32 v5, 0x7fffffff, v4
	v_cmp_gt_u32_e32 vcc, s16, v5
	s_and_saveexec_b64 s[16:17], vcc
	s_cbranch_execz .LBB86_58
; %bb.53:
	s_mov_b32 s22, 0x3bffffff
	v_cmp_lt_u32_e32 vcc, s22, v5
	s_mov_b64 s[22:23], 0
                                        ; implicit-def: $vgpr5
	s_and_saveexec_b64 s[26:27], vcc
	s_xor_b64 s[26:27], exec, s[26:27]
	s_cbranch_execz .LBB86_275
; %bb.54:
	v_bfe_u32 v5, v4, 20, 1
	s_mov_b32 s30, 0x487ffff
	v_add3_u32 v5, v4, v5, s30
	s_mov_b64 s[22:23], exec
	v_lshrrev_b32_e32 v5, 20, v5
	s_andn2_saveexec_b64 s[26:27], s[26:27]
	s_cbranch_execnz .LBB86_276
.LBB86_55:
	s_or_b64 exec, exec, s[26:27]
	v_mov_b32_e32 v6, 0
	s_and_saveexec_b64 s[26:27], s[22:23]
.LBB86_56:
	v_lshrrev_b32_e32 v4, 24, v4
	s_movk_i32 s22, 0x80
	v_and_or_b32 v6, v4, s22, v5
.LBB86_57:
	s_or_b64 exec, exec, s[26:27]
.LBB86_58:
	s_or_b64 exec, exec, s[16:17]
	global_store_byte v[2:3], v6, off
.LBB86_59:
	s_mov_b64 s[16:17], -1
.LBB86_60:
	s_mov_b64 s[22:23], 0
.LBB86_61:
	s_and_b64 vcc, exec, s[22:23]
	s_cbranch_vccz .LBB86_102
; %bb.62:
	s_cmp_gt_i32 s29, 22
	s_mov_b64 s[22:23], -1
	s_cbranch_scc0 .LBB86_94
; %bb.63:
	s_cmp_lt_i32 s29, 24
	s_mov_b64 s[16:17], -1
	s_cbranch_scc1 .LBB86_83
; %bb.64:
	s_cmp_gt_i32 s29, 24
	s_cbranch_scc0 .LBB86_72
; %bb.65:
	v_xor_b32_e32 v5, v0, v1
	v_ffbh_i32_e32 v4, v1
	v_ashrrev_i32_e32 v5, 31, v5
	v_add_u32_e32 v4, -1, v4
	v_add_u32_e32 v5, 32, v5
	v_min_u32_e32 v6, v4, v5
	v_lshlrev_b64 v[4:5], v6, v[0:1]
	s_mov_b32 s16, 0x47800000
	v_min_u32_e32 v4, 1, v4
	v_or_b32_e32 v4, v5, v4
	v_cvt_f32_i32_e32 v4, v4
	v_sub_u32_e32 v5, 32, v6
	v_mov_b32_e32 v6, 0x80
	v_ldexp_f32 v4, v4, v5
	v_and_b32_e32 v5, 0x7fffffff, v4
	v_cmp_gt_u32_e32 vcc, s16, v5
	s_and_saveexec_b64 s[16:17], vcc
	s_cbranch_execz .LBB86_71
; %bb.66:
	s_mov_b32 s22, 0x37ffffff
	v_cmp_lt_u32_e32 vcc, s22, v5
	s_mov_b64 s[22:23], 0
                                        ; implicit-def: $vgpr5
	s_and_saveexec_b64 s[26:27], vcc
	s_xor_b64 s[26:27], exec, s[26:27]
	s_cbranch_execz .LBB86_279
; %bb.67:
	v_bfe_u32 v5, v4, 21, 1
	s_mov_b32 s30, 0x88fffff
	v_add3_u32 v5, v4, v5, s30
	s_mov_b64 s[22:23], exec
	v_lshrrev_b32_e32 v5, 21, v5
	s_andn2_saveexec_b64 s[26:27], s[26:27]
	s_cbranch_execnz .LBB86_280
.LBB86_68:
	s_or_b64 exec, exec, s[26:27]
	v_mov_b32_e32 v6, 0
	s_and_saveexec_b64 s[26:27], s[22:23]
.LBB86_69:
	v_lshrrev_b32_e32 v4, 24, v4
	s_movk_i32 s22, 0x80
	v_and_or_b32 v6, v4, s22, v5
.LBB86_70:
	s_or_b64 exec, exec, s[26:27]
.LBB86_71:
	s_or_b64 exec, exec, s[16:17]
	s_mov_b64 s[16:17], 0
	global_store_byte v[2:3], v6, off
.LBB86_72:
	s_and_b64 vcc, exec, s[16:17]
	s_cbranch_vccz .LBB86_82
; %bb.73:
	v_xor_b32_e32 v5, v0, v1
	v_ffbh_i32_e32 v4, v1
	v_ashrrev_i32_e32 v5, 31, v5
	v_add_u32_e32 v4, -1, v4
	v_add_u32_e32 v5, 32, v5
	v_min_u32_e32 v6, v4, v5
	v_lshlrev_b64 v[4:5], v6, v[0:1]
	s_mov_b32 s16, 0x43f00000
	v_min_u32_e32 v4, 1, v4
	v_or_b32_e32 v4, v5, v4
	v_cvt_f32_i32_e32 v4, v4
	v_sub_u32_e32 v5, 32, v6
	v_ldexp_f32 v4, v4, v5
	v_and_b32_e32 v6, 0x7fffffff, v4
	v_cmp_gt_u32_e32 vcc, s16, v6
                                        ; implicit-def: $vgpr5
	s_and_saveexec_b64 s[16:17], vcc
	s_xor_b64 s[16:17], exec, s[16:17]
	s_cbranch_execz .LBB86_79
; %bb.74:
	s_mov_b32 s22, 0x3c7fffff
	v_cmp_lt_u32_e32 vcc, s22, v6
                                        ; implicit-def: $vgpr5
	s_and_saveexec_b64 s[22:23], vcc
	s_xor_b64 s[22:23], exec, s[22:23]
; %bb.75:
	v_bfe_u32 v5, v4, 20, 1
	s_mov_b32 s26, 0x407ffff
	v_add3_u32 v5, v4, v5, s26
	v_lshrrev_b32_e32 v6, 20, v5
	v_and_b32_e32 v5, 0xff00000, v5
	s_mov_b32 s26, 0x7f00000
	v_mov_b32_e32 v7, 0x7e
	v_cmp_ne_u32_e32 vcc, s26, v5
	v_cndmask_b32_e32 v5, v7, v6, vcc
; %bb.76:
	s_andn2_saveexec_b64 s[22:23], s[22:23]
; %bb.77:
	s_mov_b32 s26, 0x46800000
	v_add_f32_e64 v5, |v4|, s26
; %bb.78:
	s_or_b64 exec, exec, s[22:23]
                                        ; implicit-def: $vgpr6
.LBB86_79:
	s_andn2_saveexec_b64 s[16:17], s[16:17]
; %bb.80:
	s_mov_b32 s22, 0x7f800000
	v_mov_b32_e32 v5, 0x7e
	v_mov_b32_e32 v7, 0x7f
	v_cmp_lt_u32_e32 vcc, s22, v6
	v_cndmask_b32_e32 v5, v5, v7, vcc
; %bb.81:
	s_or_b64 exec, exec, s[16:17]
	v_lshrrev_b32_e32 v4, 24, v4
	s_movk_i32 s16, 0x80
	v_and_or_b32 v4, v4, s16, v5
	global_store_byte v[2:3], v4, off
.LBB86_82:
	s_mov_b64 s[16:17], 0
.LBB86_83:
	s_andn2_b64 vcc, exec, s[16:17]
	s_cbranch_vccnz .LBB86_93
; %bb.84:
	v_xor_b32_e32 v5, v0, v1
	v_ffbh_i32_e32 v4, v1
	v_ashrrev_i32_e32 v5, 31, v5
	v_add_u32_e32 v4, -1, v4
	v_add_u32_e32 v5, 32, v5
	v_min_u32_e32 v6, v4, v5
	v_lshlrev_b64 v[4:5], v6, v[0:1]
	s_mov_b32 s16, 0x47800000
	v_min_u32_e32 v4, 1, v4
	v_or_b32_e32 v4, v5, v4
	v_cvt_f32_i32_e32 v4, v4
	v_sub_u32_e32 v5, 32, v6
	v_ldexp_f32 v4, v4, v5
	v_and_b32_e32 v6, 0x7fffffff, v4
	v_cmp_gt_u32_e32 vcc, s16, v6
                                        ; implicit-def: $vgpr5
	s_and_saveexec_b64 s[16:17], vcc
	s_xor_b64 s[16:17], exec, s[16:17]
	s_cbranch_execz .LBB86_90
; %bb.85:
	s_mov_b32 s22, 0x387fffff
	v_cmp_lt_u32_e32 vcc, s22, v6
                                        ; implicit-def: $vgpr5
	s_and_saveexec_b64 s[22:23], vcc
	s_xor_b64 s[22:23], exec, s[22:23]
; %bb.86:
	v_bfe_u32 v5, v4, 21, 1
	s_mov_b32 s26, 0x80fffff
	v_add3_u32 v5, v4, v5, s26
	v_lshrrev_b32_e32 v5, 21, v5
; %bb.87:
	s_andn2_saveexec_b64 s[22:23], s[22:23]
; %bb.88:
	s_mov_b32 s26, 0x43000000
	v_add_f32_e64 v5, |v4|, s26
; %bb.89:
	s_or_b64 exec, exec, s[22:23]
                                        ; implicit-def: $vgpr6
.LBB86_90:
	s_andn2_saveexec_b64 s[16:17], s[16:17]
; %bb.91:
	s_mov_b32 s22, 0x7f800000
	v_mov_b32_e32 v5, 0x7c
	v_mov_b32_e32 v7, 0x7f
	v_cmp_lt_u32_e32 vcc, s22, v6
	v_cndmask_b32_e32 v5, v5, v7, vcc
; %bb.92:
	s_or_b64 exec, exec, s[16:17]
	v_lshrrev_b32_e32 v4, 24, v4
	s_movk_i32 s16, 0x80
	v_and_or_b32 v4, v4, s16, v5
	global_store_byte v[2:3], v4, off
.LBB86_93:
	s_mov_b64 s[22:23], 0
	s_mov_b64 s[16:17], -1
.LBB86_94:
	s_andn2_b64 vcc, exec, s[22:23]
	s_cbranch_vccnz .LBB86_102
; %bb.95:
	s_cmp_gt_i32 s29, 14
	s_mov_b64 s[22:23], -1
	s_cbranch_scc0 .LBB86_99
; %bb.96:
	s_cmp_eq_u32 s29, 15
	s_mov_b64 s[0:1], -1
	s_cbranch_scc0 .LBB86_98
; %bb.97:
	v_xor_b32_e32 v5, v0, v1
	v_ffbh_i32_e32 v4, v1
	v_ashrrev_i32_e32 v5, 31, v5
	v_add_u32_e32 v4, -1, v4
	v_add_u32_e32 v5, 32, v5
	v_min_u32_e32 v6, v4, v5
	v_lshlrev_b64 v[4:5], v6, v[0:1]
	s_movk_i32 s0, 0x7fff
	v_min_u32_e32 v4, 1, v4
	v_or_b32_e32 v4, v5, v4
	v_cvt_f32_i32_e32 v4, v4
	v_sub_u32_e32 v5, 32, v6
	s_mov_b64 s[16:17], -1
	v_ldexp_f32 v4, v4, v5
	v_bfe_u32 v5, v4, 16, 1
	v_add3_u32 v4, v4, v5, s0
	global_store_short_d16_hi v[2:3], v4, off
	s_mov_b64 s[0:1], 0
.LBB86_98:
	s_mov_b64 s[22:23], 0
.LBB86_99:
	s_and_b64 vcc, exec, s[22:23]
	s_cbranch_vccz .LBB86_102
; %bb.100:
	s_cmp_eq_u32 s29, 11
	s_mov_b64 s[0:1], -1
	s_cbranch_scc0 .LBB86_102
; %bb.101:
	v_cmp_ne_u64_e32 vcc, 0, v[0:1]
	s_mov_b64 s[0:1], 0
	v_cndmask_b32_e64 v4, 0, 1, vcc
	s_mov_b64 s[16:17], -1
	global_store_byte v[2:3], v4, off
.LBB86_102:
	s_branch .LBB86_20
.LBB86_103:
	s_and_b32 s22, 0xffff, s28
	s_cmp_lt_i32 s22, 5
	s_mov_b64 s[16:17], -1
	s_cbranch_scc1 .LBB86_124
; %bb.104:
	s_cmp_lt_i32 s22, 8
	s_cbranch_scc1 .LBB86_114
; %bb.105:
	s_cmp_lt_i32 s22, 9
	s_cbranch_scc1 .LBB86_111
; %bb.106:
	s_cmp_gt_i32 s22, 9
	s_cbranch_scc0 .LBB86_108
; %bb.107:
	v_cvt_f64_i32_e32 v[4:5], v1
	v_cvt_f64_u32_e32 v[6:7], v0
	s_mov_b64 s[16:17], 0
	v_ldexp_f64 v[4:5], v[4:5], 32
	v_add_f64 v[4:5], v[4:5], v[6:7]
	v_mov_b32_e32 v6, 0
	v_mov_b32_e32 v7, v6
	global_store_dwordx4 v[2:3], v[4:7], off
.LBB86_108:
	s_andn2_b64 vcc, exec, s[16:17]
	s_cbranch_vccnz .LBB86_110
; %bb.109:
	v_xor_b32_e32 v5, v0, v1
	v_ffbh_i32_e32 v4, v1
	v_ashrrev_i32_e32 v5, 31, v5
	v_add_u32_e32 v4, -1, v4
	v_add_u32_e32 v5, 32, v5
	v_min_u32_e32 v6, v4, v5
	v_lshlrev_b64 v[4:5], v6, v[0:1]
	v_min_u32_e32 v4, 1, v4
	v_or_b32_e32 v4, v5, v4
	v_cvt_f32_i32_e32 v4, v4
	v_sub_u32_e32 v5, 32, v6
	v_ldexp_f32 v4, v4, v5
	v_mov_b32_e32 v5, 0
	global_store_dwordx2 v[2:3], v[4:5], off
.LBB86_110:
	s_mov_b64 s[16:17], 0
.LBB86_111:
	s_andn2_b64 vcc, exec, s[16:17]
	s_cbranch_vccnz .LBB86_113
; %bb.112:
	v_xor_b32_e32 v5, v0, v1
	v_ffbh_i32_e32 v4, v1
	v_ashrrev_i32_e32 v5, 31, v5
	v_add_u32_e32 v4, -1, v4
	v_add_u32_e32 v5, 32, v5
	v_min_u32_e32 v6, v4, v5
	v_lshlrev_b64 v[4:5], v6, v[0:1]
	v_min_u32_e32 v4, 1, v4
	v_or_b32_e32 v4, v5, v4
	v_cvt_f32_i32_e32 v4, v4
	v_sub_u32_e32 v5, 32, v6
	v_ldexp_f32 v4, v4, v5
	v_cvt_f16_f32_e32 v4, v4
	global_store_dword v[2:3], v4, off
.LBB86_113:
	s_mov_b64 s[16:17], 0
.LBB86_114:
	s_andn2_b64 vcc, exec, s[16:17]
	s_cbranch_vccnz .LBB86_123
; %bb.115:
	s_cmp_lt_i32 s22, 6
	s_mov_b64 s[16:17], -1
	s_cbranch_scc1 .LBB86_121
; %bb.116:
	s_cmp_gt_i32 s22, 6
	s_cbranch_scc0 .LBB86_118
; %bb.117:
	v_cvt_f64_i32_e32 v[4:5], v1
	v_cvt_f64_u32_e32 v[6:7], v0
	s_mov_b64 s[16:17], 0
	v_ldexp_f64 v[4:5], v[4:5], 32
	v_add_f64 v[4:5], v[4:5], v[6:7]
	global_store_dwordx2 v[2:3], v[4:5], off
.LBB86_118:
	s_andn2_b64 vcc, exec, s[16:17]
	s_cbranch_vccnz .LBB86_120
; %bb.119:
	v_xor_b32_e32 v5, v0, v1
	v_ffbh_i32_e32 v4, v1
	v_ashrrev_i32_e32 v5, 31, v5
	v_add_u32_e32 v4, -1, v4
	v_add_u32_e32 v5, 32, v5
	v_min_u32_e32 v6, v4, v5
	v_lshlrev_b64 v[4:5], v6, v[0:1]
	v_min_u32_e32 v4, 1, v4
	v_or_b32_e32 v4, v5, v4
	v_cvt_f32_i32_e32 v4, v4
	v_sub_u32_e32 v5, 32, v6
	v_ldexp_f32 v4, v4, v5
	global_store_dword v[2:3], v4, off
.LBB86_120:
	s_mov_b64 s[16:17], 0
.LBB86_121:
	s_andn2_b64 vcc, exec, s[16:17]
	s_cbranch_vccnz .LBB86_123
; %bb.122:
	v_xor_b32_e32 v5, v0, v1
	v_ffbh_i32_e32 v4, v1
	v_ashrrev_i32_e32 v5, 31, v5
	v_add_u32_e32 v4, -1, v4
	v_add_u32_e32 v5, 32, v5
	v_min_u32_e32 v6, v4, v5
	v_lshlrev_b64 v[4:5], v6, v[0:1]
	v_min_u32_e32 v4, 1, v4
	v_or_b32_e32 v4, v5, v4
	v_cvt_f32_i32_e32 v4, v4
	v_sub_u32_e32 v5, 32, v6
	v_ldexp_f32 v4, v4, v5
	v_cvt_f16_f32_e32 v4, v4
	global_store_short v[2:3], v4, off
.LBB86_123:
	s_mov_b64 s[16:17], 0
.LBB86_124:
	s_andn2_b64 vcc, exec, s[16:17]
	s_cbranch_vccnz .LBB86_140
; %bb.125:
	s_cmp_lt_i32 s22, 2
	s_mov_b64 s[16:17], -1
	s_cbranch_scc1 .LBB86_135
; %bb.126:
	s_cmp_lt_i32 s22, 3
	s_cbranch_scc1 .LBB86_132
; %bb.127:
	s_cmp_gt_i32 s22, 3
	s_cbranch_scc0 .LBB86_129
; %bb.128:
	global_store_dwordx2 v[2:3], v[0:1], off
	s_mov_b64 s[16:17], 0
.LBB86_129:
	s_andn2_b64 vcc, exec, s[16:17]
	s_cbranch_vccnz .LBB86_131
; %bb.130:
	global_store_dword v[2:3], v0, off
.LBB86_131:
	s_mov_b64 s[16:17], 0
.LBB86_132:
	s_andn2_b64 vcc, exec, s[16:17]
	s_cbranch_vccnz .LBB86_134
; %bb.133:
	global_store_short v[2:3], v0, off
.LBB86_134:
	s_mov_b64 s[16:17], 0
.LBB86_135:
	s_andn2_b64 vcc, exec, s[16:17]
	s_cbranch_vccnz .LBB86_140
; %bb.136:
	s_cmp_gt_i32 s22, 0
	s_mov_b64 s[16:17], -1
	s_cbranch_scc0 .LBB86_138
; %bb.137:
	global_store_byte v[2:3], v0, off
	s_mov_b64 s[16:17], 0
.LBB86_138:
	s_andn2_b64 vcc, exec, s[16:17]
	s_cbranch_vccnz .LBB86_140
; %bb.139:
	global_store_byte v[2:3], v0, off
.LBB86_140:
	s_branch .LBB86_21
.LBB86_141:
	s_mov_b64 s[22:23], 0
                                        ; implicit-def: $vgpr10
	s_branch .LBB86_247
.LBB86_142:
	s_mov_b64 s[18:19], -1
                                        ; implicit-def: $vgpr2_vgpr3
.LBB86_143:
	s_mov_b64 s[16:17], 0
.LBB86_144:
	s_and_b64 vcc, exec, s[16:17]
	s_cbranch_vccz .LBB86_148
; %bb.145:
	s_cmp_eq_u32 s22, 29
	s_cbranch_scc0 .LBB86_147
; %bb.146:
	global_load_dwordx2 v[2:3], v[0:1], off
	s_mov_b64 s[0:1], -1
	s_mov_b64 s[18:19], 0
	s_branch .LBB86_148
.LBB86_147:
	s_mov_b64 s[18:19], -1
                                        ; implicit-def: $vgpr2_vgpr3
.LBB86_148:
	s_mov_b64 s[16:17], 0
.LBB86_149:
	s_and_b64 vcc, exec, s[16:17]
	s_cbranch_vccz .LBB86_167
; %bb.150:
	s_cmp_lt_i32 s22, 27
	s_cbranch_scc1 .LBB86_153
; %bb.151:
	s_cmp_gt_i32 s22, 27
	s_cbranch_scc0 .LBB86_154
; %bb.152:
	global_load_dword v2, v[0:1], off
	s_waitcnt vmcnt(1)
	v_mov_b32_e32 v3, 0
	s_mov_b64 s[0:1], 0
	s_branch .LBB86_155
.LBB86_153:
	s_mov_b64 s[0:1], -1
                                        ; implicit-def: $vgpr2_vgpr3
	s_branch .LBB86_158
.LBB86_154:
	s_mov_b64 s[0:1], -1
                                        ; implicit-def: $vgpr2_vgpr3
.LBB86_155:
	s_andn2_b64 vcc, exec, s[0:1]
	s_cbranch_vccnz .LBB86_157
; %bb.156:
	global_load_ushort v2, v[0:1], off
	s_mov_b32 s0, 0
	s_waitcnt vmcnt(1)
	v_mov_b32_e32 v3, s0
	s_waitcnt vmcnt(0)
	v_and_b32_e32 v2, 0xffff, v2
.LBB86_157:
	s_mov_b64 s[0:1], 0
.LBB86_158:
	s_andn2_b64 vcc, exec, s[0:1]
	s_cbranch_vccnz .LBB86_166
; %bb.159:
	global_load_ubyte v4, v[0:1], off
	s_movk_i32 s0, 0x7f
	s_mov_b64 s[16:17], 0
	s_waitcnt vmcnt(0)
	v_cmp_lt_i16_e32 vcc, s0, v4
	s_and_saveexec_b64 s[0:1], vcc
	s_xor_b64 s[0:1], exec, s[0:1]
; %bb.160:
	s_movk_i32 s16, 0x80
	v_cmp_ne_u16_e32 vcc, s16, v4
	s_and_b64 s[16:17], vcc, exec
; %bb.161:
	s_andn2_saveexec_b64 s[0:1], s[0:1]
; %bb.162:
	v_cmp_ne_u16_e32 vcc, 0, v4
	s_andn2_b64 s[16:17], s[16:17], exec
	s_and_b64 s[26:27], vcc, exec
	s_or_b64 s[16:17], s[16:17], s[26:27]
; %bb.163:
	s_or_b64 exec, exec, s[0:1]
	v_mov_b32_e32 v2, 0
	v_mov_b32_e32 v3, 0
	s_and_saveexec_b64 s[0:1], s[16:17]
	s_cbranch_execz .LBB86_165
; %bb.164:
	v_and_b32_e32 v3, 0xffff, v4
	v_lshlrev_b32_e32 v2, 24, v4
	v_and_b32_e32 v4, 7, v3
	v_ffbh_u32_e32 v6, v4
	v_min_u32_e32 v6, 32, v6
	v_subrev_u32_e32 v7, 28, v6
	v_bfe_u32 v5, v3, 3, 4
	v_lshlrev_b32_e32 v3, v7, v3
	v_sub_u32_e32 v6, 29, v6
	v_and_b32_e32 v3, 7, v3
	v_cmp_eq_u32_e32 vcc, 0, v5
	v_cndmask_b32_e32 v5, v5, v6, vcc
	v_cndmask_b32_e32 v3, v4, v3, vcc
	v_mov_b32_e32 v4, 0x3b800000
	v_lshlrev_b32_e32 v3, 20, v3
	v_and_b32_e32 v2, 0x80000000, v2
	v_lshl_add_u32 v4, v5, 23, v4
	v_or3_b32 v2, v2, v4, v3
	v_trunc_f32_e32 v2, v2
	s_mov_b32 s16, 0x2f800000
	v_mul_f32_e64 v3, |v2|, s16
	v_floor_f32_e32 v3, v3
	s_mov_b32 s16, 0xcf800000
	v_fma_f32 v4, v3, s16, |v2|
	v_cvt_u32_f32_e32 v4, v4
	v_cvt_u32_f32_e32 v3, v3
	v_ashrrev_i32_e32 v5, 31, v2
	v_xor_b32_e32 v2, v4, v5
	v_xor_b32_e32 v3, v3, v5
	v_sub_co_u32_e32 v2, vcc, v2, v5
	v_subb_co_u32_e32 v3, vcc, v3, v5, vcc
.LBB86_165:
	s_or_b64 exec, exec, s[0:1]
.LBB86_166:
	s_mov_b64 s[0:1], -1
.LBB86_167:
	s_branch .LBB86_198
.LBB86_168:
	s_cmp_gt_i32 s22, 22
	s_cbranch_scc0 .LBB86_178
; %bb.169:
	s_cmp_lt_i32 s22, 24
	s_cbranch_scc1 .LBB86_179
; %bb.170:
	s_cmp_gt_i32 s22, 24
	s_cbranch_scc0 .LBB86_180
; %bb.171:
	global_load_ubyte v4, v[0:1], off
	s_movk_i32 s0, 0x7f
	s_mov_b64 s[16:17], 0
	s_waitcnt vmcnt(0)
	v_cmp_lt_i16_e32 vcc, s0, v4
	s_and_saveexec_b64 s[0:1], vcc
	s_xor_b64 s[0:1], exec, s[0:1]
; %bb.172:
	s_movk_i32 s16, 0x80
	v_cmp_ne_u16_e32 vcc, s16, v4
	s_and_b64 s[16:17], vcc, exec
; %bb.173:
	s_andn2_saveexec_b64 s[0:1], s[0:1]
; %bb.174:
	v_cmp_ne_u16_e32 vcc, 0, v4
	s_andn2_b64 s[16:17], s[16:17], exec
	s_and_b64 s[26:27], vcc, exec
	s_or_b64 s[16:17], s[16:17], s[26:27]
; %bb.175:
	s_or_b64 exec, exec, s[0:1]
	v_mov_b32_e32 v2, 0
	v_mov_b32_e32 v3, 0
	s_and_saveexec_b64 s[0:1], s[16:17]
	s_cbranch_execz .LBB86_177
; %bb.176:
	v_and_b32_e32 v3, 0xffff, v4
	v_lshlrev_b32_e32 v2, 24, v4
	v_and_b32_e32 v4, 3, v3
	v_ffbh_u32_e32 v6, v4
	v_min_u32_e32 v6, 32, v6
	v_subrev_u32_e32 v7, 29, v6
	v_bfe_u32 v5, v3, 2, 5
	v_lshlrev_b32_e32 v3, v7, v3
	v_sub_u32_e32 v6, 30, v6
	v_and_b32_e32 v3, 3, v3
	v_cmp_eq_u32_e32 vcc, 0, v5
	v_cndmask_b32_e32 v5, v5, v6, vcc
	v_cndmask_b32_e32 v3, v4, v3, vcc
	v_mov_b32_e32 v4, 0x37800000
	v_lshlrev_b32_e32 v3, 21, v3
	v_and_b32_e32 v2, 0x80000000, v2
	v_lshl_add_u32 v4, v5, 23, v4
	v_or3_b32 v2, v2, v4, v3
	v_trunc_f32_e32 v2, v2
	s_mov_b32 s16, 0x2f800000
	v_mul_f32_e64 v3, |v2|, s16
	v_floor_f32_e32 v3, v3
	s_mov_b32 s16, 0xcf800000
	v_fma_f32 v4, v3, s16, |v2|
	v_cvt_u32_f32_e32 v4, v4
	v_cvt_u32_f32_e32 v3, v3
	v_ashrrev_i32_e32 v5, 31, v2
	v_xor_b32_e32 v2, v4, v5
	v_xor_b32_e32 v3, v3, v5
	v_sub_co_u32_e32 v2, vcc, v2, v5
	v_subb_co_u32_e32 v3, vcc, v3, v5, vcc
.LBB86_177:
	s_or_b64 exec, exec, s[0:1]
	s_mov_b64 s[0:1], 0
	s_branch .LBB86_181
.LBB86_178:
	s_mov_b64 s[16:17], -1
                                        ; implicit-def: $vgpr2_vgpr3
	s_branch .LBB86_187
.LBB86_179:
	s_mov_b64 s[0:1], -1
                                        ; implicit-def: $vgpr2_vgpr3
	s_branch .LBB86_184
.LBB86_180:
	s_mov_b64 s[0:1], -1
                                        ; implicit-def: $vgpr2_vgpr3
.LBB86_181:
	s_and_b64 vcc, exec, s[0:1]
	s_cbranch_vccz .LBB86_183
; %bb.182:
	global_load_ubyte v2, v[0:1], off
	s_mov_b32 s0, 0x7f800000
	s_brev_b32 s1, 1
	s_mov_b32 s16, 0x2f800000
	s_mov_b32 s17, 0xcf800000
	s_waitcnt vmcnt(0)
	v_lshlrev_b32_e32 v2, 24, v2
	v_and_b32_e32 v3, 0x7f000000, v2
	v_ffbh_u32_e32 v4, v3
	v_min_u32_e32 v4, 32, v4
	v_sub_u32_e64 v4, v4, 4 clamp
	v_lshlrev_b32_e32 v6, v4, v3
	v_lshlrev_b32_e32 v4, 23, v4
	v_lshrrev_b32_e32 v6, 4, v6
	v_add_u32_e32 v5, 0x1000000, v3
	v_sub_u32_e32 v4, v6, v4
	v_ashrrev_i32_e32 v5, 8, v5
	v_add_u32_e32 v4, 0x3c000000, v4
	v_and_or_b32 v4, v5, s0, v4
	v_cmp_ne_u32_e32 vcc, 0, v3
	v_cndmask_b32_e32 v3, 0, v4, vcc
	v_and_or_b32 v2, v2, s1, v3
	v_trunc_f32_e32 v2, v2
	v_mul_f32_e64 v3, |v2|, s16
	v_floor_f32_e32 v3, v3
	v_fma_f32 v4, v3, s17, |v2|
	v_cvt_u32_f32_e32 v4, v4
	v_cvt_u32_f32_e32 v3, v3
	v_ashrrev_i32_e32 v5, 31, v2
	v_xor_b32_e32 v2, v4, v5
	v_xor_b32_e32 v3, v3, v5
	v_sub_co_u32_e32 v2, vcc, v2, v5
	v_subb_co_u32_e32 v3, vcc, v3, v5, vcc
.LBB86_183:
	s_mov_b64 s[0:1], 0
.LBB86_184:
	s_andn2_b64 vcc, exec, s[0:1]
	s_cbranch_vccnz .LBB86_186
; %bb.185:
	global_load_ubyte v2, v[0:1], off
	s_movk_i32 s0, 0x7f00
	s_brev_b32 s1, 16
	s_brev_b32 s16, 1
	s_mov_b32 s17, 0x2f800000
	s_mov_b32 s23, 0xcf800000
	s_waitcnt vmcnt(0)
	v_lshlrev_b16_e32 v3, 8, v2
	v_lshlrev_b32_e32 v2, 25, v2
	v_lshrrev_b32_e32 v4, 4, v2
	v_and_or_b32 v5, v3, s0, 0.5
	v_or_b32_e32 v4, 0x70000000, v4
	v_add_f32_e32 v5, -0.5, v5
	v_mul_f32_e32 v4, 0x7800000, v4
	v_cmp_gt_u32_e32 vcc, s1, v2
	v_bfe_i32 v3, v3, 0, 16
	v_cndmask_b32_e32 v2, v4, v5, vcc
	v_and_or_b32 v2, v3, s16, v2
	v_trunc_f32_e32 v2, v2
	v_mul_f32_e64 v3, |v2|, s17
	v_floor_f32_e32 v3, v3
	v_fma_f32 v4, v3, s23, |v2|
	v_cvt_u32_f32_e32 v4, v4
	v_cvt_u32_f32_e32 v3, v3
	v_ashrrev_i32_e32 v5, 31, v2
	v_xor_b32_e32 v2, v4, v5
	v_xor_b32_e32 v3, v3, v5
	v_sub_co_u32_e32 v2, vcc, v2, v5
	v_subb_co_u32_e32 v3, vcc, v3, v5, vcc
.LBB86_186:
	s_mov_b64 s[16:17], 0
	s_mov_b64 s[0:1], -1
.LBB86_187:
	s_andn2_b64 vcc, exec, s[16:17]
	s_cbranch_vccnz .LBB86_198
; %bb.188:
	s_cmp_gt_i32 s22, 14
	s_cbranch_scc0 .LBB86_191
; %bb.189:
	s_cmp_eq_u32 s22, 15
	s_cbranch_scc0 .LBB86_192
; %bb.190:
	global_load_ushort v2, v[0:1], off
	s_mov_b32 s0, 0x2f800000
	s_mov_b32 s1, 0xcf800000
	s_mov_b64 s[18:19], 0
	s_waitcnt vmcnt(0)
	v_lshlrev_b32_e32 v2, 16, v2
	v_trunc_f32_e32 v2, v2
	v_mul_f32_e64 v3, |v2|, s0
	v_floor_f32_e32 v3, v3
	v_fma_f32 v4, v3, s1, |v2|
	v_cvt_u32_f32_e32 v4, v4
	v_cvt_u32_f32_e32 v3, v3
	v_ashrrev_i32_e32 v5, 31, v2
	s_mov_b64 s[0:1], -1
	v_xor_b32_e32 v2, v4, v5
	v_xor_b32_e32 v3, v3, v5
	v_sub_co_u32_e32 v2, vcc, v2, v5
	v_subb_co_u32_e32 v3, vcc, v3, v5, vcc
	s_branch .LBB86_193
.LBB86_191:
	s_mov_b64 s[16:17], -1
                                        ; implicit-def: $vgpr2_vgpr3
	s_branch .LBB86_194
.LBB86_192:
	s_mov_b64 s[18:19], -1
                                        ; implicit-def: $vgpr2_vgpr3
.LBB86_193:
	s_mov_b64 s[16:17], 0
.LBB86_194:
	s_and_b64 vcc, exec, s[16:17]
	s_cbranch_vccz .LBB86_198
; %bb.195:
	s_cmp_eq_u32 s22, 11
	s_cbranch_scc0 .LBB86_197
; %bb.196:
	global_load_ubyte v2, v[0:1], off
	s_mov_b32 s16, 0
	s_mov_b64 s[0:1], -1
	s_waitcnt vmcnt(1)
	v_mov_b32_e32 v3, s16
	s_mov_b64 s[18:19], 0
	s_waitcnt vmcnt(0)
	v_cmp_ne_u16_e32 vcc, 0, v2
	v_cndmask_b32_e64 v2, 0, 1, vcc
	s_branch .LBB86_198
.LBB86_197:
	s_mov_b64 s[18:19], -1
                                        ; implicit-def: $vgpr2_vgpr3
.LBB86_198:
	s_branch .LBB86_10
.LBB86_199:
	s_cmp_lt_i32 s22, 5
	s_cbranch_scc1 .LBB86_204
; %bb.200:
	s_cmp_lt_i32 s22, 8
	s_cbranch_scc1 .LBB86_205
; %bb.201:
	;; [unrolled: 3-line block ×3, first 2 shown]
	s_cmp_gt_i32 s22, 9
	s_cbranch_scc0 .LBB86_207
; %bb.203:
	global_load_dwordx2 v[2:3], v[0:1], off
	s_movk_i32 s0, 0xffe0
	s_waitcnt vmcnt(0)
	v_trunc_f64_e32 v[2:3], v[2:3]
	v_ldexp_f64 v[4:5], v[2:3], s0
	s_mov_b32 s0, 0
	s_mov_b32 s1, 0xc1f00000
	v_floor_f64_e32 v[4:5], v[4:5]
	v_fma_f64 v[6:7], v[4:5], s[0:1], v[2:3]
	v_cvt_i32_f64_e32 v3, v[4:5]
	s_mov_b64 s[0:1], 0
	v_cvt_u32_f64_e32 v2, v[6:7]
	s_branch .LBB86_208
.LBB86_204:
                                        ; implicit-def: $vgpr2_vgpr3
	s_branch .LBB86_226
.LBB86_205:
	s_mov_b64 s[0:1], -1
                                        ; implicit-def: $vgpr2_vgpr3
	s_branch .LBB86_214
.LBB86_206:
	s_mov_b64 s[0:1], -1
                                        ; implicit-def: $vgpr2_vgpr3
	s_branch .LBB86_211
.LBB86_207:
	s_mov_b64 s[0:1], -1
                                        ; implicit-def: $vgpr2_vgpr3
.LBB86_208:
	s_andn2_b64 vcc, exec, s[0:1]
	s_cbranch_vccnz .LBB86_210
; %bb.209:
	global_load_dword v2, v[0:1], off
	s_mov_b32 s0, 0x2f800000
	s_mov_b32 s1, 0xcf800000
	s_waitcnt vmcnt(0)
	v_trunc_f32_e32 v2, v2
	v_mul_f32_e64 v3, |v2|, s0
	v_floor_f32_e32 v3, v3
	v_cvt_u32_f32_e32 v4, v3
	v_fma_f32 v3, v3, s1, |v2|
	v_cvt_u32_f32_e32 v3, v3
	v_ashrrev_i32_e32 v5, 31, v2
	v_xor_b32_e32 v4, v4, v5
	v_xor_b32_e32 v2, v3, v5
	v_sub_co_u32_e32 v2, vcc, v2, v5
	v_subb_co_u32_e32 v3, vcc, v4, v5, vcc
.LBB86_210:
	s_mov_b64 s[0:1], 0
.LBB86_211:
	s_andn2_b64 vcc, exec, s[0:1]
	s_cbranch_vccnz .LBB86_213
; %bb.212:
	global_load_dword v2, v[0:1], off
	s_waitcnt vmcnt(0)
	v_cvt_f32_f16_e32 v2, v2
	v_cvt_i32_f32_e32 v2, v2
	v_ashrrev_i32_e32 v3, 31, v2
.LBB86_213:
	s_mov_b64 s[0:1], 0
.LBB86_214:
	s_andn2_b64 vcc, exec, s[0:1]
	s_cbranch_vccnz .LBB86_225
; %bb.215:
	s_cmp_lt_i32 s22, 6
	s_cbranch_scc1 .LBB86_218
; %bb.216:
	s_cmp_gt_i32 s22, 6
	s_cbranch_scc0 .LBB86_219
; %bb.217:
	global_load_dwordx2 v[2:3], v[0:1], off
	s_movk_i32 s0, 0xffe0
	s_waitcnt vmcnt(0)
	v_trunc_f64_e32 v[2:3], v[2:3]
	v_ldexp_f64 v[4:5], v[2:3], s0
	s_mov_b32 s0, 0
	s_mov_b32 s1, 0xc1f00000
	v_floor_f64_e32 v[4:5], v[4:5]
	v_fma_f64 v[6:7], v[4:5], s[0:1], v[2:3]
	v_cvt_i32_f64_e32 v3, v[4:5]
	s_mov_b64 s[0:1], 0
	v_cvt_u32_f64_e32 v2, v[6:7]
	s_branch .LBB86_220
.LBB86_218:
	s_mov_b64 s[0:1], -1
                                        ; implicit-def: $vgpr2_vgpr3
	s_branch .LBB86_223
.LBB86_219:
	s_mov_b64 s[0:1], -1
                                        ; implicit-def: $vgpr2_vgpr3
.LBB86_220:
	s_andn2_b64 vcc, exec, s[0:1]
	s_cbranch_vccnz .LBB86_222
; %bb.221:
	global_load_dword v2, v[0:1], off
	s_mov_b32 s0, 0x2f800000
	s_mov_b32 s1, 0xcf800000
	s_waitcnt vmcnt(0)
	v_trunc_f32_e32 v2, v2
	v_mul_f32_e64 v3, |v2|, s0
	v_floor_f32_e32 v3, v3
	v_cvt_u32_f32_e32 v4, v3
	v_fma_f32 v3, v3, s1, |v2|
	v_cvt_u32_f32_e32 v3, v3
	v_ashrrev_i32_e32 v5, 31, v2
	v_xor_b32_e32 v4, v4, v5
	v_xor_b32_e32 v2, v3, v5
	v_sub_co_u32_e32 v2, vcc, v2, v5
	v_subb_co_u32_e32 v3, vcc, v4, v5, vcc
.LBB86_222:
	s_mov_b64 s[0:1], 0
.LBB86_223:
	s_andn2_b64 vcc, exec, s[0:1]
	s_cbranch_vccnz .LBB86_225
; %bb.224:
	global_load_ushort v2, v[0:1], off
	s_waitcnt vmcnt(0)
	v_cvt_f32_f16_e32 v2, v2
	v_cvt_i32_f32_e32 v2, v2
	v_ashrrev_i32_e32 v3, 31, v2
.LBB86_225:
	s_cbranch_execnz .LBB86_245
.LBB86_226:
	s_cmp_lt_i32 s22, 2
	s_cbranch_scc1 .LBB86_230
; %bb.227:
	s_cmp_lt_i32 s22, 3
	s_cbranch_scc1 .LBB86_231
; %bb.228:
	s_cmp_gt_i32 s22, 3
	s_cbranch_scc0 .LBB86_232
; %bb.229:
	global_load_dwordx2 v[2:3], v[0:1], off
	s_mov_b64 s[0:1], 0
	s_branch .LBB86_233
.LBB86_230:
	s_mov_b64 s[0:1], -1
                                        ; implicit-def: $vgpr2_vgpr3
	s_branch .LBB86_239
.LBB86_231:
	s_mov_b64 s[0:1], -1
                                        ; implicit-def: $vgpr2_vgpr3
	s_branch .LBB86_236
.LBB86_232:
	s_mov_b64 s[0:1], -1
                                        ; implicit-def: $vgpr2_vgpr3
.LBB86_233:
	s_andn2_b64 vcc, exec, s[0:1]
	s_cbranch_vccnz .LBB86_235
; %bb.234:
	global_load_dword v2, v[0:1], off
	s_waitcnt vmcnt(0)
	v_ashrrev_i32_e32 v3, 31, v2
.LBB86_235:
	s_mov_b64 s[0:1], 0
.LBB86_236:
	s_andn2_b64 vcc, exec, s[0:1]
	s_cbranch_vccnz .LBB86_238
; %bb.237:
	global_load_ushort v2, v[0:1], off
	s_waitcnt vmcnt(0)
	v_bfe_i32 v2, v2, 0, 16
	v_ashrrev_i32_e32 v3, 31, v2
.LBB86_238:
	s_mov_b64 s[0:1], 0
.LBB86_239:
	s_andn2_b64 vcc, exec, s[0:1]
	s_cbranch_vccnz .LBB86_245
; %bb.240:
	s_cmp_gt_i32 s22, 0
	s_cbranch_scc0 .LBB86_242
; %bb.241:
	global_load_sbyte v2, v[0:1], off
	s_mov_b64 s[0:1], 0
	s_waitcnt vmcnt(0)
	v_bfe_i32 v2, v2, 0, 16
	v_ashrrev_i32_e32 v3, 31, v2
	s_branch .LBB86_243
.LBB86_242:
	s_mov_b64 s[0:1], -1
                                        ; implicit-def: $vgpr2_vgpr3
.LBB86_243:
	s_andn2_b64 vcc, exec, s[0:1]
	s_cbranch_vccnz .LBB86_245
; %bb.244:
	global_load_ubyte v0, v[0:1], off
	s_mov_b32 s0, 0
	s_waitcnt vmcnt(1)
	v_mov_b32_e32 v3, s0
	s_waitcnt vmcnt(0)
	v_and_b32_e32 v2, 0xffff, v0
.LBB86_245:
	s_branch .LBB86_11
.LBB86_246:
	s_mov_b64 s[0:1], 0
                                        ; implicit-def: $vgpr10
	s_mov_b64 s[22:23], 0
.LBB86_247:
	s_and_b64 s[16:17], s[0:1], exec
	s_and_b64 s[18:19], s[18:19], exec
	s_orn2_b64 s[22:23], s[22:23], exec
.LBB86_248:
	s_or_b64 exec, exec, s[20:21]
	s_mov_b64 s[26:27], 0
	s_mov_b64 s[0:1], 0
                                        ; implicit-def: $vgpr0_vgpr1
                                        ; implicit-def: $vgpr4_vgpr5
	s_and_saveexec_b64 s[20:21], s[22:23]
	s_cbranch_execz .LBB86_257
; %bb.249:
	v_cmp_gt_i32_e32 vcc, s42, v10
	s_mov_b64 s[0:1], -1
	s_mov_b64 s[22:23], s[18:19]
	s_mov_b64 s[24:25], s[16:17]
	s_and_saveexec_b64 s[26:27], vcc
	s_cbranch_execz .LBB86_505
; %bb.250:
	v_mul_lo_u32 v0, v10, s13
	v_mov_b32_e32 v1, s11
	s_and_b32 s28, 0xffff, s46
	s_cmp_lt_i32 s28, 11
	s_waitcnt vmcnt(0)
	v_ashrrev_i32_e32 v2, 31, v0
	v_add_co_u32_e32 v0, vcc, s10, v0
	v_addc_co_u32_e32 v1, vcc, v1, v2, vcc
	s_cbranch_scc1 .LBB86_260
; %bb.251:
	s_cmp_gt_i32 s28, 25
	s_cbranch_scc0 .LBB86_269
; %bb.252:
	s_cmp_gt_i32 s28, 28
	s_cbranch_scc0 .LBB86_271
	;; [unrolled: 3-line block ×4, first 2 shown]
; %bb.255:
	s_cmp_eq_u32 s28, 46
	s_mov_b64 s[24:25], 0
	s_cbranch_scc0 .LBB86_281
; %bb.256:
	global_load_dword v2, v[0:1], off
	s_mov_b32 s0, 0x2f800000
	s_mov_b32 s1, 0xcf800000
	s_mov_b64 s[22:23], 0
	s_waitcnt vmcnt(0)
	v_lshlrev_b32_e32 v2, 16, v2
	v_trunc_f32_e32 v2, v2
	v_mul_f32_e64 v3, |v2|, s0
	v_floor_f32_e32 v3, v3
	v_fma_f32 v4, v3, s1, |v2|
	v_cvt_u32_f32_e32 v4, v4
	v_cvt_u32_f32_e32 v3, v3
	v_ashrrev_i32_e32 v5, 31, v2
	s_mov_b64 s[0:1], -1
	v_xor_b32_e32 v2, v4, v5
	v_xor_b32_e32 v3, v3, v5
	v_sub_co_u32_e32 v2, vcc, v2, v5
	v_subb_co_u32_e32 v3, vcc, v3, v5, vcc
	s_branch .LBB86_282
.LBB86_257:
	s_or_b64 exec, exec, s[20:21]
	s_mov_b64 s[20:21], 0
	s_and_saveexec_b64 s[22:23], s[18:19]
	s_cbranch_execnz .LBB86_843
.LBB86_258:
	s_or_b64 exec, exec, s[22:23]
	s_and_saveexec_b64 s[18:19], s[24:25]
	s_xor_b64 s[18:19], exec, s[18:19]
	s_cbranch_execz .LBB86_844
.LBB86_259:
	global_load_ubyte v2, v[0:1], off
	s_mov_b32 s22, 0
	s_waitcnt vmcnt(1)
	v_mov_b32_e32 v5, s22
	s_or_b64 s[0:1], s[0:1], exec
	s_waitcnt vmcnt(0)
	v_cmp_ne_u16_e32 vcc, 0, v2
	v_cndmask_b32_e64 v4, 0, 1, vcc
	s_or_b64 exec, exec, s[18:19]
	s_and_saveexec_b64 s[18:19], s[26:27]
	s_cbranch_execz .LBB86_890
	s_branch .LBB86_845
.LBB86_260:
	s_mov_b64 s[0:1], 0
                                        ; implicit-def: $vgpr2_vgpr3
	s_mov_b64 s[22:23], s[18:19]
	s_cbranch_execnz .LBB86_455
.LBB86_261:
	s_andn2_b64 vcc, exec, s[0:1]
	s_cbranch_vccnz .LBB86_503
.LBB86_262:
	s_waitcnt vmcnt(0)
	v_lshlrev_b64 v[0:1], s2, v[2:3]
	v_mul_lo_u32 v2, v10, s12
	v_mov_b32_e32 v4, s9
	s_and_b32 s34, s33, 0xff
	v_cndmask_b32_e64 v1, v1, 0, s[14:15]
	v_ashrrev_i32_e32 v3, 31, v2
	v_add_co_u32_e32 v2, vcc, s8, v2
	v_cndmask_b32_e64 v0, v0, 0, s[14:15]
	s_cmp_lt_i32 s34, 11
	v_addc_co_u32_e32 v3, vcc, v4, v3, vcc
	s_cbranch_scc1 .LBB86_270
; %bb.263:
	s_and_b32 s35, 0xffff, s34
	s_cmp_gt_i32 s35, 25
	s_cbranch_scc0 .LBB86_272
; %bb.264:
	s_cmp_gt_i32 s35, 28
	s_cbranch_scc0 .LBB86_274
; %bb.265:
	;; [unrolled: 3-line block ×4, first 2 shown]
	s_mov_b64 s[28:29], 0
	s_mov_b64 s[0:1], -1
	s_cmp_eq_u32 s35, 46
	s_mov_b64 s[24:25], 0
	s_cbranch_scc0 .LBB86_286
; %bb.268:
	v_xor_b32_e32 v5, v0, v1
	v_ffbh_i32_e32 v4, v1
	v_ashrrev_i32_e32 v5, 31, v5
	v_add_u32_e32 v4, -1, v4
	v_add_u32_e32 v5, 32, v5
	v_min_u32_e32 v6, v4, v5
	v_lshlrev_b64 v[4:5], v6, v[0:1]
	s_movk_i32 s0, 0x7fff
	v_min_u32_e32 v4, 1, v4
	v_or_b32_e32 v4, v5, v4
	v_cvt_f32_i32_e32 v4, v4
	v_sub_u32_e32 v5, 32, v6
	s_mov_b64 s[24:25], -1
	v_ldexp_f32 v4, v4, v5
	v_bfe_u32 v5, v4, 16, 1
	v_add3_u32 v4, v4, v5, s0
	v_lshrrev_b32_e32 v4, 16, v4
	global_store_dword v[2:3], v4, off
	s_mov_b64 s[0:1], 0
	s_branch .LBB86_286
.LBB86_269:
	s_mov_b64 s[24:25], -1
	s_mov_b64 s[0:1], 0
	s_mov_b64 s[22:23], s[18:19]
                                        ; implicit-def: $vgpr2_vgpr3
	s_branch .LBB86_423
.LBB86_270:
	s_mov_b64 s[28:29], -1
	s_mov_b64 s[24:25], 0
	s_mov_b64 s[0:1], s[16:17]
	s_branch .LBB86_355
.LBB86_271:
	s_mov_b64 s[24:25], -1
	s_mov_b64 s[0:1], 0
	s_mov_b64 s[22:23], s[18:19]
                                        ; implicit-def: $vgpr2_vgpr3
	s_branch .LBB86_404
.LBB86_272:
	s_mov_b64 s[28:29], -1
	s_mov_b64 s[24:25], 0
	s_mov_b64 s[0:1], s[16:17]
	s_branch .LBB86_313
.LBB86_273:
	s_mov_b64 s[24:25], -1
	s_mov_b64 s[0:1], 0
	s_mov_b64 s[22:23], s[18:19]
                                        ; implicit-def: $vgpr2_vgpr3
	s_branch .LBB86_399
.LBB86_274:
	s_mov_b64 s[28:29], -1
	s_mov_b64 s[24:25], 0
	s_mov_b64 s[0:1], s[16:17]
	s_branch .LBB86_296
.LBB86_275:
	s_andn2_saveexec_b64 s[26:27], s[26:27]
	s_cbranch_execz .LBB86_55
.LBB86_276:
	s_mov_b32 s30, 0x46000000
	v_add_f32_e64 v5, |v4|, s30
	v_and_b32_e32 v5, 0xff, v5
	v_cmp_ne_u32_e32 vcc, 0, v5
	s_andn2_b64 s[22:23], s[22:23], exec
	s_and_b64 s[30:31], vcc, exec
	s_or_b64 s[22:23], s[22:23], s[30:31]
	s_or_b64 exec, exec, s[26:27]
	v_mov_b32_e32 v6, 0
	s_and_saveexec_b64 s[26:27], s[22:23]
	s_cbranch_execnz .LBB86_56
	s_branch .LBB86_57
.LBB86_277:
	s_mov_b64 s[24:25], -1
	s_mov_b64 s[0:1], 0
	s_mov_b64 s[22:23], s[18:19]
                                        ; implicit-def: $vgpr2_vgpr3
	s_branch .LBB86_282
.LBB86_278:
	s_mov_b64 s[28:29], -1
	s_mov_b64 s[24:25], 0
	s_mov_b64 s[0:1], s[16:17]
	s_branch .LBB86_292
.LBB86_279:
	s_andn2_saveexec_b64 s[26:27], s[26:27]
	s_cbranch_execz .LBB86_68
.LBB86_280:
	s_mov_b32 s30, 0x42800000
	v_add_f32_e64 v5, |v4|, s30
	v_and_b32_e32 v5, 0xff, v5
	v_cmp_ne_u32_e32 vcc, 0, v5
	s_andn2_b64 s[22:23], s[22:23], exec
	s_and_b64 s[30:31], vcc, exec
	s_or_b64 s[22:23], s[22:23], s[30:31]
	s_or_b64 exec, exec, s[26:27]
	v_mov_b32_e32 v6, 0
	s_and_saveexec_b64 s[26:27], s[22:23]
	s_cbranch_execnz .LBB86_69
	s_branch .LBB86_70
.LBB86_281:
	s_mov_b64 s[22:23], -1
                                        ; implicit-def: $vgpr2_vgpr3
	s_mov_b64 s[0:1], 0
.LBB86_282:
	s_and_b64 vcc, exec, s[24:25]
	s_cbranch_vccz .LBB86_398
; %bb.283:
	s_cmp_eq_u32 s28, 44
	s_cbranch_scc0 .LBB86_397
; %bb.284:
	global_load_ubyte v2, v[0:1], off
	s_mov_b32 s0, 0x2f800000
	s_mov_b32 s1, 0xcf800000
	s_mov_b64 s[22:23], 0
	s_waitcnt vmcnt(0)
	v_lshlrev_b32_e32 v3, 23, v2
	v_trunc_f32_e32 v3, v3
	v_mul_f32_e64 v4, |v3|, s0
	v_floor_f32_e32 v4, v4
	v_fma_f32 v5, v4, s1, |v3|
	v_cvt_u32_f32_e32 v5, v5
	v_cvt_u32_f32_e32 v4, v4
	v_ashrrev_i32_e32 v3, 31, v3
	s_mov_b64 s[0:1], -1
	v_xor_b32_e32 v5, v5, v3
	v_xor_b32_e32 v4, v4, v3
	v_sub_co_u32_e32 v5, vcc, v5, v3
	v_subb_co_u32_e32 v3, vcc, v4, v3, vcc
	v_cmp_ne_u32_e32 vcc, 0, v2
	v_cndmask_b32_e32 v3, 0, v3, vcc
	v_cndmask_b32_e32 v2, 0, v5, vcc
	s_branch .LBB86_398
.LBB86_285:
	s_mov_b64 s[28:29], -1
	s_mov_b64 s[24:25], 0
	s_mov_b64 s[0:1], s[16:17]
.LBB86_286:
	s_and_b64 vcc, exec, s[28:29]
	s_cbranch_vccz .LBB86_291
; %bb.287:
	s_cmp_eq_u32 s35, 44
	s_mov_b64 s[0:1], -1
	s_cbranch_scc0 .LBB86_291
; %bb.288:
	v_xor_b32_e32 v5, v0, v1
	v_ffbh_i32_e32 v4, v1
	v_ashrrev_i32_e32 v5, 31, v5
	v_add_u32_e32 v4, -1, v4
	v_add_u32_e32 v5, 32, v5
	v_min_u32_e32 v6, v4, v5
	v_lshlrev_b64 v[4:5], v6, v[0:1]
	s_movk_i32 s0, 0xff
	v_min_u32_e32 v4, 1, v4
	v_or_b32_e32 v4, v5, v4
	v_cvt_f32_i32_e32 v4, v4
	v_sub_u32_e32 v5, 32, v6
	v_mov_b32_e32 v6, 0xff
	v_ldexp_f32 v4, v4, v5
	v_bfe_u32 v5, v4, 23, 8
	v_cmp_ne_u32_e32 vcc, s0, v5
	s_and_saveexec_b64 s[24:25], vcc
; %bb.289:
	s_mov_b32 s0, 0x3fffff
	v_lshrrev_b32_e32 v6, 23, v4
	v_and_b32_e32 v7, 0x400000, v4
	v_and_or_b32 v4, v4, s0, v5
	v_cmp_ne_u32_e32 vcc, 0, v7
	v_cmp_ne_u32_e64 s[0:1], 0, v4
	s_and_b64 s[0:1], vcc, s[0:1]
	v_cndmask_b32_e64 v4, 0, 1, s[0:1]
	v_add_u32_e32 v6, v6, v4
; %bb.290:
	s_or_b64 exec, exec, s[24:25]
	s_mov_b64 s[24:25], -1
	s_mov_b64 s[0:1], 0
	global_store_byte v[2:3], v6, off
.LBB86_291:
	s_mov_b64 s[28:29], 0
.LBB86_292:
	s_and_b64 vcc, exec, s[28:29]
	s_cbranch_vccz .LBB86_295
; %bb.293:
	s_cmp_eq_u32 s35, 29
	s_mov_b64 s[0:1], -1
	s_cbranch_scc0 .LBB86_295
; %bb.294:
	global_store_dwordx2 v[2:3], v[0:1], off
	s_mov_b64 s[24:25], -1
	s_mov_b64 s[0:1], 0
.LBB86_295:
	s_mov_b64 s[28:29], 0
.LBB86_296:
	s_and_b64 vcc, exec, s[28:29]
	s_cbranch_vccz .LBB86_312
; %bb.297:
	s_cmp_lt_i32 s35, 27
	s_mov_b64 s[24:25], -1
	s_cbranch_scc1 .LBB86_303
; %bb.298:
	s_cmp_gt_i32 s35, 27
	s_cbranch_scc0 .LBB86_300
; %bb.299:
	s_mov_b64 s[24:25], 0
	global_store_dword v[2:3], v0, off
.LBB86_300:
	s_andn2_b64 vcc, exec, s[24:25]
	s_cbranch_vccnz .LBB86_302
; %bb.301:
	global_store_short v[2:3], v0, off
.LBB86_302:
	s_mov_b64 s[24:25], 0
.LBB86_303:
	s_andn2_b64 vcc, exec, s[24:25]
	s_cbranch_vccnz .LBB86_311
; %bb.304:
	v_xor_b32_e32 v5, v0, v1
	v_ffbh_i32_e32 v4, v1
	v_ashrrev_i32_e32 v5, 31, v5
	v_add_u32_e32 v4, -1, v4
	v_add_u32_e32 v5, 32, v5
	v_min_u32_e32 v6, v4, v5
	v_lshlrev_b64 v[4:5], v6, v[0:1]
	s_mov_b32 s24, 0x43800000
	v_min_u32_e32 v4, 1, v4
	v_or_b32_e32 v4, v5, v4
	v_cvt_f32_i32_e32 v4, v4
	v_sub_u32_e32 v5, 32, v6
	v_mov_b32_e32 v6, 0x80
	v_ldexp_f32 v4, v4, v5
	v_and_b32_e32 v5, 0x7fffffff, v4
	v_cmp_gt_u32_e32 vcc, s24, v5
	s_and_saveexec_b64 s[24:25], vcc
	s_cbranch_execz .LBB86_310
; %bb.305:
	s_mov_b32 s28, 0x3bffffff
	v_cmp_lt_u32_e32 vcc, s28, v5
	s_mov_b64 s[28:29], 0
                                        ; implicit-def: $vgpr5
	s_and_saveexec_b64 s[30:31], vcc
	s_xor_b64 s[30:31], exec, s[30:31]
	s_cbranch_execz .LBB86_518
; %bb.306:
	v_bfe_u32 v5, v4, 20, 1
	s_mov_b32 s36, 0x487ffff
	v_add3_u32 v5, v4, v5, s36
	s_mov_b64 s[28:29], exec
	v_lshrrev_b32_e32 v5, 20, v5
	s_andn2_saveexec_b64 s[30:31], s[30:31]
	s_cbranch_execnz .LBB86_519
.LBB86_307:
	s_or_b64 exec, exec, s[30:31]
	v_mov_b32_e32 v6, 0
	s_and_saveexec_b64 s[30:31], s[28:29]
.LBB86_308:
	v_lshrrev_b32_e32 v4, 24, v4
	s_movk_i32 s28, 0x80
	v_and_or_b32 v6, v4, s28, v5
.LBB86_309:
	s_or_b64 exec, exec, s[30:31]
.LBB86_310:
	s_or_b64 exec, exec, s[24:25]
	global_store_byte v[2:3], v6, off
.LBB86_311:
	s_mov_b64 s[24:25], -1
.LBB86_312:
	s_mov_b64 s[28:29], 0
.LBB86_313:
	s_and_b64 vcc, exec, s[28:29]
	s_cbranch_vccz .LBB86_354
; %bb.314:
	s_cmp_gt_i32 s35, 22
	s_mov_b64 s[28:29], -1
	s_cbranch_scc0 .LBB86_346
; %bb.315:
	s_cmp_lt_i32 s35, 24
	s_mov_b64 s[24:25], -1
	s_cbranch_scc1 .LBB86_335
; %bb.316:
	s_cmp_gt_i32 s35, 24
	s_cbranch_scc0 .LBB86_324
; %bb.317:
	v_xor_b32_e32 v5, v0, v1
	v_ffbh_i32_e32 v4, v1
	v_ashrrev_i32_e32 v5, 31, v5
	v_add_u32_e32 v4, -1, v4
	v_add_u32_e32 v5, 32, v5
	v_min_u32_e32 v6, v4, v5
	v_lshlrev_b64 v[4:5], v6, v[0:1]
	s_mov_b32 s24, 0x47800000
	v_min_u32_e32 v4, 1, v4
	v_or_b32_e32 v4, v5, v4
	v_cvt_f32_i32_e32 v4, v4
	v_sub_u32_e32 v5, 32, v6
	v_mov_b32_e32 v6, 0x80
	v_ldexp_f32 v4, v4, v5
	v_and_b32_e32 v5, 0x7fffffff, v4
	v_cmp_gt_u32_e32 vcc, s24, v5
	s_and_saveexec_b64 s[24:25], vcc
	s_cbranch_execz .LBB86_323
; %bb.318:
	s_mov_b32 s28, 0x37ffffff
	v_cmp_lt_u32_e32 vcc, s28, v5
	s_mov_b64 s[28:29], 0
                                        ; implicit-def: $vgpr5
	s_and_saveexec_b64 s[30:31], vcc
	s_xor_b64 s[30:31], exec, s[30:31]
	s_cbranch_execz .LBB86_521
; %bb.319:
	v_bfe_u32 v5, v4, 21, 1
	s_mov_b32 s36, 0x88fffff
	v_add3_u32 v5, v4, v5, s36
	s_mov_b64 s[28:29], exec
	v_lshrrev_b32_e32 v5, 21, v5
	s_andn2_saveexec_b64 s[30:31], s[30:31]
	s_cbranch_execnz .LBB86_522
.LBB86_320:
	s_or_b64 exec, exec, s[30:31]
	v_mov_b32_e32 v6, 0
	s_and_saveexec_b64 s[30:31], s[28:29]
.LBB86_321:
	v_lshrrev_b32_e32 v4, 24, v4
	s_movk_i32 s28, 0x80
	v_and_or_b32 v6, v4, s28, v5
.LBB86_322:
	s_or_b64 exec, exec, s[30:31]
.LBB86_323:
	s_or_b64 exec, exec, s[24:25]
	s_mov_b64 s[24:25], 0
	global_store_byte v[2:3], v6, off
.LBB86_324:
	s_and_b64 vcc, exec, s[24:25]
	s_cbranch_vccz .LBB86_334
; %bb.325:
	v_xor_b32_e32 v5, v0, v1
	v_ffbh_i32_e32 v4, v1
	v_ashrrev_i32_e32 v5, 31, v5
	v_add_u32_e32 v4, -1, v4
	v_add_u32_e32 v5, 32, v5
	v_min_u32_e32 v6, v4, v5
	v_lshlrev_b64 v[4:5], v6, v[0:1]
	s_mov_b32 s24, 0x43f00000
	v_min_u32_e32 v4, 1, v4
	v_or_b32_e32 v4, v5, v4
	v_cvt_f32_i32_e32 v4, v4
	v_sub_u32_e32 v5, 32, v6
	v_ldexp_f32 v4, v4, v5
	v_and_b32_e32 v6, 0x7fffffff, v4
	v_cmp_gt_u32_e32 vcc, s24, v6
                                        ; implicit-def: $vgpr5
	s_and_saveexec_b64 s[24:25], vcc
	s_xor_b64 s[24:25], exec, s[24:25]
	s_cbranch_execz .LBB86_331
; %bb.326:
	s_mov_b32 s28, 0x3c7fffff
	v_cmp_lt_u32_e32 vcc, s28, v6
                                        ; implicit-def: $vgpr5
	s_and_saveexec_b64 s[28:29], vcc
	s_xor_b64 s[28:29], exec, s[28:29]
; %bb.327:
	v_bfe_u32 v5, v4, 20, 1
	s_mov_b32 s30, 0x407ffff
	v_add3_u32 v5, v4, v5, s30
	v_lshrrev_b32_e32 v6, 20, v5
	v_and_b32_e32 v5, 0xff00000, v5
	s_mov_b32 s30, 0x7f00000
	v_mov_b32_e32 v7, 0x7e
	v_cmp_ne_u32_e32 vcc, s30, v5
	v_cndmask_b32_e32 v5, v7, v6, vcc
; %bb.328:
	s_andn2_saveexec_b64 s[28:29], s[28:29]
; %bb.329:
	s_mov_b32 s30, 0x46800000
	v_add_f32_e64 v5, |v4|, s30
; %bb.330:
	s_or_b64 exec, exec, s[28:29]
                                        ; implicit-def: $vgpr6
.LBB86_331:
	s_andn2_saveexec_b64 s[24:25], s[24:25]
; %bb.332:
	s_mov_b32 s28, 0x7f800000
	v_mov_b32_e32 v5, 0x7e
	v_mov_b32_e32 v7, 0x7f
	v_cmp_lt_u32_e32 vcc, s28, v6
	v_cndmask_b32_e32 v5, v5, v7, vcc
; %bb.333:
	s_or_b64 exec, exec, s[24:25]
	v_lshrrev_b32_e32 v4, 24, v4
	s_movk_i32 s24, 0x80
	v_and_or_b32 v4, v4, s24, v5
	global_store_byte v[2:3], v4, off
.LBB86_334:
	s_mov_b64 s[24:25], 0
.LBB86_335:
	s_andn2_b64 vcc, exec, s[24:25]
	s_cbranch_vccnz .LBB86_345
; %bb.336:
	v_xor_b32_e32 v5, v0, v1
	v_ffbh_i32_e32 v4, v1
	v_ashrrev_i32_e32 v5, 31, v5
	v_add_u32_e32 v4, -1, v4
	v_add_u32_e32 v5, 32, v5
	v_min_u32_e32 v6, v4, v5
	v_lshlrev_b64 v[4:5], v6, v[0:1]
	s_mov_b32 s24, 0x47800000
	v_min_u32_e32 v4, 1, v4
	v_or_b32_e32 v4, v5, v4
	v_cvt_f32_i32_e32 v4, v4
	v_sub_u32_e32 v5, 32, v6
	v_ldexp_f32 v4, v4, v5
	v_and_b32_e32 v6, 0x7fffffff, v4
	v_cmp_gt_u32_e32 vcc, s24, v6
                                        ; implicit-def: $vgpr5
	s_and_saveexec_b64 s[24:25], vcc
	s_xor_b64 s[24:25], exec, s[24:25]
	s_cbranch_execz .LBB86_342
; %bb.337:
	s_mov_b32 s28, 0x387fffff
	v_cmp_lt_u32_e32 vcc, s28, v6
                                        ; implicit-def: $vgpr5
	s_and_saveexec_b64 s[28:29], vcc
	s_xor_b64 s[28:29], exec, s[28:29]
; %bb.338:
	v_bfe_u32 v5, v4, 21, 1
	s_mov_b32 s30, 0x80fffff
	v_add3_u32 v5, v4, v5, s30
	v_lshrrev_b32_e32 v5, 21, v5
; %bb.339:
	s_andn2_saveexec_b64 s[28:29], s[28:29]
; %bb.340:
	s_mov_b32 s30, 0x43000000
	v_add_f32_e64 v5, |v4|, s30
; %bb.341:
	s_or_b64 exec, exec, s[28:29]
                                        ; implicit-def: $vgpr6
.LBB86_342:
	s_andn2_saveexec_b64 s[24:25], s[24:25]
; %bb.343:
	s_mov_b32 s28, 0x7f800000
	v_mov_b32_e32 v5, 0x7c
	v_mov_b32_e32 v7, 0x7f
	v_cmp_lt_u32_e32 vcc, s28, v6
	v_cndmask_b32_e32 v5, v5, v7, vcc
; %bb.344:
	s_or_b64 exec, exec, s[24:25]
	v_lshrrev_b32_e32 v4, 24, v4
	s_movk_i32 s24, 0x80
	v_and_or_b32 v4, v4, s24, v5
	global_store_byte v[2:3], v4, off
.LBB86_345:
	s_mov_b64 s[28:29], 0
	s_mov_b64 s[24:25], -1
.LBB86_346:
	s_andn2_b64 vcc, exec, s[28:29]
	s_cbranch_vccnz .LBB86_354
; %bb.347:
	s_cmp_gt_i32 s35, 14
	s_mov_b64 s[28:29], -1
	s_cbranch_scc0 .LBB86_351
; %bb.348:
	s_cmp_eq_u32 s35, 15
	s_mov_b64 s[0:1], -1
	s_cbranch_scc0 .LBB86_350
; %bb.349:
	v_xor_b32_e32 v5, v0, v1
	v_ffbh_i32_e32 v4, v1
	v_ashrrev_i32_e32 v5, 31, v5
	v_add_u32_e32 v4, -1, v4
	v_add_u32_e32 v5, 32, v5
	v_min_u32_e32 v6, v4, v5
	v_lshlrev_b64 v[4:5], v6, v[0:1]
	s_movk_i32 s0, 0x7fff
	v_min_u32_e32 v4, 1, v4
	v_or_b32_e32 v4, v5, v4
	v_cvt_f32_i32_e32 v4, v4
	v_sub_u32_e32 v5, 32, v6
	s_mov_b64 s[24:25], -1
	v_ldexp_f32 v4, v4, v5
	v_bfe_u32 v5, v4, 16, 1
	v_add3_u32 v4, v4, v5, s0
	global_store_short_d16_hi v[2:3], v4, off
	s_mov_b64 s[0:1], 0
.LBB86_350:
	s_mov_b64 s[28:29], 0
.LBB86_351:
	s_and_b64 vcc, exec, s[28:29]
	s_cbranch_vccz .LBB86_354
; %bb.352:
	s_cmp_eq_u32 s35, 11
	s_mov_b64 s[0:1], -1
	s_cbranch_scc0 .LBB86_354
; %bb.353:
	v_cmp_ne_u64_e32 vcc, 0, v[0:1]
	s_mov_b64 s[0:1], 0
	v_cndmask_b32_e64 v4, 0, 1, vcc
	s_mov_b64 s[24:25], -1
	global_store_byte v[2:3], v4, off
.LBB86_354:
	s_mov_b64 s[28:29], 0
.LBB86_355:
	s_and_b64 vcc, exec, s[28:29]
	s_cbranch_vccz .LBB86_394
; %bb.356:
	s_and_b32 s28, 0xffff, s34
	s_cmp_lt_i32 s28, 5
	s_mov_b64 s[24:25], -1
	s_cbranch_scc1 .LBB86_377
; %bb.357:
	s_cmp_lt_i32 s28, 8
	s_cbranch_scc1 .LBB86_367
; %bb.358:
	s_cmp_lt_i32 s28, 9
	s_cbranch_scc1 .LBB86_364
; %bb.359:
	s_cmp_gt_i32 s28, 9
	s_cbranch_scc0 .LBB86_361
; %bb.360:
	v_cvt_f64_i32_e32 v[4:5], v1
	v_cvt_f64_u32_e32 v[6:7], v0
	s_mov_b64 s[24:25], 0
	v_ldexp_f64 v[4:5], v[4:5], 32
	v_add_f64 v[4:5], v[4:5], v[6:7]
	v_mov_b32_e32 v6, 0
	v_mov_b32_e32 v7, v6
	global_store_dwordx4 v[2:3], v[4:7], off
.LBB86_361:
	s_andn2_b64 vcc, exec, s[24:25]
	s_cbranch_vccnz .LBB86_363
; %bb.362:
	v_xor_b32_e32 v5, v0, v1
	v_ffbh_i32_e32 v4, v1
	v_ashrrev_i32_e32 v5, 31, v5
	v_add_u32_e32 v4, -1, v4
	v_add_u32_e32 v5, 32, v5
	v_min_u32_e32 v6, v4, v5
	v_lshlrev_b64 v[4:5], v6, v[0:1]
	v_min_u32_e32 v4, 1, v4
	v_or_b32_e32 v4, v5, v4
	v_cvt_f32_i32_e32 v4, v4
	v_sub_u32_e32 v5, 32, v6
	v_ldexp_f32 v4, v4, v5
	v_mov_b32_e32 v5, 0
	global_store_dwordx2 v[2:3], v[4:5], off
.LBB86_363:
	s_mov_b64 s[24:25], 0
.LBB86_364:
	s_andn2_b64 vcc, exec, s[24:25]
	s_cbranch_vccnz .LBB86_366
; %bb.365:
	v_xor_b32_e32 v5, v0, v1
	v_ffbh_i32_e32 v4, v1
	v_ashrrev_i32_e32 v5, 31, v5
	v_add_u32_e32 v4, -1, v4
	v_add_u32_e32 v5, 32, v5
	v_min_u32_e32 v6, v4, v5
	v_lshlrev_b64 v[4:5], v6, v[0:1]
	v_min_u32_e32 v4, 1, v4
	v_or_b32_e32 v4, v5, v4
	v_cvt_f32_i32_e32 v4, v4
	v_sub_u32_e32 v5, 32, v6
	v_ldexp_f32 v4, v4, v5
	v_cvt_f16_f32_e32 v4, v4
	global_store_dword v[2:3], v4, off
.LBB86_366:
	s_mov_b64 s[24:25], 0
.LBB86_367:
	s_andn2_b64 vcc, exec, s[24:25]
	s_cbranch_vccnz .LBB86_376
; %bb.368:
	s_cmp_lt_i32 s28, 6
	s_mov_b64 s[24:25], -1
	s_cbranch_scc1 .LBB86_374
; %bb.369:
	s_cmp_gt_i32 s28, 6
	s_cbranch_scc0 .LBB86_371
; %bb.370:
	v_cvt_f64_i32_e32 v[4:5], v1
	v_cvt_f64_u32_e32 v[6:7], v0
	s_mov_b64 s[24:25], 0
	v_ldexp_f64 v[4:5], v[4:5], 32
	v_add_f64 v[4:5], v[4:5], v[6:7]
	global_store_dwordx2 v[2:3], v[4:5], off
.LBB86_371:
	s_andn2_b64 vcc, exec, s[24:25]
	s_cbranch_vccnz .LBB86_373
; %bb.372:
	v_xor_b32_e32 v5, v0, v1
	v_ffbh_i32_e32 v4, v1
	v_ashrrev_i32_e32 v5, 31, v5
	v_add_u32_e32 v4, -1, v4
	v_add_u32_e32 v5, 32, v5
	v_min_u32_e32 v6, v4, v5
	v_lshlrev_b64 v[4:5], v6, v[0:1]
	v_min_u32_e32 v4, 1, v4
	v_or_b32_e32 v4, v5, v4
	v_cvt_f32_i32_e32 v4, v4
	v_sub_u32_e32 v5, 32, v6
	v_ldexp_f32 v4, v4, v5
	global_store_dword v[2:3], v4, off
.LBB86_373:
	s_mov_b64 s[24:25], 0
.LBB86_374:
	s_andn2_b64 vcc, exec, s[24:25]
	s_cbranch_vccnz .LBB86_376
; %bb.375:
	v_xor_b32_e32 v5, v0, v1
	v_ffbh_i32_e32 v4, v1
	v_ashrrev_i32_e32 v5, 31, v5
	v_add_u32_e32 v4, -1, v4
	v_add_u32_e32 v5, 32, v5
	v_min_u32_e32 v6, v4, v5
	v_lshlrev_b64 v[4:5], v6, v[0:1]
	v_min_u32_e32 v4, 1, v4
	v_or_b32_e32 v4, v5, v4
	v_cvt_f32_i32_e32 v4, v4
	v_sub_u32_e32 v5, 32, v6
	v_ldexp_f32 v4, v4, v5
	v_cvt_f16_f32_e32 v4, v4
	global_store_short v[2:3], v4, off
.LBB86_376:
	s_mov_b64 s[24:25], 0
.LBB86_377:
	s_andn2_b64 vcc, exec, s[24:25]
	s_cbranch_vccnz .LBB86_393
; %bb.378:
	s_cmp_lt_i32 s28, 2
	s_mov_b64 s[24:25], -1
	s_cbranch_scc1 .LBB86_388
; %bb.379:
	s_cmp_lt_i32 s28, 3
	s_cbranch_scc1 .LBB86_385
; %bb.380:
	s_cmp_gt_i32 s28, 3
	s_cbranch_scc0 .LBB86_382
; %bb.381:
	s_mov_b64 s[24:25], 0
	global_store_dwordx2 v[2:3], v[0:1], off
.LBB86_382:
	s_andn2_b64 vcc, exec, s[24:25]
	s_cbranch_vccnz .LBB86_384
; %bb.383:
	global_store_dword v[2:3], v0, off
.LBB86_384:
	s_mov_b64 s[24:25], 0
.LBB86_385:
	s_andn2_b64 vcc, exec, s[24:25]
	s_cbranch_vccnz .LBB86_387
; %bb.386:
	global_store_short v[2:3], v0, off
.LBB86_387:
	s_mov_b64 s[24:25], 0
.LBB86_388:
	s_andn2_b64 vcc, exec, s[24:25]
	s_cbranch_vccnz .LBB86_393
; %bb.389:
	s_cmp_gt_i32 s28, 0
	s_mov_b64 s[24:25], -1
	s_cbranch_scc0 .LBB86_391
; %bb.390:
	s_mov_b64 s[24:25], 0
	global_store_byte v[2:3], v0, off
.LBB86_391:
	s_andn2_b64 vcc, exec, s[24:25]
	s_cbranch_vccnz .LBB86_393
; %bb.392:
	global_store_byte v[2:3], v0, off
.LBB86_393:
	s_mov_b64 s[24:25], -1
.LBB86_394:
	s_andn2_b64 vcc, exec, s[24:25]
	s_cbranch_vccnz .LBB86_396
; %bb.395:
	v_add_u32_e32 v10, 0x80, v10
	s_mov_b64 s[28:29], -1
	s_branch .LBB86_504
.LBB86_396:
	s_mov_b64 s[28:29], 0
                                        ; implicit-def: $vgpr10
	s_branch .LBB86_504
.LBB86_397:
	s_mov_b64 s[22:23], -1
                                        ; implicit-def: $vgpr2_vgpr3
.LBB86_398:
	s_mov_b64 s[24:25], 0
.LBB86_399:
	s_and_b64 vcc, exec, s[24:25]
	s_cbranch_vccz .LBB86_403
; %bb.400:
	s_cmp_eq_u32 s28, 29
	s_cbranch_scc0 .LBB86_402
; %bb.401:
	global_load_dwordx2 v[2:3], v[0:1], off
	s_mov_b64 s[0:1], -1
	s_mov_b64 s[22:23], 0
	s_branch .LBB86_403
.LBB86_402:
	s_mov_b64 s[22:23], -1
                                        ; implicit-def: $vgpr2_vgpr3
.LBB86_403:
	s_mov_b64 s[24:25], 0
.LBB86_404:
	s_and_b64 vcc, exec, s[24:25]
	s_cbranch_vccz .LBB86_422
; %bb.405:
	s_cmp_lt_i32 s28, 27
	s_cbranch_scc1 .LBB86_408
; %bb.406:
	s_cmp_gt_i32 s28, 27
	s_cbranch_scc0 .LBB86_409
; %bb.407:
	global_load_dword v2, v[0:1], off
	s_waitcnt vmcnt(1)
	v_mov_b32_e32 v3, 0
	s_mov_b64 s[0:1], 0
	s_branch .LBB86_410
.LBB86_408:
	s_mov_b64 s[0:1], -1
                                        ; implicit-def: $vgpr2_vgpr3
	s_branch .LBB86_413
.LBB86_409:
	s_mov_b64 s[0:1], -1
                                        ; implicit-def: $vgpr2_vgpr3
.LBB86_410:
	s_andn2_b64 vcc, exec, s[0:1]
	s_cbranch_vccnz .LBB86_412
; %bb.411:
	global_load_ushort v2, v[0:1], off
	s_mov_b32 s0, 0
	s_waitcnt vmcnt(1)
	v_mov_b32_e32 v3, s0
	s_waitcnt vmcnt(0)
	v_and_b32_e32 v2, 0xffff, v2
.LBB86_412:
	s_mov_b64 s[0:1], 0
.LBB86_413:
	s_andn2_b64 vcc, exec, s[0:1]
	s_cbranch_vccnz .LBB86_421
; %bb.414:
	global_load_ubyte v4, v[0:1], off
	s_movk_i32 s0, 0x7f
	s_mov_b64 s[24:25], 0
	s_waitcnt vmcnt(0)
	v_cmp_lt_i16_e32 vcc, s0, v4
	s_and_saveexec_b64 s[0:1], vcc
	s_xor_b64 s[0:1], exec, s[0:1]
; %bb.415:
	s_movk_i32 s24, 0x80
	v_cmp_ne_u16_e32 vcc, s24, v4
	s_and_b64 s[24:25], vcc, exec
; %bb.416:
	s_andn2_saveexec_b64 s[0:1], s[0:1]
; %bb.417:
	v_cmp_ne_u16_e32 vcc, 0, v4
	s_andn2_b64 s[24:25], s[24:25], exec
	s_and_b64 s[30:31], vcc, exec
	s_or_b64 s[24:25], s[24:25], s[30:31]
; %bb.418:
	s_or_b64 exec, exec, s[0:1]
	v_mov_b32_e32 v2, 0
	v_mov_b32_e32 v3, 0
	s_and_saveexec_b64 s[0:1], s[24:25]
	s_cbranch_execz .LBB86_420
; %bb.419:
	v_and_b32_e32 v3, 0xffff, v4
	v_lshlrev_b32_e32 v2, 24, v4
	v_and_b32_e32 v4, 7, v3
	v_ffbh_u32_e32 v6, v4
	v_min_u32_e32 v6, 32, v6
	v_subrev_u32_e32 v7, 28, v6
	v_bfe_u32 v5, v3, 3, 4
	v_lshlrev_b32_e32 v3, v7, v3
	v_sub_u32_e32 v6, 29, v6
	v_and_b32_e32 v3, 7, v3
	v_cmp_eq_u32_e32 vcc, 0, v5
	v_cndmask_b32_e32 v5, v5, v6, vcc
	v_cndmask_b32_e32 v3, v4, v3, vcc
	v_mov_b32_e32 v4, 0x3b800000
	v_lshlrev_b32_e32 v3, 20, v3
	v_and_b32_e32 v2, 0x80000000, v2
	v_lshl_add_u32 v4, v5, 23, v4
	v_or3_b32 v2, v2, v4, v3
	v_trunc_f32_e32 v2, v2
	s_mov_b32 s24, 0x2f800000
	v_mul_f32_e64 v3, |v2|, s24
	v_floor_f32_e32 v3, v3
	s_mov_b32 s24, 0xcf800000
	v_fma_f32 v4, v3, s24, |v2|
	v_cvt_u32_f32_e32 v4, v4
	v_cvt_u32_f32_e32 v3, v3
	v_ashrrev_i32_e32 v5, 31, v2
	v_xor_b32_e32 v2, v4, v5
	v_xor_b32_e32 v3, v3, v5
	v_sub_co_u32_e32 v2, vcc, v2, v5
	v_subb_co_u32_e32 v3, vcc, v3, v5, vcc
.LBB86_420:
	s_or_b64 exec, exec, s[0:1]
.LBB86_421:
	s_mov_b64 s[0:1], -1
.LBB86_422:
	s_mov_b64 s[24:25], 0
.LBB86_423:
	s_and_b64 vcc, exec, s[24:25]
	s_cbranch_vccz .LBB86_454
; %bb.424:
	s_cmp_gt_i32 s28, 22
	s_cbranch_scc0 .LBB86_434
; %bb.425:
	s_cmp_lt_i32 s28, 24
	s_cbranch_scc1 .LBB86_435
; %bb.426:
	s_cmp_gt_i32 s28, 24
	s_cbranch_scc0 .LBB86_436
; %bb.427:
	global_load_ubyte v4, v[0:1], off
	s_movk_i32 s0, 0x7f
	s_mov_b64 s[24:25], 0
	s_waitcnt vmcnt(0)
	v_cmp_lt_i16_e32 vcc, s0, v4
	s_and_saveexec_b64 s[0:1], vcc
	s_xor_b64 s[0:1], exec, s[0:1]
; %bb.428:
	s_movk_i32 s24, 0x80
	v_cmp_ne_u16_e32 vcc, s24, v4
	s_and_b64 s[24:25], vcc, exec
; %bb.429:
	s_andn2_saveexec_b64 s[0:1], s[0:1]
; %bb.430:
	v_cmp_ne_u16_e32 vcc, 0, v4
	s_andn2_b64 s[24:25], s[24:25], exec
	s_and_b64 s[30:31], vcc, exec
	s_or_b64 s[24:25], s[24:25], s[30:31]
; %bb.431:
	s_or_b64 exec, exec, s[0:1]
	v_mov_b32_e32 v2, 0
	v_mov_b32_e32 v3, 0
	s_and_saveexec_b64 s[0:1], s[24:25]
	s_cbranch_execz .LBB86_433
; %bb.432:
	v_and_b32_e32 v3, 0xffff, v4
	v_lshlrev_b32_e32 v2, 24, v4
	v_and_b32_e32 v4, 3, v3
	v_ffbh_u32_e32 v6, v4
	v_min_u32_e32 v6, 32, v6
	v_subrev_u32_e32 v7, 29, v6
	v_bfe_u32 v5, v3, 2, 5
	v_lshlrev_b32_e32 v3, v7, v3
	v_sub_u32_e32 v6, 30, v6
	v_and_b32_e32 v3, 3, v3
	v_cmp_eq_u32_e32 vcc, 0, v5
	v_cndmask_b32_e32 v5, v5, v6, vcc
	v_cndmask_b32_e32 v3, v4, v3, vcc
	v_mov_b32_e32 v4, 0x37800000
	v_lshlrev_b32_e32 v3, 21, v3
	v_and_b32_e32 v2, 0x80000000, v2
	v_lshl_add_u32 v4, v5, 23, v4
	v_or3_b32 v2, v2, v4, v3
	v_trunc_f32_e32 v2, v2
	s_mov_b32 s24, 0x2f800000
	v_mul_f32_e64 v3, |v2|, s24
	v_floor_f32_e32 v3, v3
	s_mov_b32 s24, 0xcf800000
	v_fma_f32 v4, v3, s24, |v2|
	v_cvt_u32_f32_e32 v4, v4
	v_cvt_u32_f32_e32 v3, v3
	v_ashrrev_i32_e32 v5, 31, v2
	v_xor_b32_e32 v2, v4, v5
	v_xor_b32_e32 v3, v3, v5
	v_sub_co_u32_e32 v2, vcc, v2, v5
	v_subb_co_u32_e32 v3, vcc, v3, v5, vcc
.LBB86_433:
	s_or_b64 exec, exec, s[0:1]
	s_mov_b64 s[0:1], 0
	s_branch .LBB86_437
.LBB86_434:
	s_mov_b64 s[24:25], -1
                                        ; implicit-def: $vgpr2_vgpr3
	s_branch .LBB86_443
.LBB86_435:
	s_mov_b64 s[0:1], -1
                                        ; implicit-def: $vgpr2_vgpr3
	s_branch .LBB86_440
.LBB86_436:
	s_mov_b64 s[0:1], -1
                                        ; implicit-def: $vgpr2_vgpr3
.LBB86_437:
	s_and_b64 vcc, exec, s[0:1]
	s_cbranch_vccz .LBB86_439
; %bb.438:
	global_load_ubyte v2, v[0:1], off
	s_mov_b32 s0, 0x7f800000
	s_brev_b32 s1, 1
	s_mov_b32 s24, 0x2f800000
	s_mov_b32 s25, 0xcf800000
	s_waitcnt vmcnt(0)
	v_lshlrev_b32_e32 v2, 24, v2
	v_and_b32_e32 v3, 0x7f000000, v2
	v_ffbh_u32_e32 v4, v3
	v_min_u32_e32 v4, 32, v4
	v_sub_u32_e64 v4, v4, 4 clamp
	v_lshlrev_b32_e32 v6, v4, v3
	v_lshlrev_b32_e32 v4, 23, v4
	v_lshrrev_b32_e32 v6, 4, v6
	v_add_u32_e32 v5, 0x1000000, v3
	v_sub_u32_e32 v4, v6, v4
	v_ashrrev_i32_e32 v5, 8, v5
	v_add_u32_e32 v4, 0x3c000000, v4
	v_and_or_b32 v4, v5, s0, v4
	v_cmp_ne_u32_e32 vcc, 0, v3
	v_cndmask_b32_e32 v3, 0, v4, vcc
	v_and_or_b32 v2, v2, s1, v3
	v_trunc_f32_e32 v2, v2
	v_mul_f32_e64 v3, |v2|, s24
	v_floor_f32_e32 v3, v3
	v_fma_f32 v4, v3, s25, |v2|
	v_cvt_u32_f32_e32 v4, v4
	v_cvt_u32_f32_e32 v3, v3
	v_ashrrev_i32_e32 v5, 31, v2
	v_xor_b32_e32 v2, v4, v5
	v_xor_b32_e32 v3, v3, v5
	v_sub_co_u32_e32 v2, vcc, v2, v5
	v_subb_co_u32_e32 v3, vcc, v3, v5, vcc
.LBB86_439:
	s_mov_b64 s[0:1], 0
.LBB86_440:
	s_andn2_b64 vcc, exec, s[0:1]
	s_cbranch_vccnz .LBB86_442
; %bb.441:
	global_load_ubyte v2, v[0:1], off
	s_movk_i32 s0, 0x7f00
	s_brev_b32 s1, 16
	s_brev_b32 s24, 1
	s_mov_b32 s25, 0x2f800000
	s_mov_b32 s29, 0xcf800000
	s_waitcnt vmcnt(0)
	v_lshlrev_b16_e32 v3, 8, v2
	v_lshlrev_b32_e32 v2, 25, v2
	v_lshrrev_b32_e32 v4, 4, v2
	v_and_or_b32 v5, v3, s0, 0.5
	v_or_b32_e32 v4, 0x70000000, v4
	v_add_f32_e32 v5, -0.5, v5
	v_mul_f32_e32 v4, 0x7800000, v4
	v_cmp_gt_u32_e32 vcc, s1, v2
	v_bfe_i32 v3, v3, 0, 16
	v_cndmask_b32_e32 v2, v4, v5, vcc
	v_and_or_b32 v2, v3, s24, v2
	v_trunc_f32_e32 v2, v2
	v_mul_f32_e64 v3, |v2|, s25
	v_floor_f32_e32 v3, v3
	v_fma_f32 v4, v3, s29, |v2|
	v_cvt_u32_f32_e32 v4, v4
	v_cvt_u32_f32_e32 v3, v3
	v_ashrrev_i32_e32 v5, 31, v2
	v_xor_b32_e32 v2, v4, v5
	v_xor_b32_e32 v3, v3, v5
	v_sub_co_u32_e32 v2, vcc, v2, v5
	v_subb_co_u32_e32 v3, vcc, v3, v5, vcc
.LBB86_442:
	s_mov_b64 s[24:25], 0
	s_mov_b64 s[0:1], -1
.LBB86_443:
	s_andn2_b64 vcc, exec, s[24:25]
	s_cbranch_vccnz .LBB86_454
; %bb.444:
	s_cmp_gt_i32 s28, 14
	s_cbranch_scc0 .LBB86_447
; %bb.445:
	s_cmp_eq_u32 s28, 15
	s_cbranch_scc0 .LBB86_448
; %bb.446:
	global_load_ushort v2, v[0:1], off
	s_mov_b32 s0, 0x2f800000
	s_mov_b32 s1, 0xcf800000
	s_mov_b64 s[22:23], 0
	s_waitcnt vmcnt(0)
	v_lshlrev_b32_e32 v2, 16, v2
	v_trunc_f32_e32 v2, v2
	v_mul_f32_e64 v3, |v2|, s0
	v_floor_f32_e32 v3, v3
	v_fma_f32 v4, v3, s1, |v2|
	v_cvt_u32_f32_e32 v4, v4
	v_cvt_u32_f32_e32 v3, v3
	v_ashrrev_i32_e32 v5, 31, v2
	s_mov_b64 s[0:1], -1
	v_xor_b32_e32 v2, v4, v5
	v_xor_b32_e32 v3, v3, v5
	v_sub_co_u32_e32 v2, vcc, v2, v5
	v_subb_co_u32_e32 v3, vcc, v3, v5, vcc
	s_branch .LBB86_449
.LBB86_447:
	s_mov_b64 s[24:25], -1
                                        ; implicit-def: $vgpr2_vgpr3
	s_branch .LBB86_450
.LBB86_448:
	s_mov_b64 s[22:23], -1
                                        ; implicit-def: $vgpr2_vgpr3
.LBB86_449:
	s_mov_b64 s[24:25], 0
.LBB86_450:
	s_and_b64 vcc, exec, s[24:25]
	s_cbranch_vccz .LBB86_454
; %bb.451:
	s_cmp_eq_u32 s28, 11
	s_cbranch_scc0 .LBB86_453
; %bb.452:
	global_load_ubyte v2, v[0:1], off
	s_mov_b32 s22, 0
	s_mov_b64 s[0:1], -1
	s_waitcnt vmcnt(1)
	v_mov_b32_e32 v3, s22
	s_mov_b64 s[22:23], 0
	s_waitcnt vmcnt(0)
	v_cmp_ne_u16_e32 vcc, 0, v2
	v_cndmask_b32_e64 v2, 0, 1, vcc
	s_branch .LBB86_454
.LBB86_453:
	s_mov_b64 s[22:23], -1
                                        ; implicit-def: $vgpr2_vgpr3
.LBB86_454:
	s_branch .LBB86_261
.LBB86_455:
	s_cmp_lt_i32 s28, 5
	s_cbranch_scc1 .LBB86_460
; %bb.456:
	s_cmp_lt_i32 s28, 8
	s_cbranch_scc1 .LBB86_461
; %bb.457:
	;; [unrolled: 3-line block ×3, first 2 shown]
	s_cmp_gt_i32 s28, 9
	s_cbranch_scc0 .LBB86_463
; %bb.459:
	global_load_dwordx2 v[2:3], v[0:1], off
	s_movk_i32 s0, 0xffe0
	s_waitcnt vmcnt(0)
	v_trunc_f64_e32 v[2:3], v[2:3]
	v_ldexp_f64 v[4:5], v[2:3], s0
	s_mov_b32 s0, 0
	s_mov_b32 s1, 0xc1f00000
	v_floor_f64_e32 v[4:5], v[4:5]
	v_fma_f64 v[6:7], v[4:5], s[0:1], v[2:3]
	v_cvt_i32_f64_e32 v3, v[4:5]
	s_mov_b64 s[0:1], 0
	v_cvt_u32_f64_e32 v2, v[6:7]
	s_branch .LBB86_464
.LBB86_460:
	s_mov_b64 s[0:1], -1
                                        ; implicit-def: $vgpr2_vgpr3
	s_branch .LBB86_482
.LBB86_461:
	s_mov_b64 s[0:1], -1
                                        ; implicit-def: $vgpr2_vgpr3
	s_branch .LBB86_470
.LBB86_462:
	s_mov_b64 s[0:1], -1
                                        ; implicit-def: $vgpr2_vgpr3
	s_branch .LBB86_467
.LBB86_463:
	s_mov_b64 s[0:1], -1
                                        ; implicit-def: $vgpr2_vgpr3
.LBB86_464:
	s_andn2_b64 vcc, exec, s[0:1]
	s_cbranch_vccnz .LBB86_466
; %bb.465:
	global_load_dword v2, v[0:1], off
	s_mov_b32 s0, 0x2f800000
	s_mov_b32 s1, 0xcf800000
	s_waitcnt vmcnt(0)
	v_trunc_f32_e32 v2, v2
	v_mul_f32_e64 v3, |v2|, s0
	v_floor_f32_e32 v3, v3
	v_cvt_u32_f32_e32 v4, v3
	v_fma_f32 v3, v3, s1, |v2|
	v_cvt_u32_f32_e32 v3, v3
	v_ashrrev_i32_e32 v5, 31, v2
	v_xor_b32_e32 v4, v4, v5
	v_xor_b32_e32 v2, v3, v5
	v_sub_co_u32_e32 v2, vcc, v2, v5
	v_subb_co_u32_e32 v3, vcc, v4, v5, vcc
.LBB86_466:
	s_mov_b64 s[0:1], 0
.LBB86_467:
	s_andn2_b64 vcc, exec, s[0:1]
	s_cbranch_vccnz .LBB86_469
; %bb.468:
	global_load_dword v2, v[0:1], off
	s_waitcnt vmcnt(0)
	v_cvt_f32_f16_e32 v2, v2
	v_cvt_i32_f32_e32 v2, v2
	v_ashrrev_i32_e32 v3, 31, v2
.LBB86_469:
	s_mov_b64 s[0:1], 0
.LBB86_470:
	s_andn2_b64 vcc, exec, s[0:1]
	s_cbranch_vccnz .LBB86_481
; %bb.471:
	s_cmp_lt_i32 s28, 6
	s_cbranch_scc1 .LBB86_474
; %bb.472:
	s_cmp_gt_i32 s28, 6
	s_cbranch_scc0 .LBB86_475
; %bb.473:
	global_load_dwordx2 v[2:3], v[0:1], off
	s_movk_i32 s0, 0xffe0
	s_waitcnt vmcnt(0)
	v_trunc_f64_e32 v[2:3], v[2:3]
	v_ldexp_f64 v[4:5], v[2:3], s0
	s_mov_b32 s0, 0
	s_mov_b32 s1, 0xc1f00000
	v_floor_f64_e32 v[4:5], v[4:5]
	v_fma_f64 v[6:7], v[4:5], s[0:1], v[2:3]
	v_cvt_i32_f64_e32 v3, v[4:5]
	s_mov_b64 s[0:1], 0
	v_cvt_u32_f64_e32 v2, v[6:7]
	s_branch .LBB86_476
.LBB86_474:
	s_mov_b64 s[0:1], -1
                                        ; implicit-def: $vgpr2_vgpr3
	s_branch .LBB86_479
.LBB86_475:
	s_mov_b64 s[0:1], -1
                                        ; implicit-def: $vgpr2_vgpr3
.LBB86_476:
	s_andn2_b64 vcc, exec, s[0:1]
	s_cbranch_vccnz .LBB86_478
; %bb.477:
	global_load_dword v2, v[0:1], off
	s_mov_b32 s0, 0x2f800000
	s_mov_b32 s1, 0xcf800000
	s_waitcnt vmcnt(0)
	v_trunc_f32_e32 v2, v2
	v_mul_f32_e64 v3, |v2|, s0
	v_floor_f32_e32 v3, v3
	v_cvt_u32_f32_e32 v4, v3
	v_fma_f32 v3, v3, s1, |v2|
	v_cvt_u32_f32_e32 v3, v3
	v_ashrrev_i32_e32 v5, 31, v2
	v_xor_b32_e32 v4, v4, v5
	v_xor_b32_e32 v2, v3, v5
	v_sub_co_u32_e32 v2, vcc, v2, v5
	v_subb_co_u32_e32 v3, vcc, v4, v5, vcc
.LBB86_478:
	s_mov_b64 s[0:1], 0
.LBB86_479:
	s_andn2_b64 vcc, exec, s[0:1]
	s_cbranch_vccnz .LBB86_481
; %bb.480:
	global_load_ushort v2, v[0:1], off
	s_waitcnt vmcnt(0)
	v_cvt_f32_f16_e32 v2, v2
	v_cvt_i32_f32_e32 v2, v2
	v_ashrrev_i32_e32 v3, 31, v2
.LBB86_481:
	s_mov_b64 s[0:1], 0
.LBB86_482:
	s_andn2_b64 vcc, exec, s[0:1]
	s_cbranch_vccnz .LBB86_502
; %bb.483:
	s_cmp_lt_i32 s28, 2
	s_cbranch_scc1 .LBB86_487
; %bb.484:
	s_cmp_lt_i32 s28, 3
	s_cbranch_scc1 .LBB86_488
; %bb.485:
	s_cmp_gt_i32 s28, 3
	s_cbranch_scc0 .LBB86_489
; %bb.486:
	global_load_dwordx2 v[2:3], v[0:1], off
	s_mov_b64 s[0:1], 0
	s_branch .LBB86_490
.LBB86_487:
	s_mov_b64 s[0:1], -1
                                        ; implicit-def: $vgpr2_vgpr3
	s_branch .LBB86_496
.LBB86_488:
	s_mov_b64 s[0:1], -1
                                        ; implicit-def: $vgpr2_vgpr3
	s_branch .LBB86_493
.LBB86_489:
	s_mov_b64 s[0:1], -1
                                        ; implicit-def: $vgpr2_vgpr3
.LBB86_490:
	s_andn2_b64 vcc, exec, s[0:1]
	s_cbranch_vccnz .LBB86_492
; %bb.491:
	global_load_dword v2, v[0:1], off
	s_waitcnt vmcnt(0)
	v_ashrrev_i32_e32 v3, 31, v2
.LBB86_492:
	s_mov_b64 s[0:1], 0
.LBB86_493:
	s_andn2_b64 vcc, exec, s[0:1]
	s_cbranch_vccnz .LBB86_495
; %bb.494:
	global_load_ushort v2, v[0:1], off
	s_waitcnt vmcnt(0)
	v_bfe_i32 v2, v2, 0, 16
	v_ashrrev_i32_e32 v3, 31, v2
.LBB86_495:
	s_mov_b64 s[0:1], 0
.LBB86_496:
	s_andn2_b64 vcc, exec, s[0:1]
	s_cbranch_vccnz .LBB86_502
; %bb.497:
	s_cmp_gt_i32 s28, 0
	s_cbranch_scc0 .LBB86_499
; %bb.498:
	global_load_sbyte v2, v[0:1], off
	s_mov_b64 s[0:1], 0
	s_waitcnt vmcnt(0)
	v_bfe_i32 v2, v2, 0, 16
	v_ashrrev_i32_e32 v3, 31, v2
	s_branch .LBB86_500
.LBB86_499:
	s_mov_b64 s[0:1], -1
                                        ; implicit-def: $vgpr2_vgpr3
.LBB86_500:
	s_andn2_b64 vcc, exec, s[0:1]
	s_cbranch_vccnz .LBB86_502
; %bb.501:
	global_load_ubyte v0, v[0:1], off
	s_mov_b32 s0, 0
	s_waitcnt vmcnt(1)
	v_mov_b32_e32 v3, s0
	s_waitcnt vmcnt(0)
	v_and_b32_e32 v2, 0xffff, v0
.LBB86_502:
	s_branch .LBB86_262
.LBB86_503:
	s_mov_b64 s[28:29], 0
                                        ; implicit-def: $vgpr10
	s_mov_b64 s[0:1], s[16:17]
.LBB86_504:
	s_andn2_b64 s[24:25], s[16:17], exec
	s_and_b64 s[0:1], s[0:1], exec
	s_or_b64 s[24:25], s[24:25], s[0:1]
	s_andn2_b64 s[0:1], s[18:19], exec
	s_and_b64 s[22:23], s[22:23], exec
	s_or_b64 s[22:23], s[0:1], s[22:23]
	s_orn2_b64 s[0:1], s[28:29], exec
.LBB86_505:
	s_or_b64 exec, exec, s[26:27]
	s_mov_b64 s[28:29], 0
	s_mov_b64 s[30:31], 0
	;; [unrolled: 1-line block ×3, first 2 shown]
                                        ; implicit-def: $vgpr0_vgpr1
                                        ; implicit-def: $vgpr4_vgpr5
	s_and_saveexec_b64 s[26:27], s[0:1]
	s_cbranch_execz .LBB86_842
; %bb.506:
	v_cmp_gt_i32_e32 vcc, s42, v10
	s_mov_b64 s[38:39], -1
	s_mov_b64 s[0:1], s[22:23]
	s_mov_b64 s[34:35], s[24:25]
	s_and_saveexec_b64 s[28:29], vcc
	s_cbranch_execz .LBB86_760
; %bb.507:
	v_mul_lo_u32 v0, v10, s13
	v_mov_b32_e32 v1, s11
	s_and_b32 s36, 0xffff, s46
	s_cmp_lt_i32 s36, 11
	s_waitcnt vmcnt(0)
	v_ashrrev_i32_e32 v2, 31, v0
	v_add_co_u32_e32 v0, vcc, s10, v0
	v_addc_co_u32_e32 v1, vcc, v1, v2, vcc
	s_cbranch_scc1 .LBB86_514
; %bb.508:
	s_cmp_gt_i32 s36, 25
	s_cbranch_scc0 .LBB86_515
; %bb.509:
	s_cmp_gt_i32 s36, 28
	s_cbranch_scc0 .LBB86_516
	;; [unrolled: 3-line block ×4, first 2 shown]
; %bb.512:
	s_cmp_eq_u32 s36, 46
	s_mov_b64 s[34:35], 0
	s_cbranch_scc0 .LBB86_523
; %bb.513:
	global_load_dword v2, v[0:1], off
	s_mov_b32 s0, 0x2f800000
	s_mov_b32 s1, 0xcf800000
	s_waitcnt vmcnt(0)
	v_lshlrev_b32_e32 v2, 16, v2
	v_trunc_f32_e32 v2, v2
	v_mul_f32_e64 v3, |v2|, s0
	v_floor_f32_e32 v3, v3
	v_fma_f32 v4, v3, s1, |v2|
	v_cvt_u32_f32_e32 v4, v4
	v_cvt_u32_f32_e32 v3, v3
	v_ashrrev_i32_e32 v5, 31, v2
	s_mov_b64 s[0:1], -1
	v_xor_b32_e32 v2, v4, v5
	v_xor_b32_e32 v3, v3, v5
	v_sub_co_u32_e32 v2, vcc, v2, v5
	v_subb_co_u32_e32 v3, vcc, v3, v5, vcc
	s_branch .LBB86_524
.LBB86_514:
	s_mov_b64 s[34:35], -1
	s_mov_b64 s[0:1], 0
                                        ; implicit-def: $vgpr2_vgpr3
	s_mov_b64 s[30:31], s[22:23]
	s_branch .LBB86_585
.LBB86_515:
	s_mov_b64 s[34:35], -1
	s_mov_b64 s[0:1], 0
	s_mov_b64 s[30:31], s[22:23]
                                        ; implicit-def: $vgpr2_vgpr3
	s_branch .LBB86_553
.LBB86_516:
	s_mov_b64 s[34:35], -1
	s_mov_b64 s[0:1], 0
	s_mov_b64 s[30:31], s[22:23]
                                        ; implicit-def: $vgpr2_vgpr3
	s_branch .LBB86_534
.LBB86_517:
	s_mov_b64 s[34:35], -1
	s_mov_b64 s[0:1], 0
	s_mov_b64 s[30:31], s[22:23]
                                        ; implicit-def: $vgpr2_vgpr3
	s_branch .LBB86_529
.LBB86_518:
	s_andn2_saveexec_b64 s[30:31], s[30:31]
	s_cbranch_execz .LBB86_307
.LBB86_519:
	s_mov_b32 s36, 0x46000000
	v_add_f32_e64 v5, |v4|, s36
	v_and_b32_e32 v5, 0xff, v5
	v_cmp_ne_u32_e32 vcc, 0, v5
	s_andn2_b64 s[28:29], s[28:29], exec
	s_and_b64 s[36:37], vcc, exec
	s_or_b64 s[28:29], s[28:29], s[36:37]
	s_or_b64 exec, exec, s[30:31]
	v_mov_b32_e32 v6, 0
	s_and_saveexec_b64 s[30:31], s[28:29]
	s_cbranch_execnz .LBB86_308
	s_branch .LBB86_309
.LBB86_520:
	s_mov_b64 s[34:35], -1
	s_mov_b64 s[0:1], 0
	s_mov_b64 s[30:31], s[22:23]
                                        ; implicit-def: $vgpr2_vgpr3
	s_branch .LBB86_524
.LBB86_521:
	s_andn2_saveexec_b64 s[30:31], s[30:31]
	s_cbranch_execz .LBB86_320
.LBB86_522:
	s_mov_b32 s36, 0x42800000
	v_add_f32_e64 v5, |v4|, s36
	v_and_b32_e32 v5, 0xff, v5
	v_cmp_ne_u32_e32 vcc, 0, v5
	s_andn2_b64 s[28:29], s[28:29], exec
	s_and_b64 s[36:37], vcc, exec
	s_or_b64 s[28:29], s[28:29], s[36:37]
	s_or_b64 exec, exec, s[30:31]
	v_mov_b32_e32 v6, 0
	s_and_saveexec_b64 s[30:31], s[28:29]
	s_cbranch_execnz .LBB86_321
	s_branch .LBB86_322
.LBB86_523:
	s_mov_b64 s[30:31], -1
                                        ; implicit-def: $vgpr2_vgpr3
	s_mov_b64 s[0:1], 0
.LBB86_524:
	s_and_b64 vcc, exec, s[34:35]
	s_cbranch_vccz .LBB86_528
; %bb.525:
	s_cmp_eq_u32 s36, 44
	s_cbranch_scc0 .LBB86_527
; %bb.526:
	global_load_ubyte v2, v[0:1], off
	s_mov_b32 s0, 0x2f800000
	s_mov_b32 s1, 0xcf800000
	s_mov_b64 s[30:31], 0
	s_waitcnt vmcnt(0)
	v_lshlrev_b32_e32 v3, 23, v2
	v_trunc_f32_e32 v3, v3
	v_mul_f32_e64 v4, |v3|, s0
	v_floor_f32_e32 v4, v4
	v_fma_f32 v5, v4, s1, |v3|
	v_cvt_u32_f32_e32 v5, v5
	v_cvt_u32_f32_e32 v4, v4
	v_ashrrev_i32_e32 v3, 31, v3
	s_mov_b64 s[0:1], -1
	v_xor_b32_e32 v5, v5, v3
	v_xor_b32_e32 v4, v4, v3
	v_sub_co_u32_e32 v5, vcc, v5, v3
	v_subb_co_u32_e32 v3, vcc, v4, v3, vcc
	v_cmp_ne_u32_e32 vcc, 0, v2
	v_cndmask_b32_e32 v3, 0, v3, vcc
	v_cndmask_b32_e32 v2, 0, v5, vcc
	s_branch .LBB86_528
.LBB86_527:
	s_mov_b64 s[30:31], -1
                                        ; implicit-def: $vgpr2_vgpr3
.LBB86_528:
	s_mov_b64 s[34:35], 0
.LBB86_529:
	s_and_b64 vcc, exec, s[34:35]
	s_cbranch_vccz .LBB86_533
; %bb.530:
	s_cmp_eq_u32 s36, 29
	s_cbranch_scc0 .LBB86_532
; %bb.531:
	global_load_dwordx2 v[2:3], v[0:1], off
	s_mov_b64 s[0:1], -1
	s_mov_b64 s[30:31], 0
	s_branch .LBB86_533
.LBB86_532:
	s_mov_b64 s[30:31], -1
                                        ; implicit-def: $vgpr2_vgpr3
.LBB86_533:
	s_mov_b64 s[34:35], 0
.LBB86_534:
	s_and_b64 vcc, exec, s[34:35]
	s_cbranch_vccz .LBB86_552
; %bb.535:
	s_cmp_lt_i32 s36, 27
	s_cbranch_scc1 .LBB86_538
; %bb.536:
	s_cmp_gt_i32 s36, 27
	s_cbranch_scc0 .LBB86_539
; %bb.537:
	global_load_dword v2, v[0:1], off
	s_waitcnt vmcnt(1)
	v_mov_b32_e32 v3, 0
	s_mov_b64 s[0:1], 0
	s_branch .LBB86_540
.LBB86_538:
	s_mov_b64 s[0:1], -1
                                        ; implicit-def: $vgpr2_vgpr3
	s_branch .LBB86_543
.LBB86_539:
	s_mov_b64 s[0:1], -1
                                        ; implicit-def: $vgpr2_vgpr3
.LBB86_540:
	s_andn2_b64 vcc, exec, s[0:1]
	s_cbranch_vccnz .LBB86_542
; %bb.541:
	global_load_ushort v2, v[0:1], off
	s_mov_b32 s0, 0
	s_waitcnt vmcnt(1)
	v_mov_b32_e32 v3, s0
	s_waitcnt vmcnt(0)
	v_and_b32_e32 v2, 0xffff, v2
.LBB86_542:
	s_mov_b64 s[0:1], 0
.LBB86_543:
	s_andn2_b64 vcc, exec, s[0:1]
	s_cbranch_vccnz .LBB86_551
; %bb.544:
	global_load_ubyte v4, v[0:1], off
	s_movk_i32 s0, 0x7f
	s_mov_b64 s[34:35], 0
	s_waitcnt vmcnt(0)
	v_cmp_lt_i16_e32 vcc, s0, v4
	s_and_saveexec_b64 s[0:1], vcc
	s_xor_b64 s[0:1], exec, s[0:1]
; %bb.545:
	s_movk_i32 s34, 0x80
	v_cmp_ne_u16_e32 vcc, s34, v4
	s_and_b64 s[34:35], vcc, exec
; %bb.546:
	s_andn2_saveexec_b64 s[0:1], s[0:1]
; %bb.547:
	v_cmp_ne_u16_e32 vcc, 0, v4
	s_andn2_b64 s[34:35], s[34:35], exec
	s_and_b64 s[38:39], vcc, exec
	s_or_b64 s[34:35], s[34:35], s[38:39]
; %bb.548:
	s_or_b64 exec, exec, s[0:1]
	v_mov_b32_e32 v2, 0
	v_mov_b32_e32 v3, 0
	s_and_saveexec_b64 s[0:1], s[34:35]
	s_cbranch_execz .LBB86_550
; %bb.549:
	v_and_b32_e32 v3, 0xffff, v4
	v_lshlrev_b32_e32 v2, 24, v4
	v_and_b32_e32 v4, 7, v3
	v_ffbh_u32_e32 v6, v4
	v_min_u32_e32 v6, 32, v6
	v_subrev_u32_e32 v7, 28, v6
	v_bfe_u32 v5, v3, 3, 4
	v_lshlrev_b32_e32 v3, v7, v3
	v_sub_u32_e32 v6, 29, v6
	v_and_b32_e32 v3, 7, v3
	v_cmp_eq_u32_e32 vcc, 0, v5
	v_cndmask_b32_e32 v5, v5, v6, vcc
	v_cndmask_b32_e32 v3, v4, v3, vcc
	v_mov_b32_e32 v4, 0x3b800000
	v_lshlrev_b32_e32 v3, 20, v3
	v_and_b32_e32 v2, 0x80000000, v2
	v_lshl_add_u32 v4, v5, 23, v4
	v_or3_b32 v2, v2, v4, v3
	v_trunc_f32_e32 v2, v2
	s_mov_b32 s34, 0x2f800000
	v_mul_f32_e64 v3, |v2|, s34
	v_floor_f32_e32 v3, v3
	s_mov_b32 s34, 0xcf800000
	v_fma_f32 v4, v3, s34, |v2|
	v_cvt_u32_f32_e32 v4, v4
	v_cvt_u32_f32_e32 v3, v3
	v_ashrrev_i32_e32 v5, 31, v2
	v_xor_b32_e32 v2, v4, v5
	v_xor_b32_e32 v3, v3, v5
	v_sub_co_u32_e32 v2, vcc, v2, v5
	v_subb_co_u32_e32 v3, vcc, v3, v5, vcc
.LBB86_550:
	s_or_b64 exec, exec, s[0:1]
.LBB86_551:
	s_mov_b64 s[0:1], -1
.LBB86_552:
	s_mov_b64 s[34:35], 0
.LBB86_553:
	s_and_b64 vcc, exec, s[34:35]
	s_cbranch_vccz .LBB86_584
; %bb.554:
	s_cmp_gt_i32 s36, 22
	s_cbranch_scc0 .LBB86_564
; %bb.555:
	s_cmp_lt_i32 s36, 24
	s_cbranch_scc1 .LBB86_565
; %bb.556:
	s_cmp_gt_i32 s36, 24
	s_cbranch_scc0 .LBB86_566
; %bb.557:
	global_load_ubyte v4, v[0:1], off
	s_movk_i32 s0, 0x7f
	s_mov_b64 s[34:35], 0
	s_waitcnt vmcnt(0)
	v_cmp_lt_i16_e32 vcc, s0, v4
	s_and_saveexec_b64 s[0:1], vcc
	s_xor_b64 s[0:1], exec, s[0:1]
; %bb.558:
	s_movk_i32 s34, 0x80
	v_cmp_ne_u16_e32 vcc, s34, v4
	s_and_b64 s[34:35], vcc, exec
; %bb.559:
	s_andn2_saveexec_b64 s[0:1], s[0:1]
; %bb.560:
	v_cmp_ne_u16_e32 vcc, 0, v4
	s_andn2_b64 s[34:35], s[34:35], exec
	s_and_b64 s[38:39], vcc, exec
	s_or_b64 s[34:35], s[34:35], s[38:39]
; %bb.561:
	s_or_b64 exec, exec, s[0:1]
	v_mov_b32_e32 v2, 0
	v_mov_b32_e32 v3, 0
	s_and_saveexec_b64 s[0:1], s[34:35]
	s_cbranch_execz .LBB86_563
; %bb.562:
	v_and_b32_e32 v3, 0xffff, v4
	v_lshlrev_b32_e32 v2, 24, v4
	v_and_b32_e32 v4, 3, v3
	v_ffbh_u32_e32 v6, v4
	v_min_u32_e32 v6, 32, v6
	v_subrev_u32_e32 v7, 29, v6
	v_bfe_u32 v5, v3, 2, 5
	v_lshlrev_b32_e32 v3, v7, v3
	v_sub_u32_e32 v6, 30, v6
	v_and_b32_e32 v3, 3, v3
	v_cmp_eq_u32_e32 vcc, 0, v5
	v_cndmask_b32_e32 v5, v5, v6, vcc
	v_cndmask_b32_e32 v3, v4, v3, vcc
	v_mov_b32_e32 v4, 0x37800000
	v_lshlrev_b32_e32 v3, 21, v3
	v_and_b32_e32 v2, 0x80000000, v2
	v_lshl_add_u32 v4, v5, 23, v4
	v_or3_b32 v2, v2, v4, v3
	v_trunc_f32_e32 v2, v2
	s_mov_b32 s34, 0x2f800000
	v_mul_f32_e64 v3, |v2|, s34
	v_floor_f32_e32 v3, v3
	s_mov_b32 s34, 0xcf800000
	v_fma_f32 v4, v3, s34, |v2|
	v_cvt_u32_f32_e32 v4, v4
	v_cvt_u32_f32_e32 v3, v3
	v_ashrrev_i32_e32 v5, 31, v2
	v_xor_b32_e32 v2, v4, v5
	v_xor_b32_e32 v3, v3, v5
	v_sub_co_u32_e32 v2, vcc, v2, v5
	v_subb_co_u32_e32 v3, vcc, v3, v5, vcc
.LBB86_563:
	s_or_b64 exec, exec, s[0:1]
	s_mov_b64 s[0:1], 0
	s_branch .LBB86_567
.LBB86_564:
	s_mov_b64 s[34:35], -1
                                        ; implicit-def: $vgpr2_vgpr3
	s_branch .LBB86_573
.LBB86_565:
	s_mov_b64 s[0:1], -1
                                        ; implicit-def: $vgpr2_vgpr3
	s_branch .LBB86_570
.LBB86_566:
	s_mov_b64 s[0:1], -1
                                        ; implicit-def: $vgpr2_vgpr3
.LBB86_567:
	s_and_b64 vcc, exec, s[0:1]
	s_cbranch_vccz .LBB86_569
; %bb.568:
	global_load_ubyte v2, v[0:1], off
	s_mov_b32 s0, 0x7f800000
	s_brev_b32 s1, 1
	s_mov_b32 s34, 0x2f800000
	s_mov_b32 s35, 0xcf800000
	s_waitcnt vmcnt(0)
	v_lshlrev_b32_e32 v2, 24, v2
	v_and_b32_e32 v3, 0x7f000000, v2
	v_ffbh_u32_e32 v4, v3
	v_min_u32_e32 v4, 32, v4
	v_sub_u32_e64 v4, v4, 4 clamp
	v_lshlrev_b32_e32 v6, v4, v3
	v_lshlrev_b32_e32 v4, 23, v4
	v_lshrrev_b32_e32 v6, 4, v6
	v_add_u32_e32 v5, 0x1000000, v3
	v_sub_u32_e32 v4, v6, v4
	v_ashrrev_i32_e32 v5, 8, v5
	v_add_u32_e32 v4, 0x3c000000, v4
	v_and_or_b32 v4, v5, s0, v4
	v_cmp_ne_u32_e32 vcc, 0, v3
	v_cndmask_b32_e32 v3, 0, v4, vcc
	v_and_or_b32 v2, v2, s1, v3
	v_trunc_f32_e32 v2, v2
	v_mul_f32_e64 v3, |v2|, s34
	v_floor_f32_e32 v3, v3
	v_fma_f32 v4, v3, s35, |v2|
	v_cvt_u32_f32_e32 v4, v4
	v_cvt_u32_f32_e32 v3, v3
	v_ashrrev_i32_e32 v5, 31, v2
	v_xor_b32_e32 v2, v4, v5
	v_xor_b32_e32 v3, v3, v5
	v_sub_co_u32_e32 v2, vcc, v2, v5
	v_subb_co_u32_e32 v3, vcc, v3, v5, vcc
.LBB86_569:
	s_mov_b64 s[0:1], 0
.LBB86_570:
	s_andn2_b64 vcc, exec, s[0:1]
	s_cbranch_vccnz .LBB86_572
; %bb.571:
	global_load_ubyte v2, v[0:1], off
	s_movk_i32 s0, 0x7f00
	s_brev_b32 s1, 16
	s_brev_b32 s34, 1
	s_mov_b32 s35, 0x2f800000
	s_mov_b32 s37, 0xcf800000
	s_waitcnt vmcnt(0)
	v_lshlrev_b16_e32 v3, 8, v2
	v_lshlrev_b32_e32 v2, 25, v2
	v_lshrrev_b32_e32 v4, 4, v2
	v_and_or_b32 v5, v3, s0, 0.5
	v_or_b32_e32 v4, 0x70000000, v4
	v_add_f32_e32 v5, -0.5, v5
	v_mul_f32_e32 v4, 0x7800000, v4
	v_cmp_gt_u32_e32 vcc, s1, v2
	v_bfe_i32 v3, v3, 0, 16
	v_cndmask_b32_e32 v2, v4, v5, vcc
	v_and_or_b32 v2, v3, s34, v2
	v_trunc_f32_e32 v2, v2
	v_mul_f32_e64 v3, |v2|, s35
	v_floor_f32_e32 v3, v3
	v_fma_f32 v4, v3, s37, |v2|
	v_cvt_u32_f32_e32 v4, v4
	v_cvt_u32_f32_e32 v3, v3
	v_ashrrev_i32_e32 v5, 31, v2
	v_xor_b32_e32 v2, v4, v5
	v_xor_b32_e32 v3, v3, v5
	v_sub_co_u32_e32 v2, vcc, v2, v5
	v_subb_co_u32_e32 v3, vcc, v3, v5, vcc
.LBB86_572:
	s_mov_b64 s[34:35], 0
	s_mov_b64 s[0:1], -1
.LBB86_573:
	s_andn2_b64 vcc, exec, s[34:35]
	s_cbranch_vccnz .LBB86_584
; %bb.574:
	s_cmp_gt_i32 s36, 14
	s_cbranch_scc0 .LBB86_577
; %bb.575:
	s_cmp_eq_u32 s36, 15
	s_cbranch_scc0 .LBB86_578
; %bb.576:
	global_load_ushort v2, v[0:1], off
	s_mov_b32 s0, 0x2f800000
	s_mov_b32 s1, 0xcf800000
	s_mov_b64 s[30:31], 0
	s_waitcnt vmcnt(0)
	v_lshlrev_b32_e32 v2, 16, v2
	v_trunc_f32_e32 v2, v2
	v_mul_f32_e64 v3, |v2|, s0
	v_floor_f32_e32 v3, v3
	v_fma_f32 v4, v3, s1, |v2|
	v_cvt_u32_f32_e32 v4, v4
	v_cvt_u32_f32_e32 v3, v3
	v_ashrrev_i32_e32 v5, 31, v2
	s_mov_b64 s[0:1], -1
	v_xor_b32_e32 v2, v4, v5
	v_xor_b32_e32 v3, v3, v5
	v_sub_co_u32_e32 v2, vcc, v2, v5
	v_subb_co_u32_e32 v3, vcc, v3, v5, vcc
	s_branch .LBB86_579
.LBB86_577:
	s_mov_b64 s[34:35], -1
                                        ; implicit-def: $vgpr2_vgpr3
	s_branch .LBB86_580
.LBB86_578:
	s_mov_b64 s[30:31], -1
                                        ; implicit-def: $vgpr2_vgpr3
.LBB86_579:
	s_mov_b64 s[34:35], 0
.LBB86_580:
	s_and_b64 vcc, exec, s[34:35]
	s_cbranch_vccz .LBB86_584
; %bb.581:
	s_cmp_eq_u32 s36, 11
	s_cbranch_scc0 .LBB86_583
; %bb.582:
	global_load_ubyte v2, v[0:1], off
	s_mov_b32 s30, 0
	s_mov_b64 s[0:1], -1
	s_waitcnt vmcnt(1)
	v_mov_b32_e32 v3, s30
	s_mov_b64 s[30:31], 0
	s_waitcnt vmcnt(0)
	v_cmp_ne_u16_e32 vcc, 0, v2
	v_cndmask_b32_e64 v2, 0, 1, vcc
	s_branch .LBB86_584
.LBB86_583:
	s_mov_b64 s[30:31], -1
                                        ; implicit-def: $vgpr2_vgpr3
.LBB86_584:
	s_mov_b64 s[34:35], 0
.LBB86_585:
	s_and_b64 vcc, exec, s[34:35]
	s_cbranch_vccz .LBB86_634
; %bb.586:
	s_cmp_lt_i32 s36, 5
	s_cbranch_scc1 .LBB86_591
; %bb.587:
	s_cmp_lt_i32 s36, 8
	s_cbranch_scc1 .LBB86_592
	;; [unrolled: 3-line block ×3, first 2 shown]
; %bb.589:
	s_cmp_gt_i32 s36, 9
	s_cbranch_scc0 .LBB86_594
; %bb.590:
	global_load_dwordx2 v[2:3], v[0:1], off
	s_movk_i32 s0, 0xffe0
	s_waitcnt vmcnt(0)
	v_trunc_f64_e32 v[2:3], v[2:3]
	v_ldexp_f64 v[4:5], v[2:3], s0
	s_mov_b32 s0, 0
	s_mov_b32 s1, 0xc1f00000
	v_floor_f64_e32 v[4:5], v[4:5]
	v_fma_f64 v[6:7], v[4:5], s[0:1], v[2:3]
	v_cvt_i32_f64_e32 v3, v[4:5]
	s_mov_b64 s[0:1], 0
	v_cvt_u32_f64_e32 v2, v[6:7]
	s_branch .LBB86_595
.LBB86_591:
	s_mov_b64 s[0:1], -1
                                        ; implicit-def: $vgpr2_vgpr3
	s_branch .LBB86_613
.LBB86_592:
	s_mov_b64 s[0:1], -1
                                        ; implicit-def: $vgpr2_vgpr3
	s_branch .LBB86_601
.LBB86_593:
	s_mov_b64 s[0:1], -1
                                        ; implicit-def: $vgpr2_vgpr3
	s_branch .LBB86_598
.LBB86_594:
	s_mov_b64 s[0:1], -1
                                        ; implicit-def: $vgpr2_vgpr3
.LBB86_595:
	s_andn2_b64 vcc, exec, s[0:1]
	s_cbranch_vccnz .LBB86_597
; %bb.596:
	global_load_dword v2, v[0:1], off
	s_mov_b32 s0, 0x2f800000
	s_mov_b32 s1, 0xcf800000
	s_waitcnt vmcnt(0)
	v_trunc_f32_e32 v2, v2
	v_mul_f32_e64 v3, |v2|, s0
	v_floor_f32_e32 v3, v3
	v_cvt_u32_f32_e32 v4, v3
	v_fma_f32 v3, v3, s1, |v2|
	v_cvt_u32_f32_e32 v3, v3
	v_ashrrev_i32_e32 v5, 31, v2
	v_xor_b32_e32 v4, v4, v5
	v_xor_b32_e32 v2, v3, v5
	v_sub_co_u32_e32 v2, vcc, v2, v5
	v_subb_co_u32_e32 v3, vcc, v4, v5, vcc
.LBB86_597:
	s_mov_b64 s[0:1], 0
.LBB86_598:
	s_andn2_b64 vcc, exec, s[0:1]
	s_cbranch_vccnz .LBB86_600
; %bb.599:
	global_load_dword v2, v[0:1], off
	s_waitcnt vmcnt(0)
	v_cvt_f32_f16_e32 v2, v2
	v_cvt_i32_f32_e32 v2, v2
	v_ashrrev_i32_e32 v3, 31, v2
.LBB86_600:
	s_mov_b64 s[0:1], 0
.LBB86_601:
	s_andn2_b64 vcc, exec, s[0:1]
	s_cbranch_vccnz .LBB86_612
; %bb.602:
	s_cmp_lt_i32 s36, 6
	s_cbranch_scc1 .LBB86_605
; %bb.603:
	s_cmp_gt_i32 s36, 6
	s_cbranch_scc0 .LBB86_606
; %bb.604:
	global_load_dwordx2 v[2:3], v[0:1], off
	s_movk_i32 s0, 0xffe0
	s_waitcnt vmcnt(0)
	v_trunc_f64_e32 v[2:3], v[2:3]
	v_ldexp_f64 v[4:5], v[2:3], s0
	s_mov_b32 s0, 0
	s_mov_b32 s1, 0xc1f00000
	v_floor_f64_e32 v[4:5], v[4:5]
	v_fma_f64 v[6:7], v[4:5], s[0:1], v[2:3]
	v_cvt_i32_f64_e32 v3, v[4:5]
	s_mov_b64 s[0:1], 0
	v_cvt_u32_f64_e32 v2, v[6:7]
	s_branch .LBB86_607
.LBB86_605:
	s_mov_b64 s[0:1], -1
                                        ; implicit-def: $vgpr2_vgpr3
	s_branch .LBB86_610
.LBB86_606:
	s_mov_b64 s[0:1], -1
                                        ; implicit-def: $vgpr2_vgpr3
.LBB86_607:
	s_andn2_b64 vcc, exec, s[0:1]
	s_cbranch_vccnz .LBB86_609
; %bb.608:
	global_load_dword v2, v[0:1], off
	s_mov_b32 s0, 0x2f800000
	s_mov_b32 s1, 0xcf800000
	s_waitcnt vmcnt(0)
	v_trunc_f32_e32 v2, v2
	v_mul_f32_e64 v3, |v2|, s0
	v_floor_f32_e32 v3, v3
	v_cvt_u32_f32_e32 v4, v3
	v_fma_f32 v3, v3, s1, |v2|
	v_cvt_u32_f32_e32 v3, v3
	v_ashrrev_i32_e32 v5, 31, v2
	v_xor_b32_e32 v4, v4, v5
	v_xor_b32_e32 v2, v3, v5
	v_sub_co_u32_e32 v2, vcc, v2, v5
	v_subb_co_u32_e32 v3, vcc, v4, v5, vcc
.LBB86_609:
	s_mov_b64 s[0:1], 0
.LBB86_610:
	s_andn2_b64 vcc, exec, s[0:1]
	s_cbranch_vccnz .LBB86_612
; %bb.611:
	global_load_ushort v2, v[0:1], off
	s_waitcnt vmcnt(0)
	v_cvt_f32_f16_e32 v2, v2
	v_cvt_i32_f32_e32 v2, v2
	v_ashrrev_i32_e32 v3, 31, v2
.LBB86_612:
	s_mov_b64 s[0:1], 0
.LBB86_613:
	s_andn2_b64 vcc, exec, s[0:1]
	s_cbranch_vccnz .LBB86_633
; %bb.614:
	s_cmp_lt_i32 s36, 2
	s_cbranch_scc1 .LBB86_618
; %bb.615:
	s_cmp_lt_i32 s36, 3
	s_cbranch_scc1 .LBB86_619
; %bb.616:
	s_cmp_gt_i32 s36, 3
	s_cbranch_scc0 .LBB86_620
; %bb.617:
	global_load_dwordx2 v[2:3], v[0:1], off
	s_mov_b64 s[0:1], 0
	s_branch .LBB86_621
.LBB86_618:
	s_mov_b64 s[0:1], -1
                                        ; implicit-def: $vgpr2_vgpr3
	s_branch .LBB86_627
.LBB86_619:
	s_mov_b64 s[0:1], -1
                                        ; implicit-def: $vgpr2_vgpr3
	s_branch .LBB86_624
.LBB86_620:
	s_mov_b64 s[0:1], -1
                                        ; implicit-def: $vgpr2_vgpr3
.LBB86_621:
	s_andn2_b64 vcc, exec, s[0:1]
	s_cbranch_vccnz .LBB86_623
; %bb.622:
	global_load_dword v2, v[0:1], off
	s_waitcnt vmcnt(0)
	v_ashrrev_i32_e32 v3, 31, v2
.LBB86_623:
	s_mov_b64 s[0:1], 0
.LBB86_624:
	s_andn2_b64 vcc, exec, s[0:1]
	s_cbranch_vccnz .LBB86_626
; %bb.625:
	global_load_ushort v2, v[0:1], off
	s_waitcnt vmcnt(0)
	v_bfe_i32 v2, v2, 0, 16
	v_ashrrev_i32_e32 v3, 31, v2
.LBB86_626:
	s_mov_b64 s[0:1], 0
.LBB86_627:
	s_andn2_b64 vcc, exec, s[0:1]
	s_cbranch_vccnz .LBB86_633
; %bb.628:
	s_cmp_gt_i32 s36, 0
	s_cbranch_scc0 .LBB86_630
; %bb.629:
	global_load_sbyte v2, v[0:1], off
	s_mov_b64 s[0:1], 0
	s_waitcnt vmcnt(0)
	v_bfe_i32 v2, v2, 0, 16
	v_ashrrev_i32_e32 v3, 31, v2
	s_branch .LBB86_631
.LBB86_630:
	s_mov_b64 s[0:1], -1
                                        ; implicit-def: $vgpr2_vgpr3
.LBB86_631:
	s_andn2_b64 vcc, exec, s[0:1]
	s_cbranch_vccnz .LBB86_633
; %bb.632:
	global_load_ubyte v0, v[0:1], off
	s_mov_b32 s0, 0
	s_waitcnt vmcnt(1)
	v_mov_b32_e32 v3, s0
	s_waitcnt vmcnt(0)
	v_and_b32_e32 v2, 0xffff, v0
.LBB86_633:
	s_mov_b64 s[0:1], -1
.LBB86_634:
	s_andn2_b64 vcc, exec, s[0:1]
	s_cbranch_vccnz .LBB86_642
; %bb.635:
	s_waitcnt vmcnt(0)
	v_lshlrev_b64 v[0:1], s2, v[2:3]
	v_mul_lo_u32 v2, v10, s12
	v_mov_b32_e32 v4, s9
	s_and_b32 s40, s33, 0xff
	v_cndmask_b32_e64 v1, v1, 0, s[14:15]
	v_ashrrev_i32_e32 v3, 31, v2
	v_add_co_u32_e32 v2, vcc, s8, v2
	v_cndmask_b32_e64 v0, v0, 0, s[14:15]
	s_cmp_lt_i32 s40, 11
	v_addc_co_u32_e32 v3, vcc, v4, v3, vcc
	s_cbranch_scc1 .LBB86_643
; %bb.636:
	s_and_b32 s41, 0xffff, s40
	s_cmp_gt_i32 s41, 25
	s_cbranch_scc0 .LBB86_644
; %bb.637:
	s_cmp_gt_i32 s41, 28
	s_cbranch_scc0 .LBB86_645
; %bb.638:
	;; [unrolled: 3-line block ×4, first 2 shown]
	s_mov_b64 s[36:37], 0
	s_mov_b64 s[0:1], -1
	s_cmp_eq_u32 s41, 46
	s_mov_b64 s[34:35], 0
	s_cbranch_scc0 .LBB86_648
; %bb.641:
	v_xor_b32_e32 v5, v0, v1
	v_ffbh_i32_e32 v4, v1
	v_ashrrev_i32_e32 v5, 31, v5
	v_add_u32_e32 v4, -1, v4
	v_add_u32_e32 v5, 32, v5
	v_min_u32_e32 v6, v4, v5
	v_lshlrev_b64 v[4:5], v6, v[0:1]
	s_movk_i32 s0, 0x7fff
	v_min_u32_e32 v4, 1, v4
	v_or_b32_e32 v4, v5, v4
	v_cvt_f32_i32_e32 v4, v4
	v_sub_u32_e32 v5, 32, v6
	s_mov_b64 s[34:35], -1
	v_ldexp_f32 v4, v4, v5
	v_bfe_u32 v5, v4, 16, 1
	v_add3_u32 v4, v4, v5, s0
	v_lshrrev_b32_e32 v4, 16, v4
	global_store_dword v[2:3], v4, off
	s_mov_b64 s[0:1], 0
	s_branch .LBB86_648
.LBB86_642:
	s_mov_b64 s[36:37], 0
                                        ; implicit-def: $vgpr10
	s_mov_b64 s[0:1], s[24:25]
	s_branch .LBB86_759
.LBB86_643:
	s_mov_b64 s[36:37], -1
	s_mov_b64 s[34:35], 0
	s_mov_b64 s[0:1], s[24:25]
	s_branch .LBB86_717
.LBB86_644:
	s_mov_b64 s[36:37], -1
	s_mov_b64 s[34:35], 0
	s_mov_b64 s[0:1], s[24:25]
	s_branch .LBB86_675
.LBB86_645:
	s_mov_b64 s[36:37], -1
	s_mov_b64 s[34:35], 0
	s_mov_b64 s[0:1], s[24:25]
	s_branch .LBB86_658
.LBB86_646:
	s_mov_b64 s[36:37], -1
	s_mov_b64 s[34:35], 0
	s_mov_b64 s[0:1], s[24:25]
	s_branch .LBB86_654
.LBB86_647:
	s_mov_b64 s[36:37], -1
	s_mov_b64 s[34:35], 0
	s_mov_b64 s[0:1], s[24:25]
.LBB86_648:
	s_and_b64 vcc, exec, s[36:37]
	s_cbranch_vccz .LBB86_653
; %bb.649:
	s_cmp_eq_u32 s41, 44
	s_mov_b64 s[0:1], -1
	s_cbranch_scc0 .LBB86_653
; %bb.650:
	v_xor_b32_e32 v5, v0, v1
	v_ffbh_i32_e32 v4, v1
	v_ashrrev_i32_e32 v5, 31, v5
	v_add_u32_e32 v4, -1, v4
	v_add_u32_e32 v5, 32, v5
	v_min_u32_e32 v6, v4, v5
	v_lshlrev_b64 v[4:5], v6, v[0:1]
	s_movk_i32 s0, 0xff
	v_min_u32_e32 v4, 1, v4
	v_or_b32_e32 v4, v5, v4
	v_cvt_f32_i32_e32 v4, v4
	v_sub_u32_e32 v5, 32, v6
	v_mov_b32_e32 v6, 0xff
	v_ldexp_f32 v4, v4, v5
	v_bfe_u32 v5, v4, 23, 8
	v_cmp_ne_u32_e32 vcc, s0, v5
	s_and_saveexec_b64 s[34:35], vcc
; %bb.651:
	s_mov_b32 s0, 0x3fffff
	v_lshrrev_b32_e32 v6, 23, v4
	v_and_b32_e32 v7, 0x400000, v4
	v_and_or_b32 v4, v4, s0, v5
	v_cmp_ne_u32_e32 vcc, 0, v7
	v_cmp_ne_u32_e64 s[0:1], 0, v4
	s_and_b64 s[0:1], vcc, s[0:1]
	v_cndmask_b32_e64 v4, 0, 1, s[0:1]
	v_add_u32_e32 v6, v6, v4
; %bb.652:
	s_or_b64 exec, exec, s[34:35]
	s_mov_b64 s[34:35], -1
	s_mov_b64 s[0:1], 0
	global_store_byte v[2:3], v6, off
.LBB86_653:
	s_mov_b64 s[36:37], 0
.LBB86_654:
	s_and_b64 vcc, exec, s[36:37]
	s_cbranch_vccz .LBB86_657
; %bb.655:
	s_cmp_eq_u32 s41, 29
	s_mov_b64 s[0:1], -1
	s_cbranch_scc0 .LBB86_657
; %bb.656:
	global_store_dwordx2 v[2:3], v[0:1], off
	s_mov_b64 s[34:35], -1
	s_mov_b64 s[0:1], 0
.LBB86_657:
	s_mov_b64 s[36:37], 0
.LBB86_658:
	s_and_b64 vcc, exec, s[36:37]
	s_cbranch_vccz .LBB86_674
; %bb.659:
	s_cmp_lt_i32 s41, 27
	s_mov_b64 s[34:35], -1
	s_cbranch_scc1 .LBB86_665
; %bb.660:
	s_cmp_gt_i32 s41, 27
	s_cbranch_scc0 .LBB86_662
; %bb.661:
	s_mov_b64 s[34:35], 0
	global_store_dword v[2:3], v0, off
.LBB86_662:
	s_andn2_b64 vcc, exec, s[34:35]
	s_cbranch_vccnz .LBB86_664
; %bb.663:
	global_store_short v[2:3], v0, off
.LBB86_664:
	s_mov_b64 s[34:35], 0
.LBB86_665:
	s_andn2_b64 vcc, exec, s[34:35]
	s_cbranch_vccnz .LBB86_673
; %bb.666:
	v_xor_b32_e32 v5, v0, v1
	v_ffbh_i32_e32 v4, v1
	v_ashrrev_i32_e32 v5, 31, v5
	v_add_u32_e32 v4, -1, v4
	v_add_u32_e32 v5, 32, v5
	v_min_u32_e32 v6, v4, v5
	v_lshlrev_b64 v[4:5], v6, v[0:1]
	s_mov_b32 s34, 0x43800000
	v_min_u32_e32 v4, 1, v4
	v_or_b32_e32 v4, v5, v4
	v_cvt_f32_i32_e32 v4, v4
	v_sub_u32_e32 v5, 32, v6
	v_mov_b32_e32 v6, 0x80
	v_ldexp_f32 v4, v4, v5
	v_and_b32_e32 v5, 0x7fffffff, v4
	v_cmp_gt_u32_e32 vcc, s34, v5
	s_and_saveexec_b64 s[34:35], vcc
	s_cbranch_execz .LBB86_672
; %bb.667:
	s_mov_b32 s36, 0x3bffffff
	v_cmp_lt_u32_e32 vcc, s36, v5
	s_mov_b64 s[36:37], 0
                                        ; implicit-def: $vgpr5
	s_and_saveexec_b64 s[38:39], vcc
	s_xor_b64 s[38:39], exec, s[38:39]
	s_cbranch_execz .LBB86_773
; %bb.668:
	v_bfe_u32 v5, v4, 20, 1
	s_mov_b32 s43, 0x487ffff
	v_add3_u32 v5, v4, v5, s43
	s_mov_b64 s[36:37], exec
	v_lshrrev_b32_e32 v5, 20, v5
	s_andn2_saveexec_b64 s[38:39], s[38:39]
	s_cbranch_execnz .LBB86_774
.LBB86_669:
	s_or_b64 exec, exec, s[38:39]
	v_mov_b32_e32 v6, 0
	s_and_saveexec_b64 s[38:39], s[36:37]
.LBB86_670:
	v_lshrrev_b32_e32 v4, 24, v4
	s_movk_i32 s36, 0x80
	v_and_or_b32 v6, v4, s36, v5
.LBB86_671:
	s_or_b64 exec, exec, s[38:39]
.LBB86_672:
	s_or_b64 exec, exec, s[34:35]
	global_store_byte v[2:3], v6, off
.LBB86_673:
	s_mov_b64 s[34:35], -1
.LBB86_674:
	s_mov_b64 s[36:37], 0
.LBB86_675:
	s_and_b64 vcc, exec, s[36:37]
	s_cbranch_vccz .LBB86_716
; %bb.676:
	s_cmp_gt_i32 s41, 22
	s_mov_b64 s[36:37], -1
	s_cbranch_scc0 .LBB86_708
; %bb.677:
	s_cmp_lt_i32 s41, 24
	s_mov_b64 s[34:35], -1
	s_cbranch_scc1 .LBB86_697
; %bb.678:
	s_cmp_gt_i32 s41, 24
	s_cbranch_scc0 .LBB86_686
; %bb.679:
	v_xor_b32_e32 v5, v0, v1
	v_ffbh_i32_e32 v4, v1
	v_ashrrev_i32_e32 v5, 31, v5
	v_add_u32_e32 v4, -1, v4
	v_add_u32_e32 v5, 32, v5
	v_min_u32_e32 v6, v4, v5
	v_lshlrev_b64 v[4:5], v6, v[0:1]
	s_mov_b32 s34, 0x47800000
	v_min_u32_e32 v4, 1, v4
	v_or_b32_e32 v4, v5, v4
	v_cvt_f32_i32_e32 v4, v4
	v_sub_u32_e32 v5, 32, v6
	v_mov_b32_e32 v6, 0x80
	v_ldexp_f32 v4, v4, v5
	v_and_b32_e32 v5, 0x7fffffff, v4
	v_cmp_gt_u32_e32 vcc, s34, v5
	s_and_saveexec_b64 s[34:35], vcc
	s_cbranch_execz .LBB86_685
; %bb.680:
	s_mov_b32 s36, 0x37ffffff
	v_cmp_lt_u32_e32 vcc, s36, v5
	s_mov_b64 s[36:37], 0
                                        ; implicit-def: $vgpr5
	s_and_saveexec_b64 s[38:39], vcc
	s_xor_b64 s[38:39], exec, s[38:39]
	s_cbranch_execz .LBB86_776
; %bb.681:
	v_bfe_u32 v5, v4, 21, 1
	s_mov_b32 s43, 0x88fffff
	v_add3_u32 v5, v4, v5, s43
	s_mov_b64 s[36:37], exec
	v_lshrrev_b32_e32 v5, 21, v5
	s_andn2_saveexec_b64 s[38:39], s[38:39]
	s_cbranch_execnz .LBB86_777
.LBB86_682:
	s_or_b64 exec, exec, s[38:39]
	v_mov_b32_e32 v6, 0
	s_and_saveexec_b64 s[38:39], s[36:37]
.LBB86_683:
	v_lshrrev_b32_e32 v4, 24, v4
	s_movk_i32 s36, 0x80
	v_and_or_b32 v6, v4, s36, v5
.LBB86_684:
	s_or_b64 exec, exec, s[38:39]
.LBB86_685:
	s_or_b64 exec, exec, s[34:35]
	s_mov_b64 s[34:35], 0
	global_store_byte v[2:3], v6, off
.LBB86_686:
	s_and_b64 vcc, exec, s[34:35]
	s_cbranch_vccz .LBB86_696
; %bb.687:
	v_xor_b32_e32 v5, v0, v1
	v_ffbh_i32_e32 v4, v1
	v_ashrrev_i32_e32 v5, 31, v5
	v_add_u32_e32 v4, -1, v4
	v_add_u32_e32 v5, 32, v5
	v_min_u32_e32 v6, v4, v5
	v_lshlrev_b64 v[4:5], v6, v[0:1]
	s_mov_b32 s34, 0x43f00000
	v_min_u32_e32 v4, 1, v4
	v_or_b32_e32 v4, v5, v4
	v_cvt_f32_i32_e32 v4, v4
	v_sub_u32_e32 v5, 32, v6
	v_ldexp_f32 v4, v4, v5
	v_and_b32_e32 v6, 0x7fffffff, v4
	v_cmp_gt_u32_e32 vcc, s34, v6
                                        ; implicit-def: $vgpr5
	s_and_saveexec_b64 s[34:35], vcc
	s_xor_b64 s[34:35], exec, s[34:35]
	s_cbranch_execz .LBB86_693
; %bb.688:
	s_mov_b32 s36, 0x3c7fffff
	v_cmp_lt_u32_e32 vcc, s36, v6
                                        ; implicit-def: $vgpr5
	s_and_saveexec_b64 s[36:37], vcc
	s_xor_b64 s[36:37], exec, s[36:37]
; %bb.689:
	v_bfe_u32 v5, v4, 20, 1
	s_mov_b32 s38, 0x407ffff
	v_add3_u32 v5, v4, v5, s38
	v_lshrrev_b32_e32 v6, 20, v5
	v_and_b32_e32 v5, 0xff00000, v5
	s_mov_b32 s38, 0x7f00000
	v_mov_b32_e32 v7, 0x7e
	v_cmp_ne_u32_e32 vcc, s38, v5
	v_cndmask_b32_e32 v5, v7, v6, vcc
; %bb.690:
	s_andn2_saveexec_b64 s[36:37], s[36:37]
; %bb.691:
	s_mov_b32 s38, 0x46800000
	v_add_f32_e64 v5, |v4|, s38
; %bb.692:
	s_or_b64 exec, exec, s[36:37]
                                        ; implicit-def: $vgpr6
.LBB86_693:
	s_andn2_saveexec_b64 s[34:35], s[34:35]
; %bb.694:
	s_mov_b32 s36, 0x7f800000
	v_mov_b32_e32 v5, 0x7e
	v_mov_b32_e32 v7, 0x7f
	v_cmp_lt_u32_e32 vcc, s36, v6
	v_cndmask_b32_e32 v5, v5, v7, vcc
; %bb.695:
	s_or_b64 exec, exec, s[34:35]
	v_lshrrev_b32_e32 v4, 24, v4
	s_movk_i32 s34, 0x80
	v_and_or_b32 v4, v4, s34, v5
	global_store_byte v[2:3], v4, off
.LBB86_696:
	s_mov_b64 s[34:35], 0
.LBB86_697:
	s_andn2_b64 vcc, exec, s[34:35]
	s_cbranch_vccnz .LBB86_707
; %bb.698:
	v_xor_b32_e32 v5, v0, v1
	v_ffbh_i32_e32 v4, v1
	v_ashrrev_i32_e32 v5, 31, v5
	v_add_u32_e32 v4, -1, v4
	v_add_u32_e32 v5, 32, v5
	v_min_u32_e32 v6, v4, v5
	v_lshlrev_b64 v[4:5], v6, v[0:1]
	s_mov_b32 s34, 0x47800000
	v_min_u32_e32 v4, 1, v4
	v_or_b32_e32 v4, v5, v4
	v_cvt_f32_i32_e32 v4, v4
	v_sub_u32_e32 v5, 32, v6
	v_ldexp_f32 v4, v4, v5
	v_and_b32_e32 v6, 0x7fffffff, v4
	v_cmp_gt_u32_e32 vcc, s34, v6
                                        ; implicit-def: $vgpr5
	s_and_saveexec_b64 s[34:35], vcc
	s_xor_b64 s[34:35], exec, s[34:35]
	s_cbranch_execz .LBB86_704
; %bb.699:
	s_mov_b32 s36, 0x387fffff
	v_cmp_lt_u32_e32 vcc, s36, v6
                                        ; implicit-def: $vgpr5
	s_and_saveexec_b64 s[36:37], vcc
	s_xor_b64 s[36:37], exec, s[36:37]
; %bb.700:
	v_bfe_u32 v5, v4, 21, 1
	s_mov_b32 s38, 0x80fffff
	v_add3_u32 v5, v4, v5, s38
	v_lshrrev_b32_e32 v5, 21, v5
; %bb.701:
	s_andn2_saveexec_b64 s[36:37], s[36:37]
; %bb.702:
	s_mov_b32 s38, 0x43000000
	v_add_f32_e64 v5, |v4|, s38
; %bb.703:
	s_or_b64 exec, exec, s[36:37]
                                        ; implicit-def: $vgpr6
.LBB86_704:
	s_andn2_saveexec_b64 s[34:35], s[34:35]
; %bb.705:
	s_mov_b32 s36, 0x7f800000
	v_mov_b32_e32 v5, 0x7c
	v_mov_b32_e32 v7, 0x7f
	v_cmp_lt_u32_e32 vcc, s36, v6
	v_cndmask_b32_e32 v5, v5, v7, vcc
; %bb.706:
	s_or_b64 exec, exec, s[34:35]
	v_lshrrev_b32_e32 v4, 24, v4
	s_movk_i32 s34, 0x80
	v_and_or_b32 v4, v4, s34, v5
	global_store_byte v[2:3], v4, off
.LBB86_707:
	s_mov_b64 s[36:37], 0
	s_mov_b64 s[34:35], -1
.LBB86_708:
	s_andn2_b64 vcc, exec, s[36:37]
	s_cbranch_vccnz .LBB86_716
; %bb.709:
	s_cmp_gt_i32 s41, 14
	s_mov_b64 s[36:37], -1
	s_cbranch_scc0 .LBB86_713
; %bb.710:
	s_cmp_eq_u32 s41, 15
	s_mov_b64 s[0:1], -1
	s_cbranch_scc0 .LBB86_712
; %bb.711:
	v_xor_b32_e32 v5, v0, v1
	v_ffbh_i32_e32 v4, v1
	v_ashrrev_i32_e32 v5, 31, v5
	v_add_u32_e32 v4, -1, v4
	v_add_u32_e32 v5, 32, v5
	v_min_u32_e32 v6, v4, v5
	v_lshlrev_b64 v[4:5], v6, v[0:1]
	s_movk_i32 s0, 0x7fff
	v_min_u32_e32 v4, 1, v4
	v_or_b32_e32 v4, v5, v4
	v_cvt_f32_i32_e32 v4, v4
	v_sub_u32_e32 v5, 32, v6
	s_mov_b64 s[34:35], -1
	v_ldexp_f32 v4, v4, v5
	v_bfe_u32 v5, v4, 16, 1
	v_add3_u32 v4, v4, v5, s0
	global_store_short_d16_hi v[2:3], v4, off
	s_mov_b64 s[0:1], 0
.LBB86_712:
	s_mov_b64 s[36:37], 0
.LBB86_713:
	s_and_b64 vcc, exec, s[36:37]
	s_cbranch_vccz .LBB86_716
; %bb.714:
	s_cmp_eq_u32 s41, 11
	s_mov_b64 s[0:1], -1
	s_cbranch_scc0 .LBB86_716
; %bb.715:
	v_cmp_ne_u64_e32 vcc, 0, v[0:1]
	s_mov_b64 s[0:1], 0
	v_cndmask_b32_e64 v4, 0, 1, vcc
	s_mov_b64 s[34:35], -1
	global_store_byte v[2:3], v4, off
.LBB86_716:
	s_mov_b64 s[36:37], 0
.LBB86_717:
	s_and_b64 vcc, exec, s[36:37]
	s_cbranch_vccz .LBB86_756
; %bb.718:
	s_and_b32 s36, 0xffff, s40
	s_cmp_lt_i32 s36, 5
	s_mov_b64 s[34:35], -1
	s_cbranch_scc1 .LBB86_739
; %bb.719:
	s_cmp_lt_i32 s36, 8
	s_cbranch_scc1 .LBB86_729
; %bb.720:
	s_cmp_lt_i32 s36, 9
	s_cbranch_scc1 .LBB86_726
; %bb.721:
	s_cmp_gt_i32 s36, 9
	s_cbranch_scc0 .LBB86_723
; %bb.722:
	v_cvt_f64_i32_e32 v[4:5], v1
	v_cvt_f64_u32_e32 v[6:7], v0
	s_mov_b64 s[34:35], 0
	v_ldexp_f64 v[4:5], v[4:5], 32
	v_add_f64 v[4:5], v[4:5], v[6:7]
	v_mov_b32_e32 v6, 0
	v_mov_b32_e32 v7, v6
	global_store_dwordx4 v[2:3], v[4:7], off
.LBB86_723:
	s_andn2_b64 vcc, exec, s[34:35]
	s_cbranch_vccnz .LBB86_725
; %bb.724:
	v_xor_b32_e32 v5, v0, v1
	v_ffbh_i32_e32 v4, v1
	v_ashrrev_i32_e32 v5, 31, v5
	v_add_u32_e32 v4, -1, v4
	v_add_u32_e32 v5, 32, v5
	v_min_u32_e32 v6, v4, v5
	v_lshlrev_b64 v[4:5], v6, v[0:1]
	v_min_u32_e32 v4, 1, v4
	v_or_b32_e32 v4, v5, v4
	v_cvt_f32_i32_e32 v4, v4
	v_sub_u32_e32 v5, 32, v6
	v_ldexp_f32 v4, v4, v5
	v_mov_b32_e32 v5, 0
	global_store_dwordx2 v[2:3], v[4:5], off
.LBB86_725:
	s_mov_b64 s[34:35], 0
.LBB86_726:
	s_andn2_b64 vcc, exec, s[34:35]
	s_cbranch_vccnz .LBB86_728
; %bb.727:
	v_xor_b32_e32 v5, v0, v1
	v_ffbh_i32_e32 v4, v1
	v_ashrrev_i32_e32 v5, 31, v5
	v_add_u32_e32 v4, -1, v4
	v_add_u32_e32 v5, 32, v5
	v_min_u32_e32 v6, v4, v5
	v_lshlrev_b64 v[4:5], v6, v[0:1]
	v_min_u32_e32 v4, 1, v4
	v_or_b32_e32 v4, v5, v4
	v_cvt_f32_i32_e32 v4, v4
	v_sub_u32_e32 v5, 32, v6
	v_ldexp_f32 v4, v4, v5
	v_cvt_f16_f32_e32 v4, v4
	global_store_dword v[2:3], v4, off
.LBB86_728:
	s_mov_b64 s[34:35], 0
.LBB86_729:
	s_andn2_b64 vcc, exec, s[34:35]
	s_cbranch_vccnz .LBB86_738
; %bb.730:
	s_cmp_lt_i32 s36, 6
	s_mov_b64 s[34:35], -1
	s_cbranch_scc1 .LBB86_736
; %bb.731:
	s_cmp_gt_i32 s36, 6
	s_cbranch_scc0 .LBB86_733
; %bb.732:
	v_cvt_f64_i32_e32 v[4:5], v1
	v_cvt_f64_u32_e32 v[6:7], v0
	s_mov_b64 s[34:35], 0
	v_ldexp_f64 v[4:5], v[4:5], 32
	v_add_f64 v[4:5], v[4:5], v[6:7]
	global_store_dwordx2 v[2:3], v[4:5], off
.LBB86_733:
	s_andn2_b64 vcc, exec, s[34:35]
	s_cbranch_vccnz .LBB86_735
; %bb.734:
	v_xor_b32_e32 v5, v0, v1
	v_ffbh_i32_e32 v4, v1
	v_ashrrev_i32_e32 v5, 31, v5
	v_add_u32_e32 v4, -1, v4
	v_add_u32_e32 v5, 32, v5
	v_min_u32_e32 v6, v4, v5
	v_lshlrev_b64 v[4:5], v6, v[0:1]
	v_min_u32_e32 v4, 1, v4
	v_or_b32_e32 v4, v5, v4
	v_cvt_f32_i32_e32 v4, v4
	v_sub_u32_e32 v5, 32, v6
	v_ldexp_f32 v4, v4, v5
	global_store_dword v[2:3], v4, off
.LBB86_735:
	s_mov_b64 s[34:35], 0
.LBB86_736:
	s_andn2_b64 vcc, exec, s[34:35]
	s_cbranch_vccnz .LBB86_738
; %bb.737:
	v_xor_b32_e32 v5, v0, v1
	v_ffbh_i32_e32 v4, v1
	v_ashrrev_i32_e32 v5, 31, v5
	v_add_u32_e32 v4, -1, v4
	v_add_u32_e32 v5, 32, v5
	v_min_u32_e32 v6, v4, v5
	v_lshlrev_b64 v[4:5], v6, v[0:1]
	v_min_u32_e32 v4, 1, v4
	v_or_b32_e32 v4, v5, v4
	v_cvt_f32_i32_e32 v4, v4
	v_sub_u32_e32 v5, 32, v6
	v_ldexp_f32 v4, v4, v5
	v_cvt_f16_f32_e32 v4, v4
	global_store_short v[2:3], v4, off
.LBB86_738:
	s_mov_b64 s[34:35], 0
.LBB86_739:
	s_andn2_b64 vcc, exec, s[34:35]
	s_cbranch_vccnz .LBB86_755
; %bb.740:
	s_cmp_lt_i32 s36, 2
	s_mov_b64 s[34:35], -1
	s_cbranch_scc1 .LBB86_750
; %bb.741:
	s_cmp_lt_i32 s36, 3
	s_cbranch_scc1 .LBB86_747
; %bb.742:
	s_cmp_gt_i32 s36, 3
	s_cbranch_scc0 .LBB86_744
; %bb.743:
	s_mov_b64 s[34:35], 0
	global_store_dwordx2 v[2:3], v[0:1], off
.LBB86_744:
	s_andn2_b64 vcc, exec, s[34:35]
	s_cbranch_vccnz .LBB86_746
; %bb.745:
	global_store_dword v[2:3], v0, off
.LBB86_746:
	s_mov_b64 s[34:35], 0
.LBB86_747:
	s_andn2_b64 vcc, exec, s[34:35]
	s_cbranch_vccnz .LBB86_749
; %bb.748:
	global_store_short v[2:3], v0, off
.LBB86_749:
	s_mov_b64 s[34:35], 0
.LBB86_750:
	s_andn2_b64 vcc, exec, s[34:35]
	s_cbranch_vccnz .LBB86_755
; %bb.751:
	s_cmp_gt_i32 s36, 0
	s_mov_b64 s[34:35], -1
	s_cbranch_scc0 .LBB86_753
; %bb.752:
	s_mov_b64 s[34:35], 0
	global_store_byte v[2:3], v0, off
.LBB86_753:
	s_andn2_b64 vcc, exec, s[34:35]
	s_cbranch_vccnz .LBB86_755
; %bb.754:
	global_store_byte v[2:3], v0, off
.LBB86_755:
	s_mov_b64 s[34:35], -1
.LBB86_756:
	s_andn2_b64 vcc, exec, s[34:35]
	s_cbranch_vccnz .LBB86_758
; %bb.757:
	v_add_u32_e32 v10, 0x80, v10
	s_mov_b64 s[36:37], -1
	s_branch .LBB86_759
.LBB86_758:
	s_mov_b64 s[36:37], 0
                                        ; implicit-def: $vgpr10
.LBB86_759:
	s_andn2_b64 s[34:35], s[24:25], exec
	s_and_b64 s[0:1], s[0:1], exec
	s_or_b64 s[34:35], s[34:35], s[0:1]
	s_andn2_b64 s[0:1], s[22:23], exec
	s_and_b64 s[30:31], s[30:31], exec
	s_or_b64 s[0:1], s[0:1], s[30:31]
	s_orn2_b64 s[38:39], s[36:37], exec
.LBB86_760:
	s_or_b64 exec, exec, s[28:29]
	s_mov_b64 s[36:37], 0
	s_mov_b64 s[30:31], 0
	;; [unrolled: 1-line block ×3, first 2 shown]
                                        ; implicit-def: $vgpr0_vgpr1
                                        ; implicit-def: $vgpr4_vgpr5
	s_and_saveexec_b64 s[28:29], s[38:39]
	s_cbranch_execz .LBB86_841
; %bb.761:
	v_cmp_gt_i32_e32 vcc, s42, v10
	s_mov_b64 s[38:39], 0
	s_mov_b64 s[42:43], s[0:1]
	;; [unrolled: 1-line block ×3, first 2 shown]
                                        ; implicit-def: $vgpr0_vgpr1
                                        ; implicit-def: $vgpr4_vgpr5
	s_and_saveexec_b64 s[30:31], vcc
	s_cbranch_execz .LBB86_840
; %bb.762:
	v_mul_lo_u32 v0, v10, s13
	v_mov_b32_e32 v1, s11
	s_and_b32 s44, 0xffff, s46
	s_cmp_lt_i32 s44, 11
	s_waitcnt vmcnt(0)
	v_ashrrev_i32_e32 v2, 31, v0
	v_add_co_u32_e32 v0, vcc, s10, v0
	v_addc_co_u32_e32 v1, vcc, v1, v2, vcc
	s_cbranch_scc1 .LBB86_769
; %bb.763:
	s_cmp_gt_i32 s44, 25
	s_cbranch_scc0 .LBB86_770
; %bb.764:
	s_cmp_gt_i32 s44, 28
	s_cbranch_scc0 .LBB86_771
	;; [unrolled: 3-line block ×4, first 2 shown]
; %bb.767:
	s_cmp_eq_u32 s44, 46
	s_mov_b64 s[42:43], 0
	s_cbranch_scc0 .LBB86_778
; %bb.768:
	global_load_dword v2, v[0:1], off
	s_mov_b32 s36, 0x2f800000
	s_mov_b32 s37, 0xcf800000
	s_mov_b64 s[40:41], -1
	s_waitcnt vmcnt(0)
	v_lshlrev_b32_e32 v2, 16, v2
	v_trunc_f32_e32 v2, v2
	v_mul_f32_e64 v3, |v2|, s36
	v_floor_f32_e32 v3, v3
	v_fma_f32 v4, v3, s37, |v2|
	v_cvt_u32_f32_e32 v4, v4
	v_cvt_u32_f32_e32 v3, v3
	v_ashrrev_i32_e32 v2, 31, v2
	s_mov_b64 s[36:37], 0
	v_xor_b32_e32 v4, v4, v2
	v_xor_b32_e32 v3, v3, v2
	v_sub_co_u32_e32 v4, vcc, v4, v2
	v_subb_co_u32_e32 v5, vcc, v3, v2, vcc
	s_branch .LBB86_780
.LBB86_769:
	s_mov_b64 s[42:43], -1
                                        ; implicit-def: $vgpr4_vgpr5
	s_mov_b64 s[36:37], s[0:1]
	s_branch .LBB86_839
.LBB86_770:
	s_mov_b64 s[42:43], -1
	s_mov_b64 s[36:37], s[0:1]
                                        ; implicit-def: $vgpr4_vgpr5
	s_branch .LBB86_809
.LBB86_771:
	s_mov_b64 s[42:43], -1
	s_mov_b64 s[36:37], s[0:1]
                                        ; implicit-def: $vgpr4_vgpr5
	s_branch .LBB86_790
.LBB86_772:
	s_mov_b64 s[42:43], -1
	s_mov_b64 s[36:37], s[0:1]
                                        ; implicit-def: $vgpr4_vgpr5
	s_branch .LBB86_785
.LBB86_773:
	s_andn2_saveexec_b64 s[38:39], s[38:39]
	s_cbranch_execz .LBB86_669
.LBB86_774:
	s_mov_b32 s43, 0x46000000
	v_add_f32_e64 v5, |v4|, s43
	v_and_b32_e32 v5, 0xff, v5
	v_cmp_ne_u32_e32 vcc, 0, v5
	s_andn2_b64 s[36:37], s[36:37], exec
	s_and_b64 s[44:45], vcc, exec
	s_or_b64 s[36:37], s[36:37], s[44:45]
	s_or_b64 exec, exec, s[38:39]
	v_mov_b32_e32 v6, 0
	s_and_saveexec_b64 s[38:39], s[36:37]
	s_cbranch_execnz .LBB86_670
	s_branch .LBB86_671
.LBB86_775:
	s_mov_b64 s[42:43], -1
	s_mov_b64 s[36:37], s[0:1]
	s_branch .LBB86_779
.LBB86_776:
	s_andn2_saveexec_b64 s[38:39], s[38:39]
	s_cbranch_execz .LBB86_682
.LBB86_777:
	s_mov_b32 s43, 0x42800000
	v_add_f32_e64 v5, |v4|, s43
	v_and_b32_e32 v5, 0xff, v5
	v_cmp_ne_u32_e32 vcc, 0, v5
	s_andn2_b64 s[36:37], s[36:37], exec
	s_and_b64 s[44:45], vcc, exec
	s_or_b64 s[36:37], s[36:37], s[44:45]
	s_or_b64 exec, exec, s[38:39]
	v_mov_b32_e32 v6, 0
	s_and_saveexec_b64 s[38:39], s[36:37]
	s_cbranch_execnz .LBB86_683
	s_branch .LBB86_684
.LBB86_778:
	s_mov_b64 s[36:37], -1
.LBB86_779:
                                        ; implicit-def: $vgpr4_vgpr5
.LBB86_780:
	s_and_b64 vcc, exec, s[42:43]
	s_cbranch_vccz .LBB86_784
; %bb.781:
	s_cmp_eq_u32 s44, 44
	s_cbranch_scc0 .LBB86_783
; %bb.782:
	global_load_ubyte v2, v[0:1], off
	s_mov_b32 s36, 0x2f800000
	s_mov_b32 s37, 0xcf800000
	s_mov_b64 s[40:41], -1
	s_waitcnt vmcnt(0)
	v_lshlrev_b32_e32 v3, 23, v2
	v_trunc_f32_e32 v3, v3
	v_mul_f32_e64 v4, |v3|, s36
	v_floor_f32_e32 v4, v4
	v_fma_f32 v5, v4, s37, |v3|
	v_cvt_u32_f32_e32 v5, v5
	v_cvt_u32_f32_e32 v4, v4
	v_ashrrev_i32_e32 v3, 31, v3
	s_mov_b64 s[36:37], 0
	v_xor_b32_e32 v5, v5, v3
	v_xor_b32_e32 v4, v4, v3
	v_sub_co_u32_e32 v6, vcc, v5, v3
	v_subb_co_u32_e32 v3, vcc, v4, v3, vcc
	v_cmp_ne_u32_e32 vcc, 0, v2
	v_cndmask_b32_e32 v5, 0, v3, vcc
	v_cndmask_b32_e32 v4, 0, v6, vcc
	s_branch .LBB86_784
.LBB86_783:
	s_mov_b64 s[36:37], -1
                                        ; implicit-def: $vgpr4_vgpr5
.LBB86_784:
	s_mov_b64 s[42:43], 0
.LBB86_785:
	s_and_b64 vcc, exec, s[42:43]
	s_cbranch_vccz .LBB86_789
; %bb.786:
	s_cmp_eq_u32 s44, 29
	s_cbranch_scc0 .LBB86_788
; %bb.787:
	global_load_dwordx2 v[4:5], v[0:1], off
	s_mov_b64 s[36:37], 0
	s_mov_b64 s[40:41], -1
	s_branch .LBB86_789
.LBB86_788:
	s_mov_b64 s[36:37], -1
                                        ; implicit-def: $vgpr4_vgpr5
.LBB86_789:
	s_mov_b64 s[42:43], 0
.LBB86_790:
	s_and_b64 vcc, exec, s[42:43]
	s_cbranch_vccz .LBB86_808
; %bb.791:
	s_cmp_lt_i32 s44, 27
	s_cbranch_scc1 .LBB86_794
; %bb.792:
	s_cmp_gt_i32 s44, 27
	s_cbranch_scc0 .LBB86_795
; %bb.793:
	global_load_dword v4, v[0:1], off
	s_waitcnt vmcnt(1)
	v_mov_b32_e32 v5, 0
	s_mov_b64 s[40:41], 0
	s_branch .LBB86_796
.LBB86_794:
	s_mov_b64 s[40:41], -1
                                        ; implicit-def: $vgpr4_vgpr5
	s_branch .LBB86_799
.LBB86_795:
	s_mov_b64 s[40:41], -1
                                        ; implicit-def: $vgpr4_vgpr5
.LBB86_796:
	s_andn2_b64 vcc, exec, s[40:41]
	s_cbranch_vccnz .LBB86_798
; %bb.797:
	global_load_ushort v2, v[0:1], off
	s_mov_b32 s40, 0
	s_waitcnt vmcnt(1)
	v_mov_b32_e32 v5, s40
	s_waitcnt vmcnt(0)
	v_and_b32_e32 v4, 0xffff, v2
.LBB86_798:
	s_mov_b64 s[40:41], 0
.LBB86_799:
	s_andn2_b64 vcc, exec, s[40:41]
	s_cbranch_vccnz .LBB86_807
; %bb.800:
	global_load_ubyte v2, v[0:1], off
	s_movk_i32 s40, 0x7f
	s_mov_b64 s[42:43], 0
	s_waitcnt vmcnt(0)
	v_cmp_lt_i16_e32 vcc, s40, v2
	s_and_saveexec_b64 s[40:41], vcc
	s_xor_b64 s[40:41], exec, s[40:41]
; %bb.801:
	s_movk_i32 s42, 0x80
	v_cmp_ne_u16_e32 vcc, s42, v2
	s_and_b64 s[42:43], vcc, exec
; %bb.802:
	s_andn2_saveexec_b64 s[40:41], s[40:41]
; %bb.803:
	v_cmp_ne_u16_e32 vcc, 0, v2
	s_andn2_b64 s[42:43], s[42:43], exec
	s_and_b64 s[48:49], vcc, exec
	s_or_b64 s[42:43], s[42:43], s[48:49]
; %bb.804:
	s_or_b64 exec, exec, s[40:41]
	v_mov_b32_e32 v4, 0
	v_mov_b32_e32 v5, 0
	s_and_saveexec_b64 s[40:41], s[42:43]
	s_cbranch_execz .LBB86_806
; %bb.805:
	v_lshlrev_b32_e32 v3, 24, v2
	v_and_b32_e32 v2, 0xffff, v2
	v_and_b32_e32 v4, 7, v2
	v_ffbh_u32_e32 v6, v4
	v_min_u32_e32 v6, 32, v6
	v_subrev_u32_e32 v7, 28, v6
	v_bfe_u32 v5, v2, 3, 4
	v_lshlrev_b32_e32 v2, v7, v2
	v_sub_u32_e32 v6, 29, v6
	v_and_b32_e32 v2, 7, v2
	v_cmp_eq_u32_e32 vcc, 0, v5
	v_cndmask_b32_e32 v5, v5, v6, vcc
	v_cndmask_b32_e32 v2, v4, v2, vcc
	v_mov_b32_e32 v4, 0x3b800000
	v_lshlrev_b32_e32 v2, 20, v2
	v_and_b32_e32 v3, 0x80000000, v3
	v_lshl_add_u32 v4, v5, 23, v4
	v_or3_b32 v2, v3, v4, v2
	v_trunc_f32_e32 v2, v2
	s_mov_b32 s42, 0x2f800000
	v_mul_f32_e64 v3, |v2|, s42
	v_floor_f32_e32 v3, v3
	s_mov_b32 s42, 0xcf800000
	v_fma_f32 v4, v3, s42, |v2|
	v_cvt_u32_f32_e32 v4, v4
	v_cvt_u32_f32_e32 v3, v3
	v_ashrrev_i32_e32 v2, 31, v2
	v_xor_b32_e32 v4, v4, v2
	v_xor_b32_e32 v3, v3, v2
	v_sub_co_u32_e32 v4, vcc, v4, v2
	v_subb_co_u32_e32 v5, vcc, v3, v2, vcc
.LBB86_806:
	s_or_b64 exec, exec, s[40:41]
.LBB86_807:
	s_mov_b64 s[40:41], -1
.LBB86_808:
	s_mov_b64 s[42:43], 0
.LBB86_809:
	s_and_b64 vcc, exec, s[42:43]
	s_cbranch_vccz .LBB86_838
; %bb.810:
	s_cmp_gt_i32 s44, 22
	s_cbranch_scc0 .LBB86_820
; %bb.811:
	s_cmp_lt_i32 s44, 24
	s_cbranch_scc1 .LBB86_821
; %bb.812:
	s_cmp_gt_i32 s44, 24
	s_cbranch_scc0 .LBB86_822
; %bb.813:
	global_load_ubyte v2, v[0:1], off
	s_movk_i32 s38, 0x7f
	s_mov_b64 s[40:41], 0
	s_waitcnt vmcnt(0)
	v_cmp_lt_i16_e32 vcc, s38, v2
	s_and_saveexec_b64 s[38:39], vcc
	s_xor_b64 s[38:39], exec, s[38:39]
; %bb.814:
	s_movk_i32 s40, 0x80
	v_cmp_ne_u16_e32 vcc, s40, v2
	s_and_b64 s[40:41], vcc, exec
; %bb.815:
	s_andn2_saveexec_b64 s[38:39], s[38:39]
; %bb.816:
	v_cmp_ne_u16_e32 vcc, 0, v2
	s_andn2_b64 s[40:41], s[40:41], exec
	s_and_b64 s[42:43], vcc, exec
	s_or_b64 s[40:41], s[40:41], s[42:43]
; %bb.817:
	s_or_b64 exec, exec, s[38:39]
	v_mov_b32_e32 v4, 0
	v_mov_b32_e32 v5, 0
	s_and_saveexec_b64 s[38:39], s[40:41]
	s_cbranch_execz .LBB86_819
; %bb.818:
	v_lshlrev_b32_e32 v3, 24, v2
	v_and_b32_e32 v2, 0xffff, v2
	v_and_b32_e32 v4, 3, v2
	v_ffbh_u32_e32 v6, v4
	v_min_u32_e32 v6, 32, v6
	v_subrev_u32_e32 v7, 29, v6
	v_bfe_u32 v5, v2, 2, 5
	v_lshlrev_b32_e32 v2, v7, v2
	v_sub_u32_e32 v6, 30, v6
	v_and_b32_e32 v2, 3, v2
	v_cmp_eq_u32_e32 vcc, 0, v5
	v_cndmask_b32_e32 v5, v5, v6, vcc
	v_cndmask_b32_e32 v2, v4, v2, vcc
	v_mov_b32_e32 v4, 0x37800000
	v_lshlrev_b32_e32 v2, 21, v2
	v_and_b32_e32 v3, 0x80000000, v3
	v_lshl_add_u32 v4, v5, 23, v4
	v_or3_b32 v2, v3, v4, v2
	v_trunc_f32_e32 v2, v2
	s_mov_b32 s40, 0x2f800000
	v_mul_f32_e64 v3, |v2|, s40
	v_floor_f32_e32 v3, v3
	s_mov_b32 s40, 0xcf800000
	v_fma_f32 v4, v3, s40, |v2|
	v_cvt_u32_f32_e32 v4, v4
	v_cvt_u32_f32_e32 v3, v3
	v_ashrrev_i32_e32 v2, 31, v2
	v_xor_b32_e32 v4, v4, v2
	v_xor_b32_e32 v3, v3, v2
	v_sub_co_u32_e32 v4, vcc, v4, v2
	v_subb_co_u32_e32 v5, vcc, v3, v2, vcc
.LBB86_819:
	s_or_b64 exec, exec, s[38:39]
	s_mov_b64 s[38:39], 0
	s_branch .LBB86_823
.LBB86_820:
	s_mov_b64 s[38:39], -1
                                        ; implicit-def: $vgpr4_vgpr5
	s_branch .LBB86_829
.LBB86_821:
	s_mov_b64 s[38:39], -1
                                        ; implicit-def: $vgpr4_vgpr5
	s_branch .LBB86_826
.LBB86_822:
	s_mov_b64 s[38:39], -1
                                        ; implicit-def: $vgpr4_vgpr5
.LBB86_823:
	s_and_b64 vcc, exec, s[38:39]
	s_cbranch_vccz .LBB86_825
; %bb.824:
	global_load_ubyte v2, v[0:1], off
	s_mov_b32 s38, 0x7f800000
	s_brev_b32 s39, 1
	s_mov_b32 s40, 0x2f800000
	s_mov_b32 s41, 0xcf800000
	s_waitcnt vmcnt(0)
	v_lshlrev_b32_e32 v2, 24, v2
	v_and_b32_e32 v3, 0x7f000000, v2
	v_ffbh_u32_e32 v4, v3
	v_min_u32_e32 v4, 32, v4
	v_sub_u32_e64 v4, v4, 4 clamp
	v_lshlrev_b32_e32 v6, v4, v3
	v_lshlrev_b32_e32 v4, 23, v4
	v_lshrrev_b32_e32 v6, 4, v6
	v_add_u32_e32 v5, 0x1000000, v3
	v_sub_u32_e32 v4, v6, v4
	v_ashrrev_i32_e32 v5, 8, v5
	v_add_u32_e32 v4, 0x3c000000, v4
	v_and_or_b32 v4, v5, s38, v4
	v_cmp_ne_u32_e32 vcc, 0, v3
	v_cndmask_b32_e32 v3, 0, v4, vcc
	v_and_or_b32 v2, v2, s39, v3
	v_trunc_f32_e32 v2, v2
	v_mul_f32_e64 v3, |v2|, s40
	v_floor_f32_e32 v3, v3
	v_fma_f32 v4, v3, s41, |v2|
	v_cvt_u32_f32_e32 v4, v4
	v_cvt_u32_f32_e32 v3, v3
	v_ashrrev_i32_e32 v2, 31, v2
	v_xor_b32_e32 v4, v4, v2
	v_xor_b32_e32 v3, v3, v2
	v_sub_co_u32_e32 v4, vcc, v4, v2
	v_subb_co_u32_e32 v5, vcc, v3, v2, vcc
.LBB86_825:
	s_mov_b64 s[38:39], 0
.LBB86_826:
	s_andn2_b64 vcc, exec, s[38:39]
	s_cbranch_vccnz .LBB86_828
; %bb.827:
	global_load_ubyte v2, v[0:1], off
	s_movk_i32 s38, 0x7f00
	s_brev_b32 s39, 16
	s_brev_b32 s40, 1
	s_mov_b32 s41, 0x2f800000
	s_mov_b32 s42, 0xcf800000
	s_waitcnt vmcnt(0)
	v_lshlrev_b16_e32 v3, 8, v2
	v_lshlrev_b32_e32 v2, 25, v2
	v_lshrrev_b32_e32 v4, 4, v2
	v_and_or_b32 v5, v3, s38, 0.5
	v_or_b32_e32 v4, 0x70000000, v4
	v_add_f32_e32 v5, -0.5, v5
	v_mul_f32_e32 v4, 0x7800000, v4
	v_cmp_gt_u32_e32 vcc, s39, v2
	v_bfe_i32 v3, v3, 0, 16
	v_cndmask_b32_e32 v2, v4, v5, vcc
	v_and_or_b32 v2, v3, s40, v2
	v_trunc_f32_e32 v2, v2
	v_mul_f32_e64 v3, |v2|, s41
	v_floor_f32_e32 v3, v3
	v_fma_f32 v4, v3, s42, |v2|
	v_cvt_u32_f32_e32 v4, v4
	v_cvt_u32_f32_e32 v3, v3
	v_ashrrev_i32_e32 v2, 31, v2
	v_xor_b32_e32 v4, v4, v2
	v_xor_b32_e32 v3, v3, v2
	v_sub_co_u32_e32 v4, vcc, v4, v2
	v_subb_co_u32_e32 v5, vcc, v3, v2, vcc
.LBB86_828:
	s_mov_b64 s[38:39], 0
	s_mov_b64 s[40:41], -1
.LBB86_829:
	s_andn2_b64 vcc, exec, s[38:39]
	s_mov_b64 s[38:39], 0
	s_cbranch_vccnz .LBB86_838
; %bb.830:
	s_cmp_gt_i32 s44, 14
	s_cbranch_scc0 .LBB86_833
; %bb.831:
	s_cmp_eq_u32 s44, 15
	s_cbranch_scc0 .LBB86_834
; %bb.832:
	global_load_ushort v2, v[0:1], off
	s_mov_b32 s36, 0x2f800000
	s_mov_b32 s37, 0xcf800000
	s_mov_b64 s[40:41], -1
	s_waitcnt vmcnt(0)
	v_lshlrev_b32_e32 v2, 16, v2
	v_trunc_f32_e32 v2, v2
	v_mul_f32_e64 v3, |v2|, s36
	v_floor_f32_e32 v3, v3
	v_fma_f32 v4, v3, s37, |v2|
	v_cvt_u32_f32_e32 v4, v4
	v_cvt_u32_f32_e32 v3, v3
	v_ashrrev_i32_e32 v2, 31, v2
	s_mov_b64 s[36:37], 0
	v_xor_b32_e32 v4, v4, v2
	v_xor_b32_e32 v3, v3, v2
	v_sub_co_u32_e32 v4, vcc, v4, v2
	v_subb_co_u32_e32 v5, vcc, v3, v2, vcc
	s_branch .LBB86_835
.LBB86_833:
	s_mov_b64 s[42:43], -1
                                        ; implicit-def: $vgpr4_vgpr5
	s_branch .LBB86_836
.LBB86_834:
	s_mov_b64 s[36:37], -1
                                        ; implicit-def: $vgpr4_vgpr5
.LBB86_835:
	s_mov_b64 s[42:43], 0
.LBB86_836:
	s_and_b64 vcc, exec, s[42:43]
	s_cbranch_vccz .LBB86_838
; %bb.837:
	s_cmp_lg_u32 s44, 11
	s_cselect_b64 s[42:43], -1, 0
	s_andn2_b64 s[36:37], s[36:37], exec
	s_and_b64 s[42:43], s[42:43], exec
	s_mov_b64 s[38:39], -1
	s_or_b64 s[36:37], s[36:37], s[42:43]
.LBB86_838:
	s_mov_b64 s[42:43], 0
.LBB86_839:
	s_and_b64 s[44:45], s[42:43], exec
	s_andn2_b64 s[42:43], s[0:1], exec
	s_and_b64 s[36:37], s[36:37], exec
	s_and_b64 s[40:41], s[40:41], exec
	;; [unrolled: 1-line block ×3, first 2 shown]
	s_or_b64 s[42:43], s[42:43], s[36:37]
.LBB86_840:
	s_or_b64 exec, exec, s[30:31]
	s_and_b64 s[36:37], s[38:39], exec
	s_andn2_b64 s[0:1], s[0:1], exec
	s_and_b64 s[38:39], s[42:43], exec
	s_and_b64 s[40:41], s[40:41], exec
	;; [unrolled: 1-line block ×3, first 2 shown]
	s_or_b64 s[0:1], s[0:1], s[38:39]
.LBB86_841:
	s_or_b64 exec, exec, s[28:29]
	s_andn2_b64 s[24:25], s[24:25], exec
	s_and_b64 s[28:29], s[34:35], exec
	s_andn2_b64 s[22:23], s[22:23], exec
	s_and_b64 s[0:1], s[0:1], exec
	s_or_b64 s[24:25], s[24:25], s[28:29]
	s_and_b64 s[34:35], s[40:41], exec
	s_and_b64 s[30:31], s[30:31], exec
	;; [unrolled: 1-line block ×3, first 2 shown]
	s_or_b64 s[22:23], s[22:23], s[0:1]
.LBB86_842:
	s_or_b64 exec, exec, s[26:27]
	s_andn2_b64 s[0:1], s[16:17], exec
	s_and_b64 s[16:17], s[24:25], exec
	s_andn2_b64 s[18:19], s[18:19], exec
	s_and_b64 s[22:23], s[22:23], exec
	s_or_b64 s[16:17], s[0:1], s[16:17]
	s_and_b64 s[0:1], s[34:35], exec
	s_and_b64 s[26:27], s[30:31], exec
	;; [unrolled: 1-line block ×3, first 2 shown]
	s_or_b64 s[18:19], s[18:19], s[22:23]
	s_or_b64 exec, exec, s[20:21]
	s_mov_b64 s[20:21], 0
	s_and_saveexec_b64 s[22:23], s[18:19]
	s_cbranch_execz .LBB86_258
.LBB86_843:
	s_mov_b64 s[20:21], exec
	s_andn2_b64 s[24:25], s[24:25], exec
	s_trap 2
	s_or_b64 exec, exec, s[22:23]
	s_and_saveexec_b64 s[18:19], s[24:25]
	s_xor_b64 s[18:19], exec, s[18:19]
	s_cbranch_execnz .LBB86_259
.LBB86_844:
	s_or_b64 exec, exec, s[18:19]
	s_and_saveexec_b64 s[18:19], s[26:27]
	s_cbranch_execz .LBB86_890
.LBB86_845:
	s_sext_i32_i16 s22, s46
	s_cmp_lt_i32 s22, 5
	s_cbranch_scc1 .LBB86_850
; %bb.846:
	s_cmp_lt_i32 s22, 8
	s_cbranch_scc1 .LBB86_851
; %bb.847:
	;; [unrolled: 3-line block ×3, first 2 shown]
	s_cmp_gt_i32 s22, 9
	s_cbranch_scc0 .LBB86_853
; %bb.849:
	global_load_dwordx2 v[2:3], v[0:1], off
	s_movk_i32 s22, 0xffe0
	s_waitcnt vmcnt(0)
	v_trunc_f64_e32 v[2:3], v[2:3]
	v_ldexp_f64 v[4:5], v[2:3], s22
	s_mov_b32 s22, 0
	s_mov_b32 s23, 0xc1f00000
	v_floor_f64_e32 v[4:5], v[4:5]
	v_fma_f64 v[2:3], v[4:5], s[22:23], v[2:3]
	v_cvt_i32_f64_e32 v5, v[4:5]
	s_mov_b64 s[22:23], 0
	v_cvt_u32_f64_e32 v4, v[2:3]
	s_branch .LBB86_854
.LBB86_850:
                                        ; implicit-def: $vgpr4_vgpr5
	s_branch .LBB86_871
.LBB86_851:
                                        ; implicit-def: $vgpr4_vgpr5
	s_branch .LBB86_860
.LBB86_852:
	s_mov_b64 s[22:23], -1
                                        ; implicit-def: $vgpr4_vgpr5
	s_branch .LBB86_857
.LBB86_853:
	s_mov_b64 s[22:23], -1
                                        ; implicit-def: $vgpr4_vgpr5
.LBB86_854:
	s_andn2_b64 vcc, exec, s[22:23]
	s_cbranch_vccnz .LBB86_856
; %bb.855:
	global_load_dword v2, v[0:1], off
	s_mov_b32 s22, 0x2f800000
	s_mov_b32 s23, 0xcf800000
	s_waitcnt vmcnt(0)
	v_trunc_f32_e32 v2, v2
	v_mul_f32_e64 v3, |v2|, s22
	v_floor_f32_e32 v3, v3
	v_cvt_u32_f32_e32 v4, v3
	v_fma_f32 v3, v3, s23, |v2|
	v_cvt_u32_f32_e32 v3, v3
	v_ashrrev_i32_e32 v2, 31, v2
	v_xor_b32_e32 v5, v4, v2
	v_xor_b32_e32 v3, v3, v2
	v_sub_co_u32_e32 v4, vcc, v3, v2
	v_subb_co_u32_e32 v5, vcc, v5, v2, vcc
.LBB86_856:
	s_mov_b64 s[22:23], 0
.LBB86_857:
	s_andn2_b64 vcc, exec, s[22:23]
	s_cbranch_vccnz .LBB86_859
; %bb.858:
	global_load_dword v2, v[0:1], off
	s_waitcnt vmcnt(0)
	v_cvt_f32_f16_e32 v2, v2
	v_cvt_i32_f32_e32 v4, v2
	v_ashrrev_i32_e32 v5, 31, v4
.LBB86_859:
	s_cbranch_execnz .LBB86_870
.LBB86_860:
	s_sext_i32_i16 s22, s46
	s_cmp_lt_i32 s22, 6
	s_cbranch_scc1 .LBB86_863
; %bb.861:
	s_cmp_gt_i32 s22, 6
	s_cbranch_scc0 .LBB86_864
; %bb.862:
	global_load_dwordx2 v[2:3], v[0:1], off
	s_movk_i32 s22, 0xffe0
	s_waitcnt vmcnt(0)
	v_trunc_f64_e32 v[2:3], v[2:3]
	v_ldexp_f64 v[4:5], v[2:3], s22
	s_mov_b32 s22, 0
	s_mov_b32 s23, 0xc1f00000
	v_floor_f64_e32 v[4:5], v[4:5]
	v_fma_f64 v[2:3], v[4:5], s[22:23], v[2:3]
	v_cvt_i32_f64_e32 v5, v[4:5]
	s_mov_b64 s[22:23], 0
	v_cvt_u32_f64_e32 v4, v[2:3]
	s_branch .LBB86_865
.LBB86_863:
	s_mov_b64 s[22:23], -1
                                        ; implicit-def: $vgpr4_vgpr5
	s_branch .LBB86_868
.LBB86_864:
	s_mov_b64 s[22:23], -1
                                        ; implicit-def: $vgpr4_vgpr5
.LBB86_865:
	s_andn2_b64 vcc, exec, s[22:23]
	s_cbranch_vccnz .LBB86_867
; %bb.866:
	global_load_dword v2, v[0:1], off
	s_mov_b32 s22, 0x2f800000
	s_mov_b32 s23, 0xcf800000
	s_waitcnt vmcnt(0)
	v_trunc_f32_e32 v2, v2
	v_mul_f32_e64 v3, |v2|, s22
	v_floor_f32_e32 v3, v3
	v_cvt_u32_f32_e32 v4, v3
	v_fma_f32 v3, v3, s23, |v2|
	v_cvt_u32_f32_e32 v3, v3
	v_ashrrev_i32_e32 v2, 31, v2
	v_xor_b32_e32 v5, v4, v2
	v_xor_b32_e32 v3, v3, v2
	v_sub_co_u32_e32 v4, vcc, v3, v2
	v_subb_co_u32_e32 v5, vcc, v5, v2, vcc
.LBB86_867:
	s_mov_b64 s[22:23], 0
.LBB86_868:
	s_andn2_b64 vcc, exec, s[22:23]
	s_cbranch_vccnz .LBB86_870
; %bb.869:
	global_load_ushort v2, v[0:1], off
	s_waitcnt vmcnt(0)
	v_cvt_f32_f16_e32 v2, v2
	v_cvt_i32_f32_e32 v4, v2
	v_ashrrev_i32_e32 v5, 31, v4
.LBB86_870:
	s_cbranch_execnz .LBB86_889
.LBB86_871:
	s_sext_i32_i16 s22, s46
	s_cmp_lt_i32 s22, 2
	s_cbranch_scc1 .LBB86_875
; %bb.872:
	s_cmp_lt_i32 s22, 3
	s_cbranch_scc1 .LBB86_876
; %bb.873:
	s_cmp_gt_i32 s22, 3
	s_cbranch_scc0 .LBB86_877
; %bb.874:
	global_load_dwordx2 v[4:5], v[0:1], off
	s_mov_b64 s[22:23], 0
	s_branch .LBB86_878
.LBB86_875:
                                        ; implicit-def: $vgpr4_vgpr5
	s_branch .LBB86_884
.LBB86_876:
	s_mov_b64 s[22:23], -1
                                        ; implicit-def: $vgpr4_vgpr5
	s_branch .LBB86_881
.LBB86_877:
	s_mov_b64 s[22:23], -1
                                        ; implicit-def: $vgpr4_vgpr5
.LBB86_878:
	s_andn2_b64 vcc, exec, s[22:23]
	s_cbranch_vccnz .LBB86_880
; %bb.879:
	global_load_dword v4, v[0:1], off
	s_waitcnt vmcnt(0)
	v_ashrrev_i32_e32 v5, 31, v4
.LBB86_880:
	s_mov_b64 s[22:23], 0
.LBB86_881:
	s_andn2_b64 vcc, exec, s[22:23]
	s_cbranch_vccnz .LBB86_883
; %bb.882:
	global_load_ushort v2, v[0:1], off
	s_waitcnt vmcnt(0)
	v_bfe_i32 v4, v2, 0, 16
	v_ashrrev_i32_e32 v5, 31, v4
.LBB86_883:
	s_cbranch_execnz .LBB86_889
.LBB86_884:
	s_sext_i32_i16 s22, s46
	s_cmp_gt_i32 s22, 0
	s_cbranch_scc0 .LBB86_886
; %bb.885:
	global_load_sbyte v2, v[0:1], off
	s_mov_b64 s[22:23], 0
	s_waitcnt vmcnt(0)
	v_bfe_i32 v4, v2, 0, 16
	v_ashrrev_i32_e32 v5, 31, v4
	s_branch .LBB86_887
.LBB86_886:
	s_mov_b64 s[22:23], -1
                                        ; implicit-def: $vgpr4_vgpr5
.LBB86_887:
	s_andn2_b64 vcc, exec, s[22:23]
	s_cbranch_vccnz .LBB86_889
; %bb.888:
	global_load_ubyte v0, v[0:1], off
	s_mov_b32 s22, 0
	s_waitcnt vmcnt(1)
	v_mov_b32_e32 v5, s22
	s_waitcnt vmcnt(0)
	v_and_b32_e32 v4, 0xffff, v0
.LBB86_889:
	s_or_b64 s[0:1], s[0:1], exec
.LBB86_890:
	s_or_b64 exec, exec, s[18:19]
	s_mov_b64 s[24:25], 0
	s_mov_b64 s[22:23], 0
                                        ; implicit-def: $sgpr28
                                        ; implicit-def: $vgpr2_vgpr3
                                        ; implicit-def: $vgpr0_vgpr1
	s_and_saveexec_b64 s[18:19], s[0:1]
	s_cbranch_execz .LBB86_898
; %bb.891:
	s_waitcnt vmcnt(0)
	v_mul_lo_u32 v2, v10, s12
	v_lshlrev_b64 v[0:1], s2, v[4:5]
	v_mov_b32_e32 v4, s9
	s_and_b32 s28, s33, 0xff
	v_ashrrev_i32_e32 v3, 31, v2
	v_add_co_u32_e32 v2, vcc, s8, v2
	v_cndmask_b32_e64 v1, v1, 0, s[14:15]
	v_cndmask_b32_e64 v0, v0, 0, s[14:15]
	s_cmp_lt_i32 s28, 11
	v_addc_co_u32_e32 v3, vcc, v4, v3, vcc
	s_cbranch_scc1 .LBB86_901
; %bb.892:
	s_and_b32 s29, 0xffff, s28
	s_mov_b64 s[22:23], -1
	s_cmp_gt_i32 s29, 25
	s_mov_b64 s[0:1], s[16:17]
	s_cbranch_scc0 .LBB86_929
; %bb.893:
	s_mov_b64 s[14:15], -1
	s_cmp_gt_i32 s29, 28
	s_mov_b64 s[0:1], s[16:17]
	s_cbranch_scc0 .LBB86_913
; %bb.894:
	s_cmp_gt_i32 s29, 43
	s_mov_b64 s[0:1], s[16:17]
	s_cbranch_scc0 .LBB86_909
; %bb.895:
	;; [unrolled: 4-line block ×3, first 2 shown]
	s_cmp_eq_u32 s29, 46
	s_mov_b64 s[0:1], -1
	s_cbranch_scc0 .LBB86_902
; %bb.897:
	v_xor_b32_e32 v5, v0, v1
	v_ffbh_i32_e32 v4, v1
	v_ashrrev_i32_e32 v5, 31, v5
	v_add_u32_e32 v4, -1, v4
	v_add_u32_e32 v5, 32, v5
	v_min_u32_e32 v6, v4, v5
	v_lshlrev_b64 v[4:5], v6, v[0:1]
	s_movk_i32 s0, 0x7fff
	v_min_u32_e32 v4, 1, v4
	v_or_b32_e32 v4, v5, v4
	v_cvt_f32_i32_e32 v4, v4
	v_sub_u32_e32 v5, 32, v6
	s_mov_b64 s[14:15], 0
	v_ldexp_f32 v4, v4, v5
	v_bfe_u32 v5, v4, 16, 1
	v_add3_u32 v4, v4, v5, s0
	v_lshrrev_b32_e32 v4, 16, v4
	global_store_dword v[2:3], v4, off
	s_mov_b64 s[0:1], 0
	s_branch .LBB86_903
.LBB86_898:
	s_or_b64 exec, exec, s[18:19]
	s_and_saveexec_b64 s[0:1], s[16:17]
	s_cbranch_execnz .LBB86_971
.LBB86_899:
	s_or_b64 exec, exec, s[0:1]
	s_and_saveexec_b64 s[0:1], s[24:25]
	s_xor_b64 s[0:1], exec, s[0:1]
	s_cbranch_execz .LBB86_972
.LBB86_900:
	v_cmp_ne_u64_e32 vcc, 0, v[0:1]
	s_waitcnt vmcnt(0)
	v_cndmask_b32_e64 v4, 0, 1, vcc
	global_store_byte v[2:3], v4, off
	s_or_b64 exec, exec, s[0:1]
	s_and_saveexec_b64 s[0:1], s[22:23]
	s_xor_b64 s[0:1], exec, s[0:1]
	s_cbranch_execz .LBB86_1010
	s_branch .LBB86_973
.LBB86_901:
	s_mov_b64 s[14:15], -1
	s_mov_b64 s[0:1], s[16:17]
	s_branch .LBB86_970
.LBB86_902:
	s_mov_b64 s[14:15], 0
.LBB86_903:
	s_and_b64 vcc, exec, s[14:15]
	s_cbranch_vccz .LBB86_908
; %bb.904:
	s_cmp_eq_u32 s29, 44
	s_mov_b64 s[0:1], -1
	s_cbranch_scc0 .LBB86_908
; %bb.905:
	v_xor_b32_e32 v5, v0, v1
	v_ffbh_i32_e32 v4, v1
	v_ashrrev_i32_e32 v5, 31, v5
	v_add_u32_e32 v4, -1, v4
	v_add_u32_e32 v5, 32, v5
	v_min_u32_e32 v6, v4, v5
	v_lshlrev_b64 v[4:5], v6, v[0:1]
	s_movk_i32 s0, 0xff
	v_min_u32_e32 v4, 1, v4
	v_or_b32_e32 v4, v5, v4
	v_cvt_f32_i32_e32 v4, v4
	v_sub_u32_e32 v5, 32, v6
	v_mov_b32_e32 v6, 0xff
	v_ldexp_f32 v4, v4, v5
	v_bfe_u32 v5, v4, 23, 8
	v_cmp_ne_u32_e32 vcc, s0, v5
	s_and_saveexec_b64 s[14:15], vcc
; %bb.906:
	s_mov_b32 s0, 0x3fffff
	v_lshrrev_b32_e32 v6, 23, v4
	v_and_b32_e32 v7, 0x400000, v4
	v_and_or_b32 v4, v4, s0, v5
	v_cmp_ne_u32_e32 vcc, 0, v7
	v_cmp_ne_u32_e64 s[0:1], 0, v4
	s_and_b64 s[0:1], vcc, s[0:1]
	v_cndmask_b32_e64 v4, 0, 1, s[0:1]
	v_add_u32_e32 v6, v6, v4
; %bb.907:
	s_or_b64 exec, exec, s[14:15]
	s_mov_b64 s[0:1], 0
	global_store_byte v[2:3], v6, off
.LBB86_908:
	s_mov_b64 s[14:15], 0
.LBB86_909:
	s_and_b64 vcc, exec, s[14:15]
	s_cbranch_vccz .LBB86_912
; %bb.910:
	s_cmp_eq_u32 s29, 29
	s_mov_b64 s[0:1], -1
	s_cbranch_scc0 .LBB86_912
; %bb.911:
	global_store_dwordx2 v[2:3], v[0:1], off
	s_mov_b64 s[0:1], 0
.LBB86_912:
	s_mov_b64 s[14:15], 0
.LBB86_913:
	s_and_b64 vcc, exec, s[14:15]
	s_cbranch_vccz .LBB86_928
; %bb.914:
	s_cmp_lt_i32 s29, 27
	s_mov_b64 s[14:15], -1
	s_cbranch_scc1 .LBB86_920
; %bb.915:
	s_cmp_gt_i32 s29, 27
	s_cbranch_scc0 .LBB86_917
; %bb.916:
	s_mov_b64 s[14:15], 0
	global_store_dword v[2:3], v0, off
.LBB86_917:
	s_andn2_b64 vcc, exec, s[14:15]
	s_cbranch_vccnz .LBB86_919
; %bb.918:
	global_store_short v[2:3], v0, off
.LBB86_919:
	s_mov_b64 s[14:15], 0
.LBB86_920:
	s_andn2_b64 vcc, exec, s[14:15]
	s_cbranch_vccnz .LBB86_928
; %bb.921:
	v_xor_b32_e32 v5, v0, v1
	v_ffbh_i32_e32 v4, v1
	v_ashrrev_i32_e32 v5, 31, v5
	v_add_u32_e32 v4, -1, v4
	v_add_u32_e32 v5, 32, v5
	v_min_u32_e32 v6, v4, v5
	v_lshlrev_b64 v[4:5], v6, v[0:1]
	s_mov_b32 s14, 0x43800000
	v_min_u32_e32 v4, 1, v4
	v_or_b32_e32 v4, v5, v4
	v_cvt_f32_i32_e32 v4, v4
	v_sub_u32_e32 v5, 32, v6
	v_mov_b32_e32 v6, 0x80
	v_ldexp_f32 v4, v4, v5
	v_and_b32_e32 v5, 0x7fffffff, v4
	v_cmp_gt_u32_e32 vcc, s14, v5
	s_and_saveexec_b64 s[14:15], vcc
	s_cbranch_execz .LBB86_927
; %bb.922:
	s_mov_b32 s22, 0x3bffffff
	v_cmp_lt_u32_e32 vcc, s22, v5
	s_mov_b64 s[22:23], 0
                                        ; implicit-def: $vgpr5
	s_and_saveexec_b64 s[24:25], vcc
	s_xor_b64 s[24:25], exec, s[24:25]
	s_cbranch_execz .LBB86_1025
; %bb.923:
	v_bfe_u32 v5, v4, 20, 1
	s_mov_b32 s26, 0x487ffff
	v_add3_u32 v5, v4, v5, s26
	s_mov_b64 s[22:23], exec
	v_lshrrev_b32_e32 v5, 20, v5
	s_andn2_saveexec_b64 s[24:25], s[24:25]
	s_cbranch_execnz .LBB86_1026
.LBB86_924:
	s_or_b64 exec, exec, s[24:25]
	v_mov_b32_e32 v6, 0
	s_and_saveexec_b64 s[24:25], s[22:23]
.LBB86_925:
	v_lshrrev_b32_e32 v4, 24, v4
	s_movk_i32 s22, 0x80
	v_and_or_b32 v6, v4, s22, v5
.LBB86_926:
	s_or_b64 exec, exec, s[24:25]
.LBB86_927:
	s_or_b64 exec, exec, s[14:15]
	global_store_byte v[2:3], v6, off
.LBB86_928:
	s_mov_b64 s[22:23], 0
.LBB86_929:
	s_mov_b64 s[14:15], 0
	s_and_b64 vcc, exec, s[22:23]
	s_cbranch_vccz .LBB86_969
; %bb.930:
	s_cmp_gt_i32 s29, 22
	s_mov_b64 s[22:23], -1
	s_cbranch_scc0 .LBB86_962
; %bb.931:
	s_cmp_lt_i32 s29, 24
	s_cbranch_scc1 .LBB86_951
; %bb.932:
	s_cmp_gt_i32 s29, 24
	s_cbranch_scc0 .LBB86_940
; %bb.933:
	v_xor_b32_e32 v5, v0, v1
	v_ffbh_i32_e32 v4, v1
	v_ashrrev_i32_e32 v5, 31, v5
	v_add_u32_e32 v4, -1, v4
	v_add_u32_e32 v5, 32, v5
	v_min_u32_e32 v6, v4, v5
	v_lshlrev_b64 v[4:5], v6, v[0:1]
	s_mov_b32 s22, 0x47800000
	v_min_u32_e32 v4, 1, v4
	v_or_b32_e32 v4, v5, v4
	v_cvt_f32_i32_e32 v4, v4
	v_sub_u32_e32 v5, 32, v6
	v_mov_b32_e32 v6, 0x80
	v_ldexp_f32 v4, v4, v5
	v_and_b32_e32 v5, 0x7fffffff, v4
	v_cmp_gt_u32_e32 vcc, s22, v5
	s_and_saveexec_b64 s[22:23], vcc
	s_cbranch_execz .LBB86_939
; %bb.934:
	s_mov_b32 s24, 0x37ffffff
	v_cmp_lt_u32_e32 vcc, s24, v5
	s_mov_b64 s[24:25], 0
                                        ; implicit-def: $vgpr5
	s_and_saveexec_b64 s[26:27], vcc
	s_xor_b64 s[26:27], exec, s[26:27]
	s_cbranch_execz .LBB86_1145
; %bb.935:
	v_bfe_u32 v5, v4, 21, 1
	s_mov_b32 s30, 0x88fffff
	v_add3_u32 v5, v4, v5, s30
	s_mov_b64 s[24:25], exec
	v_lshrrev_b32_e32 v5, 21, v5
	s_andn2_saveexec_b64 s[26:27], s[26:27]
	s_cbranch_execnz .LBB86_1146
.LBB86_936:
	s_or_b64 exec, exec, s[26:27]
	v_mov_b32_e32 v6, 0
	s_and_saveexec_b64 s[26:27], s[24:25]
.LBB86_937:
	v_lshrrev_b32_e32 v4, 24, v4
	s_movk_i32 s24, 0x80
	v_and_or_b32 v6, v4, s24, v5
.LBB86_938:
	s_or_b64 exec, exec, s[26:27]
.LBB86_939:
	s_or_b64 exec, exec, s[22:23]
	s_mov_b64 s[22:23], 0
	global_store_byte v[2:3], v6, off
.LBB86_940:
	s_and_b64 vcc, exec, s[22:23]
	s_cbranch_vccz .LBB86_950
; %bb.941:
	v_xor_b32_e32 v5, v0, v1
	v_ffbh_i32_e32 v4, v1
	v_ashrrev_i32_e32 v5, 31, v5
	v_add_u32_e32 v4, -1, v4
	v_add_u32_e32 v5, 32, v5
	v_min_u32_e32 v6, v4, v5
	v_lshlrev_b64 v[4:5], v6, v[0:1]
	s_mov_b32 s22, 0x43f00000
	v_min_u32_e32 v4, 1, v4
	v_or_b32_e32 v4, v5, v4
	v_cvt_f32_i32_e32 v4, v4
	v_sub_u32_e32 v5, 32, v6
	v_ldexp_f32 v4, v4, v5
	v_and_b32_e32 v6, 0x7fffffff, v4
	v_cmp_gt_u32_e32 vcc, s22, v6
                                        ; implicit-def: $vgpr5
	s_and_saveexec_b64 s[22:23], vcc
	s_xor_b64 s[22:23], exec, s[22:23]
	s_cbranch_execz .LBB86_947
; %bb.942:
	s_mov_b32 s24, 0x3c7fffff
	v_cmp_lt_u32_e32 vcc, s24, v6
                                        ; implicit-def: $vgpr5
	s_and_saveexec_b64 s[24:25], vcc
	s_xor_b64 s[24:25], exec, s[24:25]
; %bb.943:
	v_bfe_u32 v5, v4, 20, 1
	s_mov_b32 s26, 0x407ffff
	v_add3_u32 v5, v4, v5, s26
	v_lshrrev_b32_e32 v6, 20, v5
	v_and_b32_e32 v5, 0xff00000, v5
	s_mov_b32 s26, 0x7f00000
	v_mov_b32_e32 v7, 0x7e
	v_cmp_ne_u32_e32 vcc, s26, v5
	v_cndmask_b32_e32 v5, v7, v6, vcc
; %bb.944:
	s_andn2_saveexec_b64 s[24:25], s[24:25]
; %bb.945:
	s_mov_b32 s26, 0x46800000
	v_add_f32_e64 v5, |v4|, s26
; %bb.946:
	s_or_b64 exec, exec, s[24:25]
                                        ; implicit-def: $vgpr6
.LBB86_947:
	s_andn2_saveexec_b64 s[22:23], s[22:23]
; %bb.948:
	s_mov_b32 s24, 0x7f800000
	v_mov_b32_e32 v5, 0x7e
	v_mov_b32_e32 v7, 0x7f
	v_cmp_lt_u32_e32 vcc, s24, v6
	v_cndmask_b32_e32 v5, v5, v7, vcc
; %bb.949:
	s_or_b64 exec, exec, s[22:23]
	v_lshrrev_b32_e32 v4, 24, v4
	s_movk_i32 s22, 0x80
	v_and_or_b32 v4, v4, s22, v5
	global_store_byte v[2:3], v4, off
.LBB86_950:
	s_mov_b64 s[22:23], 0
.LBB86_951:
	s_andn2_b64 vcc, exec, s[22:23]
	s_cbranch_vccnz .LBB86_961
; %bb.952:
	v_xor_b32_e32 v5, v0, v1
	v_ffbh_i32_e32 v4, v1
	v_ashrrev_i32_e32 v5, 31, v5
	v_add_u32_e32 v4, -1, v4
	v_add_u32_e32 v5, 32, v5
	v_min_u32_e32 v6, v4, v5
	v_lshlrev_b64 v[4:5], v6, v[0:1]
	s_mov_b32 s22, 0x47800000
	v_min_u32_e32 v4, 1, v4
	v_or_b32_e32 v4, v5, v4
	v_cvt_f32_i32_e32 v4, v4
	v_sub_u32_e32 v5, 32, v6
	v_ldexp_f32 v4, v4, v5
	v_and_b32_e32 v6, 0x7fffffff, v4
	v_cmp_gt_u32_e32 vcc, s22, v6
                                        ; implicit-def: $vgpr5
	s_and_saveexec_b64 s[22:23], vcc
	s_xor_b64 s[22:23], exec, s[22:23]
	s_cbranch_execz .LBB86_958
; %bb.953:
	s_mov_b32 s24, 0x387fffff
	v_cmp_lt_u32_e32 vcc, s24, v6
                                        ; implicit-def: $vgpr5
	s_and_saveexec_b64 s[24:25], vcc
	s_xor_b64 s[24:25], exec, s[24:25]
; %bb.954:
	v_bfe_u32 v5, v4, 21, 1
	s_mov_b32 s26, 0x80fffff
	v_add3_u32 v5, v4, v5, s26
	v_lshrrev_b32_e32 v5, 21, v5
; %bb.955:
	s_andn2_saveexec_b64 s[24:25], s[24:25]
; %bb.956:
	s_mov_b32 s26, 0x43000000
	v_add_f32_e64 v5, |v4|, s26
; %bb.957:
	s_or_b64 exec, exec, s[24:25]
                                        ; implicit-def: $vgpr6
.LBB86_958:
	s_andn2_saveexec_b64 s[22:23], s[22:23]
; %bb.959:
	s_mov_b32 s24, 0x7f800000
	v_mov_b32_e32 v5, 0x7c
	v_mov_b32_e32 v7, 0x7f
	v_cmp_lt_u32_e32 vcc, s24, v6
	v_cndmask_b32_e32 v5, v5, v7, vcc
; %bb.960:
	s_or_b64 exec, exec, s[22:23]
	v_lshrrev_b32_e32 v4, 24, v4
	s_movk_i32 s22, 0x80
	v_and_or_b32 v4, v4, s22, v5
	global_store_byte v[2:3], v4, off
.LBB86_961:
	s_mov_b64 s[22:23], 0
.LBB86_962:
	s_andn2_b64 vcc, exec, s[22:23]
	s_mov_b64 s[24:25], 0
	s_cbranch_vccnz .LBB86_970
; %bb.963:
	s_cmp_gt_i32 s29, 14
	s_mov_b64 s[22:23], -1
	s_cbranch_scc0 .LBB86_967
; %bb.964:
	s_cmp_eq_u32 s29, 15
	s_mov_b64 s[0:1], -1
	s_cbranch_scc0 .LBB86_966
; %bb.965:
	v_xor_b32_e32 v5, v0, v1
	v_ffbh_i32_e32 v4, v1
	v_ashrrev_i32_e32 v5, 31, v5
	v_add_u32_e32 v4, -1, v4
	v_add_u32_e32 v5, 32, v5
	v_min_u32_e32 v6, v4, v5
	v_lshlrev_b64 v[4:5], v6, v[0:1]
	s_movk_i32 s0, 0x7fff
	v_min_u32_e32 v4, 1, v4
	v_or_b32_e32 v4, v5, v4
	v_cvt_f32_i32_e32 v4, v4
	v_sub_u32_e32 v5, 32, v6
	v_ldexp_f32 v4, v4, v5
	v_bfe_u32 v5, v4, 16, 1
	v_add3_u32 v4, v4, v5, s0
	global_store_short_d16_hi v[2:3], v4, off
	s_mov_b64 s[0:1], 0
.LBB86_966:
	s_mov_b64 s[22:23], 0
.LBB86_967:
	s_and_b64 vcc, exec, s[22:23]
	s_cbranch_vccz .LBB86_970
; %bb.968:
	s_cmp_lg_u32 s29, 11
	s_cselect_b64 s[22:23], -1, 0
	s_andn2_b64 s[0:1], s[0:1], exec
	s_and_b64 s[22:23], s[22:23], exec
	s_mov_b64 s[24:25], -1
	s_or_b64 s[0:1], s[0:1], s[22:23]
	s_branch .LBB86_970
.LBB86_969:
	s_mov_b64 s[24:25], 0
.LBB86_970:
	s_and_b64 s[22:23], s[14:15], exec
	s_andn2_b64 s[14:15], s[16:17], exec
	s_and_b64 s[0:1], s[0:1], exec
	s_and_b64 s[24:25], s[24:25], exec
	s_or_b64 s[16:17], s[14:15], s[0:1]
	s_or_b64 exec, exec, s[18:19]
	s_and_saveexec_b64 s[0:1], s[16:17]
	s_cbranch_execz .LBB86_899
.LBB86_971:
	s_or_b64 s[20:21], s[20:21], exec
	s_andn2_b64 s[24:25], s[24:25], exec
	s_trap 2
	s_or_b64 exec, exec, s[0:1]
	s_and_saveexec_b64 s[0:1], s[24:25]
	s_xor_b64 s[0:1], exec, s[0:1]
	s_cbranch_execnz .LBB86_900
.LBB86_972:
	s_or_b64 exec, exec, s[0:1]
	s_and_saveexec_b64 s[0:1], s[22:23]
	s_xor_b64 s[0:1], exec, s[0:1]
	s_cbranch_execz .LBB86_1010
.LBB86_973:
	s_sext_i32_i16 s16, s28
	s_cmp_lt_i32 s16, 5
	s_mov_b64 s[14:15], -1
	s_cbranch_scc1 .LBB86_994
; %bb.974:
	s_cmp_lt_i32 s16, 8
	s_cbranch_scc1 .LBB86_984
; %bb.975:
	s_cmp_lt_i32 s16, 9
	s_cbranch_scc1 .LBB86_981
; %bb.976:
	s_cmp_gt_i32 s16, 9
	s_cbranch_scc0 .LBB86_978
; %bb.977:
	s_waitcnt vmcnt(0)
	v_cvt_f64_i32_e32 v[4:5], v1
	v_cvt_f64_u32_e32 v[6:7], v0
	s_mov_b64 s[14:15], 0
	v_ldexp_f64 v[4:5], v[4:5], 32
	v_add_f64 v[4:5], v[4:5], v[6:7]
	v_mov_b32_e32 v6, 0
	v_mov_b32_e32 v7, v6
	global_store_dwordx4 v[2:3], v[4:7], off
.LBB86_978:
	s_andn2_b64 vcc, exec, s[14:15]
	s_cbranch_vccnz .LBB86_980
; %bb.979:
	s_waitcnt vmcnt(0)
	v_xor_b32_e32 v5, v0, v1
	v_ffbh_i32_e32 v4, v1
	v_ashrrev_i32_e32 v5, 31, v5
	v_add_u32_e32 v4, -1, v4
	v_add_u32_e32 v5, 32, v5
	v_min_u32_e32 v6, v4, v5
	v_lshlrev_b64 v[4:5], v6, v[0:1]
	v_min_u32_e32 v4, 1, v4
	v_or_b32_e32 v4, v5, v4
	v_cvt_f32_i32_e32 v4, v4
	v_sub_u32_e32 v5, 32, v6
	v_ldexp_f32 v4, v4, v5
	v_mov_b32_e32 v5, 0
	global_store_dwordx2 v[2:3], v[4:5], off
.LBB86_980:
	s_mov_b64 s[14:15], 0
.LBB86_981:
	s_andn2_b64 vcc, exec, s[14:15]
	s_cbranch_vccnz .LBB86_983
; %bb.982:
	s_waitcnt vmcnt(0)
	v_xor_b32_e32 v5, v0, v1
	v_ffbh_i32_e32 v4, v1
	v_ashrrev_i32_e32 v5, 31, v5
	v_add_u32_e32 v4, -1, v4
	v_add_u32_e32 v5, 32, v5
	v_min_u32_e32 v6, v4, v5
	v_lshlrev_b64 v[4:5], v6, v[0:1]
	v_min_u32_e32 v4, 1, v4
	v_or_b32_e32 v4, v5, v4
	v_cvt_f32_i32_e32 v4, v4
	v_sub_u32_e32 v5, 32, v6
	v_ldexp_f32 v4, v4, v5
	v_cvt_f16_f32_e32 v4, v4
	global_store_dword v[2:3], v4, off
.LBB86_983:
	s_mov_b64 s[14:15], 0
.LBB86_984:
	s_andn2_b64 vcc, exec, s[14:15]
	s_cbranch_vccnz .LBB86_993
; %bb.985:
	s_sext_i32_i16 s16, s28
	s_cmp_lt_i32 s16, 6
	s_mov_b64 s[14:15], -1
	s_cbranch_scc1 .LBB86_991
; %bb.986:
	s_cmp_gt_i32 s16, 6
	s_cbranch_scc0 .LBB86_988
; %bb.987:
	s_waitcnt vmcnt(0)
	v_cvt_f64_i32_e32 v[4:5], v1
	v_cvt_f64_u32_e32 v[6:7], v0
	s_mov_b64 s[14:15], 0
	v_ldexp_f64 v[4:5], v[4:5], 32
	v_add_f64 v[4:5], v[4:5], v[6:7]
	global_store_dwordx2 v[2:3], v[4:5], off
.LBB86_988:
	s_andn2_b64 vcc, exec, s[14:15]
	s_cbranch_vccnz .LBB86_990
; %bb.989:
	s_waitcnt vmcnt(0)
	v_xor_b32_e32 v5, v0, v1
	v_ffbh_i32_e32 v4, v1
	v_ashrrev_i32_e32 v5, 31, v5
	v_add_u32_e32 v4, -1, v4
	v_add_u32_e32 v5, 32, v5
	v_min_u32_e32 v6, v4, v5
	v_lshlrev_b64 v[4:5], v6, v[0:1]
	v_min_u32_e32 v4, 1, v4
	v_or_b32_e32 v4, v5, v4
	v_cvt_f32_i32_e32 v4, v4
	v_sub_u32_e32 v5, 32, v6
	v_ldexp_f32 v4, v4, v5
	global_store_dword v[2:3], v4, off
.LBB86_990:
	s_mov_b64 s[14:15], 0
.LBB86_991:
	s_andn2_b64 vcc, exec, s[14:15]
	s_cbranch_vccnz .LBB86_993
; %bb.992:
	s_waitcnt vmcnt(0)
	v_xor_b32_e32 v5, v0, v1
	v_ffbh_i32_e32 v4, v1
	v_ashrrev_i32_e32 v5, 31, v5
	v_add_u32_e32 v4, -1, v4
	v_add_u32_e32 v5, 32, v5
	v_min_u32_e32 v6, v4, v5
	v_lshlrev_b64 v[4:5], v6, v[0:1]
	v_min_u32_e32 v4, 1, v4
	v_or_b32_e32 v4, v5, v4
	v_cvt_f32_i32_e32 v4, v4
	v_sub_u32_e32 v5, 32, v6
	v_ldexp_f32 v4, v4, v5
	v_cvt_f16_f32_e32 v4, v4
	global_store_short v[2:3], v4, off
.LBB86_993:
	s_mov_b64 s[14:15], 0
.LBB86_994:
	s_andn2_b64 vcc, exec, s[14:15]
	s_cbranch_vccnz .LBB86_1010
; %bb.995:
	s_sext_i32_i16 s16, s28
	s_cmp_lt_i32 s16, 2
	s_mov_b64 s[14:15], -1
	s_cbranch_scc1 .LBB86_1005
; %bb.996:
	s_cmp_lt_i32 s16, 3
	s_cbranch_scc1 .LBB86_1002
; %bb.997:
	s_cmp_gt_i32 s16, 3
	s_cbranch_scc0 .LBB86_999
; %bb.998:
	s_mov_b64 s[14:15], 0
	s_waitcnt vmcnt(0)
	global_store_dwordx2 v[2:3], v[0:1], off
.LBB86_999:
	s_andn2_b64 vcc, exec, s[14:15]
	s_cbranch_vccnz .LBB86_1001
; %bb.1000:
	s_waitcnt vmcnt(0)
	global_store_dword v[2:3], v0, off
.LBB86_1001:
	s_mov_b64 s[14:15], 0
.LBB86_1002:
	s_andn2_b64 vcc, exec, s[14:15]
	s_cbranch_vccnz .LBB86_1004
; %bb.1003:
	s_waitcnt vmcnt(0)
	global_store_short v[2:3], v0, off
.LBB86_1004:
	s_mov_b64 s[14:15], 0
.LBB86_1005:
	s_andn2_b64 vcc, exec, s[14:15]
	s_cbranch_vccnz .LBB86_1010
; %bb.1006:
	s_sext_i32_i16 s14, s28
	s_cmp_gt_i32 s14, 0
	s_mov_b64 s[14:15], -1
	s_cbranch_scc0 .LBB86_1008
; %bb.1007:
	s_mov_b64 s[14:15], 0
	s_waitcnt vmcnt(0)
	global_store_byte v[2:3], v0, off
.LBB86_1008:
	s_andn2_b64 vcc, exec, s[14:15]
	s_cbranch_vccnz .LBB86_1010
; %bb.1009:
	s_waitcnt vmcnt(0)
	global_store_byte v[2:3], v0, off
.LBB86_1010:
	s_or_b64 exec, exec, s[0:1]
	s_and_b64 s[14:15], s[20:21], exec
                                        ; implicit-def: $vgpr10
.LBB86_1011:
	s_or_saveexec_b64 s[6:7], s[6:7]
	s_mov_b64 s[0:1], 0
                                        ; implicit-def: $sgpr24
                                        ; implicit-def: $vgpr2_vgpr3
                                        ; implicit-def: $vgpr0_vgpr1
	s_xor_b64 exec, exec, s[6:7]
	s_cbranch_execz .LBB86_1942
; %bb.1012:
	s_waitcnt vmcnt(0)
	v_mul_lo_u32 v4, s13, v10
	v_mov_b32_e32 v0, s11
	s_and_b32 s22, 0xffff, s46
	s_cmp_lt_i32 s22, 11
	v_ashrrev_i32_e32 v1, 31, v4
	v_add_co_u32_e32 v2, vcc, s10, v4
	v_addc_co_u32_e32 v3, vcc, v0, v1, vcc
	s_cbranch_scc1 .LBB86_1019
; %bb.1013:
	s_cmp_gt_i32 s22, 25
	s_cbranch_scc0 .LBB86_1021
; %bb.1014:
	s_cmp_gt_i32 s22, 28
	s_cbranch_scc0 .LBB86_1022
	;; [unrolled: 3-line block ×4, first 2 shown]
; %bb.1017:
	s_cmp_eq_u32 s22, 46
	s_mov_b64 s[16:17], 0
	s_cbranch_scc0 .LBB86_1027
; %bb.1018:
	global_load_dword v0, v[2:3], off
	s_mov_b32 s0, 0x2f800000
	s_mov_b32 s1, 0xcf800000
	s_mov_b64 s[18:19], -1
	s_waitcnt vmcnt(0)
	v_lshlrev_b32_e32 v0, 16, v0
	v_trunc_f32_e32 v0, v0
	v_mul_f32_e64 v1, |v0|, s0
	v_floor_f32_e32 v1, v1
	v_fma_f32 v5, v1, s1, |v0|
	v_cvt_u32_f32_e32 v5, v5
	v_cvt_u32_f32_e32 v1, v1
	v_ashrrev_i32_e32 v6, 31, v0
	s_mov_b64 s[0:1], 0
	v_xor_b32_e32 v0, v5, v6
	v_xor_b32_e32 v1, v1, v6
	v_sub_co_u32_e32 v0, vcc, v0, v6
	v_subb_co_u32_e32 v1, vcc, v1, v6, vcc
	s_branch .LBB86_1028
.LBB86_1019:
	s_mov_b64 s[18:19], 0
                                        ; implicit-def: $vgpr0_vgpr1
	s_mov_b64 s[16:17], s[14:15]
	s_cbranch_execnz .LBB86_1086
.LBB86_1020:
	s_andn2_b64 vcc, exec, s[18:19]
	s_cbranch_vccz .LBB86_1131
	s_branch .LBB86_1940
.LBB86_1021:
	s_mov_b64 s[18:19], 0
                                        ; implicit-def: $vgpr0_vgpr1
	s_cbranch_execnz .LBB86_1055
	s_branch .LBB86_1082
.LBB86_1022:
	s_mov_b64 s[18:19], 0
                                        ; implicit-def: $vgpr0_vgpr1
	s_cbranch_execz .LBB86_1054
	s_branch .LBB86_1037
.LBB86_1023:
	s_mov_b64 s[18:19], 0
                                        ; implicit-def: $vgpr0_vgpr1
	s_cbranch_execnz .LBB86_1033
	s_branch .LBB86_1036
.LBB86_1024:
	s_mov_b64 s[16:17], -1
	s_mov_b64 s[18:19], 0
                                        ; implicit-def: $vgpr0_vgpr1
	s_branch .LBB86_1028
.LBB86_1025:
	s_andn2_saveexec_b64 s[24:25], s[24:25]
	s_cbranch_execz .LBB86_924
.LBB86_1026:
	s_mov_b32 s26, 0x46000000
	v_add_f32_e64 v5, |v4|, s26
	v_and_b32_e32 v5, 0xff, v5
	v_cmp_ne_u32_e32 vcc, 0, v5
	s_andn2_b64 s[22:23], s[22:23], exec
	s_and_b64 s[26:27], vcc, exec
	s_or_b64 s[22:23], s[22:23], s[26:27]
	s_or_b64 exec, exec, s[24:25]
	v_mov_b32_e32 v6, 0
	s_and_saveexec_b64 s[24:25], s[22:23]
	s_cbranch_execnz .LBB86_925
	s_branch .LBB86_926
.LBB86_1027:
	s_mov_b64 s[0:1], -1
                                        ; implicit-def: $vgpr0_vgpr1
	s_mov_b64 s[18:19], 0
.LBB86_1028:
	s_and_b64 vcc, exec, s[16:17]
	s_cbranch_vccz .LBB86_1031
; %bb.1029:
	s_cmp_eq_u32 s22, 44
	s_cbranch_scc0 .LBB86_1032
; %bb.1030:
	global_load_ubyte v0, v[2:3], off
	s_mov_b32 s0, 0x2f800000
	s_mov_b32 s1, 0xcf800000
	s_mov_b64 s[18:19], -1
	s_waitcnt vmcnt(0)
	v_lshlrev_b32_e32 v1, 23, v0
	v_trunc_f32_e32 v1, v1
	v_mul_f32_e64 v5, |v1|, s0
	v_floor_f32_e32 v5, v5
	v_fma_f32 v6, v5, s1, |v1|
	v_cvt_u32_f32_e32 v6, v6
	v_cvt_u32_f32_e32 v5, v5
	v_ashrrev_i32_e32 v1, 31, v1
	s_mov_b64 s[0:1], 0
	v_xor_b32_e32 v6, v6, v1
	v_xor_b32_e32 v5, v5, v1
	v_sub_co_u32_e32 v6, vcc, v6, v1
	v_subb_co_u32_e32 v1, vcc, v5, v1, vcc
	v_cmp_ne_u32_e32 vcc, 0, v0
	v_cndmask_b32_e32 v1, 0, v1, vcc
	v_cndmask_b32_e32 v0, 0, v6, vcc
.LBB86_1031:
	s_branch .LBB86_1036
.LBB86_1032:
	s_mov_b64 s[0:1], -1
                                        ; implicit-def: $vgpr0_vgpr1
	s_branch .LBB86_1036
.LBB86_1033:
	s_cmp_eq_u32 s22, 29
	s_cbranch_scc0 .LBB86_1035
; %bb.1034:
	global_load_dwordx2 v[0:1], v[2:3], off
	s_mov_b64 s[0:1], 0
	s_mov_b64 s[18:19], -1
	s_branch .LBB86_1036
.LBB86_1035:
	s_mov_b64 s[0:1], -1
                                        ; implicit-def: $vgpr0_vgpr1
.LBB86_1036:
	s_branch .LBB86_1054
.LBB86_1037:
	s_cmp_lt_i32 s22, 27
	s_cbranch_scc1 .LBB86_1040
; %bb.1038:
	s_cmp_gt_i32 s22, 27
	s_cbranch_scc0 .LBB86_1041
; %bb.1039:
	global_load_dword v0, v[2:3], off
	s_waitcnt vmcnt(1)
	v_mov_b32_e32 v1, 0
	s_mov_b64 s[16:17], 0
	s_branch .LBB86_1042
.LBB86_1040:
	s_mov_b64 s[16:17], -1
                                        ; implicit-def: $vgpr0_vgpr1
	s_branch .LBB86_1045
.LBB86_1041:
	s_mov_b64 s[16:17], -1
                                        ; implicit-def: $vgpr0_vgpr1
.LBB86_1042:
	s_andn2_b64 vcc, exec, s[16:17]
	s_cbranch_vccnz .LBB86_1044
; %bb.1043:
	global_load_ushort v0, v[2:3], off
	s_mov_b32 s16, 0
	s_waitcnt vmcnt(1)
	v_mov_b32_e32 v1, s16
	s_waitcnt vmcnt(0)
	v_and_b32_e32 v0, 0xffff, v0
.LBB86_1044:
	s_mov_b64 s[16:17], 0
.LBB86_1045:
	s_andn2_b64 vcc, exec, s[16:17]
	s_cbranch_vccnz .LBB86_1053
; %bb.1046:
	global_load_ubyte v5, v[2:3], off
	s_movk_i32 s16, 0x7f
	s_mov_b64 s[18:19], 0
	s_waitcnt vmcnt(0)
	v_cmp_lt_i16_e32 vcc, s16, v5
	s_and_saveexec_b64 s[16:17], vcc
	s_xor_b64 s[16:17], exec, s[16:17]
; %bb.1047:
	s_movk_i32 s18, 0x80
	v_cmp_ne_u16_e32 vcc, s18, v5
	s_and_b64 s[18:19], vcc, exec
; %bb.1048:
	s_andn2_saveexec_b64 s[16:17], s[16:17]
; %bb.1049:
	v_cmp_ne_u16_e32 vcc, 0, v5
	s_andn2_b64 s[18:19], s[18:19], exec
	s_and_b64 s[20:21], vcc, exec
	s_or_b64 s[18:19], s[18:19], s[20:21]
; %bb.1050:
	s_or_b64 exec, exec, s[16:17]
	v_mov_b32_e32 v0, 0
	v_mov_b32_e32 v1, 0
	s_and_saveexec_b64 s[16:17], s[18:19]
	s_cbranch_execz .LBB86_1052
; %bb.1051:
	v_and_b32_e32 v1, 0xffff, v5
	v_lshlrev_b32_e32 v0, 24, v5
	v_and_b32_e32 v5, 7, v1
	v_ffbh_u32_e32 v7, v5
	v_min_u32_e32 v7, 32, v7
	v_subrev_u32_e32 v8, 28, v7
	v_bfe_u32 v6, v1, 3, 4
	v_lshlrev_b32_e32 v1, v8, v1
	v_sub_u32_e32 v7, 29, v7
	v_and_b32_e32 v1, 7, v1
	v_cmp_eq_u32_e32 vcc, 0, v6
	v_cndmask_b32_e32 v6, v6, v7, vcc
	v_cndmask_b32_e32 v1, v5, v1, vcc
	v_mov_b32_e32 v5, 0x3b800000
	v_lshlrev_b32_e32 v1, 20, v1
	v_and_b32_e32 v0, 0x80000000, v0
	v_lshl_add_u32 v5, v6, 23, v5
	v_or3_b32 v0, v0, v5, v1
	v_trunc_f32_e32 v0, v0
	s_mov_b32 s18, 0x2f800000
	v_mul_f32_e64 v1, |v0|, s18
	v_floor_f32_e32 v1, v1
	s_mov_b32 s18, 0xcf800000
	v_fma_f32 v5, v1, s18, |v0|
	v_cvt_u32_f32_e32 v5, v5
	v_cvt_u32_f32_e32 v1, v1
	v_ashrrev_i32_e32 v6, 31, v0
	v_xor_b32_e32 v0, v5, v6
	v_xor_b32_e32 v1, v1, v6
	v_sub_co_u32_e32 v0, vcc, v0, v6
	v_subb_co_u32_e32 v1, vcc, v1, v6, vcc
.LBB86_1052:
	s_or_b64 exec, exec, s[16:17]
.LBB86_1053:
	s_mov_b64 s[18:19], -1
.LBB86_1054:
	s_branch .LBB86_1082
.LBB86_1055:
	s_cmp_gt_i32 s22, 22
	s_cbranch_scc0 .LBB86_1065
; %bb.1056:
	s_cmp_lt_i32 s22, 24
	s_cbranch_scc1 .LBB86_1066
; %bb.1057:
	s_cmp_gt_i32 s22, 24
	s_cbranch_scc0 .LBB86_1067
; %bb.1058:
	global_load_ubyte v5, v[2:3], off
	s_movk_i32 s4, 0x7f
	s_mov_b64 s[16:17], 0
	s_waitcnt vmcnt(0)
	v_cmp_lt_i16_e32 vcc, s4, v5
	s_and_saveexec_b64 s[4:5], vcc
	s_xor_b64 s[4:5], exec, s[4:5]
; %bb.1059:
	s_movk_i32 s16, 0x80
	v_cmp_ne_u16_e32 vcc, s16, v5
	s_and_b64 s[16:17], vcc, exec
; %bb.1060:
	s_andn2_saveexec_b64 s[4:5], s[4:5]
; %bb.1061:
	v_cmp_ne_u16_e32 vcc, 0, v5
	s_andn2_b64 s[16:17], s[16:17], exec
	s_and_b64 s[18:19], vcc, exec
	s_or_b64 s[16:17], s[16:17], s[18:19]
; %bb.1062:
	s_or_b64 exec, exec, s[4:5]
	v_mov_b32_e32 v0, 0
	v_mov_b32_e32 v1, 0
	s_and_saveexec_b64 s[4:5], s[16:17]
	s_cbranch_execz .LBB86_1064
; %bb.1063:
	v_and_b32_e32 v1, 0xffff, v5
	v_lshlrev_b32_e32 v0, 24, v5
	v_and_b32_e32 v5, 3, v1
	v_ffbh_u32_e32 v7, v5
	v_min_u32_e32 v7, 32, v7
	v_subrev_u32_e32 v8, 29, v7
	v_bfe_u32 v6, v1, 2, 5
	v_lshlrev_b32_e32 v1, v8, v1
	v_sub_u32_e32 v7, 30, v7
	v_and_b32_e32 v1, 3, v1
	v_cmp_eq_u32_e32 vcc, 0, v6
	v_cndmask_b32_e32 v6, v6, v7, vcc
	v_cndmask_b32_e32 v1, v5, v1, vcc
	v_mov_b32_e32 v5, 0x37800000
	v_lshlrev_b32_e32 v1, 21, v1
	v_and_b32_e32 v0, 0x80000000, v0
	v_lshl_add_u32 v5, v6, 23, v5
	v_or3_b32 v0, v0, v5, v1
	v_trunc_f32_e32 v0, v0
	s_mov_b32 s16, 0x2f800000
	v_mul_f32_e64 v1, |v0|, s16
	v_floor_f32_e32 v1, v1
	s_mov_b32 s16, 0xcf800000
	v_fma_f32 v5, v1, s16, |v0|
	v_cvt_u32_f32_e32 v5, v5
	v_cvt_u32_f32_e32 v1, v1
	v_ashrrev_i32_e32 v6, 31, v0
	v_xor_b32_e32 v0, v5, v6
	v_xor_b32_e32 v1, v1, v6
	v_sub_co_u32_e32 v0, vcc, v0, v6
	v_subb_co_u32_e32 v1, vcc, v1, v6, vcc
.LBB86_1064:
	s_or_b64 exec, exec, s[4:5]
	s_mov_b64 s[4:5], 0
	s_branch .LBB86_1068
.LBB86_1065:
                                        ; implicit-def: $vgpr0_vgpr1
	s_mov_b64 s[4:5], 0
	s_branch .LBB86_1074
.LBB86_1066:
	s_mov_b64 s[4:5], -1
                                        ; implicit-def: $vgpr0_vgpr1
	s_branch .LBB86_1071
.LBB86_1067:
	s_mov_b64 s[4:5], -1
                                        ; implicit-def: $vgpr0_vgpr1
.LBB86_1068:
	s_and_b64 vcc, exec, s[4:5]
	s_cbranch_vccz .LBB86_1070
; %bb.1069:
	global_load_ubyte v0, v[2:3], off
	s_mov_b32 s4, 0x7f800000
	s_brev_b32 s5, 1
	s_mov_b32 s16, 0x2f800000
	s_mov_b32 s17, 0xcf800000
	s_waitcnt vmcnt(0)
	v_lshlrev_b32_e32 v0, 24, v0
	v_and_b32_e32 v1, 0x7f000000, v0
	v_ffbh_u32_e32 v5, v1
	v_min_u32_e32 v5, 32, v5
	v_sub_u32_e64 v5, v5, 4 clamp
	v_lshlrev_b32_e32 v7, v5, v1
	v_lshlrev_b32_e32 v5, 23, v5
	v_lshrrev_b32_e32 v7, 4, v7
	v_add_u32_e32 v6, 0x1000000, v1
	v_sub_u32_e32 v5, v7, v5
	v_ashrrev_i32_e32 v6, 8, v6
	v_add_u32_e32 v5, 0x3c000000, v5
	v_and_or_b32 v5, v6, s4, v5
	v_cmp_ne_u32_e32 vcc, 0, v1
	v_cndmask_b32_e32 v1, 0, v5, vcc
	v_and_or_b32 v0, v0, s5, v1
	v_trunc_f32_e32 v0, v0
	v_mul_f32_e64 v1, |v0|, s16
	v_floor_f32_e32 v1, v1
	v_fma_f32 v5, v1, s17, |v0|
	v_cvt_u32_f32_e32 v5, v5
	v_cvt_u32_f32_e32 v1, v1
	v_ashrrev_i32_e32 v6, 31, v0
	v_xor_b32_e32 v0, v5, v6
	v_xor_b32_e32 v1, v1, v6
	v_sub_co_u32_e32 v0, vcc, v0, v6
	v_subb_co_u32_e32 v1, vcc, v1, v6, vcc
.LBB86_1070:
	s_mov_b64 s[4:5], 0
.LBB86_1071:
	s_andn2_b64 vcc, exec, s[4:5]
	s_cbranch_vccnz .LBB86_1073
; %bb.1072:
	global_load_ubyte v0, v[2:3], off
	s_movk_i32 s4, 0x7f00
	s_brev_b32 s5, 16
	s_brev_b32 s16, 1
	s_mov_b32 s17, 0x2f800000
	s_mov_b32 s18, 0xcf800000
	s_waitcnt vmcnt(0)
	v_lshlrev_b16_e32 v1, 8, v0
	v_lshlrev_b32_e32 v0, 25, v0
	v_lshrrev_b32_e32 v5, 4, v0
	v_and_or_b32 v6, v1, s4, 0.5
	v_or_b32_e32 v5, 0x70000000, v5
	v_add_f32_e32 v6, -0.5, v6
	v_mul_f32_e32 v5, 0x7800000, v5
	v_cmp_gt_u32_e32 vcc, s5, v0
	v_bfe_i32 v1, v1, 0, 16
	v_cndmask_b32_e32 v0, v5, v6, vcc
	v_and_or_b32 v0, v1, s16, v0
	v_trunc_f32_e32 v0, v0
	v_mul_f32_e64 v1, |v0|, s17
	v_floor_f32_e32 v1, v1
	v_fma_f32 v5, v1, s18, |v0|
	v_cvt_u32_f32_e32 v5, v5
	v_cvt_u32_f32_e32 v1, v1
	v_ashrrev_i32_e32 v6, 31, v0
	v_xor_b32_e32 v0, v5, v6
	v_xor_b32_e32 v1, v1, v6
	v_sub_co_u32_e32 v0, vcc, v0, v6
	v_subb_co_u32_e32 v1, vcc, v1, v6, vcc
.LBB86_1073:
	s_mov_b64 s[18:19], -1
	s_mov_b64 s[4:5], 0
	s_cbranch_execnz .LBB86_1082
.LBB86_1074:
	s_cmp_gt_i32 s22, 14
	s_cbranch_scc0 .LBB86_1077
; %bb.1075:
	s_cmp_eq_u32 s22, 15
	s_cbranch_scc0 .LBB86_1078
; %bb.1076:
	global_load_ushort v0, v[2:3], off
	s_mov_b32 s0, 0x2f800000
	s_mov_b32 s1, 0xcf800000
	s_mov_b64 s[18:19], -1
	s_waitcnt vmcnt(0)
	v_lshlrev_b32_e32 v0, 16, v0
	v_trunc_f32_e32 v0, v0
	v_mul_f32_e64 v1, |v0|, s0
	v_floor_f32_e32 v1, v1
	v_fma_f32 v5, v1, s1, |v0|
	v_cvt_u32_f32_e32 v5, v5
	v_cvt_u32_f32_e32 v1, v1
	v_ashrrev_i32_e32 v6, 31, v0
	s_mov_b64 s[0:1], 0
	v_xor_b32_e32 v0, v5, v6
	v_xor_b32_e32 v1, v1, v6
	v_sub_co_u32_e32 v0, vcc, v0, v6
	v_subb_co_u32_e32 v1, vcc, v1, v6, vcc
	s_branch .LBB86_1079
.LBB86_1077:
	s_mov_b64 s[16:17], -1
                                        ; implicit-def: $vgpr0_vgpr1
	s_branch .LBB86_1080
.LBB86_1078:
	s_mov_b64 s[0:1], -1
                                        ; implicit-def: $vgpr0_vgpr1
.LBB86_1079:
	s_mov_b64 s[16:17], 0
.LBB86_1080:
	s_and_b64 vcc, exec, s[16:17]
	s_cbranch_vccz .LBB86_1082
; %bb.1081:
	s_cmp_lg_u32 s22, 11
	s_mov_b64 s[4:5], -1
	s_cselect_b64 s[0:1], -1, 0
.LBB86_1082:
	s_and_b64 vcc, exec, s[0:1]
	s_mov_b64 s[16:17], s[14:15]
	s_cbranch_vccnz .LBB86_1143
; %bb.1083:
	s_andn2_b64 vcc, exec, s[4:5]
	s_cbranch_vccnz .LBB86_1085
.LBB86_1084:
	global_load_ubyte v0, v[2:3], off
	s_mov_b32 s0, 0
	s_waitcnt vmcnt(1)
	v_mov_b32_e32 v1, s0
	s_mov_b64 s[18:19], -1
	s_waitcnt vmcnt(0)
	v_cmp_ne_u16_e32 vcc, 0, v0
	v_cndmask_b32_e64 v0, 0, 1, vcc
.LBB86_1085:
	s_branch .LBB86_1020
.LBB86_1086:
	s_cmp_lt_i32 s22, 5
	s_cbranch_scc1 .LBB86_1091
; %bb.1087:
	s_cmp_lt_i32 s22, 8
	s_cbranch_scc1 .LBB86_1092
; %bb.1088:
	;; [unrolled: 3-line block ×3, first 2 shown]
	s_cmp_gt_i32 s22, 9
	s_cbranch_scc0 .LBB86_1094
; %bb.1090:
	global_load_dwordx2 v[0:1], v[2:3], off
	s_movk_i32 s0, 0xffe0
	s_waitcnt vmcnt(0)
	v_trunc_f64_e32 v[0:1], v[0:1]
	v_ldexp_f64 v[5:6], v[0:1], s0
	s_mov_b32 s0, 0
	s_mov_b32 s1, 0xc1f00000
	v_floor_f64_e32 v[5:6], v[5:6]
	v_fma_f64 v[7:8], v[5:6], s[0:1], v[0:1]
	v_cvt_i32_f64_e32 v1, v[5:6]
	s_mov_b64 s[0:1], 0
	v_cvt_u32_f64_e32 v0, v[7:8]
	s_branch .LBB86_1095
.LBB86_1091:
                                        ; implicit-def: $vgpr0_vgpr1
	s_branch .LBB86_1112
.LBB86_1092:
                                        ; implicit-def: $vgpr0_vgpr1
	s_branch .LBB86_1101
.LBB86_1093:
	s_mov_b64 s[0:1], -1
                                        ; implicit-def: $vgpr0_vgpr1
	s_branch .LBB86_1098
.LBB86_1094:
	s_mov_b64 s[0:1], -1
                                        ; implicit-def: $vgpr0_vgpr1
.LBB86_1095:
	s_andn2_b64 vcc, exec, s[0:1]
	s_cbranch_vccnz .LBB86_1097
; %bb.1096:
	global_load_dword v0, v[2:3], off
	s_mov_b32 s0, 0x2f800000
	s_mov_b32 s1, 0xcf800000
	s_waitcnt vmcnt(0)
	v_trunc_f32_e32 v0, v0
	v_mul_f32_e64 v1, |v0|, s0
	v_floor_f32_e32 v1, v1
	v_cvt_u32_f32_e32 v5, v1
	v_fma_f32 v1, v1, s1, |v0|
	v_cvt_u32_f32_e32 v1, v1
	v_ashrrev_i32_e32 v6, 31, v0
	v_xor_b32_e32 v5, v5, v6
	v_xor_b32_e32 v0, v1, v6
	v_sub_co_u32_e32 v0, vcc, v0, v6
	v_subb_co_u32_e32 v1, vcc, v5, v6, vcc
.LBB86_1097:
	s_mov_b64 s[0:1], 0
.LBB86_1098:
	s_andn2_b64 vcc, exec, s[0:1]
	s_cbranch_vccnz .LBB86_1100
; %bb.1099:
	global_load_dword v0, v[2:3], off
	s_waitcnt vmcnt(0)
	v_cvt_f32_f16_e32 v0, v0
	v_cvt_i32_f32_e32 v0, v0
	v_ashrrev_i32_e32 v1, 31, v0
.LBB86_1100:
	s_cbranch_execnz .LBB86_1111
.LBB86_1101:
	s_cmp_lt_i32 s22, 6
	s_cbranch_scc1 .LBB86_1104
; %bb.1102:
	s_cmp_gt_i32 s22, 6
	s_cbranch_scc0 .LBB86_1105
; %bb.1103:
	global_load_dwordx2 v[0:1], v[2:3], off
	s_movk_i32 s0, 0xffe0
	s_waitcnt vmcnt(0)
	v_trunc_f64_e32 v[0:1], v[0:1]
	v_ldexp_f64 v[5:6], v[0:1], s0
	s_mov_b32 s0, 0
	s_mov_b32 s1, 0xc1f00000
	v_floor_f64_e32 v[5:6], v[5:6]
	v_fma_f64 v[7:8], v[5:6], s[0:1], v[0:1]
	v_cvt_i32_f64_e32 v1, v[5:6]
	s_mov_b64 s[0:1], 0
	v_cvt_u32_f64_e32 v0, v[7:8]
	s_branch .LBB86_1106
.LBB86_1104:
	s_mov_b64 s[0:1], -1
                                        ; implicit-def: $vgpr0_vgpr1
	s_branch .LBB86_1109
.LBB86_1105:
	s_mov_b64 s[0:1], -1
                                        ; implicit-def: $vgpr0_vgpr1
.LBB86_1106:
	s_andn2_b64 vcc, exec, s[0:1]
	s_cbranch_vccnz .LBB86_1108
; %bb.1107:
	global_load_dword v0, v[2:3], off
	s_mov_b32 s0, 0x2f800000
	s_mov_b32 s1, 0xcf800000
	s_waitcnt vmcnt(0)
	v_trunc_f32_e32 v0, v0
	v_mul_f32_e64 v1, |v0|, s0
	v_floor_f32_e32 v1, v1
	v_cvt_u32_f32_e32 v5, v1
	v_fma_f32 v1, v1, s1, |v0|
	v_cvt_u32_f32_e32 v1, v1
	v_ashrrev_i32_e32 v6, 31, v0
	v_xor_b32_e32 v5, v5, v6
	v_xor_b32_e32 v0, v1, v6
	v_sub_co_u32_e32 v0, vcc, v0, v6
	v_subb_co_u32_e32 v1, vcc, v5, v6, vcc
.LBB86_1108:
	s_mov_b64 s[0:1], 0
.LBB86_1109:
	s_andn2_b64 vcc, exec, s[0:1]
	s_cbranch_vccnz .LBB86_1111
; %bb.1110:
	global_load_ushort v0, v[2:3], off
	s_waitcnt vmcnt(0)
	v_cvt_f32_f16_e32 v0, v0
	v_cvt_i32_f32_e32 v0, v0
	v_ashrrev_i32_e32 v1, 31, v0
.LBB86_1111:
	s_cbranch_execnz .LBB86_1130
.LBB86_1112:
	s_cmp_lt_i32 s22, 2
	s_cbranch_scc1 .LBB86_1116
; %bb.1113:
	s_cmp_lt_i32 s22, 3
	s_cbranch_scc1 .LBB86_1117
; %bb.1114:
	s_cmp_gt_i32 s22, 3
	s_cbranch_scc0 .LBB86_1118
; %bb.1115:
	global_load_dwordx2 v[0:1], v[2:3], off
	s_mov_b64 s[0:1], 0
	s_branch .LBB86_1119
.LBB86_1116:
                                        ; implicit-def: $vgpr0_vgpr1
	s_branch .LBB86_1125
.LBB86_1117:
	s_mov_b64 s[0:1], -1
                                        ; implicit-def: $vgpr0_vgpr1
	s_branch .LBB86_1122
.LBB86_1118:
	s_mov_b64 s[0:1], -1
                                        ; implicit-def: $vgpr0_vgpr1
.LBB86_1119:
	s_andn2_b64 vcc, exec, s[0:1]
	s_cbranch_vccnz .LBB86_1121
; %bb.1120:
	global_load_dword v0, v[2:3], off
	s_waitcnt vmcnt(0)
	v_ashrrev_i32_e32 v1, 31, v0
.LBB86_1121:
	s_mov_b64 s[0:1], 0
.LBB86_1122:
	s_andn2_b64 vcc, exec, s[0:1]
	s_cbranch_vccnz .LBB86_1124
; %bb.1123:
	global_load_ushort v0, v[2:3], off
	s_waitcnt vmcnt(0)
	v_bfe_i32 v0, v0, 0, 16
	v_ashrrev_i32_e32 v1, 31, v0
.LBB86_1124:
	s_cbranch_execnz .LBB86_1130
.LBB86_1125:
	s_cmp_gt_i32 s22, 0
	s_cbranch_scc0 .LBB86_1127
; %bb.1126:
	global_load_sbyte v0, v[2:3], off
	s_mov_b64 s[0:1], 0
	s_waitcnt vmcnt(0)
	v_bfe_i32 v0, v0, 0, 16
	v_ashrrev_i32_e32 v1, 31, v0
	s_branch .LBB86_1128
.LBB86_1127:
	s_mov_b64 s[0:1], -1
                                        ; implicit-def: $vgpr0_vgpr1
.LBB86_1128:
	s_andn2_b64 vcc, exec, s[0:1]
	s_cbranch_vccnz .LBB86_1130
; %bb.1129:
	global_load_ubyte v0, v[2:3], off
	s_mov_b32 s0, 0
	s_waitcnt vmcnt(1)
	v_mov_b32_e32 v1, s0
	s_waitcnt vmcnt(0)
	v_and_b32_e32 v0, 0xffff, v0
.LBB86_1130:
.LBB86_1131:
	s_lshl_b32 s13, s13, 7
	v_add_u32_e32 v6, s13, v4
	v_ashrrev_i32_e32 v2, 31, v6
	v_mov_b32_e32 v3, s11
	v_add_co_u32_e32 v4, vcc, s10, v6
	s_cmp_lt_i32 s22, 11
	v_addc_co_u32_e32 v5, vcc, v3, v2, vcc
	s_cbranch_scc1 .LBB86_1138
; %bb.1132:
	s_cmp_gt_i32 s22, 25
	s_mov_b64 s[4:5], 0
	s_cbranch_scc0 .LBB86_1140
; %bb.1133:
	s_cmp_gt_i32 s22, 28
	s_cbranch_scc0 .LBB86_1141
; %bb.1134:
	s_cmp_gt_i32 s22, 43
	;; [unrolled: 3-line block ×3, first 2 shown]
	s_cbranch_scc0 .LBB86_1144
; %bb.1136:
	s_cmp_eq_u32 s22, 46
	s_mov_b64 s[20:21], 0
	s_cbranch_scc0 .LBB86_1147
; %bb.1137:
	global_load_dword v2, v[4:5], off
	s_mov_b32 s0, 0x2f800000
	s_mov_b32 s1, 0xcf800000
	s_mov_b64 s[18:19], -1
	s_waitcnt vmcnt(0)
	v_lshlrev_b32_e32 v2, 16, v2
	v_trunc_f32_e32 v2, v2
	v_mul_f32_e64 v3, |v2|, s0
	v_floor_f32_e32 v3, v3
	v_fma_f32 v7, v3, s1, |v2|
	v_cvt_u32_f32_e32 v7, v7
	v_cvt_u32_f32_e32 v3, v3
	v_ashrrev_i32_e32 v8, 31, v2
	s_mov_b64 s[0:1], 0
	v_xor_b32_e32 v2, v7, v8
	v_xor_b32_e32 v3, v3, v8
	v_sub_co_u32_e32 v2, vcc, v2, v8
	v_subb_co_u32_e32 v3, vcc, v3, v8, vcc
	s_branch .LBB86_1148
.LBB86_1138:
	s_mov_b64 s[18:19], 0
                                        ; implicit-def: $vgpr2_vgpr3
	s_cbranch_execnz .LBB86_1209
.LBB86_1139:
	s_andn2_b64 vcc, exec, s[18:19]
	s_cbranch_vccnz .LBB86_1940
	s_branch .LBB86_1256
.LBB86_1140:
	s_mov_b64 s[18:19], 0
	s_mov_b64 s[0:1], 0
                                        ; implicit-def: $vgpr2_vgpr3
	s_cbranch_execnz .LBB86_1177
	s_branch .LBB86_1205
.LBB86_1141:
	s_mov_b64 s[20:21], -1
	s_mov_b64 s[18:19], 0
	s_mov_b64 s[0:1], 0
                                        ; implicit-def: $vgpr2_vgpr3
	s_branch .LBB86_1158
.LBB86_1142:
	s_mov_b64 s[20:21], -1
	s_mov_b64 s[18:19], 0
	s_mov_b64 s[0:1], 0
                                        ; implicit-def: $vgpr2_vgpr3
	s_branch .LBB86_1153
.LBB86_1143:
	s_or_b64 s[16:17], s[14:15], exec
	s_trap 2
	s_cbranch_execz .LBB86_1084
	s_branch .LBB86_1085
.LBB86_1144:
	s_mov_b64 s[20:21], -1
	s_mov_b64 s[18:19], 0
	s_mov_b64 s[0:1], 0
                                        ; implicit-def: $vgpr2_vgpr3
	s_branch .LBB86_1148
.LBB86_1145:
	s_andn2_saveexec_b64 s[26:27], s[26:27]
	s_cbranch_execz .LBB86_936
.LBB86_1146:
	s_mov_b32 s30, 0x42800000
	v_add_f32_e64 v5, |v4|, s30
	v_and_b32_e32 v5, 0xff, v5
	v_cmp_ne_u32_e32 vcc, 0, v5
	s_andn2_b64 s[24:25], s[24:25], exec
	s_and_b64 s[30:31], vcc, exec
	s_or_b64 s[24:25], s[24:25], s[30:31]
	s_or_b64 exec, exec, s[26:27]
	v_mov_b32_e32 v6, 0
	s_and_saveexec_b64 s[26:27], s[24:25]
	s_cbranch_execnz .LBB86_937
	s_branch .LBB86_938
.LBB86_1147:
	s_mov_b64 s[0:1], -1
                                        ; implicit-def: $vgpr2_vgpr3
	s_mov_b64 s[18:19], 0
.LBB86_1148:
	s_and_b64 vcc, exec, s[20:21]
	s_cbranch_vccz .LBB86_1152
; %bb.1149:
	s_cmp_eq_u32 s22, 44
	s_cbranch_scc0 .LBB86_1151
; %bb.1150:
	global_load_ubyte v2, v[4:5], off
	s_mov_b32 s0, 0x2f800000
	s_mov_b32 s1, 0xcf800000
	s_mov_b64 s[18:19], -1
	s_waitcnt vmcnt(0)
	v_lshlrev_b32_e32 v3, 23, v2
	v_trunc_f32_e32 v3, v3
	v_mul_f32_e64 v7, |v3|, s0
	v_floor_f32_e32 v7, v7
	v_fma_f32 v8, v7, s1, |v3|
	v_cvt_u32_f32_e32 v8, v8
	v_cvt_u32_f32_e32 v7, v7
	v_ashrrev_i32_e32 v3, 31, v3
	s_mov_b64 s[0:1], 0
	v_xor_b32_e32 v8, v8, v3
	v_xor_b32_e32 v7, v7, v3
	v_sub_co_u32_e32 v8, vcc, v8, v3
	v_subb_co_u32_e32 v3, vcc, v7, v3, vcc
	v_cmp_ne_u32_e32 vcc, 0, v2
	v_cndmask_b32_e32 v3, 0, v3, vcc
	v_cndmask_b32_e32 v2, 0, v8, vcc
	s_branch .LBB86_1152
.LBB86_1151:
	s_mov_b64 s[0:1], -1
                                        ; implicit-def: $vgpr2_vgpr3
.LBB86_1152:
	s_mov_b64 s[20:21], 0
.LBB86_1153:
	s_and_b64 vcc, exec, s[20:21]
	s_cbranch_vccz .LBB86_1157
; %bb.1154:
	s_cmp_eq_u32 s22, 29
	s_cbranch_scc0 .LBB86_1156
; %bb.1155:
	global_load_dwordx2 v[2:3], v[4:5], off
	s_mov_b64 s[0:1], 0
	s_mov_b64 s[18:19], -1
	s_branch .LBB86_1157
.LBB86_1156:
	s_mov_b64 s[0:1], -1
                                        ; implicit-def: $vgpr2_vgpr3
.LBB86_1157:
	s_mov_b64 s[20:21], 0
.LBB86_1158:
	s_and_b64 vcc, exec, s[20:21]
	s_cbranch_vccz .LBB86_1176
; %bb.1159:
	s_cmp_lt_i32 s22, 27
	s_cbranch_scc1 .LBB86_1162
; %bb.1160:
	s_cmp_gt_i32 s22, 27
	s_cbranch_scc0 .LBB86_1163
; %bb.1161:
	global_load_dword v2, v[4:5], off
	s_waitcnt vmcnt(1)
	v_mov_b32_e32 v3, 0
	s_mov_b64 s[18:19], 0
	s_branch .LBB86_1164
.LBB86_1162:
	s_mov_b64 s[18:19], -1
                                        ; implicit-def: $vgpr2_vgpr3
	s_branch .LBB86_1167
.LBB86_1163:
	s_mov_b64 s[18:19], -1
                                        ; implicit-def: $vgpr2_vgpr3
.LBB86_1164:
	s_andn2_b64 vcc, exec, s[18:19]
	s_cbranch_vccnz .LBB86_1166
; %bb.1165:
	global_load_ushort v2, v[4:5], off
	s_mov_b32 s18, 0
	s_waitcnt vmcnt(1)
	v_mov_b32_e32 v3, s18
	s_waitcnt vmcnt(0)
	v_and_b32_e32 v2, 0xffff, v2
.LBB86_1166:
	s_mov_b64 s[18:19], 0
.LBB86_1167:
	s_andn2_b64 vcc, exec, s[18:19]
	s_cbranch_vccnz .LBB86_1175
; %bb.1168:
	global_load_ubyte v7, v[4:5], off
	s_movk_i32 s18, 0x7f
	s_mov_b64 s[20:21], 0
	s_waitcnt vmcnt(0)
	v_cmp_lt_i16_e32 vcc, s18, v7
	s_and_saveexec_b64 s[18:19], vcc
	s_xor_b64 s[18:19], exec, s[18:19]
; %bb.1169:
	s_movk_i32 s20, 0x80
	v_cmp_ne_u16_e32 vcc, s20, v7
	s_and_b64 s[20:21], vcc, exec
; %bb.1170:
	s_andn2_saveexec_b64 s[18:19], s[18:19]
; %bb.1171:
	v_cmp_ne_u16_e32 vcc, 0, v7
	s_andn2_b64 s[20:21], s[20:21], exec
	s_and_b64 s[24:25], vcc, exec
	s_or_b64 s[20:21], s[20:21], s[24:25]
; %bb.1172:
	s_or_b64 exec, exec, s[18:19]
	v_mov_b32_e32 v2, 0
	v_mov_b32_e32 v3, 0
	s_and_saveexec_b64 s[18:19], s[20:21]
	s_cbranch_execz .LBB86_1174
; %bb.1173:
	v_and_b32_e32 v3, 0xffff, v7
	v_lshlrev_b32_e32 v2, 24, v7
	v_and_b32_e32 v7, 7, v3
	v_ffbh_u32_e32 v9, v7
	v_min_u32_e32 v9, 32, v9
	v_subrev_u32_e32 v11, 28, v9
	v_bfe_u32 v8, v3, 3, 4
	v_lshlrev_b32_e32 v3, v11, v3
	v_sub_u32_e32 v9, 29, v9
	v_and_b32_e32 v3, 7, v3
	v_cmp_eq_u32_e32 vcc, 0, v8
	v_cndmask_b32_e32 v8, v8, v9, vcc
	v_cndmask_b32_e32 v3, v7, v3, vcc
	v_mov_b32_e32 v7, 0x3b800000
	v_lshlrev_b32_e32 v3, 20, v3
	v_and_b32_e32 v2, 0x80000000, v2
	v_lshl_add_u32 v7, v8, 23, v7
	v_or3_b32 v2, v2, v7, v3
	v_trunc_f32_e32 v2, v2
	s_mov_b32 s20, 0x2f800000
	v_mul_f32_e64 v3, |v2|, s20
	v_floor_f32_e32 v3, v3
	s_mov_b32 s20, 0xcf800000
	v_fma_f32 v7, v3, s20, |v2|
	v_cvt_u32_f32_e32 v7, v7
	v_cvt_u32_f32_e32 v3, v3
	v_ashrrev_i32_e32 v8, 31, v2
	v_xor_b32_e32 v2, v7, v8
	v_xor_b32_e32 v3, v3, v8
	v_sub_co_u32_e32 v2, vcc, v2, v8
	v_subb_co_u32_e32 v3, vcc, v3, v8, vcc
.LBB86_1174:
	s_or_b64 exec, exec, s[18:19]
.LBB86_1175:
	s_mov_b64 s[18:19], -1
.LBB86_1176:
	s_branch .LBB86_1205
.LBB86_1177:
	s_cmp_gt_i32 s22, 22
	s_cbranch_scc0 .LBB86_1187
; %bb.1178:
	s_cmp_lt_i32 s22, 24
	s_cbranch_scc1 .LBB86_1188
; %bb.1179:
	s_cmp_gt_i32 s22, 24
	s_cbranch_scc0 .LBB86_1189
; %bb.1180:
	global_load_ubyte v7, v[4:5], off
	s_movk_i32 s4, 0x7f
	s_mov_b64 s[18:19], 0
	s_waitcnt vmcnt(0)
	v_cmp_lt_i16_e32 vcc, s4, v7
	s_and_saveexec_b64 s[4:5], vcc
	s_xor_b64 s[4:5], exec, s[4:5]
; %bb.1181:
	s_movk_i32 s18, 0x80
	v_cmp_ne_u16_e32 vcc, s18, v7
	s_and_b64 s[18:19], vcc, exec
; %bb.1182:
	s_andn2_saveexec_b64 s[4:5], s[4:5]
; %bb.1183:
	v_cmp_ne_u16_e32 vcc, 0, v7
	s_andn2_b64 s[18:19], s[18:19], exec
	s_and_b64 s[20:21], vcc, exec
	s_or_b64 s[18:19], s[18:19], s[20:21]
; %bb.1184:
	s_or_b64 exec, exec, s[4:5]
	v_mov_b32_e32 v2, 0
	v_mov_b32_e32 v3, 0
	s_and_saveexec_b64 s[4:5], s[18:19]
	s_cbranch_execz .LBB86_1186
; %bb.1185:
	v_and_b32_e32 v3, 0xffff, v7
	v_lshlrev_b32_e32 v2, 24, v7
	v_and_b32_e32 v7, 3, v3
	v_ffbh_u32_e32 v9, v7
	v_min_u32_e32 v9, 32, v9
	v_subrev_u32_e32 v11, 29, v9
	v_bfe_u32 v8, v3, 2, 5
	v_lshlrev_b32_e32 v3, v11, v3
	v_sub_u32_e32 v9, 30, v9
	v_and_b32_e32 v3, 3, v3
	v_cmp_eq_u32_e32 vcc, 0, v8
	v_cndmask_b32_e32 v8, v8, v9, vcc
	v_cndmask_b32_e32 v3, v7, v3, vcc
	v_mov_b32_e32 v7, 0x37800000
	v_lshlrev_b32_e32 v3, 21, v3
	v_and_b32_e32 v2, 0x80000000, v2
	v_lshl_add_u32 v7, v8, 23, v7
	v_or3_b32 v2, v2, v7, v3
	v_trunc_f32_e32 v2, v2
	s_mov_b32 s18, 0x2f800000
	v_mul_f32_e64 v3, |v2|, s18
	v_floor_f32_e32 v3, v3
	s_mov_b32 s18, 0xcf800000
	v_fma_f32 v7, v3, s18, |v2|
	v_cvt_u32_f32_e32 v7, v7
	v_cvt_u32_f32_e32 v3, v3
	v_ashrrev_i32_e32 v8, 31, v2
	v_xor_b32_e32 v2, v7, v8
	v_xor_b32_e32 v3, v3, v8
	v_sub_co_u32_e32 v2, vcc, v2, v8
	v_subb_co_u32_e32 v3, vcc, v3, v8, vcc
.LBB86_1186:
	s_or_b64 exec, exec, s[4:5]
	s_mov_b64 s[4:5], 0
	s_branch .LBB86_1190
.LBB86_1187:
	s_mov_b64 s[4:5], -1
                                        ; implicit-def: $vgpr2_vgpr3
	s_branch .LBB86_1196
.LBB86_1188:
	s_mov_b64 s[4:5], -1
                                        ; implicit-def: $vgpr2_vgpr3
	s_branch .LBB86_1193
.LBB86_1189:
	s_mov_b64 s[4:5], -1
                                        ; implicit-def: $vgpr2_vgpr3
.LBB86_1190:
	s_and_b64 vcc, exec, s[4:5]
	s_cbranch_vccz .LBB86_1192
; %bb.1191:
	global_load_ubyte v2, v[4:5], off
	s_mov_b32 s4, 0x7f800000
	s_brev_b32 s5, 1
	s_mov_b32 s18, 0x2f800000
	s_mov_b32 s19, 0xcf800000
	s_waitcnt vmcnt(0)
	v_lshlrev_b32_e32 v2, 24, v2
	v_and_b32_e32 v3, 0x7f000000, v2
	v_ffbh_u32_e32 v7, v3
	v_min_u32_e32 v7, 32, v7
	v_sub_u32_e64 v7, v7, 4 clamp
	v_lshlrev_b32_e32 v9, v7, v3
	v_lshlrev_b32_e32 v7, 23, v7
	v_lshrrev_b32_e32 v9, 4, v9
	v_add_u32_e32 v8, 0x1000000, v3
	v_sub_u32_e32 v7, v9, v7
	v_ashrrev_i32_e32 v8, 8, v8
	v_add_u32_e32 v7, 0x3c000000, v7
	v_and_or_b32 v7, v8, s4, v7
	v_cmp_ne_u32_e32 vcc, 0, v3
	v_cndmask_b32_e32 v3, 0, v7, vcc
	v_and_or_b32 v2, v2, s5, v3
	v_trunc_f32_e32 v2, v2
	v_mul_f32_e64 v3, |v2|, s18
	v_floor_f32_e32 v3, v3
	v_fma_f32 v7, v3, s19, |v2|
	v_cvt_u32_f32_e32 v7, v7
	v_cvt_u32_f32_e32 v3, v3
	v_ashrrev_i32_e32 v8, 31, v2
	v_xor_b32_e32 v2, v7, v8
	v_xor_b32_e32 v3, v3, v8
	v_sub_co_u32_e32 v2, vcc, v2, v8
	v_subb_co_u32_e32 v3, vcc, v3, v8, vcc
.LBB86_1192:
	s_mov_b64 s[4:5], 0
.LBB86_1193:
	s_andn2_b64 vcc, exec, s[4:5]
	s_cbranch_vccnz .LBB86_1195
; %bb.1194:
	global_load_ubyte v2, v[4:5], off
	s_movk_i32 s4, 0x7f00
	s_brev_b32 s5, 16
	s_brev_b32 s18, 1
	s_mov_b32 s19, 0x2f800000
	s_mov_b32 s20, 0xcf800000
	s_waitcnt vmcnt(0)
	v_lshlrev_b16_e32 v3, 8, v2
	v_lshlrev_b32_e32 v2, 25, v2
	v_lshrrev_b32_e32 v7, 4, v2
	v_and_or_b32 v8, v3, s4, 0.5
	v_or_b32_e32 v7, 0x70000000, v7
	v_add_f32_e32 v8, -0.5, v8
	v_mul_f32_e32 v7, 0x7800000, v7
	v_cmp_gt_u32_e32 vcc, s5, v2
	v_bfe_i32 v3, v3, 0, 16
	v_cndmask_b32_e32 v2, v7, v8, vcc
	v_and_or_b32 v2, v3, s18, v2
	v_trunc_f32_e32 v2, v2
	v_mul_f32_e64 v3, |v2|, s19
	v_floor_f32_e32 v3, v3
	v_fma_f32 v7, v3, s20, |v2|
	v_cvt_u32_f32_e32 v7, v7
	v_cvt_u32_f32_e32 v3, v3
	v_ashrrev_i32_e32 v8, 31, v2
	v_xor_b32_e32 v2, v7, v8
	v_xor_b32_e32 v3, v3, v8
	v_sub_co_u32_e32 v2, vcc, v2, v8
	v_subb_co_u32_e32 v3, vcc, v3, v8, vcc
.LBB86_1195:
	s_mov_b64 s[4:5], 0
	s_mov_b64 s[18:19], -1
.LBB86_1196:
	s_andn2_b64 vcc, exec, s[4:5]
	s_mov_b64 s[4:5], 0
	s_cbranch_vccnz .LBB86_1205
; %bb.1197:
	s_cmp_gt_i32 s22, 14
	s_cbranch_scc0 .LBB86_1200
; %bb.1198:
	s_cmp_eq_u32 s22, 15
	s_cbranch_scc0 .LBB86_1201
; %bb.1199:
	global_load_ushort v2, v[4:5], off
	s_mov_b32 s0, 0x2f800000
	s_mov_b32 s1, 0xcf800000
	s_mov_b64 s[18:19], -1
	s_waitcnt vmcnt(0)
	v_lshlrev_b32_e32 v2, 16, v2
	v_trunc_f32_e32 v2, v2
	v_mul_f32_e64 v3, |v2|, s0
	v_floor_f32_e32 v3, v3
	v_fma_f32 v7, v3, s1, |v2|
	v_cvt_u32_f32_e32 v7, v7
	v_cvt_u32_f32_e32 v3, v3
	v_ashrrev_i32_e32 v8, 31, v2
	s_mov_b64 s[0:1], 0
	v_xor_b32_e32 v2, v7, v8
	v_xor_b32_e32 v3, v3, v8
	v_sub_co_u32_e32 v2, vcc, v2, v8
	v_subb_co_u32_e32 v3, vcc, v3, v8, vcc
	s_branch .LBB86_1202
.LBB86_1200:
	s_mov_b64 s[20:21], -1
                                        ; implicit-def: $vgpr2_vgpr3
	s_branch .LBB86_1203
.LBB86_1201:
	s_mov_b64 s[0:1], -1
                                        ; implicit-def: $vgpr2_vgpr3
.LBB86_1202:
	s_mov_b64 s[20:21], 0
.LBB86_1203:
	s_and_b64 vcc, exec, s[20:21]
	s_cbranch_vccz .LBB86_1205
; %bb.1204:
	s_cmp_lg_u32 s22, 11
	s_mov_b64 s[4:5], -1
	s_cselect_b64 s[0:1], -1, 0
.LBB86_1205:
	s_and_b64 vcc, exec, s[0:1]
	s_cbranch_vccnz .LBB86_1268
; %bb.1206:
	s_andn2_b64 vcc, exec, s[4:5]
	s_cbranch_vccnz .LBB86_1208
.LBB86_1207:
	global_load_ubyte v2, v[4:5], off
	s_mov_b32 s0, 0
	s_waitcnt vmcnt(1)
	v_mov_b32_e32 v3, s0
	s_mov_b64 s[18:19], -1
	s_waitcnt vmcnt(0)
	v_cmp_ne_u16_e32 vcc, 0, v2
	v_cndmask_b32_e64 v2, 0, 1, vcc
.LBB86_1208:
	s_branch .LBB86_1139
.LBB86_1209:
	s_cmp_lt_i32 s22, 5
	s_cbranch_scc1 .LBB86_1214
; %bb.1210:
	s_cmp_lt_i32 s22, 8
	s_cbranch_scc1 .LBB86_1215
; %bb.1211:
	;; [unrolled: 3-line block ×3, first 2 shown]
	s_cmp_gt_i32 s22, 9
	s_cbranch_scc0 .LBB86_1217
; %bb.1213:
	global_load_dwordx2 v[2:3], v[4:5], off
	s_movk_i32 s0, 0xffe0
	s_waitcnt vmcnt(0)
	v_trunc_f64_e32 v[2:3], v[2:3]
	v_ldexp_f64 v[7:8], v[2:3], s0
	s_mov_b32 s0, 0
	s_mov_b32 s1, 0xc1f00000
	v_floor_f64_e32 v[7:8], v[7:8]
	v_fma_f64 v[11:12], v[7:8], s[0:1], v[2:3]
	v_cvt_i32_f64_e32 v3, v[7:8]
	s_mov_b64 s[0:1], 0
	v_cvt_u32_f64_e32 v2, v[11:12]
	s_branch .LBB86_1218
.LBB86_1214:
                                        ; implicit-def: $vgpr2_vgpr3
	s_branch .LBB86_1236
.LBB86_1215:
	s_mov_b64 s[0:1], -1
                                        ; implicit-def: $vgpr2_vgpr3
	s_branch .LBB86_1224
.LBB86_1216:
	s_mov_b64 s[0:1], -1
                                        ; implicit-def: $vgpr2_vgpr3
	s_branch .LBB86_1221
.LBB86_1217:
	s_mov_b64 s[0:1], -1
                                        ; implicit-def: $vgpr2_vgpr3
.LBB86_1218:
	s_andn2_b64 vcc, exec, s[0:1]
	s_cbranch_vccnz .LBB86_1220
; %bb.1219:
	global_load_dword v2, v[4:5], off
	s_mov_b32 s0, 0x2f800000
	s_mov_b32 s1, 0xcf800000
	s_waitcnt vmcnt(0)
	v_trunc_f32_e32 v2, v2
	v_mul_f32_e64 v3, |v2|, s0
	v_floor_f32_e32 v3, v3
	v_cvt_u32_f32_e32 v7, v3
	v_fma_f32 v3, v3, s1, |v2|
	v_cvt_u32_f32_e32 v3, v3
	v_ashrrev_i32_e32 v8, 31, v2
	v_xor_b32_e32 v7, v7, v8
	v_xor_b32_e32 v2, v3, v8
	v_sub_co_u32_e32 v2, vcc, v2, v8
	v_subb_co_u32_e32 v3, vcc, v7, v8, vcc
.LBB86_1220:
	s_mov_b64 s[0:1], 0
.LBB86_1221:
	s_andn2_b64 vcc, exec, s[0:1]
	s_cbranch_vccnz .LBB86_1223
; %bb.1222:
	global_load_dword v2, v[4:5], off
	s_waitcnt vmcnt(0)
	v_cvt_f32_f16_e32 v2, v2
	v_cvt_i32_f32_e32 v2, v2
	v_ashrrev_i32_e32 v3, 31, v2
.LBB86_1223:
	s_mov_b64 s[0:1], 0
.LBB86_1224:
	s_andn2_b64 vcc, exec, s[0:1]
	s_cbranch_vccnz .LBB86_1235
; %bb.1225:
	s_cmp_lt_i32 s22, 6
	s_cbranch_scc1 .LBB86_1228
; %bb.1226:
	s_cmp_gt_i32 s22, 6
	s_cbranch_scc0 .LBB86_1229
; %bb.1227:
	global_load_dwordx2 v[2:3], v[4:5], off
	s_movk_i32 s0, 0xffe0
	s_waitcnt vmcnt(0)
	v_trunc_f64_e32 v[2:3], v[2:3]
	v_ldexp_f64 v[7:8], v[2:3], s0
	s_mov_b32 s0, 0
	s_mov_b32 s1, 0xc1f00000
	v_floor_f64_e32 v[7:8], v[7:8]
	v_fma_f64 v[11:12], v[7:8], s[0:1], v[2:3]
	v_cvt_i32_f64_e32 v3, v[7:8]
	s_mov_b64 s[0:1], 0
	v_cvt_u32_f64_e32 v2, v[11:12]
	s_branch .LBB86_1230
.LBB86_1228:
	s_mov_b64 s[0:1], -1
                                        ; implicit-def: $vgpr2_vgpr3
	s_branch .LBB86_1233
.LBB86_1229:
	s_mov_b64 s[0:1], -1
                                        ; implicit-def: $vgpr2_vgpr3
.LBB86_1230:
	s_andn2_b64 vcc, exec, s[0:1]
	s_cbranch_vccnz .LBB86_1232
; %bb.1231:
	global_load_dword v2, v[4:5], off
	s_mov_b32 s0, 0x2f800000
	s_mov_b32 s1, 0xcf800000
	s_waitcnt vmcnt(0)
	v_trunc_f32_e32 v2, v2
	v_mul_f32_e64 v3, |v2|, s0
	v_floor_f32_e32 v3, v3
	v_cvt_u32_f32_e32 v7, v3
	v_fma_f32 v3, v3, s1, |v2|
	v_cvt_u32_f32_e32 v3, v3
	v_ashrrev_i32_e32 v8, 31, v2
	v_xor_b32_e32 v7, v7, v8
	v_xor_b32_e32 v2, v3, v8
	v_sub_co_u32_e32 v2, vcc, v2, v8
	v_subb_co_u32_e32 v3, vcc, v7, v8, vcc
.LBB86_1232:
	s_mov_b64 s[0:1], 0
.LBB86_1233:
	s_andn2_b64 vcc, exec, s[0:1]
	s_cbranch_vccnz .LBB86_1235
; %bb.1234:
	global_load_ushort v2, v[4:5], off
	s_waitcnt vmcnt(0)
	v_cvt_f32_f16_e32 v2, v2
	v_cvt_i32_f32_e32 v2, v2
	v_ashrrev_i32_e32 v3, 31, v2
.LBB86_1235:
	s_cbranch_execnz .LBB86_1255
.LBB86_1236:
	s_cmp_lt_i32 s22, 2
	s_cbranch_scc1 .LBB86_1240
; %bb.1237:
	s_cmp_lt_i32 s22, 3
	s_cbranch_scc1 .LBB86_1241
; %bb.1238:
	s_cmp_gt_i32 s22, 3
	s_cbranch_scc0 .LBB86_1242
; %bb.1239:
	global_load_dwordx2 v[2:3], v[4:5], off
	s_mov_b64 s[0:1], 0
	s_branch .LBB86_1243
.LBB86_1240:
	s_mov_b64 s[0:1], -1
                                        ; implicit-def: $vgpr2_vgpr3
	s_branch .LBB86_1249
.LBB86_1241:
	s_mov_b64 s[0:1], -1
                                        ; implicit-def: $vgpr2_vgpr3
	s_branch .LBB86_1246
.LBB86_1242:
	s_mov_b64 s[0:1], -1
                                        ; implicit-def: $vgpr2_vgpr3
.LBB86_1243:
	s_andn2_b64 vcc, exec, s[0:1]
	s_cbranch_vccnz .LBB86_1245
; %bb.1244:
	global_load_dword v2, v[4:5], off
	s_waitcnt vmcnt(0)
	v_ashrrev_i32_e32 v3, 31, v2
.LBB86_1245:
	s_mov_b64 s[0:1], 0
.LBB86_1246:
	s_andn2_b64 vcc, exec, s[0:1]
	s_cbranch_vccnz .LBB86_1248
; %bb.1247:
	global_load_ushort v2, v[4:5], off
	s_waitcnt vmcnt(0)
	v_bfe_i32 v2, v2, 0, 16
	v_ashrrev_i32_e32 v3, 31, v2
.LBB86_1248:
	s_mov_b64 s[0:1], 0
.LBB86_1249:
	s_andn2_b64 vcc, exec, s[0:1]
	s_cbranch_vccnz .LBB86_1255
; %bb.1250:
	s_cmp_gt_i32 s22, 0
	s_cbranch_scc0 .LBB86_1252
; %bb.1251:
	global_load_sbyte v2, v[4:5], off
	s_mov_b64 s[0:1], 0
	s_waitcnt vmcnt(0)
	v_bfe_i32 v2, v2, 0, 16
	v_ashrrev_i32_e32 v3, 31, v2
	s_branch .LBB86_1253
.LBB86_1252:
	s_mov_b64 s[0:1], -1
                                        ; implicit-def: $vgpr2_vgpr3
.LBB86_1253:
	s_andn2_b64 vcc, exec, s[0:1]
	s_cbranch_vccnz .LBB86_1255
; %bb.1254:
	global_load_ubyte v2, v[4:5], off
	s_mov_b32 s0, 0
	s_waitcnt vmcnt(1)
	v_mov_b32_e32 v3, s0
	s_waitcnt vmcnt(0)
	v_and_b32_e32 v2, 0xffff, v2
.LBB86_1255:
.LBB86_1256:
	v_add_u32_e32 v8, s13, v6
	v_ashrrev_i32_e32 v4, 31, v8
	v_mov_b32_e32 v5, s11
	v_add_co_u32_e32 v6, vcc, s10, v8
	s_cmp_lt_i32 s22, 11
	v_addc_co_u32_e32 v7, vcc, v5, v4, vcc
	s_cbranch_scc1 .LBB86_1263
; %bb.1257:
	s_cmp_gt_i32 s22, 25
	s_mov_b64 s[4:5], 0
	s_cbranch_scc0 .LBB86_1265
; %bb.1258:
	s_cmp_gt_i32 s22, 28
	s_cbranch_scc0 .LBB86_1266
; %bb.1259:
	s_cmp_gt_i32 s22, 43
	;; [unrolled: 3-line block ×3, first 2 shown]
	s_cbranch_scc0 .LBB86_1269
; %bb.1261:
	s_cmp_eq_u32 s22, 46
	s_mov_b64 s[20:21], 0
	s_cbranch_scc0 .LBB86_1270
; %bb.1262:
	global_load_dword v4, v[6:7], off
	s_mov_b32 s0, 0x2f800000
	s_mov_b32 s1, 0xcf800000
	s_mov_b64 s[18:19], -1
	s_waitcnt vmcnt(0)
	v_lshlrev_b32_e32 v4, 16, v4
	v_trunc_f32_e32 v4, v4
	v_mul_f32_e64 v5, |v4|, s0
	v_floor_f32_e32 v5, v5
	v_fma_f32 v9, v5, s1, |v4|
	v_cvt_u32_f32_e32 v9, v9
	v_cvt_u32_f32_e32 v5, v5
	v_ashrrev_i32_e32 v11, 31, v4
	s_mov_b64 s[0:1], 0
	v_xor_b32_e32 v4, v9, v11
	v_xor_b32_e32 v5, v5, v11
	v_sub_co_u32_e32 v4, vcc, v4, v11
	v_subb_co_u32_e32 v5, vcc, v5, v11, vcc
	s_branch .LBB86_1271
.LBB86_1263:
	s_mov_b64 s[18:19], 0
                                        ; implicit-def: $vgpr4_vgpr5
	s_cbranch_execnz .LBB86_1333
.LBB86_1264:
	s_andn2_b64 vcc, exec, s[18:19]
	s_cbranch_vccnz .LBB86_1940
	s_branch .LBB86_1381
.LBB86_1265:
	s_mov_b64 s[20:21], -1
	s_mov_b64 s[18:19], 0
	s_mov_b64 s[0:1], 0
                                        ; implicit-def: $vgpr4_vgpr5
	s_branch .LBB86_1300
.LBB86_1266:
	s_mov_b64 s[20:21], -1
	s_mov_b64 s[18:19], 0
	s_mov_b64 s[0:1], 0
                                        ; implicit-def: $vgpr4_vgpr5
	s_branch .LBB86_1281
.LBB86_1267:
	s_mov_b64 s[20:21], -1
	s_mov_b64 s[18:19], 0
	s_mov_b64 s[0:1], 0
                                        ; implicit-def: $vgpr4_vgpr5
	s_branch .LBB86_1276
.LBB86_1268:
	s_trap 2
	s_or_b64 s[16:17], s[16:17], exec
	s_cbranch_execz .LBB86_1207
	s_branch .LBB86_1208
.LBB86_1269:
	s_mov_b64 s[20:21], -1
	s_mov_b64 s[18:19], 0
	s_mov_b64 s[0:1], 0
                                        ; implicit-def: $vgpr4_vgpr5
	s_branch .LBB86_1271
.LBB86_1270:
	s_mov_b64 s[0:1], -1
                                        ; implicit-def: $vgpr4_vgpr5
	s_mov_b64 s[18:19], 0
.LBB86_1271:
	s_and_b64 vcc, exec, s[20:21]
	s_cbranch_vccz .LBB86_1275
; %bb.1272:
	s_cmp_eq_u32 s22, 44
	s_cbranch_scc0 .LBB86_1274
; %bb.1273:
	global_load_ubyte v4, v[6:7], off
	s_mov_b32 s0, 0x2f800000
	s_mov_b32 s1, 0xcf800000
	s_mov_b64 s[18:19], -1
	s_waitcnt vmcnt(0)
	v_lshlrev_b32_e32 v5, 23, v4
	v_trunc_f32_e32 v5, v5
	v_mul_f32_e64 v9, |v5|, s0
	v_floor_f32_e32 v9, v9
	v_fma_f32 v11, v9, s1, |v5|
	v_cvt_u32_f32_e32 v11, v11
	v_cvt_u32_f32_e32 v9, v9
	v_ashrrev_i32_e32 v5, 31, v5
	s_mov_b64 s[0:1], 0
	v_xor_b32_e32 v11, v11, v5
	v_xor_b32_e32 v9, v9, v5
	v_sub_co_u32_e32 v11, vcc, v11, v5
	v_subb_co_u32_e32 v5, vcc, v9, v5, vcc
	v_cmp_ne_u32_e32 vcc, 0, v4
	v_cndmask_b32_e32 v5, 0, v5, vcc
	v_cndmask_b32_e32 v4, 0, v11, vcc
	s_branch .LBB86_1275
.LBB86_1274:
	s_mov_b64 s[0:1], -1
                                        ; implicit-def: $vgpr4_vgpr5
.LBB86_1275:
	s_mov_b64 s[20:21], 0
.LBB86_1276:
	s_and_b64 vcc, exec, s[20:21]
	s_cbranch_vccz .LBB86_1280
; %bb.1277:
	s_cmp_eq_u32 s22, 29
	s_cbranch_scc0 .LBB86_1279
; %bb.1278:
	global_load_dwordx2 v[4:5], v[6:7], off
	s_mov_b64 s[0:1], 0
	s_mov_b64 s[18:19], -1
	s_branch .LBB86_1280
.LBB86_1279:
	s_mov_b64 s[0:1], -1
                                        ; implicit-def: $vgpr4_vgpr5
.LBB86_1280:
	s_mov_b64 s[20:21], 0
.LBB86_1281:
	s_and_b64 vcc, exec, s[20:21]
	s_cbranch_vccz .LBB86_1299
; %bb.1282:
	s_cmp_lt_i32 s22, 27
	s_cbranch_scc1 .LBB86_1285
; %bb.1283:
	s_cmp_gt_i32 s22, 27
	s_cbranch_scc0 .LBB86_1286
; %bb.1284:
	global_load_dword v4, v[6:7], off
	s_waitcnt vmcnt(1)
	v_mov_b32_e32 v5, 0
	s_mov_b64 s[18:19], 0
	s_branch .LBB86_1287
.LBB86_1285:
	s_mov_b64 s[18:19], -1
                                        ; implicit-def: $vgpr4_vgpr5
	s_branch .LBB86_1290
.LBB86_1286:
	s_mov_b64 s[18:19], -1
                                        ; implicit-def: $vgpr4_vgpr5
.LBB86_1287:
	s_andn2_b64 vcc, exec, s[18:19]
	s_cbranch_vccnz .LBB86_1289
; %bb.1288:
	global_load_ushort v4, v[6:7], off
	s_mov_b32 s18, 0
	s_waitcnt vmcnt(1)
	v_mov_b32_e32 v5, s18
	s_waitcnt vmcnt(0)
	v_and_b32_e32 v4, 0xffff, v4
.LBB86_1289:
	s_mov_b64 s[18:19], 0
.LBB86_1290:
	s_andn2_b64 vcc, exec, s[18:19]
	s_cbranch_vccnz .LBB86_1298
; %bb.1291:
	global_load_ubyte v9, v[6:7], off
	s_movk_i32 s18, 0x7f
	s_mov_b64 s[20:21], 0
	s_waitcnt vmcnt(0)
	v_cmp_lt_i16_e32 vcc, s18, v9
	s_and_saveexec_b64 s[18:19], vcc
	s_xor_b64 s[18:19], exec, s[18:19]
; %bb.1292:
	s_movk_i32 s20, 0x80
	v_cmp_ne_u16_e32 vcc, s20, v9
	s_and_b64 s[20:21], vcc, exec
; %bb.1293:
	s_andn2_saveexec_b64 s[18:19], s[18:19]
; %bb.1294:
	v_cmp_ne_u16_e32 vcc, 0, v9
	s_andn2_b64 s[20:21], s[20:21], exec
	s_and_b64 s[24:25], vcc, exec
	s_or_b64 s[20:21], s[20:21], s[24:25]
; %bb.1295:
	s_or_b64 exec, exec, s[18:19]
	v_mov_b32_e32 v4, 0
	v_mov_b32_e32 v5, 0
	s_and_saveexec_b64 s[18:19], s[20:21]
	s_cbranch_execz .LBB86_1297
; %bb.1296:
	v_and_b32_e32 v5, 0xffff, v9
	v_lshlrev_b32_e32 v4, 24, v9
	v_and_b32_e32 v9, 7, v5
	v_ffbh_u32_e32 v12, v9
	v_min_u32_e32 v12, 32, v12
	v_subrev_u32_e32 v13, 28, v12
	v_bfe_u32 v11, v5, 3, 4
	v_lshlrev_b32_e32 v5, v13, v5
	v_sub_u32_e32 v12, 29, v12
	v_and_b32_e32 v5, 7, v5
	v_cmp_eq_u32_e32 vcc, 0, v11
	v_cndmask_b32_e32 v11, v11, v12, vcc
	v_cndmask_b32_e32 v5, v9, v5, vcc
	v_mov_b32_e32 v9, 0x3b800000
	v_lshlrev_b32_e32 v5, 20, v5
	v_and_b32_e32 v4, 0x80000000, v4
	v_lshl_add_u32 v9, v11, 23, v9
	v_or3_b32 v4, v4, v9, v5
	v_trunc_f32_e32 v4, v4
	s_mov_b32 s20, 0x2f800000
	v_mul_f32_e64 v5, |v4|, s20
	v_floor_f32_e32 v5, v5
	s_mov_b32 s20, 0xcf800000
	v_fma_f32 v9, v5, s20, |v4|
	v_cvt_u32_f32_e32 v9, v9
	v_cvt_u32_f32_e32 v5, v5
	v_ashrrev_i32_e32 v11, 31, v4
	v_xor_b32_e32 v4, v9, v11
	v_xor_b32_e32 v5, v5, v11
	v_sub_co_u32_e32 v4, vcc, v4, v11
	v_subb_co_u32_e32 v5, vcc, v5, v11, vcc
.LBB86_1297:
	s_or_b64 exec, exec, s[18:19]
.LBB86_1298:
	s_mov_b64 s[18:19], -1
.LBB86_1299:
	s_mov_b64 s[20:21], 0
.LBB86_1300:
	s_and_b64 vcc, exec, s[20:21]
	s_cbranch_vccz .LBB86_1329
; %bb.1301:
	s_cmp_gt_i32 s22, 22
	s_cbranch_scc0 .LBB86_1311
; %bb.1302:
	s_cmp_lt_i32 s22, 24
	s_cbranch_scc1 .LBB86_1312
; %bb.1303:
	s_cmp_gt_i32 s22, 24
	s_cbranch_scc0 .LBB86_1313
; %bb.1304:
	global_load_ubyte v9, v[6:7], off
	s_movk_i32 s4, 0x7f
	s_mov_b64 s[18:19], 0
	s_waitcnt vmcnt(0)
	v_cmp_lt_i16_e32 vcc, s4, v9
	s_and_saveexec_b64 s[4:5], vcc
	s_xor_b64 s[4:5], exec, s[4:5]
; %bb.1305:
	s_movk_i32 s18, 0x80
	v_cmp_ne_u16_e32 vcc, s18, v9
	s_and_b64 s[18:19], vcc, exec
; %bb.1306:
	s_andn2_saveexec_b64 s[4:5], s[4:5]
; %bb.1307:
	v_cmp_ne_u16_e32 vcc, 0, v9
	s_andn2_b64 s[18:19], s[18:19], exec
	s_and_b64 s[20:21], vcc, exec
	s_or_b64 s[18:19], s[18:19], s[20:21]
; %bb.1308:
	s_or_b64 exec, exec, s[4:5]
	v_mov_b32_e32 v4, 0
	v_mov_b32_e32 v5, 0
	s_and_saveexec_b64 s[4:5], s[18:19]
	s_cbranch_execz .LBB86_1310
; %bb.1309:
	v_and_b32_e32 v5, 0xffff, v9
	v_lshlrev_b32_e32 v4, 24, v9
	v_and_b32_e32 v9, 3, v5
	v_ffbh_u32_e32 v12, v9
	v_min_u32_e32 v12, 32, v12
	v_subrev_u32_e32 v13, 29, v12
	v_bfe_u32 v11, v5, 2, 5
	v_lshlrev_b32_e32 v5, v13, v5
	v_sub_u32_e32 v12, 30, v12
	v_and_b32_e32 v5, 3, v5
	v_cmp_eq_u32_e32 vcc, 0, v11
	v_cndmask_b32_e32 v11, v11, v12, vcc
	v_cndmask_b32_e32 v5, v9, v5, vcc
	v_mov_b32_e32 v9, 0x37800000
	v_lshlrev_b32_e32 v5, 21, v5
	v_and_b32_e32 v4, 0x80000000, v4
	v_lshl_add_u32 v9, v11, 23, v9
	v_or3_b32 v4, v4, v9, v5
	v_trunc_f32_e32 v4, v4
	s_mov_b32 s18, 0x2f800000
	v_mul_f32_e64 v5, |v4|, s18
	v_floor_f32_e32 v5, v5
	s_mov_b32 s18, 0xcf800000
	v_fma_f32 v9, v5, s18, |v4|
	v_cvt_u32_f32_e32 v9, v9
	v_cvt_u32_f32_e32 v5, v5
	v_ashrrev_i32_e32 v11, 31, v4
	v_xor_b32_e32 v4, v9, v11
	v_xor_b32_e32 v5, v5, v11
	v_sub_co_u32_e32 v4, vcc, v4, v11
	v_subb_co_u32_e32 v5, vcc, v5, v11, vcc
.LBB86_1310:
	s_or_b64 exec, exec, s[4:5]
	s_mov_b64 s[4:5], 0
	s_branch .LBB86_1314
.LBB86_1311:
	s_mov_b64 s[4:5], -1
                                        ; implicit-def: $vgpr4_vgpr5
	s_branch .LBB86_1320
.LBB86_1312:
	s_mov_b64 s[4:5], -1
                                        ; implicit-def: $vgpr4_vgpr5
	s_branch .LBB86_1317
.LBB86_1313:
	s_mov_b64 s[4:5], -1
                                        ; implicit-def: $vgpr4_vgpr5
.LBB86_1314:
	s_and_b64 vcc, exec, s[4:5]
	s_cbranch_vccz .LBB86_1316
; %bb.1315:
	global_load_ubyte v4, v[6:7], off
	s_mov_b32 s4, 0x7f800000
	s_brev_b32 s5, 1
	s_mov_b32 s18, 0x2f800000
	s_mov_b32 s19, 0xcf800000
	s_waitcnt vmcnt(0)
	v_lshlrev_b32_e32 v4, 24, v4
	v_and_b32_e32 v5, 0x7f000000, v4
	v_ffbh_u32_e32 v9, v5
	v_min_u32_e32 v9, 32, v9
	v_sub_u32_e64 v9, v9, 4 clamp
	v_lshlrev_b32_e32 v12, v9, v5
	v_lshlrev_b32_e32 v9, 23, v9
	v_lshrrev_b32_e32 v12, 4, v12
	v_add_u32_e32 v11, 0x1000000, v5
	v_sub_u32_e32 v9, v12, v9
	v_ashrrev_i32_e32 v11, 8, v11
	v_add_u32_e32 v9, 0x3c000000, v9
	v_and_or_b32 v9, v11, s4, v9
	v_cmp_ne_u32_e32 vcc, 0, v5
	v_cndmask_b32_e32 v5, 0, v9, vcc
	v_and_or_b32 v4, v4, s5, v5
	v_trunc_f32_e32 v4, v4
	v_mul_f32_e64 v5, |v4|, s18
	v_floor_f32_e32 v5, v5
	v_fma_f32 v9, v5, s19, |v4|
	v_cvt_u32_f32_e32 v9, v9
	v_cvt_u32_f32_e32 v5, v5
	v_ashrrev_i32_e32 v11, 31, v4
	v_xor_b32_e32 v4, v9, v11
	v_xor_b32_e32 v5, v5, v11
	v_sub_co_u32_e32 v4, vcc, v4, v11
	v_subb_co_u32_e32 v5, vcc, v5, v11, vcc
.LBB86_1316:
	s_mov_b64 s[4:5], 0
.LBB86_1317:
	s_andn2_b64 vcc, exec, s[4:5]
	s_cbranch_vccnz .LBB86_1319
; %bb.1318:
	global_load_ubyte v4, v[6:7], off
	s_movk_i32 s4, 0x7f00
	s_brev_b32 s5, 16
	s_brev_b32 s18, 1
	s_mov_b32 s19, 0x2f800000
	s_mov_b32 s20, 0xcf800000
	s_waitcnt vmcnt(0)
	v_lshlrev_b16_e32 v5, 8, v4
	v_lshlrev_b32_e32 v4, 25, v4
	v_lshrrev_b32_e32 v9, 4, v4
	v_and_or_b32 v11, v5, s4, 0.5
	v_or_b32_e32 v9, 0x70000000, v9
	v_add_f32_e32 v11, -0.5, v11
	v_mul_f32_e32 v9, 0x7800000, v9
	v_cmp_gt_u32_e32 vcc, s5, v4
	v_bfe_i32 v5, v5, 0, 16
	v_cndmask_b32_e32 v4, v9, v11, vcc
	v_and_or_b32 v4, v5, s18, v4
	v_trunc_f32_e32 v4, v4
	v_mul_f32_e64 v5, |v4|, s19
	v_floor_f32_e32 v5, v5
	v_fma_f32 v9, v5, s20, |v4|
	v_cvt_u32_f32_e32 v9, v9
	v_cvt_u32_f32_e32 v5, v5
	v_ashrrev_i32_e32 v11, 31, v4
	v_xor_b32_e32 v4, v9, v11
	v_xor_b32_e32 v5, v5, v11
	v_sub_co_u32_e32 v4, vcc, v4, v11
	v_subb_co_u32_e32 v5, vcc, v5, v11, vcc
.LBB86_1319:
	s_mov_b64 s[4:5], 0
	s_mov_b64 s[18:19], -1
.LBB86_1320:
	s_andn2_b64 vcc, exec, s[4:5]
	s_mov_b64 s[4:5], 0
	s_cbranch_vccnz .LBB86_1329
; %bb.1321:
	s_cmp_gt_i32 s22, 14
	s_cbranch_scc0 .LBB86_1324
; %bb.1322:
	s_cmp_eq_u32 s22, 15
	s_cbranch_scc0 .LBB86_1325
; %bb.1323:
	global_load_ushort v4, v[6:7], off
	s_mov_b32 s0, 0x2f800000
	s_mov_b32 s1, 0xcf800000
	s_mov_b64 s[18:19], -1
	s_waitcnt vmcnt(0)
	v_lshlrev_b32_e32 v4, 16, v4
	v_trunc_f32_e32 v4, v4
	v_mul_f32_e64 v5, |v4|, s0
	v_floor_f32_e32 v5, v5
	v_fma_f32 v9, v5, s1, |v4|
	v_cvt_u32_f32_e32 v9, v9
	v_cvt_u32_f32_e32 v5, v5
	v_ashrrev_i32_e32 v11, 31, v4
	s_mov_b64 s[0:1], 0
	v_xor_b32_e32 v4, v9, v11
	v_xor_b32_e32 v5, v5, v11
	v_sub_co_u32_e32 v4, vcc, v4, v11
	v_subb_co_u32_e32 v5, vcc, v5, v11, vcc
	s_branch .LBB86_1326
.LBB86_1324:
	s_mov_b64 s[20:21], -1
                                        ; implicit-def: $vgpr4_vgpr5
	s_branch .LBB86_1327
.LBB86_1325:
	s_mov_b64 s[0:1], -1
                                        ; implicit-def: $vgpr4_vgpr5
.LBB86_1326:
	s_mov_b64 s[20:21], 0
.LBB86_1327:
	s_and_b64 vcc, exec, s[20:21]
	s_cbranch_vccz .LBB86_1329
; %bb.1328:
	s_cmp_lg_u32 s22, 11
	s_mov_b64 s[4:5], -1
	s_cselect_b64 s[0:1], -1, 0
.LBB86_1329:
	s_and_b64 vcc, exec, s[0:1]
	s_cbranch_vccnz .LBB86_1392
; %bb.1330:
	s_andn2_b64 vcc, exec, s[4:5]
	s_cbranch_vccnz .LBB86_1332
.LBB86_1331:
	global_load_ubyte v4, v[6:7], off
	s_mov_b32 s0, 0
	s_waitcnt vmcnt(1)
	v_mov_b32_e32 v5, s0
	s_mov_b64 s[18:19], -1
	s_waitcnt vmcnt(0)
	v_cmp_ne_u16_e32 vcc, 0, v4
	v_cndmask_b32_e64 v4, 0, 1, vcc
.LBB86_1332:
	s_branch .LBB86_1264
.LBB86_1333:
	s_cmp_lt_i32 s22, 5
	s_cbranch_scc1 .LBB86_1338
; %bb.1334:
	s_cmp_lt_i32 s22, 8
	s_cbranch_scc1 .LBB86_1339
; %bb.1335:
	;; [unrolled: 3-line block ×3, first 2 shown]
	s_cmp_gt_i32 s22, 9
	s_cbranch_scc0 .LBB86_1341
; %bb.1337:
	global_load_dwordx2 v[4:5], v[6:7], off
	s_movk_i32 s0, 0xffe0
	s_waitcnt vmcnt(0)
	v_trunc_f64_e32 v[4:5], v[4:5]
	v_ldexp_f64 v[11:12], v[4:5], s0
	s_mov_b32 s0, 0
	s_mov_b32 s1, 0xc1f00000
	v_floor_f64_e32 v[11:12], v[11:12]
	v_fma_f64 v[13:14], v[11:12], s[0:1], v[4:5]
	v_cvt_i32_f64_e32 v5, v[11:12]
	s_mov_b64 s[0:1], 0
	v_cvt_u32_f64_e32 v4, v[13:14]
	s_branch .LBB86_1342
.LBB86_1338:
	s_mov_b64 s[0:1], -1
                                        ; implicit-def: $vgpr4_vgpr5
	s_branch .LBB86_1360
.LBB86_1339:
	s_mov_b64 s[0:1], -1
                                        ; implicit-def: $vgpr4_vgpr5
	s_branch .LBB86_1348
.LBB86_1340:
	s_mov_b64 s[0:1], -1
                                        ; implicit-def: $vgpr4_vgpr5
	s_branch .LBB86_1345
.LBB86_1341:
	s_mov_b64 s[0:1], -1
                                        ; implicit-def: $vgpr4_vgpr5
.LBB86_1342:
	s_andn2_b64 vcc, exec, s[0:1]
	s_cbranch_vccnz .LBB86_1344
; %bb.1343:
	global_load_dword v4, v[6:7], off
	s_mov_b32 s0, 0x2f800000
	s_mov_b32 s1, 0xcf800000
	s_waitcnt vmcnt(0)
	v_trunc_f32_e32 v4, v4
	v_mul_f32_e64 v5, |v4|, s0
	v_floor_f32_e32 v5, v5
	v_cvt_u32_f32_e32 v9, v5
	v_fma_f32 v5, v5, s1, |v4|
	v_cvt_u32_f32_e32 v5, v5
	v_ashrrev_i32_e32 v11, 31, v4
	v_xor_b32_e32 v9, v9, v11
	v_xor_b32_e32 v4, v5, v11
	v_sub_co_u32_e32 v4, vcc, v4, v11
	v_subb_co_u32_e32 v5, vcc, v9, v11, vcc
.LBB86_1344:
	s_mov_b64 s[0:1], 0
.LBB86_1345:
	s_andn2_b64 vcc, exec, s[0:1]
	s_cbranch_vccnz .LBB86_1347
; %bb.1346:
	global_load_dword v4, v[6:7], off
	s_waitcnt vmcnt(0)
	v_cvt_f32_f16_e32 v4, v4
	v_cvt_i32_f32_e32 v4, v4
	v_ashrrev_i32_e32 v5, 31, v4
.LBB86_1347:
	s_mov_b64 s[0:1], 0
.LBB86_1348:
	s_andn2_b64 vcc, exec, s[0:1]
	s_cbranch_vccnz .LBB86_1359
; %bb.1349:
	s_cmp_lt_i32 s22, 6
	s_cbranch_scc1 .LBB86_1352
; %bb.1350:
	s_cmp_gt_i32 s22, 6
	s_cbranch_scc0 .LBB86_1353
; %bb.1351:
	global_load_dwordx2 v[4:5], v[6:7], off
	s_movk_i32 s0, 0xffe0
	s_waitcnt vmcnt(0)
	v_trunc_f64_e32 v[4:5], v[4:5]
	v_ldexp_f64 v[11:12], v[4:5], s0
	s_mov_b32 s0, 0
	s_mov_b32 s1, 0xc1f00000
	v_floor_f64_e32 v[11:12], v[11:12]
	v_fma_f64 v[13:14], v[11:12], s[0:1], v[4:5]
	v_cvt_i32_f64_e32 v5, v[11:12]
	s_mov_b64 s[0:1], 0
	v_cvt_u32_f64_e32 v4, v[13:14]
	s_branch .LBB86_1354
.LBB86_1352:
	s_mov_b64 s[0:1], -1
                                        ; implicit-def: $vgpr4_vgpr5
	s_branch .LBB86_1357
.LBB86_1353:
	s_mov_b64 s[0:1], -1
                                        ; implicit-def: $vgpr4_vgpr5
.LBB86_1354:
	s_andn2_b64 vcc, exec, s[0:1]
	s_cbranch_vccnz .LBB86_1356
; %bb.1355:
	global_load_dword v4, v[6:7], off
	s_mov_b32 s0, 0x2f800000
	s_mov_b32 s1, 0xcf800000
	s_waitcnt vmcnt(0)
	v_trunc_f32_e32 v4, v4
	v_mul_f32_e64 v5, |v4|, s0
	v_floor_f32_e32 v5, v5
	v_cvt_u32_f32_e32 v9, v5
	v_fma_f32 v5, v5, s1, |v4|
	v_cvt_u32_f32_e32 v5, v5
	v_ashrrev_i32_e32 v11, 31, v4
	v_xor_b32_e32 v9, v9, v11
	v_xor_b32_e32 v4, v5, v11
	v_sub_co_u32_e32 v4, vcc, v4, v11
	v_subb_co_u32_e32 v5, vcc, v9, v11, vcc
.LBB86_1356:
	s_mov_b64 s[0:1], 0
.LBB86_1357:
	s_andn2_b64 vcc, exec, s[0:1]
	s_cbranch_vccnz .LBB86_1359
; %bb.1358:
	global_load_ushort v4, v[6:7], off
	s_waitcnt vmcnt(0)
	v_cvt_f32_f16_e32 v4, v4
	v_cvt_i32_f32_e32 v4, v4
	v_ashrrev_i32_e32 v5, 31, v4
.LBB86_1359:
	s_mov_b64 s[0:1], 0
.LBB86_1360:
	s_andn2_b64 vcc, exec, s[0:1]
	s_cbranch_vccnz .LBB86_1380
; %bb.1361:
	s_cmp_lt_i32 s22, 2
	s_cbranch_scc1 .LBB86_1365
; %bb.1362:
	s_cmp_lt_i32 s22, 3
	s_cbranch_scc1 .LBB86_1366
; %bb.1363:
	s_cmp_gt_i32 s22, 3
	s_cbranch_scc0 .LBB86_1367
; %bb.1364:
	global_load_dwordx2 v[4:5], v[6:7], off
	s_mov_b64 s[0:1], 0
	s_branch .LBB86_1368
.LBB86_1365:
	s_mov_b64 s[0:1], -1
                                        ; implicit-def: $vgpr4_vgpr5
	s_branch .LBB86_1374
.LBB86_1366:
	s_mov_b64 s[0:1], -1
                                        ; implicit-def: $vgpr4_vgpr5
	s_branch .LBB86_1371
.LBB86_1367:
	s_mov_b64 s[0:1], -1
                                        ; implicit-def: $vgpr4_vgpr5
.LBB86_1368:
	s_andn2_b64 vcc, exec, s[0:1]
	s_cbranch_vccnz .LBB86_1370
; %bb.1369:
	global_load_dword v4, v[6:7], off
	s_waitcnt vmcnt(0)
	v_ashrrev_i32_e32 v5, 31, v4
.LBB86_1370:
	s_mov_b64 s[0:1], 0
.LBB86_1371:
	s_andn2_b64 vcc, exec, s[0:1]
	s_cbranch_vccnz .LBB86_1373
; %bb.1372:
	global_load_ushort v4, v[6:7], off
	s_waitcnt vmcnt(0)
	v_bfe_i32 v4, v4, 0, 16
	v_ashrrev_i32_e32 v5, 31, v4
.LBB86_1373:
	s_mov_b64 s[0:1], 0
.LBB86_1374:
	s_andn2_b64 vcc, exec, s[0:1]
	s_cbranch_vccnz .LBB86_1380
; %bb.1375:
	s_cmp_gt_i32 s22, 0
	s_cbranch_scc0 .LBB86_1377
; %bb.1376:
	global_load_sbyte v4, v[6:7], off
	s_mov_b64 s[0:1], 0
	s_waitcnt vmcnt(0)
	v_bfe_i32 v4, v4, 0, 16
	v_ashrrev_i32_e32 v5, 31, v4
	s_branch .LBB86_1378
.LBB86_1377:
	s_mov_b64 s[0:1], -1
                                        ; implicit-def: $vgpr4_vgpr5
.LBB86_1378:
	s_andn2_b64 vcc, exec, s[0:1]
	s_cbranch_vccnz .LBB86_1380
; %bb.1379:
	global_load_ubyte v4, v[6:7], off
	s_mov_b32 s0, 0
	s_waitcnt vmcnt(1)
	v_mov_b32_e32 v5, s0
	s_waitcnt vmcnt(0)
	v_and_b32_e32 v4, 0xffff, v4
.LBB86_1380:
.LBB86_1381:
	v_add_u32_e32 v6, s13, v8
	v_ashrrev_i32_e32 v7, 31, v6
	v_mov_b32_e32 v9, s11
	v_add_co_u32_e32 v8, vcc, s10, v6
	s_cmp_lt_i32 s22, 11
	v_addc_co_u32_e32 v9, vcc, v9, v7, vcc
	s_cbranch_scc1 .LBB86_1388
; %bb.1382:
	s_cmp_gt_i32 s22, 25
	s_mov_b64 s[4:5], 0
	s_cbranch_scc0 .LBB86_1389
; %bb.1383:
	s_cmp_gt_i32 s22, 28
	s_cbranch_scc0 .LBB86_1390
; %bb.1384:
	s_cmp_gt_i32 s22, 43
	;; [unrolled: 3-line block ×3, first 2 shown]
	s_cbranch_scc0 .LBB86_1393
; %bb.1386:
	s_cmp_eq_u32 s22, 46
	s_mov_b64 s[18:19], 0
	s_cbranch_scc0 .LBB86_1394
; %bb.1387:
	global_load_dword v6, v[8:9], off
	s_mov_b32 s0, 0x2f800000
	s_mov_b32 s1, 0xcf800000
	s_mov_b64 s[10:11], -1
	s_waitcnt vmcnt(0)
	v_lshlrev_b32_e32 v6, 16, v6
	v_trunc_f32_e32 v6, v6
	v_mul_f32_e64 v7, |v6|, s0
	v_floor_f32_e32 v7, v7
	v_fma_f32 v11, v7, s1, |v6|
	v_cvt_u32_f32_e32 v11, v11
	v_cvt_u32_f32_e32 v7, v7
	v_ashrrev_i32_e32 v12, 31, v6
	s_mov_b64 s[0:1], 0
	v_xor_b32_e32 v6, v11, v12
	v_xor_b32_e32 v7, v7, v12
	v_sub_co_u32_e32 v6, vcc, v6, v12
	v_subb_co_u32_e32 v7, vcc, v7, v12, vcc
	s_branch .LBB86_1395
.LBB86_1388:
	s_mov_b64 s[0:1], -1
	s_mov_b64 s[10:11], 0
                                        ; implicit-def: $vgpr6_vgpr7
	s_branch .LBB86_1457
.LBB86_1389:
	s_mov_b64 s[18:19], -1
	s_mov_b64 s[10:11], 0
	s_mov_b64 s[0:1], 0
                                        ; implicit-def: $vgpr6_vgpr7
	s_branch .LBB86_1424
.LBB86_1390:
	s_mov_b64 s[18:19], -1
	s_mov_b64 s[10:11], 0
	s_mov_b64 s[0:1], 0
                                        ; implicit-def: $vgpr6_vgpr7
	s_branch .LBB86_1405
.LBB86_1391:
	s_mov_b64 s[18:19], -1
	s_mov_b64 s[10:11], 0
	s_mov_b64 s[0:1], 0
                                        ; implicit-def: $vgpr6_vgpr7
	s_branch .LBB86_1400
.LBB86_1392:
	s_trap 2
	s_or_b64 s[16:17], s[16:17], exec
	s_cbranch_execz .LBB86_1331
	s_branch .LBB86_1332
.LBB86_1393:
	s_mov_b64 s[18:19], -1
	s_mov_b64 s[10:11], 0
	s_mov_b64 s[0:1], 0
                                        ; implicit-def: $vgpr6_vgpr7
	s_branch .LBB86_1395
.LBB86_1394:
	s_mov_b64 s[0:1], -1
                                        ; implicit-def: $vgpr6_vgpr7
	s_mov_b64 s[10:11], 0
.LBB86_1395:
	s_and_b64 vcc, exec, s[18:19]
	s_cbranch_vccz .LBB86_1399
; %bb.1396:
	s_cmp_eq_u32 s22, 44
	s_cbranch_scc0 .LBB86_1398
; %bb.1397:
	global_load_ubyte v6, v[8:9], off
	s_mov_b32 s0, 0x2f800000
	s_mov_b32 s1, 0xcf800000
	s_mov_b64 s[10:11], -1
	s_waitcnt vmcnt(0)
	v_lshlrev_b32_e32 v7, 23, v6
	v_trunc_f32_e32 v7, v7
	v_mul_f32_e64 v11, |v7|, s0
	v_floor_f32_e32 v11, v11
	v_fma_f32 v12, v11, s1, |v7|
	v_cvt_u32_f32_e32 v12, v12
	v_cvt_u32_f32_e32 v11, v11
	v_ashrrev_i32_e32 v7, 31, v7
	s_mov_b64 s[0:1], 0
	v_xor_b32_e32 v12, v12, v7
	v_xor_b32_e32 v11, v11, v7
	v_sub_co_u32_e32 v12, vcc, v12, v7
	v_subb_co_u32_e32 v7, vcc, v11, v7, vcc
	v_cmp_ne_u32_e32 vcc, 0, v6
	v_cndmask_b32_e32 v7, 0, v7, vcc
	v_cndmask_b32_e32 v6, 0, v12, vcc
	s_branch .LBB86_1399
.LBB86_1398:
	s_mov_b64 s[0:1], -1
                                        ; implicit-def: $vgpr6_vgpr7
.LBB86_1399:
	s_mov_b64 s[18:19], 0
.LBB86_1400:
	s_and_b64 vcc, exec, s[18:19]
	s_cbranch_vccz .LBB86_1404
; %bb.1401:
	s_cmp_eq_u32 s22, 29
	s_cbranch_scc0 .LBB86_1403
; %bb.1402:
	global_load_dwordx2 v[6:7], v[8:9], off
	s_mov_b64 s[0:1], 0
	s_mov_b64 s[10:11], -1
	s_branch .LBB86_1404
.LBB86_1403:
	s_mov_b64 s[0:1], -1
                                        ; implicit-def: $vgpr6_vgpr7
.LBB86_1404:
	s_mov_b64 s[18:19], 0
.LBB86_1405:
	s_and_b64 vcc, exec, s[18:19]
	s_cbranch_vccz .LBB86_1423
; %bb.1406:
	s_cmp_lt_i32 s22, 27
	s_cbranch_scc1 .LBB86_1409
; %bb.1407:
	s_cmp_gt_i32 s22, 27
	s_cbranch_scc0 .LBB86_1410
; %bb.1408:
	global_load_dword v6, v[8:9], off
	s_waitcnt vmcnt(1)
	v_mov_b32_e32 v7, 0
	s_mov_b64 s[10:11], 0
	s_branch .LBB86_1411
.LBB86_1409:
	s_mov_b64 s[10:11], -1
                                        ; implicit-def: $vgpr6_vgpr7
	s_branch .LBB86_1414
.LBB86_1410:
	s_mov_b64 s[10:11], -1
                                        ; implicit-def: $vgpr6_vgpr7
.LBB86_1411:
	s_andn2_b64 vcc, exec, s[10:11]
	s_cbranch_vccnz .LBB86_1413
; %bb.1412:
	global_load_ushort v6, v[8:9], off
	s_mov_b32 s10, 0
	s_waitcnt vmcnt(1)
	v_mov_b32_e32 v7, s10
	s_waitcnt vmcnt(0)
	v_and_b32_e32 v6, 0xffff, v6
.LBB86_1413:
	s_mov_b64 s[10:11], 0
.LBB86_1414:
	s_andn2_b64 vcc, exec, s[10:11]
	s_cbranch_vccnz .LBB86_1422
; %bb.1415:
	global_load_ubyte v11, v[8:9], off
	s_movk_i32 s10, 0x7f
	s_mov_b64 s[18:19], 0
	s_waitcnt vmcnt(0)
	v_cmp_lt_i16_e32 vcc, s10, v11
	s_and_saveexec_b64 s[10:11], vcc
	s_xor_b64 s[10:11], exec, s[10:11]
; %bb.1416:
	s_movk_i32 s13, 0x80
	v_cmp_ne_u16_e32 vcc, s13, v11
	s_and_b64 s[18:19], vcc, exec
; %bb.1417:
	s_andn2_saveexec_b64 s[10:11], s[10:11]
; %bb.1418:
	v_cmp_ne_u16_e32 vcc, 0, v11
	s_andn2_b64 s[18:19], s[18:19], exec
	s_and_b64 s[20:21], vcc, exec
	s_or_b64 s[18:19], s[18:19], s[20:21]
; %bb.1419:
	s_or_b64 exec, exec, s[10:11]
	v_mov_b32_e32 v6, 0
	v_mov_b32_e32 v7, 0
	s_and_saveexec_b64 s[10:11], s[18:19]
	s_cbranch_execz .LBB86_1421
; %bb.1420:
	v_and_b32_e32 v7, 0xffff, v11
	v_lshlrev_b32_e32 v6, 24, v11
	v_and_b32_e32 v11, 7, v7
	v_ffbh_u32_e32 v13, v11
	v_min_u32_e32 v13, 32, v13
	v_subrev_u32_e32 v14, 28, v13
	v_bfe_u32 v12, v7, 3, 4
	v_lshlrev_b32_e32 v7, v14, v7
	v_sub_u32_e32 v13, 29, v13
	v_and_b32_e32 v7, 7, v7
	v_cmp_eq_u32_e32 vcc, 0, v12
	v_cndmask_b32_e32 v12, v12, v13, vcc
	v_cndmask_b32_e32 v7, v11, v7, vcc
	v_mov_b32_e32 v11, 0x3b800000
	v_lshlrev_b32_e32 v7, 20, v7
	v_and_b32_e32 v6, 0x80000000, v6
	v_lshl_add_u32 v11, v12, 23, v11
	v_or3_b32 v6, v6, v11, v7
	v_trunc_f32_e32 v6, v6
	s_mov_b32 s13, 0x2f800000
	v_mul_f32_e64 v7, |v6|, s13
	v_floor_f32_e32 v7, v7
	s_mov_b32 s13, 0xcf800000
	v_fma_f32 v11, v7, s13, |v6|
	v_cvt_u32_f32_e32 v11, v11
	v_cvt_u32_f32_e32 v7, v7
	v_ashrrev_i32_e32 v12, 31, v6
	v_xor_b32_e32 v6, v11, v12
	v_xor_b32_e32 v7, v7, v12
	v_sub_co_u32_e32 v6, vcc, v6, v12
	v_subb_co_u32_e32 v7, vcc, v7, v12, vcc
.LBB86_1421:
	s_or_b64 exec, exec, s[10:11]
.LBB86_1422:
	s_mov_b64 s[10:11], -1
.LBB86_1423:
	s_mov_b64 s[18:19], 0
.LBB86_1424:
	s_and_b64 vcc, exec, s[18:19]
	s_cbranch_vccz .LBB86_1453
; %bb.1425:
	s_cmp_gt_i32 s22, 22
	s_cbranch_scc0 .LBB86_1435
; %bb.1426:
	s_cmp_lt_i32 s22, 24
	s_cbranch_scc1 .LBB86_1436
; %bb.1427:
	s_cmp_gt_i32 s22, 24
	s_cbranch_scc0 .LBB86_1437
; %bb.1428:
	global_load_ubyte v11, v[8:9], off
	s_movk_i32 s4, 0x7f
	s_mov_b64 s[10:11], 0
	s_waitcnt vmcnt(0)
	v_cmp_lt_i16_e32 vcc, s4, v11
	s_and_saveexec_b64 s[4:5], vcc
	s_xor_b64 s[4:5], exec, s[4:5]
; %bb.1429:
	s_movk_i32 s10, 0x80
	v_cmp_ne_u16_e32 vcc, s10, v11
	s_and_b64 s[10:11], vcc, exec
; %bb.1430:
	s_andn2_saveexec_b64 s[4:5], s[4:5]
; %bb.1431:
	v_cmp_ne_u16_e32 vcc, 0, v11
	s_andn2_b64 s[10:11], s[10:11], exec
	s_and_b64 s[18:19], vcc, exec
	s_or_b64 s[10:11], s[10:11], s[18:19]
; %bb.1432:
	s_or_b64 exec, exec, s[4:5]
	v_mov_b32_e32 v6, 0
	v_mov_b32_e32 v7, 0
	s_and_saveexec_b64 s[4:5], s[10:11]
	s_cbranch_execz .LBB86_1434
; %bb.1433:
	v_and_b32_e32 v7, 0xffff, v11
	v_lshlrev_b32_e32 v6, 24, v11
	v_and_b32_e32 v11, 3, v7
	v_ffbh_u32_e32 v13, v11
	v_min_u32_e32 v13, 32, v13
	v_subrev_u32_e32 v14, 29, v13
	v_bfe_u32 v12, v7, 2, 5
	v_lshlrev_b32_e32 v7, v14, v7
	v_sub_u32_e32 v13, 30, v13
	v_and_b32_e32 v7, 3, v7
	v_cmp_eq_u32_e32 vcc, 0, v12
	v_cndmask_b32_e32 v12, v12, v13, vcc
	v_cndmask_b32_e32 v7, v11, v7, vcc
	v_mov_b32_e32 v11, 0x37800000
	v_lshlrev_b32_e32 v7, 21, v7
	v_and_b32_e32 v6, 0x80000000, v6
	v_lshl_add_u32 v11, v12, 23, v11
	v_or3_b32 v6, v6, v11, v7
	v_trunc_f32_e32 v6, v6
	s_mov_b32 s10, 0x2f800000
	v_mul_f32_e64 v7, |v6|, s10
	v_floor_f32_e32 v7, v7
	s_mov_b32 s10, 0xcf800000
	v_fma_f32 v11, v7, s10, |v6|
	v_cvt_u32_f32_e32 v11, v11
	v_cvt_u32_f32_e32 v7, v7
	v_ashrrev_i32_e32 v12, 31, v6
	v_xor_b32_e32 v6, v11, v12
	v_xor_b32_e32 v7, v7, v12
	v_sub_co_u32_e32 v6, vcc, v6, v12
	v_subb_co_u32_e32 v7, vcc, v7, v12, vcc
.LBB86_1434:
	s_or_b64 exec, exec, s[4:5]
	s_mov_b64 s[4:5], 0
	s_branch .LBB86_1438
.LBB86_1435:
	s_mov_b64 s[4:5], -1
                                        ; implicit-def: $vgpr6_vgpr7
	s_branch .LBB86_1444
.LBB86_1436:
	s_mov_b64 s[4:5], -1
                                        ; implicit-def: $vgpr6_vgpr7
	s_branch .LBB86_1441
.LBB86_1437:
	s_mov_b64 s[4:5], -1
                                        ; implicit-def: $vgpr6_vgpr7
.LBB86_1438:
	s_and_b64 vcc, exec, s[4:5]
	s_cbranch_vccz .LBB86_1440
; %bb.1439:
	global_load_ubyte v6, v[8:9], off
	s_mov_b32 s4, 0x7f800000
	s_brev_b32 s5, 1
	s_mov_b32 s10, 0x2f800000
	s_mov_b32 s11, 0xcf800000
	s_waitcnt vmcnt(0)
	v_lshlrev_b32_e32 v6, 24, v6
	v_and_b32_e32 v7, 0x7f000000, v6
	v_ffbh_u32_e32 v11, v7
	v_min_u32_e32 v11, 32, v11
	v_sub_u32_e64 v11, v11, 4 clamp
	v_lshlrev_b32_e32 v13, v11, v7
	v_lshlrev_b32_e32 v11, 23, v11
	v_lshrrev_b32_e32 v13, 4, v13
	v_add_u32_e32 v12, 0x1000000, v7
	v_sub_u32_e32 v11, v13, v11
	v_ashrrev_i32_e32 v12, 8, v12
	v_add_u32_e32 v11, 0x3c000000, v11
	v_and_or_b32 v11, v12, s4, v11
	v_cmp_ne_u32_e32 vcc, 0, v7
	v_cndmask_b32_e32 v7, 0, v11, vcc
	v_and_or_b32 v6, v6, s5, v7
	v_trunc_f32_e32 v6, v6
	v_mul_f32_e64 v7, |v6|, s10
	v_floor_f32_e32 v7, v7
	v_fma_f32 v11, v7, s11, |v6|
	v_cvt_u32_f32_e32 v11, v11
	v_cvt_u32_f32_e32 v7, v7
	v_ashrrev_i32_e32 v12, 31, v6
	v_xor_b32_e32 v6, v11, v12
	v_xor_b32_e32 v7, v7, v12
	v_sub_co_u32_e32 v6, vcc, v6, v12
	v_subb_co_u32_e32 v7, vcc, v7, v12, vcc
.LBB86_1440:
	s_mov_b64 s[4:5], 0
.LBB86_1441:
	s_andn2_b64 vcc, exec, s[4:5]
	s_cbranch_vccnz .LBB86_1443
; %bb.1442:
	global_load_ubyte v6, v[8:9], off
	s_movk_i32 s4, 0x7f00
	s_brev_b32 s5, 16
	s_brev_b32 s10, 1
	s_mov_b32 s11, 0x2f800000
	s_mov_b32 s13, 0xcf800000
	s_waitcnt vmcnt(0)
	v_lshlrev_b16_e32 v7, 8, v6
	v_lshlrev_b32_e32 v6, 25, v6
	v_lshrrev_b32_e32 v11, 4, v6
	v_and_or_b32 v12, v7, s4, 0.5
	v_or_b32_e32 v11, 0x70000000, v11
	v_add_f32_e32 v12, -0.5, v12
	v_mul_f32_e32 v11, 0x7800000, v11
	v_cmp_gt_u32_e32 vcc, s5, v6
	v_bfe_i32 v7, v7, 0, 16
	v_cndmask_b32_e32 v6, v11, v12, vcc
	v_and_or_b32 v6, v7, s10, v6
	v_trunc_f32_e32 v6, v6
	v_mul_f32_e64 v7, |v6|, s11
	v_floor_f32_e32 v7, v7
	v_fma_f32 v11, v7, s13, |v6|
	v_cvt_u32_f32_e32 v11, v11
	v_cvt_u32_f32_e32 v7, v7
	v_ashrrev_i32_e32 v12, 31, v6
	v_xor_b32_e32 v6, v11, v12
	v_xor_b32_e32 v7, v7, v12
	v_sub_co_u32_e32 v6, vcc, v6, v12
	v_subb_co_u32_e32 v7, vcc, v7, v12, vcc
.LBB86_1443:
	s_mov_b64 s[4:5], 0
	s_mov_b64 s[10:11], -1
.LBB86_1444:
	s_andn2_b64 vcc, exec, s[4:5]
	s_mov_b64 s[4:5], 0
	s_cbranch_vccnz .LBB86_1453
; %bb.1445:
	s_cmp_gt_i32 s22, 14
	s_cbranch_scc0 .LBB86_1448
; %bb.1446:
	s_cmp_eq_u32 s22, 15
	s_cbranch_scc0 .LBB86_1449
; %bb.1447:
	global_load_ushort v6, v[8:9], off
	s_mov_b32 s0, 0x2f800000
	s_mov_b32 s1, 0xcf800000
	s_mov_b64 s[10:11], -1
	s_waitcnt vmcnt(0)
	v_lshlrev_b32_e32 v6, 16, v6
	v_trunc_f32_e32 v6, v6
	v_mul_f32_e64 v7, |v6|, s0
	v_floor_f32_e32 v7, v7
	v_fma_f32 v11, v7, s1, |v6|
	v_cvt_u32_f32_e32 v11, v11
	v_cvt_u32_f32_e32 v7, v7
	v_ashrrev_i32_e32 v12, 31, v6
	s_mov_b64 s[0:1], 0
	v_xor_b32_e32 v6, v11, v12
	v_xor_b32_e32 v7, v7, v12
	v_sub_co_u32_e32 v6, vcc, v6, v12
	v_subb_co_u32_e32 v7, vcc, v7, v12, vcc
	s_branch .LBB86_1450
.LBB86_1448:
	s_mov_b64 s[18:19], -1
                                        ; implicit-def: $vgpr6_vgpr7
	s_branch .LBB86_1451
.LBB86_1449:
	s_mov_b64 s[0:1], -1
                                        ; implicit-def: $vgpr6_vgpr7
.LBB86_1450:
	s_mov_b64 s[18:19], 0
.LBB86_1451:
	s_and_b64 vcc, exec, s[18:19]
	s_cbranch_vccz .LBB86_1453
; %bb.1452:
	s_cmp_lg_u32 s22, 11
	s_mov_b64 s[4:5], -1
	s_cselect_b64 s[0:1], -1, 0
.LBB86_1453:
	s_and_b64 vcc, exec, s[0:1]
	s_cbranch_vccnz .LBB86_1986
; %bb.1454:
	s_andn2_b64 vcc, exec, s[4:5]
	s_cbranch_vccnz .LBB86_1456
.LBB86_1455:
	global_load_ubyte v6, v[8:9], off
	s_mov_b32 s0, 0
	s_waitcnt vmcnt(1)
	v_mov_b32_e32 v7, s0
	s_mov_b64 s[10:11], -1
	s_waitcnt vmcnt(0)
	v_cmp_ne_u16_e32 vcc, 0, v6
	v_cndmask_b32_e64 v6, 0, 1, vcc
.LBB86_1456:
	s_mov_b64 s[0:1], 0
.LBB86_1457:
	s_and_b64 vcc, exec, s[0:1]
	s_cbranch_vccz .LBB86_1506
; %bb.1458:
	s_cmp_lt_i32 s22, 5
	s_cbranch_scc1 .LBB86_1463
; %bb.1459:
	s_cmp_lt_i32 s22, 8
	s_cbranch_scc1 .LBB86_1464
	;; [unrolled: 3-line block ×3, first 2 shown]
; %bb.1461:
	s_cmp_gt_i32 s22, 9
	s_cbranch_scc0 .LBB86_1466
; %bb.1462:
	global_load_dwordx2 v[6:7], v[8:9], off
	s_movk_i32 s0, 0xffe0
	s_waitcnt vmcnt(0)
	v_trunc_f64_e32 v[6:7], v[6:7]
	v_ldexp_f64 v[11:12], v[6:7], s0
	s_mov_b32 s0, 0
	s_mov_b32 s1, 0xc1f00000
	v_floor_f64_e32 v[11:12], v[11:12]
	v_fma_f64 v[13:14], v[11:12], s[0:1], v[6:7]
	v_cvt_i32_f64_e32 v7, v[11:12]
	s_mov_b64 s[0:1], 0
	v_cvt_u32_f64_e32 v6, v[13:14]
	s_branch .LBB86_1467
.LBB86_1463:
	s_mov_b64 s[0:1], -1
                                        ; implicit-def: $vgpr6_vgpr7
	s_branch .LBB86_1485
.LBB86_1464:
	s_mov_b64 s[0:1], -1
                                        ; implicit-def: $vgpr6_vgpr7
	s_branch .LBB86_1473
.LBB86_1465:
	s_mov_b64 s[0:1], -1
                                        ; implicit-def: $vgpr6_vgpr7
	s_branch .LBB86_1470
.LBB86_1466:
	s_mov_b64 s[0:1], -1
                                        ; implicit-def: $vgpr6_vgpr7
.LBB86_1467:
	s_andn2_b64 vcc, exec, s[0:1]
	s_cbranch_vccnz .LBB86_1469
; %bb.1468:
	global_load_dword v6, v[8:9], off
	s_mov_b32 s0, 0x2f800000
	s_mov_b32 s1, 0xcf800000
	s_waitcnt vmcnt(0)
	v_trunc_f32_e32 v6, v6
	v_mul_f32_e64 v7, |v6|, s0
	v_floor_f32_e32 v7, v7
	v_cvt_u32_f32_e32 v11, v7
	v_fma_f32 v7, v7, s1, |v6|
	v_cvt_u32_f32_e32 v7, v7
	v_ashrrev_i32_e32 v12, 31, v6
	v_xor_b32_e32 v11, v11, v12
	v_xor_b32_e32 v6, v7, v12
	v_sub_co_u32_e32 v6, vcc, v6, v12
	v_subb_co_u32_e32 v7, vcc, v11, v12, vcc
.LBB86_1469:
	s_mov_b64 s[0:1], 0
.LBB86_1470:
	s_andn2_b64 vcc, exec, s[0:1]
	s_cbranch_vccnz .LBB86_1472
; %bb.1471:
	global_load_dword v6, v[8:9], off
	s_waitcnt vmcnt(0)
	v_cvt_f32_f16_e32 v6, v6
	v_cvt_i32_f32_e32 v6, v6
	v_ashrrev_i32_e32 v7, 31, v6
.LBB86_1472:
	s_mov_b64 s[0:1], 0
.LBB86_1473:
	s_andn2_b64 vcc, exec, s[0:1]
	s_cbranch_vccnz .LBB86_1484
; %bb.1474:
	s_cmp_lt_i32 s22, 6
	s_cbranch_scc1 .LBB86_1477
; %bb.1475:
	s_cmp_gt_i32 s22, 6
	s_cbranch_scc0 .LBB86_1478
; %bb.1476:
	global_load_dwordx2 v[6:7], v[8:9], off
	s_movk_i32 s0, 0xffe0
	s_waitcnt vmcnt(0)
	v_trunc_f64_e32 v[6:7], v[6:7]
	v_ldexp_f64 v[11:12], v[6:7], s0
	s_mov_b32 s0, 0
	s_mov_b32 s1, 0xc1f00000
	v_floor_f64_e32 v[11:12], v[11:12]
	v_fma_f64 v[13:14], v[11:12], s[0:1], v[6:7]
	v_cvt_i32_f64_e32 v7, v[11:12]
	s_mov_b64 s[0:1], 0
	v_cvt_u32_f64_e32 v6, v[13:14]
	s_branch .LBB86_1479
.LBB86_1477:
	s_mov_b64 s[0:1], -1
                                        ; implicit-def: $vgpr6_vgpr7
	s_branch .LBB86_1482
.LBB86_1478:
	s_mov_b64 s[0:1], -1
                                        ; implicit-def: $vgpr6_vgpr7
.LBB86_1479:
	s_andn2_b64 vcc, exec, s[0:1]
	s_cbranch_vccnz .LBB86_1481
; %bb.1480:
	global_load_dword v6, v[8:9], off
	s_mov_b32 s0, 0x2f800000
	s_mov_b32 s1, 0xcf800000
	s_waitcnt vmcnt(0)
	v_trunc_f32_e32 v6, v6
	v_mul_f32_e64 v7, |v6|, s0
	v_floor_f32_e32 v7, v7
	v_cvt_u32_f32_e32 v11, v7
	v_fma_f32 v7, v7, s1, |v6|
	v_cvt_u32_f32_e32 v7, v7
	v_ashrrev_i32_e32 v12, 31, v6
	v_xor_b32_e32 v11, v11, v12
	v_xor_b32_e32 v6, v7, v12
	v_sub_co_u32_e32 v6, vcc, v6, v12
	v_subb_co_u32_e32 v7, vcc, v11, v12, vcc
.LBB86_1481:
	s_mov_b64 s[0:1], 0
.LBB86_1482:
	s_andn2_b64 vcc, exec, s[0:1]
	s_cbranch_vccnz .LBB86_1484
; %bb.1483:
	global_load_ushort v6, v[8:9], off
	s_waitcnt vmcnt(0)
	v_cvt_f32_f16_e32 v6, v6
	v_cvt_i32_f32_e32 v6, v6
	v_ashrrev_i32_e32 v7, 31, v6
.LBB86_1484:
	s_mov_b64 s[0:1], 0
.LBB86_1485:
	s_andn2_b64 vcc, exec, s[0:1]
	s_cbranch_vccnz .LBB86_1505
; %bb.1486:
	s_cmp_lt_i32 s22, 2
	s_cbranch_scc1 .LBB86_1490
; %bb.1487:
	s_cmp_lt_i32 s22, 3
	s_cbranch_scc1 .LBB86_1491
; %bb.1488:
	s_cmp_gt_i32 s22, 3
	s_cbranch_scc0 .LBB86_1492
; %bb.1489:
	global_load_dwordx2 v[6:7], v[8:9], off
	s_mov_b64 s[0:1], 0
	s_branch .LBB86_1493
.LBB86_1490:
	s_mov_b64 s[0:1], -1
                                        ; implicit-def: $vgpr6_vgpr7
	s_branch .LBB86_1499
.LBB86_1491:
	s_mov_b64 s[0:1], -1
                                        ; implicit-def: $vgpr6_vgpr7
	s_branch .LBB86_1496
.LBB86_1492:
	s_mov_b64 s[0:1], -1
                                        ; implicit-def: $vgpr6_vgpr7
.LBB86_1493:
	s_andn2_b64 vcc, exec, s[0:1]
	s_cbranch_vccnz .LBB86_1495
; %bb.1494:
	global_load_dword v6, v[8:9], off
	s_waitcnt vmcnt(0)
	v_ashrrev_i32_e32 v7, 31, v6
.LBB86_1495:
	s_mov_b64 s[0:1], 0
.LBB86_1496:
	s_andn2_b64 vcc, exec, s[0:1]
	s_cbranch_vccnz .LBB86_1498
; %bb.1497:
	global_load_ushort v6, v[8:9], off
	s_waitcnt vmcnt(0)
	v_bfe_i32 v6, v6, 0, 16
	v_ashrrev_i32_e32 v7, 31, v6
.LBB86_1498:
	s_mov_b64 s[0:1], 0
.LBB86_1499:
	s_andn2_b64 vcc, exec, s[0:1]
	s_cbranch_vccnz .LBB86_1505
; %bb.1500:
	s_cmp_gt_i32 s22, 0
	s_cbranch_scc0 .LBB86_1502
; %bb.1501:
	global_load_sbyte v6, v[8:9], off
	s_mov_b64 s[0:1], 0
	s_waitcnt vmcnt(0)
	v_bfe_i32 v6, v6, 0, 16
	v_ashrrev_i32_e32 v7, 31, v6
	s_branch .LBB86_1503
.LBB86_1502:
	s_mov_b64 s[0:1], -1
                                        ; implicit-def: $vgpr6_vgpr7
.LBB86_1503:
	s_andn2_b64 vcc, exec, s[0:1]
	s_cbranch_vccnz .LBB86_1505
; %bb.1504:
	global_load_ubyte v6, v[8:9], off
	s_mov_b32 s0, 0
	s_waitcnt vmcnt(1)
	v_mov_b32_e32 v7, s0
	s_waitcnt vmcnt(0)
	v_and_b32_e32 v6, 0xffff, v6
.LBB86_1505:
	s_mov_b64 s[10:11], -1
.LBB86_1506:
	s_andn2_b64 vcc, exec, s[10:11]
	s_cbranch_vccnz .LBB86_1940
; %bb.1507:
	v_mul_lo_u32 v10, s12, v10
	s_waitcnt vmcnt(0)
	v_lshlrev_b64 v[0:1], s2, v[0:1]
	v_cmp_gt_u64_e64 s[4:5], s[2:3], 63
	v_mov_b32_e32 v11, s9
	v_ashrrev_i32_e32 v9, 31, v10
	s_and_b32 s24, s33, 0xff
	v_add_co_u32_e32 v8, vcc, s8, v10
	v_cndmask_b32_e64 v1, v1, 0, s[4:5]
	v_cndmask_b32_e64 v0, v0, 0, s[4:5]
	s_cmp_lt_i32 s24, 11
	v_addc_co_u32_e32 v9, vcc, v11, v9, vcc
	s_cbranch_scc1 .LBB86_1585
; %bb.1508:
	s_and_b32 s3, 0xffff, s24
	s_mov_b64 s[20:21], -1
	s_mov_b64 s[10:11], 0
	s_cmp_gt_i32 s3, 25
	s_mov_b64 s[18:19], 0
	s_mov_b64 s[0:1], 0
	s_cbranch_scc0 .LBB86_1541
; %bb.1509:
	s_cmp_gt_i32 s3, 28
	s_cbranch_scc0 .LBB86_1524
; %bb.1510:
	s_cmp_gt_i32 s3, 43
	;; [unrolled: 3-line block ×3, first 2 shown]
	s_cbranch_scc0 .LBB86_1514
; %bb.1512:
	s_mov_b64 s[0:1], -1
	s_mov_b64 s[20:21], 0
	s_cmp_eq_u32 s3, 46
	s_cbranch_scc0 .LBB86_1514
; %bb.1513:
	v_xor_b32_e32 v12, v0, v1
	v_ffbh_i32_e32 v11, v1
	v_ashrrev_i32_e32 v12, 31, v12
	v_add_u32_e32 v11, -1, v11
	v_add_u32_e32 v12, 32, v12
	v_min_u32_e32 v13, v11, v12
	v_lshlrev_b64 v[11:12], v13, v[0:1]
	s_movk_i32 s0, 0x7fff
	v_min_u32_e32 v11, 1, v11
	v_or_b32_e32 v11, v12, v11
	v_cvt_f32_i32_e32 v11, v11
	v_sub_u32_e32 v12, 32, v13
	s_mov_b64 s[18:19], -1
	v_ldexp_f32 v11, v11, v12
	v_bfe_u32 v12, v11, 16, 1
	v_add3_u32 v11, v11, v12, s0
	v_lshrrev_b32_e32 v11, 16, v11
	global_store_dword v[8:9], v11, off
	s_mov_b64 s[0:1], 0
.LBB86_1514:
	s_and_b64 vcc, exec, s[20:21]
	s_cbranch_vccz .LBB86_1519
; %bb.1515:
	s_cmp_eq_u32 s3, 44
	s_mov_b64 s[0:1], -1
	s_cbranch_scc0 .LBB86_1519
; %bb.1516:
	v_xor_b32_e32 v12, v0, v1
	v_ffbh_i32_e32 v11, v1
	v_ashrrev_i32_e32 v12, 31, v12
	v_add_u32_e32 v11, -1, v11
	v_add_u32_e32 v12, 32, v12
	v_min_u32_e32 v13, v11, v12
	v_lshlrev_b64 v[11:12], v13, v[0:1]
	s_movk_i32 s0, 0xff
	v_min_u32_e32 v11, 1, v11
	v_or_b32_e32 v11, v12, v11
	v_cvt_f32_i32_e32 v11, v11
	v_sub_u32_e32 v12, 32, v13
	v_mov_b32_e32 v13, 0xff
	v_ldexp_f32 v11, v11, v12
	v_bfe_u32 v12, v11, 23, 8
	v_cmp_ne_u32_e32 vcc, s0, v12
	s_and_saveexec_b64 s[18:19], vcc
; %bb.1517:
	s_mov_b32 s0, 0x3fffff
	v_lshrrev_b32_e32 v13, 23, v11
	v_and_b32_e32 v14, 0x400000, v11
	v_and_or_b32 v11, v11, s0, v12
	v_cmp_ne_u32_e32 vcc, 0, v14
	v_cmp_ne_u32_e64 s[0:1], 0, v11
	s_and_b64 s[0:1], vcc, s[0:1]
	v_cndmask_b32_e64 v11, 0, 1, s[0:1]
	v_add_u32_e32 v13, v13, v11
; %bb.1518:
	s_or_b64 exec, exec, s[18:19]
	s_mov_b64 s[0:1], 0
	s_mov_b64 s[18:19], -1
	global_store_byte v[8:9], v13, off
.LBB86_1519:
	s_mov_b64 s[20:21], 0
.LBB86_1520:
	s_and_b64 vcc, exec, s[20:21]
	s_cbranch_vccz .LBB86_1523
; %bb.1521:
	s_cmp_eq_u32 s3, 29
	s_mov_b64 s[0:1], -1
	s_cbranch_scc0 .LBB86_1523
; %bb.1522:
	global_store_dwordx2 v[8:9], v[0:1], off
	s_mov_b64 s[0:1], 0
	s_mov_b64 s[18:19], -1
.LBB86_1523:
	s_mov_b64 s[20:21], 0
.LBB86_1524:
	s_and_b64 vcc, exec, s[20:21]
	s_cbranch_vccz .LBB86_1540
; %bb.1525:
	s_cmp_lt_i32 s3, 27
	s_mov_b64 s[18:19], -1
	s_cbranch_scc1 .LBB86_1531
; %bb.1526:
	s_cmp_gt_i32 s3, 27
	s_cbranch_scc0 .LBB86_1528
; %bb.1527:
	s_mov_b64 s[18:19], 0
	global_store_dword v[8:9], v0, off
.LBB86_1528:
	s_andn2_b64 vcc, exec, s[18:19]
	s_cbranch_vccnz .LBB86_1530
; %bb.1529:
	global_store_short v[8:9], v0, off
.LBB86_1530:
	s_mov_b64 s[18:19], 0
.LBB86_1531:
	s_andn2_b64 vcc, exec, s[18:19]
	s_cbranch_vccnz .LBB86_1539
; %bb.1532:
	v_xor_b32_e32 v12, v0, v1
	v_ffbh_i32_e32 v11, v1
	v_ashrrev_i32_e32 v12, 31, v12
	v_add_u32_e32 v11, -1, v11
	v_add_u32_e32 v12, 32, v12
	v_min_u32_e32 v13, v11, v12
	v_lshlrev_b64 v[11:12], v13, v[0:1]
	s_mov_b32 s13, 0x43800000
	v_min_u32_e32 v11, 1, v11
	v_or_b32_e32 v11, v12, v11
	v_cvt_f32_i32_e32 v11, v11
	v_sub_u32_e32 v12, 32, v13
	v_mov_b32_e32 v13, 0x80
	v_ldexp_f32 v11, v11, v12
	v_and_b32_e32 v12, 0x7fffffff, v11
	v_cmp_gt_u32_e32 vcc, s13, v12
	s_and_saveexec_b64 s[18:19], vcc
	s_cbranch_execz .LBB86_1538
; %bb.1533:
	s_mov_b32 s13, 0x3bffffff
	v_cmp_lt_u32_e32 vcc, s13, v12
	s_mov_b64 s[20:21], 0
                                        ; implicit-def: $vgpr12
	s_and_saveexec_b64 s[22:23], vcc
	s_xor_b64 s[22:23], exec, s[22:23]
	s_cbranch_execz .LBB86_1987
; %bb.1534:
	v_bfe_u32 v12, v11, 20, 1
	s_mov_b32 s13, 0x487ffff
	v_add3_u32 v12, v11, v12, s13
	s_mov_b64 s[20:21], exec
	v_lshrrev_b32_e32 v12, 20, v12
	s_andn2_saveexec_b64 s[22:23], s[22:23]
	s_cbranch_execnz .LBB86_1988
.LBB86_1535:
	s_or_b64 exec, exec, s[22:23]
	v_mov_b32_e32 v13, 0
	s_and_saveexec_b64 s[22:23], s[20:21]
.LBB86_1536:
	v_lshrrev_b32_e32 v11, 24, v11
	s_movk_i32 s13, 0x80
	v_and_or_b32 v13, v11, s13, v12
.LBB86_1537:
	s_or_b64 exec, exec, s[22:23]
.LBB86_1538:
	s_or_b64 exec, exec, s[18:19]
	global_store_byte v[8:9], v13, off
.LBB86_1539:
	s_mov_b64 s[18:19], -1
.LBB86_1540:
	s_mov_b64 s[20:21], 0
.LBB86_1541:
	s_and_b64 vcc, exec, s[20:21]
	s_cbranch_vccz .LBB86_1581
; %bb.1542:
	s_cmp_gt_i32 s3, 22
	s_mov_b64 s[10:11], -1
	s_cbranch_scc0 .LBB86_1574
; %bb.1543:
	s_cmp_lt_i32 s3, 24
	s_cbranch_scc1 .LBB86_1563
; %bb.1544:
	s_cmp_gt_i32 s3, 24
	s_cbranch_scc0 .LBB86_1552
; %bb.1545:
	v_xor_b32_e32 v12, v0, v1
	v_ffbh_i32_e32 v11, v1
	v_ashrrev_i32_e32 v12, 31, v12
	v_add_u32_e32 v11, -1, v11
	v_add_u32_e32 v12, 32, v12
	v_min_u32_e32 v13, v11, v12
	v_lshlrev_b64 v[11:12], v13, v[0:1]
	s_mov_b32 s10, 0x47800000
	v_min_u32_e32 v11, 1, v11
	v_or_b32_e32 v11, v12, v11
	v_cvt_f32_i32_e32 v11, v11
	v_sub_u32_e32 v12, 32, v13
	v_mov_b32_e32 v13, 0x80
	v_ldexp_f32 v11, v11, v12
	v_and_b32_e32 v12, 0x7fffffff, v11
	v_cmp_gt_u32_e32 vcc, s10, v12
	s_and_saveexec_b64 s[10:11], vcc
	s_cbranch_execz .LBB86_1551
; %bb.1546:
	s_mov_b32 s13, 0x37ffffff
	v_cmp_lt_u32_e32 vcc, s13, v12
	s_mov_b64 s[18:19], 0
                                        ; implicit-def: $vgpr12
	s_and_saveexec_b64 s[20:21], vcc
	s_xor_b64 s[20:21], exec, s[20:21]
	s_cbranch_execz .LBB86_1990
; %bb.1547:
	v_bfe_u32 v12, v11, 21, 1
	s_mov_b32 s13, 0x88fffff
	v_add3_u32 v12, v11, v12, s13
	s_mov_b64 s[18:19], exec
	v_lshrrev_b32_e32 v12, 21, v12
	s_andn2_saveexec_b64 s[20:21], s[20:21]
	s_cbranch_execnz .LBB86_1991
.LBB86_1548:
	s_or_b64 exec, exec, s[20:21]
	v_mov_b32_e32 v13, 0
	s_and_saveexec_b64 s[20:21], s[18:19]
.LBB86_1549:
	v_lshrrev_b32_e32 v11, 24, v11
	s_movk_i32 s13, 0x80
	v_and_or_b32 v13, v11, s13, v12
.LBB86_1550:
	s_or_b64 exec, exec, s[20:21]
.LBB86_1551:
	s_or_b64 exec, exec, s[10:11]
	s_mov_b64 s[10:11], 0
	global_store_byte v[8:9], v13, off
.LBB86_1552:
	s_and_b64 vcc, exec, s[10:11]
	s_cbranch_vccz .LBB86_1562
; %bb.1553:
	v_xor_b32_e32 v12, v0, v1
	v_ffbh_i32_e32 v11, v1
	v_ashrrev_i32_e32 v12, 31, v12
	v_add_u32_e32 v11, -1, v11
	v_add_u32_e32 v12, 32, v12
	v_min_u32_e32 v13, v11, v12
	v_lshlrev_b64 v[11:12], v13, v[0:1]
	s_mov_b32 s10, 0x43f00000
	v_min_u32_e32 v11, 1, v11
	v_or_b32_e32 v11, v12, v11
	v_cvt_f32_i32_e32 v11, v11
	v_sub_u32_e32 v12, 32, v13
	v_ldexp_f32 v11, v11, v12
	v_and_b32_e32 v13, 0x7fffffff, v11
	v_cmp_gt_u32_e32 vcc, s10, v13
                                        ; implicit-def: $vgpr12
	s_and_saveexec_b64 s[10:11], vcc
	s_xor_b64 s[10:11], exec, s[10:11]
	s_cbranch_execz .LBB86_1559
; %bb.1554:
	s_mov_b32 s13, 0x3c7fffff
	v_cmp_lt_u32_e32 vcc, s13, v13
                                        ; implicit-def: $vgpr12
	s_and_saveexec_b64 s[18:19], vcc
	s_xor_b64 s[18:19], exec, s[18:19]
; %bb.1555:
	v_bfe_u32 v12, v11, 20, 1
	s_mov_b32 s13, 0x407ffff
	v_add3_u32 v12, v11, v12, s13
	v_lshrrev_b32_e32 v13, 20, v12
	v_and_b32_e32 v12, 0xff00000, v12
	s_mov_b32 s13, 0x7f00000
	v_mov_b32_e32 v14, 0x7e
	v_cmp_ne_u32_e32 vcc, s13, v12
	v_cndmask_b32_e32 v12, v14, v13, vcc
; %bb.1556:
	s_andn2_saveexec_b64 s[18:19], s[18:19]
; %bb.1557:
	s_mov_b32 s13, 0x46800000
	v_add_f32_e64 v12, |v11|, s13
; %bb.1558:
	s_or_b64 exec, exec, s[18:19]
                                        ; implicit-def: $vgpr13
.LBB86_1559:
	s_andn2_saveexec_b64 s[10:11], s[10:11]
; %bb.1560:
	s_mov_b32 s13, 0x7f800000
	v_mov_b32_e32 v12, 0x7e
	v_mov_b32_e32 v14, 0x7f
	v_cmp_lt_u32_e32 vcc, s13, v13
	v_cndmask_b32_e32 v12, v12, v14, vcc
; %bb.1561:
	s_or_b64 exec, exec, s[10:11]
	v_lshrrev_b32_e32 v11, 24, v11
	s_movk_i32 s10, 0x80
	v_and_or_b32 v11, v11, s10, v12
	global_store_byte v[8:9], v11, off
.LBB86_1562:
	s_mov_b64 s[10:11], 0
.LBB86_1563:
	s_andn2_b64 vcc, exec, s[10:11]
	s_cbranch_vccnz .LBB86_1573
; %bb.1564:
	v_xor_b32_e32 v12, v0, v1
	v_ffbh_i32_e32 v11, v1
	v_ashrrev_i32_e32 v12, 31, v12
	v_add_u32_e32 v11, -1, v11
	v_add_u32_e32 v12, 32, v12
	v_min_u32_e32 v13, v11, v12
	v_lshlrev_b64 v[11:12], v13, v[0:1]
	s_mov_b32 s10, 0x47800000
	v_min_u32_e32 v11, 1, v11
	v_or_b32_e32 v11, v12, v11
	v_cvt_f32_i32_e32 v11, v11
	v_sub_u32_e32 v12, 32, v13
	v_ldexp_f32 v11, v11, v12
	v_and_b32_e32 v13, 0x7fffffff, v11
	v_cmp_gt_u32_e32 vcc, s10, v13
                                        ; implicit-def: $vgpr12
	s_and_saveexec_b64 s[10:11], vcc
	s_xor_b64 s[10:11], exec, s[10:11]
	s_cbranch_execz .LBB86_1570
; %bb.1565:
	s_mov_b32 s13, 0x387fffff
	v_cmp_lt_u32_e32 vcc, s13, v13
                                        ; implicit-def: $vgpr12
	s_and_saveexec_b64 s[18:19], vcc
	s_xor_b64 s[18:19], exec, s[18:19]
; %bb.1566:
	v_bfe_u32 v12, v11, 21, 1
	s_mov_b32 s13, 0x80fffff
	v_add3_u32 v12, v11, v12, s13
	v_lshrrev_b32_e32 v12, 21, v12
; %bb.1567:
	s_andn2_saveexec_b64 s[18:19], s[18:19]
; %bb.1568:
	s_mov_b32 s13, 0x43000000
	v_add_f32_e64 v12, |v11|, s13
; %bb.1569:
	s_or_b64 exec, exec, s[18:19]
                                        ; implicit-def: $vgpr13
.LBB86_1570:
	s_andn2_saveexec_b64 s[10:11], s[10:11]
; %bb.1571:
	s_mov_b32 s13, 0x7f800000
	v_mov_b32_e32 v12, 0x7c
	v_mov_b32_e32 v14, 0x7f
	v_cmp_lt_u32_e32 vcc, s13, v13
	v_cndmask_b32_e32 v12, v12, v14, vcc
; %bb.1572:
	s_or_b64 exec, exec, s[10:11]
	v_lshrrev_b32_e32 v11, 24, v11
	s_movk_i32 s10, 0x80
	v_and_or_b32 v11, v11, s10, v12
	global_store_byte v[8:9], v11, off
.LBB86_1573:
	s_mov_b64 s[10:11], 0
	s_mov_b64 s[18:19], -1
.LBB86_1574:
	s_andn2_b64 vcc, exec, s[10:11]
	s_mov_b64 s[10:11], 0
	s_cbranch_vccnz .LBB86_1581
; %bb.1575:
	s_cmp_gt_i32 s3, 14
	s_mov_b64 s[20:21], -1
	s_cbranch_scc0 .LBB86_1579
; %bb.1576:
	s_cmp_eq_u32 s3, 15
	s_mov_b64 s[0:1], -1
	s_cbranch_scc0 .LBB86_1578
; %bb.1577:
	v_xor_b32_e32 v12, v0, v1
	v_ffbh_i32_e32 v11, v1
	v_ashrrev_i32_e32 v12, 31, v12
	v_add_u32_e32 v11, -1, v11
	v_add_u32_e32 v12, 32, v12
	v_min_u32_e32 v13, v11, v12
	v_lshlrev_b64 v[11:12], v13, v[0:1]
	s_movk_i32 s0, 0x7fff
	v_min_u32_e32 v11, 1, v11
	v_or_b32_e32 v11, v12, v11
	v_cvt_f32_i32_e32 v11, v11
	v_sub_u32_e32 v12, 32, v13
	s_mov_b64 s[18:19], -1
	v_ldexp_f32 v11, v11, v12
	v_bfe_u32 v12, v11, 16, 1
	v_add3_u32 v11, v11, v12, s0
	global_store_short_d16_hi v[8:9], v11, off
	s_mov_b64 s[0:1], 0
.LBB86_1578:
	s_mov_b64 s[20:21], 0
.LBB86_1579:
	s_and_b64 vcc, exec, s[20:21]
	s_cbranch_vccz .LBB86_1581
; %bb.1580:
	s_cmp_lg_u32 s3, 11
	s_mov_b64 s[10:11], -1
	s_cselect_b64 s[0:1], -1, 0
.LBB86_1581:
	s_and_b64 vcc, exec, s[0:1]
	s_cbranch_vccnz .LBB86_1989
; %bb.1582:
	s_andn2_b64 vcc, exec, s[10:11]
	s_cbranch_vccnz .LBB86_1584
.LBB86_1583:
	v_cmp_ne_u64_e32 vcc, 0, v[0:1]
	s_mov_b64 s[18:19], -1
	v_cndmask_b32_e64 v11, 0, 1, vcc
	global_store_byte v[8:9], v11, off
.LBB86_1584:
	s_mov_b64 s[0:1], 0
	s_branch .LBB86_1586
.LBB86_1585:
	s_mov_b64 s[0:1], -1
	s_mov_b64 s[18:19], 0
.LBB86_1586:
	s_and_b64 vcc, exec, s[0:1]
	s_cbranch_vccz .LBB86_1625
; %bb.1587:
	s_and_b32 s3, 0xffff, s24
	s_cmp_lt_i32 s3, 5
	s_mov_b64 s[0:1], -1
	s_cbranch_scc1 .LBB86_1608
; %bb.1588:
	s_cmp_lt_i32 s3, 8
	s_cbranch_scc1 .LBB86_1598
; %bb.1589:
	s_cmp_lt_i32 s3, 9
	s_cbranch_scc1 .LBB86_1595
; %bb.1590:
	s_cmp_gt_i32 s3, 9
	s_cbranch_scc0 .LBB86_1592
; %bb.1591:
	v_cvt_f64_i32_e32 v[11:12], v1
	v_cvt_f64_u32_e32 v[13:14], v0
	s_mov_b64 s[0:1], 0
	v_ldexp_f64 v[11:12], v[11:12], 32
	v_add_f64 v[11:12], v[11:12], v[13:14]
	v_mov_b32_e32 v13, 0
	v_mov_b32_e32 v14, v13
	global_store_dwordx4 v[8:9], v[11:14], off
.LBB86_1592:
	s_andn2_b64 vcc, exec, s[0:1]
	s_cbranch_vccnz .LBB86_1594
; %bb.1593:
	v_xor_b32_e32 v12, v0, v1
	v_ffbh_i32_e32 v11, v1
	v_ashrrev_i32_e32 v12, 31, v12
	v_add_u32_e32 v11, -1, v11
	v_add_u32_e32 v12, 32, v12
	v_min_u32_e32 v13, v11, v12
	v_lshlrev_b64 v[11:12], v13, v[0:1]
	v_min_u32_e32 v11, 1, v11
	v_or_b32_e32 v11, v12, v11
	v_cvt_f32_i32_e32 v11, v11
	v_sub_u32_e32 v12, 32, v13
	v_ldexp_f32 v11, v11, v12
	v_mov_b32_e32 v12, 0
	global_store_dwordx2 v[8:9], v[11:12], off
.LBB86_1594:
	s_mov_b64 s[0:1], 0
.LBB86_1595:
	s_andn2_b64 vcc, exec, s[0:1]
	s_cbranch_vccnz .LBB86_1597
; %bb.1596:
	v_xor_b32_e32 v12, v0, v1
	v_ffbh_i32_e32 v11, v1
	v_ashrrev_i32_e32 v12, 31, v12
	v_add_u32_e32 v11, -1, v11
	v_add_u32_e32 v12, 32, v12
	v_min_u32_e32 v13, v11, v12
	v_lshlrev_b64 v[11:12], v13, v[0:1]
	v_min_u32_e32 v11, 1, v11
	v_or_b32_e32 v11, v12, v11
	v_cvt_f32_i32_e32 v11, v11
	v_sub_u32_e32 v12, 32, v13
	v_ldexp_f32 v11, v11, v12
	v_cvt_f16_f32_e32 v11, v11
	global_store_dword v[8:9], v11, off
.LBB86_1597:
	s_mov_b64 s[0:1], 0
.LBB86_1598:
	s_andn2_b64 vcc, exec, s[0:1]
	s_cbranch_vccnz .LBB86_1607
; %bb.1599:
	s_cmp_lt_i32 s3, 6
	s_mov_b64 s[0:1], -1
	s_cbranch_scc1 .LBB86_1605
; %bb.1600:
	s_cmp_gt_i32 s3, 6
	s_cbranch_scc0 .LBB86_1602
; %bb.1601:
	v_cvt_f64_i32_e32 v[11:12], v1
	v_cvt_f64_u32_e32 v[13:14], v0
	s_mov_b64 s[0:1], 0
	v_ldexp_f64 v[11:12], v[11:12], 32
	v_add_f64 v[11:12], v[11:12], v[13:14]
	global_store_dwordx2 v[8:9], v[11:12], off
.LBB86_1602:
	s_andn2_b64 vcc, exec, s[0:1]
	s_cbranch_vccnz .LBB86_1604
; %bb.1603:
	v_xor_b32_e32 v12, v0, v1
	v_ffbh_i32_e32 v11, v1
	v_ashrrev_i32_e32 v12, 31, v12
	v_add_u32_e32 v11, -1, v11
	v_add_u32_e32 v12, 32, v12
	v_min_u32_e32 v13, v11, v12
	v_lshlrev_b64 v[11:12], v13, v[0:1]
	v_min_u32_e32 v11, 1, v11
	v_or_b32_e32 v11, v12, v11
	v_cvt_f32_i32_e32 v11, v11
	v_sub_u32_e32 v12, 32, v13
	v_ldexp_f32 v11, v11, v12
	global_store_dword v[8:9], v11, off
.LBB86_1604:
	s_mov_b64 s[0:1], 0
.LBB86_1605:
	s_andn2_b64 vcc, exec, s[0:1]
	s_cbranch_vccnz .LBB86_1607
; %bb.1606:
	v_xor_b32_e32 v12, v0, v1
	v_ffbh_i32_e32 v11, v1
	v_ashrrev_i32_e32 v12, 31, v12
	v_add_u32_e32 v11, -1, v11
	v_add_u32_e32 v12, 32, v12
	v_min_u32_e32 v13, v11, v12
	v_lshlrev_b64 v[11:12], v13, v[0:1]
	v_min_u32_e32 v11, 1, v11
	v_or_b32_e32 v11, v12, v11
	v_cvt_f32_i32_e32 v11, v11
	v_sub_u32_e32 v12, 32, v13
	v_ldexp_f32 v11, v11, v12
	v_cvt_f16_f32_e32 v11, v11
	global_store_short v[8:9], v11, off
.LBB86_1607:
	s_mov_b64 s[0:1], 0
.LBB86_1608:
	s_andn2_b64 vcc, exec, s[0:1]
	s_cbranch_vccnz .LBB86_1624
; %bb.1609:
	s_cmp_lt_i32 s3, 2
	s_mov_b64 s[0:1], -1
	s_cbranch_scc1 .LBB86_1619
; %bb.1610:
	s_cmp_lt_i32 s3, 3
	s_cbranch_scc1 .LBB86_1616
; %bb.1611:
	s_cmp_gt_i32 s3, 3
	s_cbranch_scc0 .LBB86_1613
; %bb.1612:
	global_store_dwordx2 v[8:9], v[0:1], off
	s_mov_b64 s[0:1], 0
.LBB86_1613:
	s_andn2_b64 vcc, exec, s[0:1]
	s_cbranch_vccnz .LBB86_1615
; %bb.1614:
	global_store_dword v[8:9], v0, off
.LBB86_1615:
	s_mov_b64 s[0:1], 0
.LBB86_1616:
	s_andn2_b64 vcc, exec, s[0:1]
	s_cbranch_vccnz .LBB86_1618
; %bb.1617:
	global_store_short v[8:9], v0, off
.LBB86_1618:
	s_mov_b64 s[0:1], 0
.LBB86_1619:
	s_andn2_b64 vcc, exec, s[0:1]
	s_cbranch_vccnz .LBB86_1624
; %bb.1620:
	s_cmp_gt_i32 s3, 0
	s_mov_b64 s[0:1], -1
	s_cbranch_scc0 .LBB86_1622
; %bb.1621:
	global_store_byte v[8:9], v0, off
	s_mov_b64 s[0:1], 0
.LBB86_1622:
	s_andn2_b64 vcc, exec, s[0:1]
	s_cbranch_vccnz .LBB86_1624
; %bb.1623:
	global_store_byte v[8:9], v0, off
.LBB86_1624:
	s_mov_b64 s[18:19], -1
.LBB86_1625:
	s_andn2_b64 vcc, exec, s[18:19]
	s_cbranch_vccnz .LBB86_1940
; %bb.1626:
	s_lshl_b32 s3, s12, 7
	v_lshlrev_b64 v[0:1], s2, v[2:3]
	v_add_u32_e32 v8, s3, v10
	v_ashrrev_i32_e32 v3, 31, v8
	v_mov_b32_e32 v9, s9
	v_add_co_u32_e32 v2, vcc, s8, v8
	v_cndmask_b32_e64 v1, v1, 0, s[4:5]
	v_cndmask_b32_e64 v0, v0, 0, s[4:5]
	s_cmp_lt_i32 s24, 11
	v_addc_co_u32_e32 v3, vcc, v9, v3, vcc
	s_cbranch_scc1 .LBB86_1704
; %bb.1627:
	s_and_b32 s22, 0xffff, s24
	s_mov_b64 s[18:19], -1
	s_mov_b64 s[10:11], 0
	s_cmp_gt_i32 s22, 25
	s_mov_b64 s[12:13], 0
	s_mov_b64 s[0:1], 0
	s_cbranch_scc0 .LBB86_1660
; %bb.1628:
	s_cmp_gt_i32 s22, 28
	s_cbranch_scc0 .LBB86_1643
; %bb.1629:
	s_cmp_gt_i32 s22, 43
	;; [unrolled: 3-line block ×3, first 2 shown]
	s_cbranch_scc0 .LBB86_1633
; %bb.1631:
	s_mov_b64 s[0:1], -1
	s_mov_b64 s[18:19], 0
	s_cmp_eq_u32 s22, 46
	s_cbranch_scc0 .LBB86_1633
; %bb.1632:
	v_xor_b32_e32 v10, v0, v1
	v_ffbh_i32_e32 v9, v1
	v_ashrrev_i32_e32 v10, 31, v10
	v_add_u32_e32 v9, -1, v9
	v_add_u32_e32 v10, 32, v10
	v_min_u32_e32 v11, v9, v10
	v_lshlrev_b64 v[9:10], v11, v[0:1]
	s_movk_i32 s0, 0x7fff
	v_min_u32_e32 v9, 1, v9
	v_or_b32_e32 v9, v10, v9
	v_cvt_f32_i32_e32 v9, v9
	v_sub_u32_e32 v10, 32, v11
	s_mov_b64 s[12:13], -1
	v_ldexp_f32 v9, v9, v10
	v_bfe_u32 v10, v9, 16, 1
	v_add3_u32 v9, v9, v10, s0
	v_lshrrev_b32_e32 v9, 16, v9
	global_store_dword v[2:3], v9, off
	s_mov_b64 s[0:1], 0
.LBB86_1633:
	s_and_b64 vcc, exec, s[18:19]
	s_cbranch_vccz .LBB86_1638
; %bb.1634:
	s_cmp_eq_u32 s22, 44
	s_mov_b64 s[0:1], -1
	s_cbranch_scc0 .LBB86_1638
; %bb.1635:
	v_xor_b32_e32 v10, v0, v1
	v_ffbh_i32_e32 v9, v1
	v_ashrrev_i32_e32 v10, 31, v10
	v_add_u32_e32 v9, -1, v9
	v_add_u32_e32 v10, 32, v10
	v_min_u32_e32 v11, v9, v10
	v_lshlrev_b64 v[9:10], v11, v[0:1]
	s_movk_i32 s0, 0xff
	v_min_u32_e32 v9, 1, v9
	v_or_b32_e32 v9, v10, v9
	v_cvt_f32_i32_e32 v9, v9
	v_sub_u32_e32 v10, 32, v11
	v_mov_b32_e32 v11, 0xff
	v_ldexp_f32 v9, v9, v10
	v_bfe_u32 v10, v9, 23, 8
	v_cmp_ne_u32_e32 vcc, s0, v10
	s_and_saveexec_b64 s[12:13], vcc
; %bb.1636:
	s_mov_b32 s0, 0x3fffff
	v_lshrrev_b32_e32 v11, 23, v9
	v_and_b32_e32 v12, 0x400000, v9
	v_and_or_b32 v9, v9, s0, v10
	v_cmp_ne_u32_e32 vcc, 0, v12
	v_cmp_ne_u32_e64 s[0:1], 0, v9
	s_and_b64 s[0:1], vcc, s[0:1]
	v_cndmask_b32_e64 v9, 0, 1, s[0:1]
	v_add_u32_e32 v11, v11, v9
; %bb.1637:
	s_or_b64 exec, exec, s[12:13]
	s_mov_b64 s[0:1], 0
	s_mov_b64 s[12:13], -1
	global_store_byte v[2:3], v11, off
.LBB86_1638:
	s_mov_b64 s[18:19], 0
.LBB86_1639:
	s_and_b64 vcc, exec, s[18:19]
	s_cbranch_vccz .LBB86_1642
; %bb.1640:
	s_cmp_eq_u32 s22, 29
	s_mov_b64 s[0:1], -1
	s_cbranch_scc0 .LBB86_1642
; %bb.1641:
	global_store_dwordx2 v[2:3], v[0:1], off
	s_mov_b64 s[0:1], 0
	s_mov_b64 s[12:13], -1
.LBB86_1642:
	s_mov_b64 s[18:19], 0
.LBB86_1643:
	s_and_b64 vcc, exec, s[18:19]
	s_cbranch_vccz .LBB86_1659
; %bb.1644:
	s_cmp_lt_i32 s22, 27
	s_mov_b64 s[12:13], -1
	s_cbranch_scc1 .LBB86_1650
; %bb.1645:
	s_cmp_gt_i32 s22, 27
	s_cbranch_scc0 .LBB86_1647
; %bb.1646:
	s_mov_b64 s[12:13], 0
	global_store_dword v[2:3], v0, off
.LBB86_1647:
	s_andn2_b64 vcc, exec, s[12:13]
	s_cbranch_vccnz .LBB86_1649
; %bb.1648:
	global_store_short v[2:3], v0, off
.LBB86_1649:
	s_mov_b64 s[12:13], 0
.LBB86_1650:
	s_andn2_b64 vcc, exec, s[12:13]
	s_cbranch_vccnz .LBB86_1658
; %bb.1651:
	v_xor_b32_e32 v10, v0, v1
	v_ffbh_i32_e32 v9, v1
	v_ashrrev_i32_e32 v10, 31, v10
	v_add_u32_e32 v9, -1, v9
	v_add_u32_e32 v10, 32, v10
	v_min_u32_e32 v11, v9, v10
	v_lshlrev_b64 v[9:10], v11, v[0:1]
	s_mov_b32 s12, 0x43800000
	v_min_u32_e32 v9, 1, v9
	v_or_b32_e32 v9, v10, v9
	v_cvt_f32_i32_e32 v9, v9
	v_sub_u32_e32 v10, 32, v11
	v_mov_b32_e32 v11, 0x80
	v_ldexp_f32 v9, v9, v10
	v_and_b32_e32 v10, 0x7fffffff, v9
	v_cmp_gt_u32_e32 vcc, s12, v10
	s_and_saveexec_b64 s[12:13], vcc
	s_cbranch_execz .LBB86_1657
; %bb.1652:
	s_mov_b32 s18, 0x3bffffff
	v_cmp_lt_u32_e32 vcc, s18, v10
	s_mov_b64 s[18:19], 0
                                        ; implicit-def: $vgpr10
	s_and_saveexec_b64 s[20:21], vcc
	s_xor_b64 s[20:21], exec, s[20:21]
	s_cbranch_execz .LBB86_1992
; %bb.1653:
	v_bfe_u32 v10, v9, 20, 1
	s_mov_b32 s23, 0x487ffff
	v_add3_u32 v10, v9, v10, s23
	s_mov_b64 s[18:19], exec
	v_lshrrev_b32_e32 v10, 20, v10
	s_andn2_saveexec_b64 s[20:21], s[20:21]
	s_cbranch_execnz .LBB86_1993
.LBB86_1654:
	s_or_b64 exec, exec, s[20:21]
	v_mov_b32_e32 v11, 0
	s_and_saveexec_b64 s[20:21], s[18:19]
.LBB86_1655:
	v_lshrrev_b32_e32 v9, 24, v9
	s_movk_i32 s18, 0x80
	v_and_or_b32 v11, v9, s18, v10
.LBB86_1656:
	s_or_b64 exec, exec, s[20:21]
.LBB86_1657:
	s_or_b64 exec, exec, s[12:13]
	global_store_byte v[2:3], v11, off
.LBB86_1658:
	s_mov_b64 s[12:13], -1
.LBB86_1659:
	s_mov_b64 s[18:19], 0
.LBB86_1660:
	s_and_b64 vcc, exec, s[18:19]
	s_cbranch_vccz .LBB86_1700
; %bb.1661:
	s_cmp_gt_i32 s22, 22
	s_mov_b64 s[10:11], -1
	s_cbranch_scc0 .LBB86_1693
; %bb.1662:
	s_cmp_lt_i32 s22, 24
	s_cbranch_scc1 .LBB86_1682
; %bb.1663:
	s_cmp_gt_i32 s22, 24
	s_cbranch_scc0 .LBB86_1671
; %bb.1664:
	v_xor_b32_e32 v10, v0, v1
	v_ffbh_i32_e32 v9, v1
	v_ashrrev_i32_e32 v10, 31, v10
	v_add_u32_e32 v9, -1, v9
	v_add_u32_e32 v10, 32, v10
	v_min_u32_e32 v11, v9, v10
	v_lshlrev_b64 v[9:10], v11, v[0:1]
	s_mov_b32 s10, 0x47800000
	v_min_u32_e32 v9, 1, v9
	v_or_b32_e32 v9, v10, v9
	v_cvt_f32_i32_e32 v9, v9
	v_sub_u32_e32 v10, 32, v11
	v_mov_b32_e32 v11, 0x80
	v_ldexp_f32 v9, v9, v10
	v_and_b32_e32 v10, 0x7fffffff, v9
	v_cmp_gt_u32_e32 vcc, s10, v10
	s_and_saveexec_b64 s[10:11], vcc
	s_cbranch_execz .LBB86_1670
; %bb.1665:
	s_mov_b32 s12, 0x37ffffff
	v_cmp_lt_u32_e32 vcc, s12, v10
	s_mov_b64 s[12:13], 0
                                        ; implicit-def: $vgpr10
	s_and_saveexec_b64 s[18:19], vcc
	s_xor_b64 s[18:19], exec, s[18:19]
	s_cbranch_execz .LBB86_1995
; %bb.1666:
	v_bfe_u32 v10, v9, 21, 1
	s_mov_b32 s20, 0x88fffff
	v_add3_u32 v10, v9, v10, s20
	s_mov_b64 s[12:13], exec
	v_lshrrev_b32_e32 v10, 21, v10
	s_andn2_saveexec_b64 s[18:19], s[18:19]
	s_cbranch_execnz .LBB86_1996
.LBB86_1667:
	s_or_b64 exec, exec, s[18:19]
	v_mov_b32_e32 v11, 0
	s_and_saveexec_b64 s[18:19], s[12:13]
.LBB86_1668:
	v_lshrrev_b32_e32 v9, 24, v9
	s_movk_i32 s12, 0x80
	v_and_or_b32 v11, v9, s12, v10
.LBB86_1669:
	s_or_b64 exec, exec, s[18:19]
.LBB86_1670:
	s_or_b64 exec, exec, s[10:11]
	s_mov_b64 s[10:11], 0
	global_store_byte v[2:3], v11, off
.LBB86_1671:
	s_and_b64 vcc, exec, s[10:11]
	s_cbranch_vccz .LBB86_1681
; %bb.1672:
	v_xor_b32_e32 v10, v0, v1
	v_ffbh_i32_e32 v9, v1
	v_ashrrev_i32_e32 v10, 31, v10
	v_add_u32_e32 v9, -1, v9
	v_add_u32_e32 v10, 32, v10
	v_min_u32_e32 v11, v9, v10
	v_lshlrev_b64 v[9:10], v11, v[0:1]
	s_mov_b32 s10, 0x43f00000
	v_min_u32_e32 v9, 1, v9
	v_or_b32_e32 v9, v10, v9
	v_cvt_f32_i32_e32 v9, v9
	v_sub_u32_e32 v10, 32, v11
	v_ldexp_f32 v9, v9, v10
	v_and_b32_e32 v11, 0x7fffffff, v9
	v_cmp_gt_u32_e32 vcc, s10, v11
                                        ; implicit-def: $vgpr10
	s_and_saveexec_b64 s[10:11], vcc
	s_xor_b64 s[10:11], exec, s[10:11]
	s_cbranch_execz .LBB86_1678
; %bb.1673:
	s_mov_b32 s12, 0x3c7fffff
	v_cmp_lt_u32_e32 vcc, s12, v11
                                        ; implicit-def: $vgpr10
	s_and_saveexec_b64 s[12:13], vcc
	s_xor_b64 s[12:13], exec, s[12:13]
; %bb.1674:
	v_bfe_u32 v10, v9, 20, 1
	s_mov_b32 s18, 0x407ffff
	v_add3_u32 v10, v9, v10, s18
	v_lshrrev_b32_e32 v11, 20, v10
	v_and_b32_e32 v10, 0xff00000, v10
	s_mov_b32 s18, 0x7f00000
	v_mov_b32_e32 v12, 0x7e
	v_cmp_ne_u32_e32 vcc, s18, v10
	v_cndmask_b32_e32 v10, v12, v11, vcc
; %bb.1675:
	s_andn2_saveexec_b64 s[12:13], s[12:13]
; %bb.1676:
	s_mov_b32 s18, 0x46800000
	v_add_f32_e64 v10, |v9|, s18
; %bb.1677:
	s_or_b64 exec, exec, s[12:13]
                                        ; implicit-def: $vgpr11
.LBB86_1678:
	s_andn2_saveexec_b64 s[10:11], s[10:11]
; %bb.1679:
	s_mov_b32 s12, 0x7f800000
	v_mov_b32_e32 v10, 0x7e
	v_mov_b32_e32 v12, 0x7f
	v_cmp_lt_u32_e32 vcc, s12, v11
	v_cndmask_b32_e32 v10, v10, v12, vcc
; %bb.1680:
	s_or_b64 exec, exec, s[10:11]
	v_lshrrev_b32_e32 v9, 24, v9
	s_movk_i32 s10, 0x80
	v_and_or_b32 v9, v9, s10, v10
	global_store_byte v[2:3], v9, off
.LBB86_1681:
	s_mov_b64 s[10:11], 0
.LBB86_1682:
	s_andn2_b64 vcc, exec, s[10:11]
	s_cbranch_vccnz .LBB86_1692
; %bb.1683:
	v_xor_b32_e32 v10, v0, v1
	v_ffbh_i32_e32 v9, v1
	v_ashrrev_i32_e32 v10, 31, v10
	v_add_u32_e32 v9, -1, v9
	v_add_u32_e32 v10, 32, v10
	v_min_u32_e32 v11, v9, v10
	v_lshlrev_b64 v[9:10], v11, v[0:1]
	s_mov_b32 s10, 0x47800000
	v_min_u32_e32 v9, 1, v9
	v_or_b32_e32 v9, v10, v9
	v_cvt_f32_i32_e32 v9, v9
	v_sub_u32_e32 v10, 32, v11
	v_ldexp_f32 v9, v9, v10
	v_and_b32_e32 v11, 0x7fffffff, v9
	v_cmp_gt_u32_e32 vcc, s10, v11
                                        ; implicit-def: $vgpr10
	s_and_saveexec_b64 s[10:11], vcc
	s_xor_b64 s[10:11], exec, s[10:11]
	s_cbranch_execz .LBB86_1689
; %bb.1684:
	s_mov_b32 s12, 0x387fffff
	v_cmp_lt_u32_e32 vcc, s12, v11
                                        ; implicit-def: $vgpr10
	s_and_saveexec_b64 s[12:13], vcc
	s_xor_b64 s[12:13], exec, s[12:13]
; %bb.1685:
	v_bfe_u32 v10, v9, 21, 1
	s_mov_b32 s18, 0x80fffff
	v_add3_u32 v10, v9, v10, s18
	v_lshrrev_b32_e32 v10, 21, v10
; %bb.1686:
	s_andn2_saveexec_b64 s[12:13], s[12:13]
; %bb.1687:
	s_mov_b32 s18, 0x43000000
	v_add_f32_e64 v10, |v9|, s18
; %bb.1688:
	s_or_b64 exec, exec, s[12:13]
                                        ; implicit-def: $vgpr11
.LBB86_1689:
	s_andn2_saveexec_b64 s[10:11], s[10:11]
; %bb.1690:
	s_mov_b32 s12, 0x7f800000
	v_mov_b32_e32 v10, 0x7c
	v_mov_b32_e32 v12, 0x7f
	v_cmp_lt_u32_e32 vcc, s12, v11
	v_cndmask_b32_e32 v10, v10, v12, vcc
; %bb.1691:
	s_or_b64 exec, exec, s[10:11]
	v_lshrrev_b32_e32 v9, 24, v9
	s_movk_i32 s10, 0x80
	v_and_or_b32 v9, v9, s10, v10
	global_store_byte v[2:3], v9, off
.LBB86_1692:
	s_mov_b64 s[10:11], 0
	s_mov_b64 s[12:13], -1
.LBB86_1693:
	s_andn2_b64 vcc, exec, s[10:11]
	s_mov_b64 s[10:11], 0
	s_cbranch_vccnz .LBB86_1700
; %bb.1694:
	s_cmp_gt_i32 s22, 14
	s_mov_b64 s[18:19], -1
	s_cbranch_scc0 .LBB86_1698
; %bb.1695:
	s_cmp_eq_u32 s22, 15
	s_mov_b64 s[0:1], -1
	s_cbranch_scc0 .LBB86_1697
; %bb.1696:
	v_xor_b32_e32 v10, v0, v1
	v_ffbh_i32_e32 v9, v1
	v_ashrrev_i32_e32 v10, 31, v10
	v_add_u32_e32 v9, -1, v9
	v_add_u32_e32 v10, 32, v10
	v_min_u32_e32 v11, v9, v10
	v_lshlrev_b64 v[9:10], v11, v[0:1]
	s_movk_i32 s0, 0x7fff
	v_min_u32_e32 v9, 1, v9
	v_or_b32_e32 v9, v10, v9
	v_cvt_f32_i32_e32 v9, v9
	v_sub_u32_e32 v10, 32, v11
	s_mov_b64 s[12:13], -1
	v_ldexp_f32 v9, v9, v10
	v_bfe_u32 v10, v9, 16, 1
	v_add3_u32 v9, v9, v10, s0
	global_store_short_d16_hi v[2:3], v9, off
	s_mov_b64 s[0:1], 0
.LBB86_1697:
	s_mov_b64 s[18:19], 0
.LBB86_1698:
	s_and_b64 vcc, exec, s[18:19]
	s_cbranch_vccz .LBB86_1700
; %bb.1699:
	s_cmp_lg_u32 s22, 11
	s_mov_b64 s[10:11], -1
	s_cselect_b64 s[0:1], -1, 0
.LBB86_1700:
	s_and_b64 vcc, exec, s[0:1]
	s_cbranch_vccnz .LBB86_1994
; %bb.1701:
	s_andn2_b64 vcc, exec, s[10:11]
	s_cbranch_vccnz .LBB86_1703
.LBB86_1702:
	v_cmp_ne_u64_e32 vcc, 0, v[0:1]
	s_mov_b64 s[12:13], -1
	v_cndmask_b32_e64 v9, 0, 1, vcc
	global_store_byte v[2:3], v9, off
.LBB86_1703:
	s_mov_b64 s[0:1], 0
	s_branch .LBB86_1705
.LBB86_1704:
	s_mov_b64 s[0:1], -1
	s_mov_b64 s[12:13], 0
.LBB86_1705:
	s_and_b64 vcc, exec, s[0:1]
	s_cbranch_vccz .LBB86_1744
; %bb.1706:
	s_and_b32 s10, 0xffff, s24
	s_cmp_lt_i32 s10, 5
	s_mov_b64 s[0:1], -1
	s_cbranch_scc1 .LBB86_1727
; %bb.1707:
	s_cmp_lt_i32 s10, 8
	s_cbranch_scc1 .LBB86_1717
; %bb.1708:
	s_cmp_lt_i32 s10, 9
	s_cbranch_scc1 .LBB86_1714
; %bb.1709:
	s_cmp_gt_i32 s10, 9
	s_cbranch_scc0 .LBB86_1711
; %bb.1710:
	v_cvt_f64_i32_e32 v[9:10], v1
	v_cvt_f64_u32_e32 v[11:12], v0
	s_mov_b64 s[0:1], 0
	v_ldexp_f64 v[9:10], v[9:10], 32
	v_add_f64 v[9:10], v[9:10], v[11:12]
	v_mov_b32_e32 v11, 0
	v_mov_b32_e32 v12, v11
	global_store_dwordx4 v[2:3], v[9:12], off
.LBB86_1711:
	s_andn2_b64 vcc, exec, s[0:1]
	s_cbranch_vccnz .LBB86_1713
; %bb.1712:
	v_xor_b32_e32 v10, v0, v1
	v_ffbh_i32_e32 v9, v1
	v_ashrrev_i32_e32 v10, 31, v10
	v_add_u32_e32 v9, -1, v9
	v_add_u32_e32 v10, 32, v10
	v_min_u32_e32 v11, v9, v10
	v_lshlrev_b64 v[9:10], v11, v[0:1]
	v_min_u32_e32 v9, 1, v9
	v_or_b32_e32 v9, v10, v9
	v_cvt_f32_i32_e32 v9, v9
	v_sub_u32_e32 v10, 32, v11
	v_ldexp_f32 v9, v9, v10
	v_mov_b32_e32 v10, 0
	global_store_dwordx2 v[2:3], v[9:10], off
.LBB86_1713:
	s_mov_b64 s[0:1], 0
.LBB86_1714:
	s_andn2_b64 vcc, exec, s[0:1]
	s_cbranch_vccnz .LBB86_1716
; %bb.1715:
	v_xor_b32_e32 v10, v0, v1
	v_ffbh_i32_e32 v9, v1
	v_ashrrev_i32_e32 v10, 31, v10
	v_add_u32_e32 v9, -1, v9
	v_add_u32_e32 v10, 32, v10
	v_min_u32_e32 v11, v9, v10
	v_lshlrev_b64 v[9:10], v11, v[0:1]
	v_min_u32_e32 v9, 1, v9
	v_or_b32_e32 v9, v10, v9
	v_cvt_f32_i32_e32 v9, v9
	v_sub_u32_e32 v10, 32, v11
	v_ldexp_f32 v9, v9, v10
	v_cvt_f16_f32_e32 v9, v9
	global_store_dword v[2:3], v9, off
.LBB86_1716:
	s_mov_b64 s[0:1], 0
.LBB86_1717:
	s_andn2_b64 vcc, exec, s[0:1]
	s_cbranch_vccnz .LBB86_1726
; %bb.1718:
	s_cmp_lt_i32 s10, 6
	s_mov_b64 s[0:1], -1
	s_cbranch_scc1 .LBB86_1724
; %bb.1719:
	s_cmp_gt_i32 s10, 6
	s_cbranch_scc0 .LBB86_1721
; %bb.1720:
	v_cvt_f64_i32_e32 v[9:10], v1
	v_cvt_f64_u32_e32 v[11:12], v0
	s_mov_b64 s[0:1], 0
	v_ldexp_f64 v[9:10], v[9:10], 32
	v_add_f64 v[9:10], v[9:10], v[11:12]
	global_store_dwordx2 v[2:3], v[9:10], off
.LBB86_1721:
	s_andn2_b64 vcc, exec, s[0:1]
	s_cbranch_vccnz .LBB86_1723
; %bb.1722:
	v_xor_b32_e32 v10, v0, v1
	v_ffbh_i32_e32 v9, v1
	v_ashrrev_i32_e32 v10, 31, v10
	v_add_u32_e32 v9, -1, v9
	v_add_u32_e32 v10, 32, v10
	v_min_u32_e32 v11, v9, v10
	v_lshlrev_b64 v[9:10], v11, v[0:1]
	v_min_u32_e32 v9, 1, v9
	v_or_b32_e32 v9, v10, v9
	v_cvt_f32_i32_e32 v9, v9
	v_sub_u32_e32 v10, 32, v11
	v_ldexp_f32 v9, v9, v10
	global_store_dword v[2:3], v9, off
.LBB86_1723:
	s_mov_b64 s[0:1], 0
.LBB86_1724:
	s_andn2_b64 vcc, exec, s[0:1]
	s_cbranch_vccnz .LBB86_1726
; %bb.1725:
	v_xor_b32_e32 v10, v0, v1
	v_ffbh_i32_e32 v9, v1
	v_ashrrev_i32_e32 v10, 31, v10
	v_add_u32_e32 v9, -1, v9
	v_add_u32_e32 v10, 32, v10
	v_min_u32_e32 v11, v9, v10
	v_lshlrev_b64 v[9:10], v11, v[0:1]
	v_min_u32_e32 v9, 1, v9
	v_or_b32_e32 v9, v10, v9
	v_cvt_f32_i32_e32 v9, v9
	v_sub_u32_e32 v10, 32, v11
	v_ldexp_f32 v9, v9, v10
	v_cvt_f16_f32_e32 v9, v9
	global_store_short v[2:3], v9, off
.LBB86_1726:
	s_mov_b64 s[0:1], 0
.LBB86_1727:
	s_andn2_b64 vcc, exec, s[0:1]
	s_cbranch_vccnz .LBB86_1743
; %bb.1728:
	s_cmp_lt_i32 s10, 2
	s_mov_b64 s[0:1], -1
	s_cbranch_scc1 .LBB86_1738
; %bb.1729:
	s_cmp_lt_i32 s10, 3
	s_cbranch_scc1 .LBB86_1735
; %bb.1730:
	s_cmp_gt_i32 s10, 3
	s_cbranch_scc0 .LBB86_1732
; %bb.1731:
	global_store_dwordx2 v[2:3], v[0:1], off
	s_mov_b64 s[0:1], 0
.LBB86_1732:
	s_andn2_b64 vcc, exec, s[0:1]
	s_cbranch_vccnz .LBB86_1734
; %bb.1733:
	global_store_dword v[2:3], v0, off
.LBB86_1734:
	s_mov_b64 s[0:1], 0
.LBB86_1735:
	s_andn2_b64 vcc, exec, s[0:1]
	s_cbranch_vccnz .LBB86_1737
; %bb.1736:
	global_store_short v[2:3], v0, off
.LBB86_1737:
	s_mov_b64 s[0:1], 0
.LBB86_1738:
	s_andn2_b64 vcc, exec, s[0:1]
	s_cbranch_vccnz .LBB86_1743
; %bb.1739:
	s_cmp_gt_i32 s10, 0
	s_mov_b64 s[0:1], -1
	s_cbranch_scc0 .LBB86_1741
; %bb.1740:
	global_store_byte v[2:3], v0, off
	s_mov_b64 s[0:1], 0
.LBB86_1741:
	s_andn2_b64 vcc, exec, s[0:1]
	s_cbranch_vccnz .LBB86_1743
; %bb.1742:
	global_store_byte v[2:3], v0, off
.LBB86_1743:
	s_mov_b64 s[12:13], -1
.LBB86_1744:
	s_andn2_b64 vcc, exec, s[12:13]
	s_cbranch_vccnz .LBB86_1940
; %bb.1745:
	v_lshlrev_b64 v[0:1], s2, v[4:5]
	v_add_u32_e32 v4, s3, v8
	v_ashrrev_i32_e32 v3, 31, v4
	v_mov_b32_e32 v5, s9
	v_add_co_u32_e32 v2, vcc, s8, v4
	v_cndmask_b32_e64 v1, v1, 0, s[4:5]
	v_cndmask_b32_e64 v0, v0, 0, s[4:5]
	s_cmp_lt_i32 s24, 11
	v_addc_co_u32_e32 v3, vcc, v5, v3, vcc
	s_cbranch_scc1 .LBB86_1823
; %bb.1746:
	s_and_b32 s22, 0xffff, s24
	s_mov_b64 s[18:19], -1
	s_mov_b64 s[10:11], 0
	s_cmp_gt_i32 s22, 25
	s_mov_b64 s[12:13], 0
	s_mov_b64 s[0:1], 0
	s_cbranch_scc0 .LBB86_1779
; %bb.1747:
	s_cmp_gt_i32 s22, 28
	s_cbranch_scc0 .LBB86_1762
; %bb.1748:
	s_cmp_gt_i32 s22, 43
	;; [unrolled: 3-line block ×3, first 2 shown]
	s_cbranch_scc0 .LBB86_1752
; %bb.1750:
	s_mov_b64 s[0:1], -1
	s_mov_b64 s[18:19], 0
	s_cmp_eq_u32 s22, 46
	s_cbranch_scc0 .LBB86_1752
; %bb.1751:
	v_xor_b32_e32 v8, v0, v1
	v_ffbh_i32_e32 v5, v1
	v_ashrrev_i32_e32 v8, 31, v8
	v_add_u32_e32 v5, -1, v5
	v_add_u32_e32 v8, 32, v8
	v_min_u32_e32 v5, v5, v8
	v_lshlrev_b64 v[8:9], v5, v[0:1]
	v_sub_u32_e32 v5, 32, v5
	v_min_u32_e32 v8, 1, v8
	v_or_b32_e32 v8, v9, v8
	v_cvt_f32_i32_e32 v8, v8
	s_movk_i32 s0, 0x7fff
	s_mov_b64 s[12:13], -1
	v_ldexp_f32 v5, v8, v5
	v_bfe_u32 v8, v5, 16, 1
	v_add3_u32 v5, v5, v8, s0
	v_lshrrev_b32_e32 v5, 16, v5
	global_store_dword v[2:3], v5, off
	s_mov_b64 s[0:1], 0
.LBB86_1752:
	s_and_b64 vcc, exec, s[18:19]
	s_cbranch_vccz .LBB86_1757
; %bb.1753:
	s_cmp_eq_u32 s22, 44
	s_mov_b64 s[0:1], -1
	s_cbranch_scc0 .LBB86_1757
; %bb.1754:
	v_xor_b32_e32 v8, v0, v1
	v_ffbh_i32_e32 v5, v1
	v_ashrrev_i32_e32 v8, 31, v8
	v_add_u32_e32 v5, -1, v5
	v_add_u32_e32 v8, 32, v8
	v_min_u32_e32 v5, v5, v8
	v_lshlrev_b64 v[8:9], v5, v[0:1]
	v_sub_u32_e32 v5, 32, v5
	v_min_u32_e32 v8, 1, v8
	v_or_b32_e32 v8, v9, v8
	v_cvt_f32_i32_e32 v8, v8
	s_movk_i32 s0, 0xff
	v_mov_b32_e32 v9, 0xff
	v_ldexp_f32 v5, v8, v5
	v_bfe_u32 v8, v5, 23, 8
	v_cmp_ne_u32_e32 vcc, s0, v8
	s_and_saveexec_b64 s[12:13], vcc
; %bb.1755:
	s_mov_b32 s0, 0x3fffff
	v_lshrrev_b32_e32 v9, 23, v5
	v_and_b32_e32 v10, 0x400000, v5
	v_and_or_b32 v5, v5, s0, v8
	v_cmp_ne_u32_e32 vcc, 0, v10
	v_cmp_ne_u32_e64 s[0:1], 0, v5
	s_and_b64 s[0:1], vcc, s[0:1]
	v_cndmask_b32_e64 v5, 0, 1, s[0:1]
	v_add_u32_e32 v9, v9, v5
; %bb.1756:
	s_or_b64 exec, exec, s[12:13]
	s_mov_b64 s[0:1], 0
	s_mov_b64 s[12:13], -1
	global_store_byte v[2:3], v9, off
.LBB86_1757:
	s_mov_b64 s[18:19], 0
.LBB86_1758:
	s_and_b64 vcc, exec, s[18:19]
	s_cbranch_vccz .LBB86_1761
; %bb.1759:
	s_cmp_eq_u32 s22, 29
	s_mov_b64 s[0:1], -1
	s_cbranch_scc0 .LBB86_1761
; %bb.1760:
	global_store_dwordx2 v[2:3], v[0:1], off
	s_mov_b64 s[0:1], 0
	s_mov_b64 s[12:13], -1
.LBB86_1761:
	s_mov_b64 s[18:19], 0
.LBB86_1762:
	s_and_b64 vcc, exec, s[18:19]
	s_cbranch_vccz .LBB86_1778
; %bb.1763:
	s_cmp_lt_i32 s22, 27
	s_mov_b64 s[12:13], -1
	s_cbranch_scc1 .LBB86_1769
; %bb.1764:
	s_cmp_gt_i32 s22, 27
	s_cbranch_scc0 .LBB86_1766
; %bb.1765:
	s_mov_b64 s[12:13], 0
	global_store_dword v[2:3], v0, off
.LBB86_1766:
	s_andn2_b64 vcc, exec, s[12:13]
	s_cbranch_vccnz .LBB86_1768
; %bb.1767:
	global_store_short v[2:3], v0, off
.LBB86_1768:
	s_mov_b64 s[12:13], 0
.LBB86_1769:
	s_andn2_b64 vcc, exec, s[12:13]
	s_cbranch_vccnz .LBB86_1777
; %bb.1770:
	v_xor_b32_e32 v8, v0, v1
	v_ffbh_i32_e32 v5, v1
	v_ashrrev_i32_e32 v8, 31, v8
	v_add_u32_e32 v5, -1, v5
	v_add_u32_e32 v8, 32, v8
	v_min_u32_e32 v5, v5, v8
	v_lshlrev_b64 v[8:9], v5, v[0:1]
	v_sub_u32_e32 v5, 32, v5
	v_min_u32_e32 v8, 1, v8
	v_or_b32_e32 v8, v9, v8
	v_cvt_f32_i32_e32 v8, v8
	s_mov_b32 s12, 0x43800000
	v_mov_b32_e32 v9, 0x80
	v_ldexp_f32 v5, v8, v5
	v_and_b32_e32 v8, 0x7fffffff, v5
	v_cmp_gt_u32_e32 vcc, s12, v8
	s_and_saveexec_b64 s[12:13], vcc
	s_cbranch_execz .LBB86_1776
; %bb.1771:
	s_mov_b32 s18, 0x3bffffff
	v_cmp_lt_u32_e32 vcc, s18, v8
	s_mov_b64 s[18:19], 0
                                        ; implicit-def: $vgpr8
	s_and_saveexec_b64 s[20:21], vcc
	s_xor_b64 s[20:21], exec, s[20:21]
	s_cbranch_execz .LBB86_1997
; %bb.1772:
	v_bfe_u32 v8, v5, 20, 1
	s_mov_b32 s23, 0x487ffff
	v_add3_u32 v8, v5, v8, s23
	s_mov_b64 s[18:19], exec
	v_lshrrev_b32_e32 v8, 20, v8
	s_andn2_saveexec_b64 s[20:21], s[20:21]
	s_cbranch_execnz .LBB86_1998
.LBB86_1773:
	s_or_b64 exec, exec, s[20:21]
	v_mov_b32_e32 v9, 0
	s_and_saveexec_b64 s[20:21], s[18:19]
.LBB86_1774:
	v_lshrrev_b32_e32 v5, 24, v5
	s_movk_i32 s18, 0x80
	v_and_or_b32 v9, v5, s18, v8
.LBB86_1775:
	s_or_b64 exec, exec, s[20:21]
.LBB86_1776:
	s_or_b64 exec, exec, s[12:13]
	global_store_byte v[2:3], v9, off
.LBB86_1777:
	s_mov_b64 s[12:13], -1
.LBB86_1778:
	s_mov_b64 s[18:19], 0
.LBB86_1779:
	s_and_b64 vcc, exec, s[18:19]
	s_cbranch_vccz .LBB86_1819
; %bb.1780:
	s_cmp_gt_i32 s22, 22
	s_mov_b64 s[10:11], -1
	s_cbranch_scc0 .LBB86_1812
; %bb.1781:
	s_cmp_lt_i32 s22, 24
	s_cbranch_scc1 .LBB86_1801
; %bb.1782:
	s_cmp_gt_i32 s22, 24
	s_cbranch_scc0 .LBB86_1790
; %bb.1783:
	v_xor_b32_e32 v8, v0, v1
	v_ffbh_i32_e32 v5, v1
	v_ashrrev_i32_e32 v8, 31, v8
	v_add_u32_e32 v5, -1, v5
	v_add_u32_e32 v8, 32, v8
	v_min_u32_e32 v5, v5, v8
	v_lshlrev_b64 v[8:9], v5, v[0:1]
	v_sub_u32_e32 v5, 32, v5
	v_min_u32_e32 v8, 1, v8
	v_or_b32_e32 v8, v9, v8
	v_cvt_f32_i32_e32 v8, v8
	s_mov_b32 s10, 0x47800000
	v_mov_b32_e32 v9, 0x80
	v_ldexp_f32 v5, v8, v5
	v_and_b32_e32 v8, 0x7fffffff, v5
	v_cmp_gt_u32_e32 vcc, s10, v8
	s_and_saveexec_b64 s[10:11], vcc
	s_cbranch_execz .LBB86_1789
; %bb.1784:
	s_mov_b32 s12, 0x37ffffff
	v_cmp_lt_u32_e32 vcc, s12, v8
	s_mov_b64 s[12:13], 0
                                        ; implicit-def: $vgpr8
	s_and_saveexec_b64 s[18:19], vcc
	s_xor_b64 s[18:19], exec, s[18:19]
	s_cbranch_execz .LBB86_2000
; %bb.1785:
	v_bfe_u32 v8, v5, 21, 1
	s_mov_b32 s20, 0x88fffff
	v_add3_u32 v8, v5, v8, s20
	s_mov_b64 s[12:13], exec
	v_lshrrev_b32_e32 v8, 21, v8
	s_andn2_saveexec_b64 s[18:19], s[18:19]
	s_cbranch_execnz .LBB86_2001
.LBB86_1786:
	s_or_b64 exec, exec, s[18:19]
	v_mov_b32_e32 v9, 0
	s_and_saveexec_b64 s[18:19], s[12:13]
.LBB86_1787:
	v_lshrrev_b32_e32 v5, 24, v5
	s_movk_i32 s12, 0x80
	v_and_or_b32 v9, v5, s12, v8
.LBB86_1788:
	s_or_b64 exec, exec, s[18:19]
.LBB86_1789:
	s_or_b64 exec, exec, s[10:11]
	s_mov_b64 s[10:11], 0
	global_store_byte v[2:3], v9, off
.LBB86_1790:
	s_and_b64 vcc, exec, s[10:11]
	s_cbranch_vccz .LBB86_1800
; %bb.1791:
	v_xor_b32_e32 v8, v0, v1
	v_ffbh_i32_e32 v5, v1
	v_ashrrev_i32_e32 v8, 31, v8
	v_add_u32_e32 v5, -1, v5
	v_add_u32_e32 v8, 32, v8
	v_min_u32_e32 v5, v5, v8
	v_lshlrev_b64 v[8:9], v5, v[0:1]
	v_sub_u32_e32 v5, 32, v5
	v_min_u32_e32 v8, 1, v8
	v_or_b32_e32 v8, v9, v8
	v_cvt_f32_i32_e32 v8, v8
	s_mov_b32 s10, 0x43f00000
	v_ldexp_f32 v5, v8, v5
	v_and_b32_e32 v9, 0x7fffffff, v5
	v_cmp_gt_u32_e32 vcc, s10, v9
                                        ; implicit-def: $vgpr8
	s_and_saveexec_b64 s[10:11], vcc
	s_xor_b64 s[10:11], exec, s[10:11]
	s_cbranch_execz .LBB86_1797
; %bb.1792:
	s_mov_b32 s12, 0x3c7fffff
	v_cmp_lt_u32_e32 vcc, s12, v9
                                        ; implicit-def: $vgpr8
	s_and_saveexec_b64 s[12:13], vcc
	s_xor_b64 s[12:13], exec, s[12:13]
; %bb.1793:
	v_bfe_u32 v8, v5, 20, 1
	s_mov_b32 s18, 0x407ffff
	v_add3_u32 v8, v5, v8, s18
	v_lshrrev_b32_e32 v9, 20, v8
	v_and_b32_e32 v8, 0xff00000, v8
	s_mov_b32 s18, 0x7f00000
	v_mov_b32_e32 v10, 0x7e
	v_cmp_ne_u32_e32 vcc, s18, v8
	v_cndmask_b32_e32 v8, v10, v9, vcc
; %bb.1794:
	s_andn2_saveexec_b64 s[12:13], s[12:13]
; %bb.1795:
	s_mov_b32 s18, 0x46800000
	v_add_f32_e64 v8, |v5|, s18
; %bb.1796:
	s_or_b64 exec, exec, s[12:13]
                                        ; implicit-def: $vgpr9
.LBB86_1797:
	s_andn2_saveexec_b64 s[10:11], s[10:11]
; %bb.1798:
	s_mov_b32 s12, 0x7f800000
	v_mov_b32_e32 v8, 0x7e
	v_mov_b32_e32 v10, 0x7f
	v_cmp_lt_u32_e32 vcc, s12, v9
	v_cndmask_b32_e32 v8, v8, v10, vcc
; %bb.1799:
	s_or_b64 exec, exec, s[10:11]
	v_lshrrev_b32_e32 v5, 24, v5
	s_movk_i32 s10, 0x80
	v_and_or_b32 v5, v5, s10, v8
	global_store_byte v[2:3], v5, off
.LBB86_1800:
	s_mov_b64 s[10:11], 0
.LBB86_1801:
	s_andn2_b64 vcc, exec, s[10:11]
	s_cbranch_vccnz .LBB86_1811
; %bb.1802:
	v_xor_b32_e32 v8, v0, v1
	v_ffbh_i32_e32 v5, v1
	v_ashrrev_i32_e32 v8, 31, v8
	v_add_u32_e32 v5, -1, v5
	v_add_u32_e32 v8, 32, v8
	v_min_u32_e32 v5, v5, v8
	v_lshlrev_b64 v[8:9], v5, v[0:1]
	v_sub_u32_e32 v5, 32, v5
	v_min_u32_e32 v8, 1, v8
	v_or_b32_e32 v8, v9, v8
	v_cvt_f32_i32_e32 v8, v8
	s_mov_b32 s10, 0x47800000
	v_ldexp_f32 v5, v8, v5
	v_and_b32_e32 v9, 0x7fffffff, v5
	v_cmp_gt_u32_e32 vcc, s10, v9
                                        ; implicit-def: $vgpr8
	s_and_saveexec_b64 s[10:11], vcc
	s_xor_b64 s[10:11], exec, s[10:11]
	s_cbranch_execz .LBB86_1808
; %bb.1803:
	s_mov_b32 s12, 0x387fffff
	v_cmp_lt_u32_e32 vcc, s12, v9
                                        ; implicit-def: $vgpr8
	s_and_saveexec_b64 s[12:13], vcc
	s_xor_b64 s[12:13], exec, s[12:13]
; %bb.1804:
	v_bfe_u32 v8, v5, 21, 1
	s_mov_b32 s18, 0x80fffff
	v_add3_u32 v8, v5, v8, s18
	v_lshrrev_b32_e32 v8, 21, v8
; %bb.1805:
	s_andn2_saveexec_b64 s[12:13], s[12:13]
; %bb.1806:
	s_mov_b32 s18, 0x43000000
	v_add_f32_e64 v8, |v5|, s18
; %bb.1807:
	s_or_b64 exec, exec, s[12:13]
                                        ; implicit-def: $vgpr9
.LBB86_1808:
	s_andn2_saveexec_b64 s[10:11], s[10:11]
; %bb.1809:
	s_mov_b32 s12, 0x7f800000
	v_mov_b32_e32 v8, 0x7c
	v_mov_b32_e32 v10, 0x7f
	v_cmp_lt_u32_e32 vcc, s12, v9
	v_cndmask_b32_e32 v8, v8, v10, vcc
; %bb.1810:
	s_or_b64 exec, exec, s[10:11]
	v_lshrrev_b32_e32 v5, 24, v5
	s_movk_i32 s10, 0x80
	v_and_or_b32 v5, v5, s10, v8
	global_store_byte v[2:3], v5, off
.LBB86_1811:
	s_mov_b64 s[10:11], 0
	s_mov_b64 s[12:13], -1
.LBB86_1812:
	s_andn2_b64 vcc, exec, s[10:11]
	s_mov_b64 s[10:11], 0
	s_cbranch_vccnz .LBB86_1819
; %bb.1813:
	s_cmp_gt_i32 s22, 14
	s_mov_b64 s[18:19], -1
	s_cbranch_scc0 .LBB86_1817
; %bb.1814:
	s_cmp_eq_u32 s22, 15
	s_mov_b64 s[0:1], -1
	s_cbranch_scc0 .LBB86_1816
; %bb.1815:
	v_xor_b32_e32 v8, v0, v1
	v_ffbh_i32_e32 v5, v1
	v_ashrrev_i32_e32 v8, 31, v8
	v_add_u32_e32 v5, -1, v5
	v_add_u32_e32 v8, 32, v8
	v_min_u32_e32 v5, v5, v8
	v_lshlrev_b64 v[8:9], v5, v[0:1]
	v_sub_u32_e32 v5, 32, v5
	v_min_u32_e32 v8, 1, v8
	v_or_b32_e32 v8, v9, v8
	v_cvt_f32_i32_e32 v8, v8
	s_movk_i32 s0, 0x7fff
	s_mov_b64 s[12:13], -1
	v_ldexp_f32 v5, v8, v5
	v_bfe_u32 v8, v5, 16, 1
	v_add3_u32 v5, v5, v8, s0
	global_store_short_d16_hi v[2:3], v5, off
	s_mov_b64 s[0:1], 0
.LBB86_1816:
	s_mov_b64 s[18:19], 0
.LBB86_1817:
	s_and_b64 vcc, exec, s[18:19]
	s_cbranch_vccz .LBB86_1819
; %bb.1818:
	s_cmp_lg_u32 s22, 11
	s_mov_b64 s[10:11], -1
	s_cselect_b64 s[0:1], -1, 0
.LBB86_1819:
	s_and_b64 vcc, exec, s[0:1]
	s_cbranch_vccnz .LBB86_1999
; %bb.1820:
	s_andn2_b64 vcc, exec, s[10:11]
	s_cbranch_vccnz .LBB86_1822
.LBB86_1821:
	v_cmp_ne_u64_e32 vcc, 0, v[0:1]
	s_mov_b64 s[12:13], -1
	v_cndmask_b32_e64 v5, 0, 1, vcc
	global_store_byte v[2:3], v5, off
.LBB86_1822:
	s_mov_b64 s[0:1], 0
	s_branch .LBB86_1824
.LBB86_1823:
	s_mov_b64 s[0:1], -1
	s_mov_b64 s[12:13], 0
.LBB86_1824:
	s_and_b64 vcc, exec, s[0:1]
	s_cbranch_vccz .LBB86_1863
; %bb.1825:
	s_and_b32 s10, 0xffff, s24
	s_cmp_lt_i32 s10, 5
	s_mov_b64 s[0:1], -1
	s_cbranch_scc1 .LBB86_1846
; %bb.1826:
	s_cmp_lt_i32 s10, 8
	s_cbranch_scc1 .LBB86_1836
; %bb.1827:
	s_cmp_lt_i32 s10, 9
	s_cbranch_scc1 .LBB86_1833
; %bb.1828:
	s_cmp_gt_i32 s10, 9
	s_cbranch_scc0 .LBB86_1830
; %bb.1829:
	v_cvt_f64_i32_e32 v[8:9], v1
	v_cvt_f64_u32_e32 v[10:11], v0
	s_mov_b64 s[0:1], 0
	v_ldexp_f64 v[8:9], v[8:9], 32
	v_add_f64 v[8:9], v[8:9], v[10:11]
	v_mov_b32_e32 v10, 0
	v_mov_b32_e32 v11, v10
	global_store_dwordx4 v[2:3], v[8:11], off
.LBB86_1830:
	s_andn2_b64 vcc, exec, s[0:1]
	s_cbranch_vccnz .LBB86_1832
; %bb.1831:
	v_xor_b32_e32 v8, v0, v1
	v_ffbh_i32_e32 v5, v1
	v_ashrrev_i32_e32 v8, 31, v8
	v_add_u32_e32 v5, -1, v5
	v_add_u32_e32 v8, 32, v8
	v_min_u32_e32 v5, v5, v8
	v_lshlrev_b64 v[8:9], v5, v[0:1]
	v_sub_u32_e32 v5, 32, v5
	v_min_u32_e32 v8, 1, v8
	v_or_b32_e32 v8, v9, v8
	v_cvt_f32_i32_e32 v8, v8
	v_mov_b32_e32 v9, 0
	v_ldexp_f32 v8, v8, v5
	global_store_dwordx2 v[2:3], v[8:9], off
.LBB86_1832:
	s_mov_b64 s[0:1], 0
.LBB86_1833:
	s_andn2_b64 vcc, exec, s[0:1]
	s_cbranch_vccnz .LBB86_1835
; %bb.1834:
	v_xor_b32_e32 v8, v0, v1
	v_ffbh_i32_e32 v5, v1
	v_ashrrev_i32_e32 v8, 31, v8
	v_add_u32_e32 v5, -1, v5
	v_add_u32_e32 v8, 32, v8
	v_min_u32_e32 v5, v5, v8
	v_lshlrev_b64 v[8:9], v5, v[0:1]
	v_sub_u32_e32 v5, 32, v5
	v_min_u32_e32 v8, 1, v8
	v_or_b32_e32 v8, v9, v8
	v_cvt_f32_i32_e32 v8, v8
	v_ldexp_f32 v5, v8, v5
	v_cvt_f16_f32_e32 v5, v5
	global_store_dword v[2:3], v5, off
.LBB86_1835:
	s_mov_b64 s[0:1], 0
.LBB86_1836:
	s_andn2_b64 vcc, exec, s[0:1]
	s_cbranch_vccnz .LBB86_1845
; %bb.1837:
	s_cmp_lt_i32 s10, 6
	s_mov_b64 s[0:1], -1
	s_cbranch_scc1 .LBB86_1843
; %bb.1838:
	s_cmp_gt_i32 s10, 6
	s_cbranch_scc0 .LBB86_1840
; %bb.1839:
	v_cvt_f64_i32_e32 v[8:9], v1
	v_cvt_f64_u32_e32 v[10:11], v0
	s_mov_b64 s[0:1], 0
	v_ldexp_f64 v[8:9], v[8:9], 32
	v_add_f64 v[8:9], v[8:9], v[10:11]
	global_store_dwordx2 v[2:3], v[8:9], off
.LBB86_1840:
	s_andn2_b64 vcc, exec, s[0:1]
	s_cbranch_vccnz .LBB86_1842
; %bb.1841:
	v_xor_b32_e32 v8, v0, v1
	v_ffbh_i32_e32 v5, v1
	v_ashrrev_i32_e32 v8, 31, v8
	v_add_u32_e32 v5, -1, v5
	v_add_u32_e32 v8, 32, v8
	v_min_u32_e32 v5, v5, v8
	v_lshlrev_b64 v[8:9], v5, v[0:1]
	v_sub_u32_e32 v5, 32, v5
	v_min_u32_e32 v8, 1, v8
	v_or_b32_e32 v8, v9, v8
	v_cvt_f32_i32_e32 v8, v8
	v_ldexp_f32 v5, v8, v5
	global_store_dword v[2:3], v5, off
.LBB86_1842:
	s_mov_b64 s[0:1], 0
.LBB86_1843:
	s_andn2_b64 vcc, exec, s[0:1]
	s_cbranch_vccnz .LBB86_1845
; %bb.1844:
	v_xor_b32_e32 v8, v0, v1
	v_ffbh_i32_e32 v5, v1
	v_ashrrev_i32_e32 v8, 31, v8
	v_add_u32_e32 v5, -1, v5
	v_add_u32_e32 v8, 32, v8
	v_min_u32_e32 v5, v5, v8
	v_lshlrev_b64 v[8:9], v5, v[0:1]
	v_sub_u32_e32 v5, 32, v5
	v_min_u32_e32 v8, 1, v8
	v_or_b32_e32 v8, v9, v8
	v_cvt_f32_i32_e32 v8, v8
	v_ldexp_f32 v5, v8, v5
	v_cvt_f16_f32_e32 v5, v5
	global_store_short v[2:3], v5, off
.LBB86_1845:
	s_mov_b64 s[0:1], 0
.LBB86_1846:
	s_andn2_b64 vcc, exec, s[0:1]
	s_cbranch_vccnz .LBB86_1862
; %bb.1847:
	s_cmp_lt_i32 s10, 2
	s_mov_b64 s[0:1], -1
	s_cbranch_scc1 .LBB86_1857
; %bb.1848:
	s_cmp_lt_i32 s10, 3
	s_cbranch_scc1 .LBB86_1854
; %bb.1849:
	s_cmp_gt_i32 s10, 3
	s_cbranch_scc0 .LBB86_1851
; %bb.1850:
	global_store_dwordx2 v[2:3], v[0:1], off
	s_mov_b64 s[0:1], 0
.LBB86_1851:
	s_andn2_b64 vcc, exec, s[0:1]
	s_cbranch_vccnz .LBB86_1853
; %bb.1852:
	global_store_dword v[2:3], v0, off
.LBB86_1853:
	s_mov_b64 s[0:1], 0
.LBB86_1854:
	s_andn2_b64 vcc, exec, s[0:1]
	s_cbranch_vccnz .LBB86_1856
; %bb.1855:
	global_store_short v[2:3], v0, off
.LBB86_1856:
	s_mov_b64 s[0:1], 0
.LBB86_1857:
	s_andn2_b64 vcc, exec, s[0:1]
	s_cbranch_vccnz .LBB86_1862
; %bb.1858:
	s_cmp_gt_i32 s10, 0
	s_mov_b64 s[0:1], -1
	s_cbranch_scc0 .LBB86_1860
; %bb.1859:
	global_store_byte v[2:3], v0, off
	s_mov_b64 s[0:1], 0
.LBB86_1860:
	s_andn2_b64 vcc, exec, s[0:1]
	s_cbranch_vccnz .LBB86_1862
; %bb.1861:
	global_store_byte v[2:3], v0, off
.LBB86_1862:
	s_mov_b64 s[12:13], -1
.LBB86_1863:
	s_andn2_b64 vcc, exec, s[12:13]
	s_cbranch_vccnz .LBB86_1940
; %bb.1864:
	v_lshlrev_b64 v[0:1], s2, v[6:7]
	v_add_u32_e32 v2, s3, v4
	v_ashrrev_i32_e32 v3, 31, v2
	v_mov_b32_e32 v4, s9
	v_add_co_u32_e32 v2, vcc, s8, v2
	v_cndmask_b32_e64 v1, v1, 0, s[4:5]
	v_cndmask_b32_e64 v0, v0, 0, s[4:5]
	s_cmp_lt_i32 s24, 11
	v_addc_co_u32_e32 v3, vcc, v4, v3, vcc
	s_cbranch_scc1 .LBB86_1985
; %bb.1865:
	s_and_b32 s12, 0xffff, s24
	s_mov_b64 s[4:5], -1
	s_mov_b64 s[2:3], 0
	s_cmp_gt_i32 s12, 25
	s_mov_b64 s[0:1], 0
	s_cbranch_scc0 .LBB86_1898
; %bb.1866:
	s_cmp_gt_i32 s12, 28
	s_cbranch_scc0 .LBB86_1882
; %bb.1867:
	s_cmp_gt_i32 s12, 43
	;; [unrolled: 3-line block ×3, first 2 shown]
	s_cbranch_scc0 .LBB86_1872
; %bb.1869:
	s_cmp_eq_u32 s12, 46
	s_mov_b64 s[0:1], -1
	s_cbranch_scc0 .LBB86_1871
; %bb.1870:
	v_xor_b32_e32 v5, v0, v1
	v_ffbh_i32_e32 v4, v1
	v_ashrrev_i32_e32 v5, 31, v5
	v_add_u32_e32 v4, -1, v4
	v_add_u32_e32 v5, 32, v5
	v_min_u32_e32 v6, v4, v5
	v_lshlrev_b64 v[4:5], v6, v[0:1]
	s_movk_i32 s0, 0x7fff
	v_min_u32_e32 v4, 1, v4
	v_or_b32_e32 v4, v5, v4
	v_cvt_f32_i32_e32 v4, v4
	v_sub_u32_e32 v5, 32, v6
	v_ldexp_f32 v4, v4, v5
	v_bfe_u32 v5, v4, 16, 1
	v_add3_u32 v4, v4, v5, s0
	v_lshrrev_b32_e32 v4, 16, v4
	global_store_dword v[2:3], v4, off
	s_mov_b64 s[0:1], 0
.LBB86_1871:
	s_mov_b64 s[4:5], 0
.LBB86_1872:
	s_and_b64 vcc, exec, s[4:5]
	s_cbranch_vccz .LBB86_1877
; %bb.1873:
	s_cmp_eq_u32 s12, 44
	s_mov_b64 s[0:1], -1
	s_cbranch_scc0 .LBB86_1877
; %bb.1874:
	v_xor_b32_e32 v5, v0, v1
	v_ffbh_i32_e32 v4, v1
	v_ashrrev_i32_e32 v5, 31, v5
	v_add_u32_e32 v4, -1, v4
	v_add_u32_e32 v5, 32, v5
	v_min_u32_e32 v6, v4, v5
	v_lshlrev_b64 v[4:5], v6, v[0:1]
	s_movk_i32 s0, 0xff
	v_min_u32_e32 v4, 1, v4
	v_or_b32_e32 v4, v5, v4
	v_cvt_f32_i32_e32 v4, v4
	v_sub_u32_e32 v5, 32, v6
	v_mov_b32_e32 v6, 0xff
	v_ldexp_f32 v4, v4, v5
	v_bfe_u32 v5, v4, 23, 8
	v_cmp_ne_u32_e32 vcc, s0, v5
	s_and_saveexec_b64 s[4:5], vcc
; %bb.1875:
	s_mov_b32 s0, 0x3fffff
	v_lshrrev_b32_e32 v6, 23, v4
	v_and_b32_e32 v7, 0x400000, v4
	v_and_or_b32 v4, v4, s0, v5
	v_cmp_ne_u32_e32 vcc, 0, v7
	v_cmp_ne_u32_e64 s[0:1], 0, v4
	s_and_b64 s[0:1], vcc, s[0:1]
	v_cndmask_b32_e64 v4, 0, 1, s[0:1]
	v_add_u32_e32 v6, v6, v4
; %bb.1876:
	s_or_b64 exec, exec, s[4:5]
	s_mov_b64 s[0:1], 0
	global_store_byte v[2:3], v6, off
.LBB86_1877:
	s_mov_b64 s[4:5], 0
.LBB86_1878:
	s_and_b64 vcc, exec, s[4:5]
	s_cbranch_vccz .LBB86_1881
; %bb.1879:
	s_cmp_eq_u32 s12, 29
	s_mov_b64 s[0:1], -1
	s_cbranch_scc0 .LBB86_1881
; %bb.1880:
	global_store_dwordx2 v[2:3], v[0:1], off
	s_mov_b64 s[0:1], 0
.LBB86_1881:
	s_mov_b64 s[4:5], 0
.LBB86_1882:
	s_and_b64 vcc, exec, s[4:5]
	s_cbranch_vccz .LBB86_1897
; %bb.1883:
	s_cmp_lt_i32 s12, 27
	s_mov_b64 s[4:5], -1
	s_cbranch_scc1 .LBB86_1889
; %bb.1884:
	s_cmp_gt_i32 s12, 27
	s_cbranch_scc0 .LBB86_1886
; %bb.1885:
	global_store_dword v[2:3], v0, off
	s_mov_b64 s[4:5], 0
.LBB86_1886:
	s_andn2_b64 vcc, exec, s[4:5]
	s_cbranch_vccnz .LBB86_1888
; %bb.1887:
	global_store_short v[2:3], v0, off
.LBB86_1888:
	s_mov_b64 s[4:5], 0
.LBB86_1889:
	s_andn2_b64 vcc, exec, s[4:5]
	s_cbranch_vccnz .LBB86_1897
; %bb.1890:
	v_xor_b32_e32 v5, v0, v1
	v_ffbh_i32_e32 v4, v1
	v_ashrrev_i32_e32 v5, 31, v5
	v_add_u32_e32 v4, -1, v4
	v_add_u32_e32 v5, 32, v5
	v_min_u32_e32 v6, v4, v5
	v_lshlrev_b64 v[4:5], v6, v[0:1]
	s_mov_b32 s4, 0x43800000
	v_min_u32_e32 v4, 1, v4
	v_or_b32_e32 v4, v5, v4
	v_cvt_f32_i32_e32 v4, v4
	v_sub_u32_e32 v5, 32, v6
	v_mov_b32_e32 v6, 0x80
	v_ldexp_f32 v4, v4, v5
	v_and_b32_e32 v5, 0x7fffffff, v4
	v_cmp_gt_u32_e32 vcc, s4, v5
	s_and_saveexec_b64 s[4:5], vcc
	s_cbranch_execz .LBB86_1896
; %bb.1891:
	s_mov_b32 s8, 0x3bffffff
	v_cmp_lt_u32_e32 vcc, s8, v5
	s_mov_b64 s[8:9], 0
                                        ; implicit-def: $vgpr5
	s_and_saveexec_b64 s[10:11], vcc
	s_xor_b64 s[10:11], exec, s[10:11]
	s_cbranch_execz .LBB86_2002
; %bb.1892:
	v_bfe_u32 v5, v4, 20, 1
	s_mov_b32 s13, 0x487ffff
	v_add3_u32 v5, v4, v5, s13
	s_mov_b64 s[8:9], exec
	v_lshrrev_b32_e32 v5, 20, v5
	s_andn2_saveexec_b64 s[10:11], s[10:11]
	s_cbranch_execnz .LBB86_2003
.LBB86_1893:
	s_or_b64 exec, exec, s[10:11]
	v_mov_b32_e32 v6, 0
	s_and_saveexec_b64 s[10:11], s[8:9]
.LBB86_1894:
	v_lshrrev_b32_e32 v4, 24, v4
	s_movk_i32 s8, 0x80
	v_and_or_b32 v6, v4, s8, v5
.LBB86_1895:
	s_or_b64 exec, exec, s[10:11]
.LBB86_1896:
	s_or_b64 exec, exec, s[4:5]
	global_store_byte v[2:3], v6, off
.LBB86_1897:
	s_mov_b64 s[4:5], 0
.LBB86_1898:
	s_and_b64 vcc, exec, s[4:5]
	s_cbranch_vccz .LBB86_1938
; %bb.1899:
	s_cmp_gt_i32 s12, 22
	s_mov_b64 s[2:3], -1
	s_cbranch_scc0 .LBB86_1931
; %bb.1900:
	s_cmp_lt_i32 s12, 24
	s_cbranch_scc1 .LBB86_1920
; %bb.1901:
	s_cmp_gt_i32 s12, 24
	s_cbranch_scc0 .LBB86_1909
; %bb.1902:
	v_xor_b32_e32 v5, v0, v1
	v_ffbh_i32_e32 v4, v1
	v_ashrrev_i32_e32 v5, 31, v5
	v_add_u32_e32 v4, -1, v4
	v_add_u32_e32 v5, 32, v5
	v_min_u32_e32 v6, v4, v5
	v_lshlrev_b64 v[4:5], v6, v[0:1]
	s_mov_b32 s2, 0x47800000
	v_min_u32_e32 v4, 1, v4
	v_or_b32_e32 v4, v5, v4
	v_cvt_f32_i32_e32 v4, v4
	v_sub_u32_e32 v5, 32, v6
	v_mov_b32_e32 v6, 0x80
	v_ldexp_f32 v4, v4, v5
	v_and_b32_e32 v5, 0x7fffffff, v4
	v_cmp_gt_u32_e32 vcc, s2, v5
	s_and_saveexec_b64 s[2:3], vcc
	s_cbranch_execz .LBB86_1908
; %bb.1903:
	s_mov_b32 s4, 0x37ffffff
	v_cmp_lt_u32_e32 vcc, s4, v5
	s_mov_b64 s[4:5], 0
                                        ; implicit-def: $vgpr5
	s_and_saveexec_b64 s[8:9], vcc
	s_xor_b64 s[8:9], exec, s[8:9]
	s_cbranch_execz .LBB86_2005
; %bb.1904:
	v_bfe_u32 v5, v4, 21, 1
	s_mov_b32 s10, 0x88fffff
	v_add3_u32 v5, v4, v5, s10
	s_mov_b64 s[4:5], exec
	v_lshrrev_b32_e32 v5, 21, v5
	s_andn2_saveexec_b64 s[8:9], s[8:9]
	s_cbranch_execnz .LBB86_2006
.LBB86_1905:
	s_or_b64 exec, exec, s[8:9]
	v_mov_b32_e32 v6, 0
	s_and_saveexec_b64 s[8:9], s[4:5]
.LBB86_1906:
	v_lshrrev_b32_e32 v4, 24, v4
	s_movk_i32 s4, 0x80
	v_and_or_b32 v6, v4, s4, v5
.LBB86_1907:
	s_or_b64 exec, exec, s[8:9]
.LBB86_1908:
	s_or_b64 exec, exec, s[2:3]
	s_mov_b64 s[2:3], 0
	global_store_byte v[2:3], v6, off
.LBB86_1909:
	s_and_b64 vcc, exec, s[2:3]
	s_cbranch_vccz .LBB86_1919
; %bb.1910:
	v_xor_b32_e32 v5, v0, v1
	v_ffbh_i32_e32 v4, v1
	v_ashrrev_i32_e32 v5, 31, v5
	v_add_u32_e32 v4, -1, v4
	v_add_u32_e32 v5, 32, v5
	v_min_u32_e32 v6, v4, v5
	v_lshlrev_b64 v[4:5], v6, v[0:1]
	s_mov_b32 s2, 0x43f00000
	v_min_u32_e32 v4, 1, v4
	v_or_b32_e32 v4, v5, v4
	v_cvt_f32_i32_e32 v4, v4
	v_sub_u32_e32 v5, 32, v6
	v_ldexp_f32 v4, v4, v5
	v_and_b32_e32 v6, 0x7fffffff, v4
	v_cmp_gt_u32_e32 vcc, s2, v6
                                        ; implicit-def: $vgpr5
	s_and_saveexec_b64 s[2:3], vcc
	s_xor_b64 s[2:3], exec, s[2:3]
	s_cbranch_execz .LBB86_1916
; %bb.1911:
	s_mov_b32 s4, 0x3c7fffff
	v_cmp_lt_u32_e32 vcc, s4, v6
                                        ; implicit-def: $vgpr5
	s_and_saveexec_b64 s[4:5], vcc
	s_xor_b64 s[4:5], exec, s[4:5]
; %bb.1912:
	v_bfe_u32 v5, v4, 20, 1
	s_mov_b32 s8, 0x407ffff
	v_add3_u32 v5, v4, v5, s8
	v_lshrrev_b32_e32 v6, 20, v5
	v_and_b32_e32 v5, 0xff00000, v5
	s_mov_b32 s8, 0x7f00000
	v_mov_b32_e32 v7, 0x7e
	v_cmp_ne_u32_e32 vcc, s8, v5
	v_cndmask_b32_e32 v5, v7, v6, vcc
; %bb.1913:
	s_andn2_saveexec_b64 s[4:5], s[4:5]
; %bb.1914:
	s_mov_b32 s8, 0x46800000
	v_add_f32_e64 v5, |v4|, s8
; %bb.1915:
	s_or_b64 exec, exec, s[4:5]
                                        ; implicit-def: $vgpr6
.LBB86_1916:
	s_andn2_saveexec_b64 s[2:3], s[2:3]
; %bb.1917:
	s_mov_b32 s4, 0x7f800000
	v_mov_b32_e32 v5, 0x7e
	v_mov_b32_e32 v7, 0x7f
	v_cmp_lt_u32_e32 vcc, s4, v6
	v_cndmask_b32_e32 v5, v5, v7, vcc
; %bb.1918:
	s_or_b64 exec, exec, s[2:3]
	v_lshrrev_b32_e32 v4, 24, v4
	s_movk_i32 s2, 0x80
	v_and_or_b32 v4, v4, s2, v5
	global_store_byte v[2:3], v4, off
.LBB86_1919:
	s_mov_b64 s[2:3], 0
.LBB86_1920:
	s_andn2_b64 vcc, exec, s[2:3]
	s_cbranch_vccnz .LBB86_1930
; %bb.1921:
	v_xor_b32_e32 v5, v0, v1
	v_ffbh_i32_e32 v4, v1
	v_ashrrev_i32_e32 v5, 31, v5
	v_add_u32_e32 v4, -1, v4
	v_add_u32_e32 v5, 32, v5
	v_min_u32_e32 v6, v4, v5
	v_lshlrev_b64 v[4:5], v6, v[0:1]
	s_mov_b32 s2, 0x47800000
	v_min_u32_e32 v4, 1, v4
	v_or_b32_e32 v4, v5, v4
	v_cvt_f32_i32_e32 v4, v4
	v_sub_u32_e32 v5, 32, v6
	v_ldexp_f32 v4, v4, v5
	v_and_b32_e32 v6, 0x7fffffff, v4
	v_cmp_gt_u32_e32 vcc, s2, v6
                                        ; implicit-def: $vgpr5
	s_and_saveexec_b64 s[2:3], vcc
	s_xor_b64 s[2:3], exec, s[2:3]
	s_cbranch_execz .LBB86_1927
; %bb.1922:
	s_mov_b32 s4, 0x387fffff
	v_cmp_lt_u32_e32 vcc, s4, v6
                                        ; implicit-def: $vgpr5
	s_and_saveexec_b64 s[4:5], vcc
	s_xor_b64 s[4:5], exec, s[4:5]
; %bb.1923:
	v_bfe_u32 v5, v4, 21, 1
	s_mov_b32 s8, 0x80fffff
	v_add3_u32 v5, v4, v5, s8
	v_lshrrev_b32_e32 v5, 21, v5
; %bb.1924:
	s_andn2_saveexec_b64 s[4:5], s[4:5]
; %bb.1925:
	s_mov_b32 s8, 0x43000000
	v_add_f32_e64 v5, |v4|, s8
; %bb.1926:
	s_or_b64 exec, exec, s[4:5]
                                        ; implicit-def: $vgpr6
.LBB86_1927:
	s_andn2_saveexec_b64 s[2:3], s[2:3]
; %bb.1928:
	s_mov_b32 s4, 0x7f800000
	v_mov_b32_e32 v5, 0x7c
	v_mov_b32_e32 v7, 0x7f
	v_cmp_lt_u32_e32 vcc, s4, v6
	v_cndmask_b32_e32 v5, v5, v7, vcc
; %bb.1929:
	s_or_b64 exec, exec, s[2:3]
	v_lshrrev_b32_e32 v4, 24, v4
	s_movk_i32 s2, 0x80
	v_and_or_b32 v4, v4, s2, v5
	global_store_byte v[2:3], v4, off
.LBB86_1930:
	s_mov_b64 s[2:3], 0
.LBB86_1931:
	s_andn2_b64 vcc, exec, s[2:3]
	s_mov_b64 s[2:3], 0
	s_cbranch_vccnz .LBB86_1938
; %bb.1932:
	s_cmp_gt_i32 s12, 14
	s_mov_b64 s[4:5], -1
	s_cbranch_scc0 .LBB86_1936
; %bb.1933:
	s_cmp_eq_u32 s12, 15
	s_mov_b64 s[0:1], -1
	s_cbranch_scc0 .LBB86_1935
; %bb.1934:
	v_xor_b32_e32 v5, v0, v1
	v_ffbh_i32_e32 v4, v1
	v_ashrrev_i32_e32 v5, 31, v5
	v_add_u32_e32 v4, -1, v4
	v_add_u32_e32 v5, 32, v5
	v_min_u32_e32 v6, v4, v5
	v_lshlrev_b64 v[4:5], v6, v[0:1]
	s_movk_i32 s0, 0x7fff
	v_min_u32_e32 v4, 1, v4
	v_or_b32_e32 v4, v5, v4
	v_cvt_f32_i32_e32 v4, v4
	v_sub_u32_e32 v5, 32, v6
	v_ldexp_f32 v4, v4, v5
	v_bfe_u32 v5, v4, 16, 1
	v_add3_u32 v4, v4, v5, s0
	global_store_short_d16_hi v[2:3], v4, off
	s_mov_b64 s[0:1], 0
.LBB86_1935:
	s_mov_b64 s[4:5], 0
.LBB86_1936:
	s_and_b64 vcc, exec, s[4:5]
	s_cbranch_vccz .LBB86_1938
; %bb.1937:
	s_cmp_lg_u32 s12, 11
	s_mov_b64 s[2:3], -1
	s_cselect_b64 s[0:1], -1, 0
.LBB86_1938:
	s_and_b64 vcc, exec, s[0:1]
	s_cbranch_vccnz .LBB86_2004
.LBB86_1939:
	s_mov_b64 s[0:1], 0
	s_branch .LBB86_1941
.LBB86_1940:
	s_mov_b64 s[0:1], 0
	s_mov_b64 s[2:3], 0
                                        ; implicit-def: $sgpr24
                                        ; implicit-def: $vgpr2_vgpr3
                                        ; implicit-def: $vgpr0_vgpr1
.LBB86_1941:
	s_and_b64 s[4:5], s[2:3], exec
	s_andn2_b64 s[2:3], s[14:15], exec
	s_and_b64 s[8:9], s[16:17], exec
	s_and_b64 s[0:1], s[0:1], exec
	s_or_b64 s[14:15], s[2:3], s[8:9]
.LBB86_1942:
	s_or_b64 exec, exec, s[6:7]
	s_and_saveexec_b64 s[2:3], s[14:15]
	s_cbranch_execz .LBB86_1945
; %bb.1943:
	; divergent unreachable
	s_or_b64 exec, exec, s[2:3]
	s_and_saveexec_b64 s[2:3], s[4:5]
	s_xor_b64 s[2:3], exec, s[2:3]
	s_cbranch_execnz .LBB86_1946
.LBB86_1944:
	s_or_b64 exec, exec, s[2:3]
	s_and_saveexec_b64 s[2:3], s[0:1]
	s_cbranch_execnz .LBB86_1947
	s_branch .LBB86_1984
.LBB86_1945:
	s_or_b64 exec, exec, s[2:3]
	s_and_saveexec_b64 s[2:3], s[4:5]
	s_xor_b64 s[2:3], exec, s[2:3]
	s_cbranch_execz .LBB86_1944
.LBB86_1946:
	s_waitcnt vmcnt(0)
	v_cmp_ne_u64_e32 vcc, 0, v[0:1]
	v_cndmask_b32_e64 v4, 0, 1, vcc
	global_store_byte v[2:3], v4, off
	s_or_b64 exec, exec, s[2:3]
	s_and_saveexec_b64 s[2:3], s[0:1]
	s_cbranch_execz .LBB86_1984
.LBB86_1947:
	s_sext_i32_i16 s2, s24
	s_cmp_lt_i32 s2, 5
	s_mov_b64 s[0:1], -1
	s_cbranch_scc1 .LBB86_1968
; %bb.1948:
	s_cmp_lt_i32 s2, 8
	s_cbranch_scc1 .LBB86_1958
; %bb.1949:
	s_cmp_lt_i32 s2, 9
	s_cbranch_scc1 .LBB86_1955
; %bb.1950:
	s_cmp_gt_i32 s2, 9
	s_cbranch_scc0 .LBB86_1952
; %bb.1951:
	s_waitcnt vmcnt(0)
	v_cvt_f64_i32_e32 v[4:5], v1
	v_cvt_f64_u32_e32 v[6:7], v0
	s_mov_b64 s[0:1], 0
	v_ldexp_f64 v[4:5], v[4:5], 32
	v_add_f64 v[4:5], v[4:5], v[6:7]
	v_mov_b32_e32 v6, 0
	v_mov_b32_e32 v7, v6
	global_store_dwordx4 v[2:3], v[4:7], off
.LBB86_1952:
	s_andn2_b64 vcc, exec, s[0:1]
	s_cbranch_vccnz .LBB86_1954
; %bb.1953:
	s_waitcnt vmcnt(0)
	v_xor_b32_e32 v5, v0, v1
	v_ffbh_i32_e32 v4, v1
	v_ashrrev_i32_e32 v5, 31, v5
	v_add_u32_e32 v4, -1, v4
	v_add_u32_e32 v5, 32, v5
	v_min_u32_e32 v6, v4, v5
	v_lshlrev_b64 v[4:5], v6, v[0:1]
	v_min_u32_e32 v4, 1, v4
	v_or_b32_e32 v4, v5, v4
	v_cvt_f32_i32_e32 v4, v4
	v_sub_u32_e32 v5, 32, v6
	v_ldexp_f32 v4, v4, v5
	v_mov_b32_e32 v5, 0
	global_store_dwordx2 v[2:3], v[4:5], off
.LBB86_1954:
	s_mov_b64 s[0:1], 0
.LBB86_1955:
	s_andn2_b64 vcc, exec, s[0:1]
	s_cbranch_vccnz .LBB86_1957
; %bb.1956:
	s_waitcnt vmcnt(0)
	v_xor_b32_e32 v5, v0, v1
	v_ffbh_i32_e32 v4, v1
	v_ashrrev_i32_e32 v5, 31, v5
	v_add_u32_e32 v4, -1, v4
	v_add_u32_e32 v5, 32, v5
	v_min_u32_e32 v6, v4, v5
	v_lshlrev_b64 v[4:5], v6, v[0:1]
	v_min_u32_e32 v4, 1, v4
	v_or_b32_e32 v4, v5, v4
	v_cvt_f32_i32_e32 v4, v4
	v_sub_u32_e32 v5, 32, v6
	v_ldexp_f32 v4, v4, v5
	v_cvt_f16_f32_e32 v4, v4
	global_store_dword v[2:3], v4, off
.LBB86_1957:
	s_mov_b64 s[0:1], 0
.LBB86_1958:
	s_andn2_b64 vcc, exec, s[0:1]
	s_cbranch_vccnz .LBB86_1967
; %bb.1959:
	s_sext_i32_i16 s2, s24
	s_cmp_lt_i32 s2, 6
	s_mov_b64 s[0:1], -1
	s_cbranch_scc1 .LBB86_1965
; %bb.1960:
	s_cmp_gt_i32 s2, 6
	s_cbranch_scc0 .LBB86_1962
; %bb.1961:
	s_waitcnt vmcnt(0)
	v_cvt_f64_i32_e32 v[4:5], v1
	v_cvt_f64_u32_e32 v[6:7], v0
	s_mov_b64 s[0:1], 0
	v_ldexp_f64 v[4:5], v[4:5], 32
	v_add_f64 v[4:5], v[4:5], v[6:7]
	global_store_dwordx2 v[2:3], v[4:5], off
.LBB86_1962:
	s_andn2_b64 vcc, exec, s[0:1]
	s_cbranch_vccnz .LBB86_1964
; %bb.1963:
	s_waitcnt vmcnt(0)
	v_xor_b32_e32 v5, v0, v1
	v_ffbh_i32_e32 v4, v1
	v_ashrrev_i32_e32 v5, 31, v5
	v_add_u32_e32 v4, -1, v4
	v_add_u32_e32 v5, 32, v5
	v_min_u32_e32 v6, v4, v5
	v_lshlrev_b64 v[4:5], v6, v[0:1]
	v_min_u32_e32 v4, 1, v4
	v_or_b32_e32 v4, v5, v4
	v_cvt_f32_i32_e32 v4, v4
	v_sub_u32_e32 v5, 32, v6
	v_ldexp_f32 v4, v4, v5
	global_store_dword v[2:3], v4, off
.LBB86_1964:
	s_mov_b64 s[0:1], 0
.LBB86_1965:
	s_andn2_b64 vcc, exec, s[0:1]
	s_cbranch_vccnz .LBB86_1967
; %bb.1966:
	s_waitcnt vmcnt(0)
	v_xor_b32_e32 v5, v0, v1
	v_ffbh_i32_e32 v4, v1
	v_ashrrev_i32_e32 v5, 31, v5
	v_add_u32_e32 v4, -1, v4
	v_add_u32_e32 v5, 32, v5
	v_min_u32_e32 v6, v4, v5
	v_lshlrev_b64 v[4:5], v6, v[0:1]
	v_min_u32_e32 v4, 1, v4
	v_or_b32_e32 v4, v5, v4
	v_cvt_f32_i32_e32 v4, v4
	v_sub_u32_e32 v5, 32, v6
	v_ldexp_f32 v4, v4, v5
	v_cvt_f16_f32_e32 v4, v4
	global_store_short v[2:3], v4, off
.LBB86_1967:
	s_mov_b64 s[0:1], 0
.LBB86_1968:
	s_andn2_b64 vcc, exec, s[0:1]
	s_cbranch_vccnz .LBB86_1984
; %bb.1969:
	s_sext_i32_i16 s2, s24
	s_cmp_lt_i32 s2, 2
	s_mov_b64 s[0:1], -1
	s_cbranch_scc1 .LBB86_1979
; %bb.1970:
	s_cmp_lt_i32 s2, 3
	s_cbranch_scc1 .LBB86_1976
; %bb.1971:
	s_cmp_gt_i32 s2, 3
	s_cbranch_scc0 .LBB86_1973
; %bb.1972:
	s_waitcnt vmcnt(0)
	global_store_dwordx2 v[2:3], v[0:1], off
	s_mov_b64 s[0:1], 0
.LBB86_1973:
	s_andn2_b64 vcc, exec, s[0:1]
	s_cbranch_vccnz .LBB86_1975
; %bb.1974:
	s_waitcnt vmcnt(0)
	global_store_dword v[2:3], v0, off
.LBB86_1975:
	s_mov_b64 s[0:1], 0
.LBB86_1976:
	s_andn2_b64 vcc, exec, s[0:1]
	s_cbranch_vccnz .LBB86_1978
; %bb.1977:
	s_waitcnt vmcnt(0)
	global_store_short v[2:3], v0, off
.LBB86_1978:
	s_mov_b64 s[0:1], 0
.LBB86_1979:
	s_andn2_b64 vcc, exec, s[0:1]
	s_cbranch_vccnz .LBB86_1984
; %bb.1980:
	s_sext_i32_i16 s0, s24
	s_cmp_gt_i32 s0, 0
	s_mov_b64 s[0:1], -1
	s_cbranch_scc0 .LBB86_1982
; %bb.1981:
	s_waitcnt vmcnt(0)
	global_store_byte v[2:3], v0, off
	s_mov_b64 s[0:1], 0
.LBB86_1982:
	s_andn2_b64 vcc, exec, s[0:1]
	s_cbranch_vccnz .LBB86_1984
; %bb.1983:
	s_waitcnt vmcnt(0)
	global_store_byte v[2:3], v0, off
	s_endpgm
.LBB86_1984:
	s_endpgm
.LBB86_1985:
	s_mov_b64 s[2:3], 0
	s_mov_b64 s[0:1], -1
	s_branch .LBB86_1941
.LBB86_1986:
	s_trap 2
	s_or_b64 s[16:17], s[16:17], exec
	s_cbranch_execz .LBB86_1455
	s_branch .LBB86_1456
.LBB86_1987:
	s_andn2_saveexec_b64 s[22:23], s[22:23]
	s_cbranch_execz .LBB86_1535
.LBB86_1988:
	s_mov_b32 s13, 0x46000000
	v_add_f32_e64 v12, |v11|, s13
	v_and_b32_e32 v12, 0xff, v12
	v_cmp_ne_u32_e32 vcc, 0, v12
	s_andn2_b64 s[20:21], s[20:21], exec
	s_and_b64 s[26:27], vcc, exec
	s_or_b64 s[20:21], s[20:21], s[26:27]
	s_or_b64 exec, exec, s[22:23]
	v_mov_b32_e32 v13, 0
	s_and_saveexec_b64 s[22:23], s[20:21]
	s_cbranch_execnz .LBB86_1536
	s_branch .LBB86_1537
.LBB86_1989:
	s_trap 2
	s_or_b64 s[16:17], s[16:17], exec
	s_cbranch_execz .LBB86_1583
	s_branch .LBB86_1584
.LBB86_1990:
	s_andn2_saveexec_b64 s[20:21], s[20:21]
	s_cbranch_execz .LBB86_1548
.LBB86_1991:
	s_mov_b32 s13, 0x42800000
	v_add_f32_e64 v12, |v11|, s13
	v_and_b32_e32 v12, 0xff, v12
	v_cmp_ne_u32_e32 vcc, 0, v12
	s_andn2_b64 s[18:19], s[18:19], exec
	s_and_b64 s[22:23], vcc, exec
	s_or_b64 s[18:19], s[18:19], s[22:23]
	s_or_b64 exec, exec, s[20:21]
	v_mov_b32_e32 v13, 0
	s_and_saveexec_b64 s[20:21], s[18:19]
	s_cbranch_execnz .LBB86_1549
	s_branch .LBB86_1550
.LBB86_1992:
	s_andn2_saveexec_b64 s[20:21], s[20:21]
	s_cbranch_execz .LBB86_1654
.LBB86_1993:
	s_mov_b32 s23, 0x46000000
	v_add_f32_e64 v10, |v9|, s23
	v_and_b32_e32 v10, 0xff, v10
	v_cmp_ne_u32_e32 vcc, 0, v10
	s_andn2_b64 s[18:19], s[18:19], exec
	s_and_b64 s[26:27], vcc, exec
	s_or_b64 s[18:19], s[18:19], s[26:27]
	s_or_b64 exec, exec, s[20:21]
	v_mov_b32_e32 v11, 0
	s_and_saveexec_b64 s[20:21], s[18:19]
	s_cbranch_execnz .LBB86_1655
	s_branch .LBB86_1656
.LBB86_1994:
	s_trap 2
	s_or_b64 s[16:17], s[16:17], exec
	s_cbranch_execz .LBB86_1702
	s_branch .LBB86_1703
.LBB86_1995:
	s_andn2_saveexec_b64 s[18:19], s[18:19]
	s_cbranch_execz .LBB86_1667
.LBB86_1996:
	s_mov_b32 s20, 0x42800000
	v_add_f32_e64 v10, |v9|, s20
	v_and_b32_e32 v10, 0xff, v10
	v_cmp_ne_u32_e32 vcc, 0, v10
	s_andn2_b64 s[12:13], s[12:13], exec
	s_and_b64 s[20:21], vcc, exec
	s_or_b64 s[12:13], s[12:13], s[20:21]
	s_or_b64 exec, exec, s[18:19]
	v_mov_b32_e32 v11, 0
	s_and_saveexec_b64 s[18:19], s[12:13]
	s_cbranch_execnz .LBB86_1668
	s_branch .LBB86_1669
.LBB86_1997:
	s_andn2_saveexec_b64 s[20:21], s[20:21]
	s_cbranch_execz .LBB86_1773
.LBB86_1998:
	s_mov_b32 s23, 0x46000000
	v_add_f32_e64 v8, |v5|, s23
	v_and_b32_e32 v8, 0xff, v8
	v_cmp_ne_u32_e32 vcc, 0, v8
	s_andn2_b64 s[18:19], s[18:19], exec
	s_and_b64 s[26:27], vcc, exec
	s_or_b64 s[18:19], s[18:19], s[26:27]
	s_or_b64 exec, exec, s[20:21]
	v_mov_b32_e32 v9, 0
	s_and_saveexec_b64 s[20:21], s[18:19]
	s_cbranch_execnz .LBB86_1774
	s_branch .LBB86_1775
.LBB86_1999:
	s_trap 2
	s_or_b64 s[16:17], s[16:17], exec
	s_cbranch_execz .LBB86_1821
	s_branch .LBB86_1822
.LBB86_2000:
	s_andn2_saveexec_b64 s[18:19], s[18:19]
	s_cbranch_execz .LBB86_1786
.LBB86_2001:
	s_mov_b32 s20, 0x42800000
	v_add_f32_e64 v8, |v5|, s20
	v_and_b32_e32 v8, 0xff, v8
	v_cmp_ne_u32_e32 vcc, 0, v8
	s_andn2_b64 s[12:13], s[12:13], exec
	s_and_b64 s[20:21], vcc, exec
	s_or_b64 s[12:13], s[12:13], s[20:21]
	s_or_b64 exec, exec, s[18:19]
	v_mov_b32_e32 v9, 0
	s_and_saveexec_b64 s[18:19], s[12:13]
	s_cbranch_execnz .LBB86_1787
	s_branch .LBB86_1788
.LBB86_2002:
	s_andn2_saveexec_b64 s[10:11], s[10:11]
	s_cbranch_execz .LBB86_1893
.LBB86_2003:
	s_mov_b32 s13, 0x46000000
	v_add_f32_e64 v5, |v4|, s13
	v_and_b32_e32 v5, 0xff, v5
	v_cmp_ne_u32_e32 vcc, 0, v5
	s_andn2_b64 s[8:9], s[8:9], exec
	s_and_b64 s[18:19], vcc, exec
	s_or_b64 s[8:9], s[8:9], s[18:19]
	s_or_b64 exec, exec, s[10:11]
	v_mov_b32_e32 v6, 0
	s_and_saveexec_b64 s[10:11], s[8:9]
	s_cbranch_execnz .LBB86_1894
	s_branch .LBB86_1895
.LBB86_2004:
	s_mov_b64 s[2:3], 0
	s_or_b64 s[16:17], s[16:17], exec
	s_trap 2
	s_branch .LBB86_1939
.LBB86_2005:
	s_andn2_saveexec_b64 s[8:9], s[8:9]
	s_cbranch_execz .LBB86_1905
.LBB86_2006:
	s_mov_b32 s10, 0x42800000
	v_add_f32_e64 v5, |v4|, s10
	v_and_b32_e32 v5, 0xff, v5
	v_cmp_ne_u32_e32 vcc, 0, v5
	s_andn2_b64 s[4:5], s[4:5], exec
	s_and_b64 s[10:11], vcc, exec
	s_or_b64 s[4:5], s[4:5], s[10:11]
	s_or_b64 exec, exec, s[8:9]
	v_mov_b32_e32 v6, 0
	s_and_saveexec_b64 s[8:9], s[4:5]
	s_cbranch_execnz .LBB86_1906
	s_branch .LBB86_1907
	.section	.rodata,"a",@progbits
	.p2align	6, 0x0
	.amdhsa_kernel _ZN2at6native32elementwise_kernel_manual_unrollILi128ELi4EZNS0_15gpu_kernel_implINS0_13BUnaryFunctorIlllZZZNS0_18lshift_kernel_cudaERNS_18TensorIteratorBaseEENKUlvE_clEvENKUlvE2_clEvEUlllE_EEEEvS5_RKT_EUlibE_EEviT1_
		.amdhsa_group_segment_fixed_size 0
		.amdhsa_private_segment_fixed_size 0
		.amdhsa_kernarg_size 56
		.amdhsa_user_sgpr_count 6
		.amdhsa_user_sgpr_private_segment_buffer 1
		.amdhsa_user_sgpr_dispatch_ptr 0
		.amdhsa_user_sgpr_queue_ptr 0
		.amdhsa_user_sgpr_kernarg_segment_ptr 1
		.amdhsa_user_sgpr_dispatch_id 0
		.amdhsa_user_sgpr_flat_scratch_init 0
		.amdhsa_user_sgpr_private_segment_size 0
		.amdhsa_uses_dynamic_stack 0
		.amdhsa_system_sgpr_private_segment_wavefront_offset 0
		.amdhsa_system_sgpr_workgroup_id_x 1
		.amdhsa_system_sgpr_workgroup_id_y 0
		.amdhsa_system_sgpr_workgroup_id_z 0
		.amdhsa_system_sgpr_workgroup_info 0
		.amdhsa_system_vgpr_workitem_id 0
		.amdhsa_next_free_vgpr 15
		.amdhsa_next_free_sgpr 50
		.amdhsa_reserve_vcc 1
		.amdhsa_reserve_flat_scratch 0
		.amdhsa_float_round_mode_32 0
		.amdhsa_float_round_mode_16_64 0
		.amdhsa_float_denorm_mode_32 3
		.amdhsa_float_denorm_mode_16_64 3
		.amdhsa_dx10_clamp 1
		.amdhsa_ieee_mode 1
		.amdhsa_fp16_overflow 0
		.amdhsa_exception_fp_ieee_invalid_op 0
		.amdhsa_exception_fp_denorm_src 0
		.amdhsa_exception_fp_ieee_div_zero 0
		.amdhsa_exception_fp_ieee_overflow 0
		.amdhsa_exception_fp_ieee_underflow 0
		.amdhsa_exception_fp_ieee_inexact 0
		.amdhsa_exception_int_div_zero 0
	.end_amdhsa_kernel
	.section	.text._ZN2at6native32elementwise_kernel_manual_unrollILi128ELi4EZNS0_15gpu_kernel_implINS0_13BUnaryFunctorIlllZZZNS0_18lshift_kernel_cudaERNS_18TensorIteratorBaseEENKUlvE_clEvENKUlvE2_clEvEUlllE_EEEEvS5_RKT_EUlibE_EEviT1_,"axG",@progbits,_ZN2at6native32elementwise_kernel_manual_unrollILi128ELi4EZNS0_15gpu_kernel_implINS0_13BUnaryFunctorIlllZZZNS0_18lshift_kernel_cudaERNS_18TensorIteratorBaseEENKUlvE_clEvENKUlvE2_clEvEUlllE_EEEEvS5_RKT_EUlibE_EEviT1_,comdat
.Lfunc_end86:
	.size	_ZN2at6native32elementwise_kernel_manual_unrollILi128ELi4EZNS0_15gpu_kernel_implINS0_13BUnaryFunctorIlllZZZNS0_18lshift_kernel_cudaERNS_18TensorIteratorBaseEENKUlvE_clEvENKUlvE2_clEvEUlllE_EEEEvS5_RKT_EUlibE_EEviT1_, .Lfunc_end86-_ZN2at6native32elementwise_kernel_manual_unrollILi128ELi4EZNS0_15gpu_kernel_implINS0_13BUnaryFunctorIlllZZZNS0_18lshift_kernel_cudaERNS_18TensorIteratorBaseEENKUlvE_clEvENKUlvE2_clEvEUlllE_EEEEvS5_RKT_EUlibE_EEviT1_
                                        ; -- End function
	.set _ZN2at6native32elementwise_kernel_manual_unrollILi128ELi4EZNS0_15gpu_kernel_implINS0_13BUnaryFunctorIlllZZZNS0_18lshift_kernel_cudaERNS_18TensorIteratorBaseEENKUlvE_clEvENKUlvE2_clEvEUlllE_EEEEvS5_RKT_EUlibE_EEviT1_.num_vgpr, 15
	.set _ZN2at6native32elementwise_kernel_manual_unrollILi128ELi4EZNS0_15gpu_kernel_implINS0_13BUnaryFunctorIlllZZZNS0_18lshift_kernel_cudaERNS_18TensorIteratorBaseEENKUlvE_clEvENKUlvE2_clEvEUlllE_EEEEvS5_RKT_EUlibE_EEviT1_.num_agpr, 0
	.set _ZN2at6native32elementwise_kernel_manual_unrollILi128ELi4EZNS0_15gpu_kernel_implINS0_13BUnaryFunctorIlllZZZNS0_18lshift_kernel_cudaERNS_18TensorIteratorBaseEENKUlvE_clEvENKUlvE2_clEvEUlllE_EEEEvS5_RKT_EUlibE_EEviT1_.numbered_sgpr, 50
	.set _ZN2at6native32elementwise_kernel_manual_unrollILi128ELi4EZNS0_15gpu_kernel_implINS0_13BUnaryFunctorIlllZZZNS0_18lshift_kernel_cudaERNS_18TensorIteratorBaseEENKUlvE_clEvENKUlvE2_clEvEUlllE_EEEEvS5_RKT_EUlibE_EEviT1_.num_named_barrier, 0
	.set _ZN2at6native32elementwise_kernel_manual_unrollILi128ELi4EZNS0_15gpu_kernel_implINS0_13BUnaryFunctorIlllZZZNS0_18lshift_kernel_cudaERNS_18TensorIteratorBaseEENKUlvE_clEvENKUlvE2_clEvEUlllE_EEEEvS5_RKT_EUlibE_EEviT1_.private_seg_size, 0
	.set _ZN2at6native32elementwise_kernel_manual_unrollILi128ELi4EZNS0_15gpu_kernel_implINS0_13BUnaryFunctorIlllZZZNS0_18lshift_kernel_cudaERNS_18TensorIteratorBaseEENKUlvE_clEvENKUlvE2_clEvEUlllE_EEEEvS5_RKT_EUlibE_EEviT1_.uses_vcc, 1
	.set _ZN2at6native32elementwise_kernel_manual_unrollILi128ELi4EZNS0_15gpu_kernel_implINS0_13BUnaryFunctorIlllZZZNS0_18lshift_kernel_cudaERNS_18TensorIteratorBaseEENKUlvE_clEvENKUlvE2_clEvEUlllE_EEEEvS5_RKT_EUlibE_EEviT1_.uses_flat_scratch, 0
	.set _ZN2at6native32elementwise_kernel_manual_unrollILi128ELi4EZNS0_15gpu_kernel_implINS0_13BUnaryFunctorIlllZZZNS0_18lshift_kernel_cudaERNS_18TensorIteratorBaseEENKUlvE_clEvENKUlvE2_clEvEUlllE_EEEEvS5_RKT_EUlibE_EEviT1_.has_dyn_sized_stack, 0
	.set _ZN2at6native32elementwise_kernel_manual_unrollILi128ELi4EZNS0_15gpu_kernel_implINS0_13BUnaryFunctorIlllZZZNS0_18lshift_kernel_cudaERNS_18TensorIteratorBaseEENKUlvE_clEvENKUlvE2_clEvEUlllE_EEEEvS5_RKT_EUlibE_EEviT1_.has_recursion, 0
	.set _ZN2at6native32elementwise_kernel_manual_unrollILi128ELi4EZNS0_15gpu_kernel_implINS0_13BUnaryFunctorIlllZZZNS0_18lshift_kernel_cudaERNS_18TensorIteratorBaseEENKUlvE_clEvENKUlvE2_clEvEUlllE_EEEEvS5_RKT_EUlibE_EEviT1_.has_indirect_call, 0
	.section	.AMDGPU.csdata,"",@progbits
; Kernel info:
; codeLenInByte = 40084
; TotalNumSgprs: 54
; NumVgprs: 15
; ScratchSize: 0
; MemoryBound: 1
; FloatMode: 240
; IeeeMode: 1
; LDSByteSize: 0 bytes/workgroup (compile time only)
; SGPRBlocks: 6
; VGPRBlocks: 3
; NumSGPRsForWavesPerEU: 54
; NumVGPRsForWavesPerEU: 15
; Occupancy: 10
; WaveLimiterHint : 0
; COMPUTE_PGM_RSRC2:SCRATCH_EN: 0
; COMPUTE_PGM_RSRC2:USER_SGPR: 6
; COMPUTE_PGM_RSRC2:TRAP_HANDLER: 0
; COMPUTE_PGM_RSRC2:TGID_X_EN: 1
; COMPUTE_PGM_RSRC2:TGID_Y_EN: 0
; COMPUTE_PGM_RSRC2:TGID_Z_EN: 0
; COMPUTE_PGM_RSRC2:TIDIG_COMP_CNT: 0
	.section	.text._ZN2at6native32elementwise_kernel_manual_unrollILi128ELi4EZNS0_15gpu_kernel_implINS0_13BUnaryFunctorIlllZZZNS0_18lshift_kernel_cudaERNS_18TensorIteratorBaseEENKUlvE_clEvENKUlvE2_clEvEUlllE_EEEEvS5_RKT_EUlibE0_EEviT1_,"axG",@progbits,_ZN2at6native32elementwise_kernel_manual_unrollILi128ELi4EZNS0_15gpu_kernel_implINS0_13BUnaryFunctorIlllZZZNS0_18lshift_kernel_cudaERNS_18TensorIteratorBaseEENKUlvE_clEvENKUlvE2_clEvEUlllE_EEEEvS5_RKT_EUlibE0_EEviT1_,comdat
	.globl	_ZN2at6native32elementwise_kernel_manual_unrollILi128ELi4EZNS0_15gpu_kernel_implINS0_13BUnaryFunctorIlllZZZNS0_18lshift_kernel_cudaERNS_18TensorIteratorBaseEENKUlvE_clEvENKUlvE2_clEvEUlllE_EEEEvS5_RKT_EUlibE0_EEviT1_ ; -- Begin function _ZN2at6native32elementwise_kernel_manual_unrollILi128ELi4EZNS0_15gpu_kernel_implINS0_13BUnaryFunctorIlllZZZNS0_18lshift_kernel_cudaERNS_18TensorIteratorBaseEENKUlvE_clEvENKUlvE2_clEvEUlllE_EEEEvS5_RKT_EUlibE0_EEviT1_
	.p2align	8
	.type	_ZN2at6native32elementwise_kernel_manual_unrollILi128ELi4EZNS0_15gpu_kernel_implINS0_13BUnaryFunctorIlllZZZNS0_18lshift_kernel_cudaERNS_18TensorIteratorBaseEENKUlvE_clEvENKUlvE2_clEvEUlllE_EEEEvS5_RKT_EUlibE0_EEviT1_,@function
_ZN2at6native32elementwise_kernel_manual_unrollILi128ELi4EZNS0_15gpu_kernel_implINS0_13BUnaryFunctorIlllZZZNS0_18lshift_kernel_cudaERNS_18TensorIteratorBaseEENKUlvE_clEvENKUlvE2_clEvEUlllE_EEEEvS5_RKT_EUlibE0_EEviT1_: ; @_ZN2at6native32elementwise_kernel_manual_unrollILi128ELi4EZNS0_15gpu_kernel_implINS0_13BUnaryFunctorIlllZZZNS0_18lshift_kernel_cudaERNS_18TensorIteratorBaseEENKUlvE_clEvENKUlvE2_clEvEUlllE_EEEEvS5_RKT_EUlibE0_EEviT1_
; %bb.0:
	s_load_dword s74, s[4:5], 0x0
	s_load_dword s33, s[4:5], 0x8
	s_add_u32 s34, s4, 8
	s_addc_u32 s35, s5, 0
	v_lshl_or_b32 v11, s6, 9, v0
	v_or_b32_e32 v15, 0x180, v11
	s_waitcnt lgkmcnt(0)
	s_add_i32 s76, s33, -1
	s_cmp_gt_u32 s76, 1
	v_cmp_le_i32_e32 vcc, s74, v15
	s_cselect_b64 s[40:41], -1, 0
	s_mov_b64 s[6:7], 0
	s_mov_b64 s[28:29], 0
	s_and_saveexec_b64 s[0:1], vcc
	s_xor_b64 s[42:43], exec, s[0:1]
	s_cbranch_execz .LBB87_1070
; %bb.1:
	s_load_dwordx4 s[28:31], s[34:35], 0x4
	s_load_dwordx2 s[48:49], s[34:35], 0x14
	s_load_dwordx2 s[44:45], s[34:35], 0x160
	s_load_dword s77, s[34:35], 0x168
	s_cmp_lg_u32 s33, 0
	s_load_dwordx4 s[36:39], s[34:35], 0xc4
	s_load_dwordx4 s[24:27], s[34:35], 0x148
	s_cselect_b64 s[54:55], -1, 0
	s_add_u32 s52, s34, 0xc4
	s_addc_u32 s53, s35, 0
	s_min_u32 s79, s76, 15
	s_cmp_gt_u32 s33, 1
	s_waitcnt lgkmcnt(0)
	v_cmp_gt_u64_e64 s[46:47], s[44:45], 63
	s_cselect_b64 s[50:51], -1, 0
	s_bfe_u32 s78, s77, 0x80008
	v_cmp_gt_i32_e32 vcc, s74, v11
	s_mov_b64 s[2:3], -1
	s_mov_b64 s[64:65], 0
	s_mov_b64 s[58:59], 0
	;; [unrolled: 1-line block ×3, first 2 shown]
	s_and_saveexec_b64 s[60:61], vcc
	s_cbranch_execz .LBB87_262
; %bb.2:
	s_andn2_b64 vcc, exec, s[40:41]
	s_cbranch_vccnz .LBB87_7
; %bb.3:
	s_andn2_b64 vcc, exec, s[54:55]
	s_cbranch_vccnz .LBB87_8
; %bb.4:
	s_add_i32 s62, s79, 1
	s_cmp_eq_u32 s76, 2
	s_cbranch_scc1 .LBB87_9
; %bb.5:
	s_and_b32 s45, s62, 28
	v_mov_b32_e32 v2, 0
	s_mov_b32 s63, 0
	s_mov_b64 s[56:57], s[34:35]
	s_mov_b64 s[58:59], s[52:53]
	v_mov_b32_e32 v0, 0
	v_mov_b32_e32 v1, v11
.LBB87_6:                               ; =>This Inner Loop Header: Depth=1
	s_load_dwordx8 s[16:23], s[56:57], 0x4
	s_load_dwordx4 s[0:3], s[56:57], 0x24
	s_load_dwordx8 s[8:15], s[58:59], 0x0
	s_add_u32 s56, s56, 48
	s_addc_u32 s57, s57, 0
	s_waitcnt lgkmcnt(0)
	v_mul_hi_u32 v3, s17, v1
	s_add_i32 s63, s63, 4
	s_add_u32 s58, s58, 32
	s_addc_u32 s59, s59, 0
	v_add_u32_e32 v3, v1, v3
	v_lshrrev_b32_e32 v3, s18, v3
	v_mul_lo_u32 v4, v3, s16
	v_mul_hi_u32 v5, s20, v3
	s_cmp_lg_u32 s45, s63
	v_sub_u32_e32 v1, v1, v4
	v_add_u32_e32 v4, v3, v5
	v_mul_lo_u32 v5, v1, s8
	v_mul_lo_u32 v6, v1, s9
	v_lshrrev_b32_e32 v1, s21, v4
	v_mul_lo_u32 v4, v1, s19
	v_mul_hi_u32 v7, s23, v1
	v_sub_u32_e32 v3, v3, v4
	v_add_u32_e32 v4, v1, v7
	v_lshrrev_b32_e32 v4, s0, v4
	v_mul_hi_u32 v8, s2, v4
	v_mul_lo_u32 v9, v4, s22
	v_mul_lo_u32 v7, v3, s10
	;; [unrolled: 1-line block ×3, first 2 shown]
	v_sub_u32_e32 v9, v1, v9
	v_add_u32_e32 v1, v4, v8
	v_lshrrev_b32_e32 v1, s3, v1
	v_mul_lo_u32 v8, v1, s1
	v_mul_lo_u32 v10, v9, s12
	;; [unrolled: 1-line block ×3, first 2 shown]
	v_add3_u32 v0, v5, v0, v7
	v_sub_u32_e32 v4, v4, v8
	v_mul_lo_u32 v8, v4, s14
	v_mul_lo_u32 v4, v4, s15
	v_add3_u32 v2, v6, v2, v3
	v_add3_u32 v0, v10, v0, v8
	;; [unrolled: 1-line block ×3, first 2 shown]
	s_cbranch_scc1 .LBB87_6
	s_branch .LBB87_10
.LBB87_7:
                                        ; implicit-def: $vgpr0
                                        ; implicit-def: $vgpr2
	s_branch .LBB87_14
.LBB87_8:
	v_mov_b32_e32 v0, 0
	v_mov_b32_e32 v2, 0
	s_branch .LBB87_13
.LBB87_9:
	s_mov_b32 s45, 0
	v_mov_b32_e32 v0, 0
	v_mov_b32_e32 v2, 0
	;; [unrolled: 1-line block ×3, first 2 shown]
.LBB87_10:
	s_and_b32 s8, s62, 3
	s_cmp_eq_u32 s8, 0
	s_cbranch_scc1 .LBB87_13
; %bb.11:
	s_lshl_b32 s0, s45, 3
	s_add_u32 s0, s34, s0
	s_addc_u32 s1, s35, 0
	s_add_u32 s0, s0, 0xc4
	s_addc_u32 s1, s1, 0
	s_mul_i32 s2, s45, 12
	s_add_u32 s2, s34, s2
	s_addc_u32 s3, s35, 0
.LBB87_12:                              ; =>This Inner Loop Header: Depth=1
	s_load_dwordx2 s[10:11], s[2:3], 0x4
	s_load_dword s9, s[2:3], 0xc
	s_load_dwordx2 s[12:13], s[0:1], 0x0
	s_add_u32 s2, s2, 12
	s_addc_u32 s3, s3, 0
	s_waitcnt lgkmcnt(0)
	v_mul_hi_u32 v3, s11, v1
	s_add_u32 s0, s0, 8
	s_addc_u32 s1, s1, 0
	s_add_i32 s8, s8, -1
	v_add_u32_e32 v3, v1, v3
	v_lshrrev_b32_e32 v4, s9, v3
	v_mul_lo_u32 v3, v4, s10
	s_cmp_lg_u32 s8, 0
	v_sub_u32_e32 v3, v1, v3
	v_mad_u64_u32 v[0:1], s[10:11], v3, s12, v[0:1]
	v_mad_u64_u32 v[2:3], s[10:11], v3, s13, v[2:3]
	v_mov_b32_e32 v1, v4
	s_cbranch_scc1 .LBB87_12
.LBB87_13:
	s_cbranch_execnz .LBB87_16
.LBB87_14:
	v_mul_hi_u32 v0, s29, v11
	s_andn2_b64 vcc, exec, s[50:51]
	v_add_u32_e32 v0, v11, v0
	v_lshrrev_b32_e32 v1, s30, v0
	v_mul_lo_u32 v0, v1, s28
	v_sub_u32_e32 v2, v11, v0
	v_mul_lo_u32 v0, v2, s36
	v_mul_lo_u32 v2, v2, s37
	s_cbranch_vccnz .LBB87_16
; %bb.15:
	v_mul_hi_u32 v3, s48, v1
	v_add_u32_e32 v3, v1, v3
	v_lshrrev_b32_e32 v3, s49, v3
	v_mul_lo_u32 v3, v3, s31
	v_sub_u32_e32 v3, v1, v3
	v_mad_u64_u32 v[0:1], s[0:1], v3, s38, v[0:1]
	v_mad_u64_u32 v[2:3], s[0:1], v3, s39, v[2:3]
.LBB87_16:
	v_mov_b32_e32 v3, s27
	s_and_b32 s10, 0xffff, s78
	v_add_co_u32_e32 v1, vcc, s26, v2
	s_cmp_lt_i32 s10, 11
	v_addc_co_u32_e32 v2, vcc, 0, v3, vcc
	s_cbranch_scc1 .LBB87_23
; %bb.17:
	s_cmp_gt_i32 s10, 25
	s_cbranch_scc0 .LBB87_32
; %bb.18:
	s_cmp_gt_i32 s10, 28
	s_cbranch_scc0 .LBB87_35
	;; [unrolled: 3-line block ×4, first 2 shown]
; %bb.21:
	s_cmp_eq_u32 s10, 46
	s_mov_b64 s[8:9], 0
	s_cbranch_scc0 .LBB87_41
; %bb.22:
	global_load_dword v3, v[1:2], off
	s_mov_b32 s0, 0x2f800000
	s_mov_b32 s1, 0xcf800000
	s_mov_b64 s[2:3], 0
	s_waitcnt vmcnt(0)
	v_lshlrev_b32_e32 v3, 16, v3
	v_trunc_f32_e32 v3, v3
	v_mul_f32_e64 v4, |v3|, s0
	v_floor_f32_e32 v4, v4
	v_fma_f32 v5, v4, s1, |v3|
	v_cvt_u32_f32_e32 v5, v5
	v_cvt_u32_f32_e32 v4, v4
	v_ashrrev_i32_e32 v6, 31, v3
	s_mov_b64 s[0:1], -1
	v_xor_b32_e32 v3, v5, v6
	v_xor_b32_e32 v4, v4, v6
	v_sub_co_u32_e32 v3, vcc, v3, v6
	v_subb_co_u32_e32 v4, vcc, v4, v6, vcc
	s_branch .LBB87_43
.LBB87_23:
	s_mov_b64 s[2:3], 0
                                        ; implicit-def: $vgpr3_vgpr4
	s_mov_b64 s[0:1], 0
	s_cbranch_execnz .LBB87_212
.LBB87_24:
	s_andn2_b64 vcc, exec, s[0:1]
	s_cbranch_vccnz .LBB87_259
.LBB87_25:
	s_waitcnt vmcnt(0)
	v_lshlrev_b64 v[1:2], s44, v[3:4]
	v_mov_b32_e32 v4, s25
	s_and_b32 s14, s77, 0xff
	v_add_co_u32_e32 v3, vcc, s24, v0
	v_cndmask_b32_e64 v2, v2, 0, s[46:47]
	v_cndmask_b32_e64 v1, v1, 0, s[46:47]
	s_cmp_lt_i32 s14, 11
	v_addc_co_u32_e32 v4, vcc, 0, v4, vcc
	s_cbranch_scc1 .LBB87_33
; %bb.26:
	s_and_b32 s15, 0xffff, s14
	s_cmp_gt_i32 s15, 25
	s_cbranch_scc0 .LBB87_36
; %bb.27:
	s_cmp_gt_i32 s15, 28
	s_cbranch_scc0 .LBB87_38
; %bb.28:
	;; [unrolled: 3-line block ×4, first 2 shown]
	s_mov_b64 s[10:11], 0
	s_mov_b64 s[0:1], -1
	s_cmp_eq_u32 s15, 46
	s_mov_b64 s[8:9], 0
	s_cbranch_scc0 .LBB87_47
; %bb.31:
	v_xor_b32_e32 v5, v1, v2
	v_ffbh_i32_e32 v0, v2
	v_ashrrev_i32_e32 v5, 31, v5
	v_add_u32_e32 v0, -1, v0
	v_add_u32_e32 v5, 32, v5
	v_min_u32_e32 v0, v0, v5
	v_lshlrev_b64 v[5:6], v0, v[1:2]
	v_sub_u32_e32 v0, 32, v0
	v_min_u32_e32 v5, 1, v5
	v_or_b32_e32 v5, v6, v5
	v_cvt_f32_i32_e32 v5, v5
	s_movk_i32 s0, 0x7fff
	s_mov_b64 s[8:9], -1
	v_ldexp_f32 v0, v5, v0
	v_bfe_u32 v5, v0, 16, 1
	v_add3_u32 v0, v0, v5, s0
	v_lshrrev_b32_e32 v0, 16, v0
	global_store_dword v[3:4], v0, off
	s_mov_b64 s[0:1], 0
	s_branch .LBB87_47
.LBB87_32:
	s_mov_b64 s[2:3], 0
	s_mov_b64 s[0:1], 0
                                        ; implicit-def: $vgpr3_vgpr4
	s_cbranch_execnz .LBB87_181
	s_branch .LBB87_211
.LBB87_33:
	s_mov_b64 s[0:1], 0
	s_mov_b64 s[8:9], 0
	s_cbranch_execnz .LBB87_116
.LBB87_34:
	s_andn2_b64 vcc, exec, s[8:9]
	s_cbranch_vccnz .LBB87_260
	s_branch .LBB87_154
.LBB87_35:
	s_mov_b64 s[8:9], -1
	s_mov_b64 s[2:3], 0
	s_mov_b64 s[0:1], 0
                                        ; implicit-def: $vgpr3_vgpr4
	s_branch .LBB87_162
.LBB87_36:
	s_mov_b64 s[10:11], -1
	s_mov_b64 s[0:1], 0
	s_mov_b64 s[8:9], 0
	s_branch .LBB87_74
.LBB87_37:
	s_mov_b64 s[8:9], -1
	s_mov_b64 s[2:3], 0
	s_mov_b64 s[0:1], 0
                                        ; implicit-def: $vgpr3_vgpr4
	s_branch .LBB87_157
.LBB87_38:
	s_mov_b64 s[10:11], -1
	s_mov_b64 s[0:1], 0
	s_mov_b64 s[8:9], 0
	s_branch .LBB87_57
.LBB87_39:
	s_mov_b64 s[8:9], -1
	s_mov_b64 s[2:3], 0
	s_branch .LBB87_42
.LBB87_40:
	s_mov_b64 s[10:11], -1
	s_mov_b64 s[0:1], 0
	s_mov_b64 s[8:9], 0
	s_branch .LBB87_53
.LBB87_41:
	s_mov_b64 s[2:3], -1
.LBB87_42:
	s_mov_b64 s[0:1], 0
                                        ; implicit-def: $vgpr3_vgpr4
.LBB87_43:
	s_and_b64 vcc, exec, s[8:9]
	s_cbranch_vccz .LBB87_156
; %bb.44:
	s_cmp_eq_u32 s10, 44
	s_cbranch_scc0 .LBB87_155
; %bb.45:
	global_load_ubyte v3, v[1:2], off
	s_mov_b32 s0, 0x2f800000
	s_mov_b32 s1, 0xcf800000
	s_mov_b64 s[2:3], 0
	s_waitcnt vmcnt(0)
	v_lshlrev_b32_e32 v4, 23, v3
	v_trunc_f32_e32 v4, v4
	v_mul_f32_e64 v5, |v4|, s0
	v_floor_f32_e32 v5, v5
	v_fma_f32 v6, v5, s1, |v4|
	v_cvt_u32_f32_e32 v6, v6
	v_cvt_u32_f32_e32 v5, v5
	v_ashrrev_i32_e32 v4, 31, v4
	s_mov_b64 s[0:1], -1
	v_xor_b32_e32 v6, v6, v4
	v_xor_b32_e32 v5, v5, v4
	v_sub_co_u32_e32 v6, vcc, v6, v4
	v_subb_co_u32_e32 v4, vcc, v5, v4, vcc
	v_cmp_ne_u32_e32 vcc, 0, v3
	v_cndmask_b32_e32 v4, 0, v4, vcc
	v_cndmask_b32_e32 v3, 0, v6, vcc
	s_branch .LBB87_156
.LBB87_46:
	s_mov_b64 s[10:11], -1
	s_mov_b64 s[0:1], 0
	s_mov_b64 s[8:9], 0
.LBB87_47:
	s_and_b64 vcc, exec, s[10:11]
	s_cbranch_vccz .LBB87_52
; %bb.48:
	s_cmp_eq_u32 s15, 44
	s_mov_b64 s[0:1], -1
	s_cbranch_scc0 .LBB87_52
; %bb.49:
	v_xor_b32_e32 v5, v1, v2
	v_ffbh_i32_e32 v0, v2
	v_ashrrev_i32_e32 v5, 31, v5
	v_add_u32_e32 v0, -1, v0
	v_add_u32_e32 v5, 32, v5
	v_min_u32_e32 v0, v0, v5
	v_lshlrev_b64 v[5:6], v0, v[1:2]
	v_sub_u32_e32 v0, 32, v0
	v_min_u32_e32 v5, 1, v5
	v_or_b32_e32 v5, v6, v5
	v_cvt_f32_i32_e32 v5, v5
	s_movk_i32 s0, 0xff
	v_mov_b32_e32 v6, 0xff
	v_ldexp_f32 v0, v5, v0
	v_bfe_u32 v5, v0, 23, 8
	v_cmp_ne_u32_e32 vcc, s0, v5
	s_and_saveexec_b64 s[8:9], vcc
; %bb.50:
	s_mov_b32 s0, 0x3fffff
	v_lshrrev_b32_e32 v6, 23, v0
	v_and_b32_e32 v7, 0x400000, v0
	v_and_or_b32 v0, v0, s0, v5
	v_cmp_ne_u32_e32 vcc, 0, v7
	v_cmp_ne_u32_e64 s[0:1], 0, v0
	s_and_b64 s[0:1], vcc, s[0:1]
	v_cndmask_b32_e64 v0, 0, 1, s[0:1]
	v_add_u32_e32 v6, v6, v0
; %bb.51:
	s_or_b64 exec, exec, s[8:9]
	s_mov_b64 s[8:9], -1
	s_mov_b64 s[0:1], 0
	global_store_byte v[3:4], v6, off
.LBB87_52:
	s_mov_b64 s[10:11], 0
.LBB87_53:
	s_and_b64 vcc, exec, s[10:11]
	s_cbranch_vccz .LBB87_56
; %bb.54:
	s_cmp_eq_u32 s15, 29
	s_mov_b64 s[0:1], -1
	s_cbranch_scc0 .LBB87_56
; %bb.55:
	global_store_dwordx2 v[3:4], v[1:2], off
	s_mov_b64 s[8:9], -1
	s_mov_b64 s[0:1], 0
.LBB87_56:
	s_mov_b64 s[10:11], 0
.LBB87_57:
	s_and_b64 vcc, exec, s[10:11]
	s_cbranch_vccz .LBB87_73
; %bb.58:
	s_cmp_lt_i32 s15, 27
	s_mov_b64 s[8:9], -1
	s_cbranch_scc1 .LBB87_64
; %bb.59:
	s_cmp_gt_i32 s15, 27
	s_cbranch_scc0 .LBB87_61
; %bb.60:
	s_mov_b64 s[8:9], 0
	global_store_dword v[3:4], v1, off
.LBB87_61:
	s_andn2_b64 vcc, exec, s[8:9]
	s_cbranch_vccnz .LBB87_63
; %bb.62:
	global_store_short v[3:4], v1, off
.LBB87_63:
	s_mov_b64 s[8:9], 0
.LBB87_64:
	s_andn2_b64 vcc, exec, s[8:9]
	s_cbranch_vccnz .LBB87_72
; %bb.65:
	v_xor_b32_e32 v5, v1, v2
	v_ffbh_i32_e32 v0, v2
	v_ashrrev_i32_e32 v5, 31, v5
	v_add_u32_e32 v0, -1, v0
	v_add_u32_e32 v5, 32, v5
	v_min_u32_e32 v0, v0, v5
	v_lshlrev_b64 v[5:6], v0, v[1:2]
	v_sub_u32_e32 v0, 32, v0
	v_min_u32_e32 v5, 1, v5
	v_or_b32_e32 v5, v6, v5
	v_cvt_f32_i32_e32 v5, v5
	s_mov_b32 s8, 0x43800000
	v_mov_b32_e32 v6, 0x80
	v_ldexp_f32 v0, v5, v0
	v_and_b32_e32 v5, 0x7fffffff, v0
	v_cmp_gt_u32_e32 vcc, s8, v5
	s_and_saveexec_b64 s[8:9], vcc
	s_cbranch_execz .LBB87_71
; %bb.66:
	s_mov_b32 s10, 0x3bffffff
	v_cmp_lt_u32_e32 vcc, s10, v5
	s_mov_b64 s[10:11], 0
                                        ; implicit-def: $vgpr5
	s_and_saveexec_b64 s[12:13], vcc
	s_xor_b64 s[12:13], exec, s[12:13]
	s_cbranch_execz .LBB87_303
; %bb.67:
	v_bfe_u32 v5, v0, 20, 1
	s_mov_b32 s16, 0x487ffff
	v_add3_u32 v5, v0, v5, s16
	s_mov_b64 s[10:11], exec
	v_lshrrev_b32_e32 v5, 20, v5
	s_andn2_saveexec_b64 s[12:13], s[12:13]
	s_cbranch_execnz .LBB87_304
.LBB87_68:
	s_or_b64 exec, exec, s[12:13]
	v_mov_b32_e32 v6, 0
	s_and_saveexec_b64 s[12:13], s[10:11]
.LBB87_69:
	v_lshrrev_b32_e32 v0, 24, v0
	s_movk_i32 s10, 0x80
	v_and_or_b32 v6, v0, s10, v5
.LBB87_70:
	s_or_b64 exec, exec, s[12:13]
.LBB87_71:
	s_or_b64 exec, exec, s[8:9]
	global_store_byte v[3:4], v6, off
.LBB87_72:
	s_mov_b64 s[8:9], -1
.LBB87_73:
	s_mov_b64 s[10:11], 0
.LBB87_74:
	s_and_b64 vcc, exec, s[10:11]
	s_cbranch_vccz .LBB87_115
; %bb.75:
	s_cmp_gt_i32 s15, 22
	s_mov_b64 s[10:11], -1
	s_cbranch_scc0 .LBB87_107
; %bb.76:
	s_cmp_lt_i32 s15, 24
	s_mov_b64 s[8:9], -1
	s_cbranch_scc1 .LBB87_96
; %bb.77:
	s_cmp_gt_i32 s15, 24
	s_cbranch_scc0 .LBB87_85
; %bb.78:
	v_xor_b32_e32 v5, v1, v2
	v_ffbh_i32_e32 v0, v2
	v_ashrrev_i32_e32 v5, 31, v5
	v_add_u32_e32 v0, -1, v0
	v_add_u32_e32 v5, 32, v5
	v_min_u32_e32 v0, v0, v5
	v_lshlrev_b64 v[5:6], v0, v[1:2]
	v_sub_u32_e32 v0, 32, v0
	v_min_u32_e32 v5, 1, v5
	v_or_b32_e32 v5, v6, v5
	v_cvt_f32_i32_e32 v5, v5
	s_mov_b32 s8, 0x47800000
	v_mov_b32_e32 v6, 0x80
	v_ldexp_f32 v0, v5, v0
	v_and_b32_e32 v5, 0x7fffffff, v0
	v_cmp_gt_u32_e32 vcc, s8, v5
	s_and_saveexec_b64 s[8:9], vcc
	s_cbranch_execz .LBB87_84
; %bb.79:
	s_mov_b32 s10, 0x37ffffff
	v_cmp_lt_u32_e32 vcc, s10, v5
	s_mov_b64 s[10:11], 0
                                        ; implicit-def: $vgpr5
	s_and_saveexec_b64 s[12:13], vcc
	s_xor_b64 s[12:13], exec, s[12:13]
	s_cbranch_execz .LBB87_307
; %bb.80:
	v_bfe_u32 v5, v0, 21, 1
	s_mov_b32 s16, 0x88fffff
	v_add3_u32 v5, v0, v5, s16
	s_mov_b64 s[10:11], exec
	v_lshrrev_b32_e32 v5, 21, v5
	s_andn2_saveexec_b64 s[12:13], s[12:13]
	s_cbranch_execnz .LBB87_308
.LBB87_81:
	s_or_b64 exec, exec, s[12:13]
	v_mov_b32_e32 v6, 0
	s_and_saveexec_b64 s[12:13], s[10:11]
.LBB87_82:
	v_lshrrev_b32_e32 v0, 24, v0
	s_movk_i32 s10, 0x80
	v_and_or_b32 v6, v0, s10, v5
.LBB87_83:
	s_or_b64 exec, exec, s[12:13]
.LBB87_84:
	s_or_b64 exec, exec, s[8:9]
	s_mov_b64 s[8:9], 0
	global_store_byte v[3:4], v6, off
.LBB87_85:
	s_and_b64 vcc, exec, s[8:9]
	s_cbranch_vccz .LBB87_95
; %bb.86:
	v_xor_b32_e32 v5, v1, v2
	v_ffbh_i32_e32 v0, v2
	v_ashrrev_i32_e32 v5, 31, v5
	v_add_u32_e32 v0, -1, v0
	v_add_u32_e32 v5, 32, v5
	v_min_u32_e32 v0, v0, v5
	v_lshlrev_b64 v[5:6], v0, v[1:2]
	v_sub_u32_e32 v0, 32, v0
	v_min_u32_e32 v5, 1, v5
	v_or_b32_e32 v5, v6, v5
	v_cvt_f32_i32_e32 v5, v5
	s_mov_b32 s8, 0x43f00000
	v_ldexp_f32 v0, v5, v0
	v_and_b32_e32 v6, 0x7fffffff, v0
	v_cmp_gt_u32_e32 vcc, s8, v6
                                        ; implicit-def: $vgpr5
	s_and_saveexec_b64 s[8:9], vcc
	s_xor_b64 s[8:9], exec, s[8:9]
	s_cbranch_execz .LBB87_92
; %bb.87:
	s_mov_b32 s10, 0x3c7fffff
	v_cmp_lt_u32_e32 vcc, s10, v6
                                        ; implicit-def: $vgpr5
	s_and_saveexec_b64 s[10:11], vcc
	s_xor_b64 s[10:11], exec, s[10:11]
; %bb.88:
	v_bfe_u32 v5, v0, 20, 1
	s_mov_b32 s12, 0x407ffff
	v_add3_u32 v5, v0, v5, s12
	v_lshrrev_b32_e32 v6, 20, v5
	v_and_b32_e32 v5, 0xff00000, v5
	s_mov_b32 s12, 0x7f00000
	v_mov_b32_e32 v7, 0x7e
	v_cmp_ne_u32_e32 vcc, s12, v5
	v_cndmask_b32_e32 v5, v7, v6, vcc
; %bb.89:
	s_andn2_saveexec_b64 s[10:11], s[10:11]
; %bb.90:
	s_mov_b32 s12, 0x46800000
	v_add_f32_e64 v5, |v0|, s12
; %bb.91:
	s_or_b64 exec, exec, s[10:11]
                                        ; implicit-def: $vgpr6
.LBB87_92:
	s_andn2_saveexec_b64 s[8:9], s[8:9]
; %bb.93:
	s_mov_b32 s10, 0x7f800000
	v_mov_b32_e32 v5, 0x7e
	v_mov_b32_e32 v7, 0x7f
	v_cmp_lt_u32_e32 vcc, s10, v6
	v_cndmask_b32_e32 v5, v5, v7, vcc
; %bb.94:
	s_or_b64 exec, exec, s[8:9]
	v_lshrrev_b32_e32 v0, 24, v0
	s_movk_i32 s8, 0x80
	v_and_or_b32 v0, v0, s8, v5
	global_store_byte v[3:4], v0, off
.LBB87_95:
	s_mov_b64 s[8:9], 0
.LBB87_96:
	s_andn2_b64 vcc, exec, s[8:9]
	s_cbranch_vccnz .LBB87_106
; %bb.97:
	v_xor_b32_e32 v5, v1, v2
	v_ffbh_i32_e32 v0, v2
	v_ashrrev_i32_e32 v5, 31, v5
	v_add_u32_e32 v0, -1, v0
	v_add_u32_e32 v5, 32, v5
	v_min_u32_e32 v0, v0, v5
	v_lshlrev_b64 v[5:6], v0, v[1:2]
	v_sub_u32_e32 v0, 32, v0
	v_min_u32_e32 v5, 1, v5
	v_or_b32_e32 v5, v6, v5
	v_cvt_f32_i32_e32 v5, v5
	s_mov_b32 s8, 0x47800000
	v_ldexp_f32 v0, v5, v0
	v_and_b32_e32 v6, 0x7fffffff, v0
	v_cmp_gt_u32_e32 vcc, s8, v6
                                        ; implicit-def: $vgpr5
	s_and_saveexec_b64 s[8:9], vcc
	s_xor_b64 s[8:9], exec, s[8:9]
	s_cbranch_execz .LBB87_103
; %bb.98:
	s_mov_b32 s10, 0x387fffff
	v_cmp_lt_u32_e32 vcc, s10, v6
                                        ; implicit-def: $vgpr5
	s_and_saveexec_b64 s[10:11], vcc
	s_xor_b64 s[10:11], exec, s[10:11]
; %bb.99:
	v_bfe_u32 v5, v0, 21, 1
	s_mov_b32 s12, 0x80fffff
	v_add3_u32 v5, v0, v5, s12
	v_lshrrev_b32_e32 v5, 21, v5
; %bb.100:
	s_andn2_saveexec_b64 s[10:11], s[10:11]
; %bb.101:
	s_mov_b32 s12, 0x43000000
	v_add_f32_e64 v5, |v0|, s12
; %bb.102:
	s_or_b64 exec, exec, s[10:11]
                                        ; implicit-def: $vgpr6
.LBB87_103:
	s_andn2_saveexec_b64 s[8:9], s[8:9]
; %bb.104:
	s_mov_b32 s10, 0x7f800000
	v_mov_b32_e32 v5, 0x7c
	v_mov_b32_e32 v7, 0x7f
	v_cmp_lt_u32_e32 vcc, s10, v6
	v_cndmask_b32_e32 v5, v5, v7, vcc
; %bb.105:
	s_or_b64 exec, exec, s[8:9]
	v_lshrrev_b32_e32 v0, 24, v0
	s_movk_i32 s8, 0x80
	v_and_or_b32 v0, v0, s8, v5
	global_store_byte v[3:4], v0, off
.LBB87_106:
	s_mov_b64 s[10:11], 0
	s_mov_b64 s[8:9], -1
.LBB87_107:
	s_andn2_b64 vcc, exec, s[10:11]
	s_cbranch_vccnz .LBB87_115
; %bb.108:
	s_cmp_gt_i32 s15, 14
	s_mov_b64 s[10:11], -1
	s_cbranch_scc0 .LBB87_112
; %bb.109:
	s_cmp_eq_u32 s15, 15
	s_mov_b64 s[0:1], -1
	s_cbranch_scc0 .LBB87_111
; %bb.110:
	v_xor_b32_e32 v5, v1, v2
	v_ffbh_i32_e32 v0, v2
	v_ashrrev_i32_e32 v5, 31, v5
	v_add_u32_e32 v0, -1, v0
	v_add_u32_e32 v5, 32, v5
	v_min_u32_e32 v0, v0, v5
	v_lshlrev_b64 v[5:6], v0, v[1:2]
	v_sub_u32_e32 v0, 32, v0
	v_min_u32_e32 v5, 1, v5
	v_or_b32_e32 v5, v6, v5
	v_cvt_f32_i32_e32 v5, v5
	s_movk_i32 s0, 0x7fff
	s_mov_b64 s[8:9], -1
	v_ldexp_f32 v0, v5, v0
	v_bfe_u32 v5, v0, 16, 1
	v_add3_u32 v0, v0, v5, s0
	global_store_short_d16_hi v[3:4], v0, off
	s_mov_b64 s[0:1], 0
.LBB87_111:
	s_mov_b64 s[10:11], 0
.LBB87_112:
	s_and_b64 vcc, exec, s[10:11]
	s_cbranch_vccz .LBB87_115
; %bb.113:
	s_cmp_eq_u32 s15, 11
	s_mov_b64 s[0:1], -1
	s_cbranch_scc0 .LBB87_115
; %bb.114:
	v_cmp_ne_u64_e32 vcc, 0, v[1:2]
	s_mov_b64 s[0:1], 0
	v_cndmask_b32_e64 v0, 0, 1, vcc
	s_mov_b64 s[8:9], -1
	global_store_byte v[3:4], v0, off
.LBB87_115:
	s_branch .LBB87_34
.LBB87_116:
	s_and_b32 s10, 0xffff, s14
	s_cmp_lt_i32 s10, 5
	s_mov_b64 s[8:9], -1
	s_cbranch_scc1 .LBB87_137
; %bb.117:
	s_cmp_lt_i32 s10, 8
	s_cbranch_scc1 .LBB87_127
; %bb.118:
	s_cmp_lt_i32 s10, 9
	s_cbranch_scc1 .LBB87_124
; %bb.119:
	s_cmp_gt_i32 s10, 9
	s_cbranch_scc0 .LBB87_121
; %bb.120:
	v_cvt_f64_i32_e32 v[5:6], v2
	v_cvt_f64_u32_e32 v[7:8], v1
	s_mov_b64 s[8:9], 0
	v_ldexp_f64 v[5:6], v[5:6], 32
	v_add_f64 v[5:6], v[5:6], v[7:8]
	v_mov_b32_e32 v7, 0
	v_mov_b32_e32 v8, v7
	global_store_dwordx4 v[3:4], v[5:8], off
.LBB87_121:
	s_andn2_b64 vcc, exec, s[8:9]
	s_cbranch_vccnz .LBB87_123
; %bb.122:
	v_xor_b32_e32 v5, v1, v2
	v_ffbh_i32_e32 v0, v2
	v_ashrrev_i32_e32 v5, 31, v5
	v_add_u32_e32 v0, -1, v0
	v_add_u32_e32 v5, 32, v5
	v_min_u32_e32 v0, v0, v5
	v_lshlrev_b64 v[5:6], v0, v[1:2]
	v_sub_u32_e32 v0, 32, v0
	v_min_u32_e32 v5, 1, v5
	v_or_b32_e32 v5, v6, v5
	v_cvt_f32_i32_e32 v5, v5
	v_mov_b32_e32 v6, 0
	v_ldexp_f32 v5, v5, v0
	global_store_dwordx2 v[3:4], v[5:6], off
.LBB87_123:
	s_mov_b64 s[8:9], 0
.LBB87_124:
	s_andn2_b64 vcc, exec, s[8:9]
	s_cbranch_vccnz .LBB87_126
; %bb.125:
	v_xor_b32_e32 v5, v1, v2
	v_ffbh_i32_e32 v0, v2
	v_ashrrev_i32_e32 v5, 31, v5
	v_add_u32_e32 v0, -1, v0
	v_add_u32_e32 v5, 32, v5
	v_min_u32_e32 v0, v0, v5
	v_lshlrev_b64 v[5:6], v0, v[1:2]
	v_sub_u32_e32 v0, 32, v0
	v_min_u32_e32 v5, 1, v5
	v_or_b32_e32 v5, v6, v5
	v_cvt_f32_i32_e32 v5, v5
	v_ldexp_f32 v0, v5, v0
	v_cvt_f16_f32_e32 v0, v0
	global_store_dword v[3:4], v0, off
.LBB87_126:
	s_mov_b64 s[8:9], 0
.LBB87_127:
	s_andn2_b64 vcc, exec, s[8:9]
	s_cbranch_vccnz .LBB87_136
; %bb.128:
	s_cmp_lt_i32 s10, 6
	s_mov_b64 s[8:9], -1
	s_cbranch_scc1 .LBB87_134
; %bb.129:
	s_cmp_gt_i32 s10, 6
	s_cbranch_scc0 .LBB87_131
; %bb.130:
	v_cvt_f64_i32_e32 v[5:6], v2
	v_cvt_f64_u32_e32 v[7:8], v1
	s_mov_b64 s[8:9], 0
	v_ldexp_f64 v[5:6], v[5:6], 32
	v_add_f64 v[5:6], v[5:6], v[7:8]
	global_store_dwordx2 v[3:4], v[5:6], off
.LBB87_131:
	s_andn2_b64 vcc, exec, s[8:9]
	s_cbranch_vccnz .LBB87_133
; %bb.132:
	v_xor_b32_e32 v5, v1, v2
	v_ffbh_i32_e32 v0, v2
	v_ashrrev_i32_e32 v5, 31, v5
	v_add_u32_e32 v0, -1, v0
	v_add_u32_e32 v5, 32, v5
	v_min_u32_e32 v0, v0, v5
	v_lshlrev_b64 v[5:6], v0, v[1:2]
	v_sub_u32_e32 v0, 32, v0
	v_min_u32_e32 v5, 1, v5
	v_or_b32_e32 v5, v6, v5
	v_cvt_f32_i32_e32 v5, v5
	v_ldexp_f32 v0, v5, v0
	global_store_dword v[3:4], v0, off
.LBB87_133:
	s_mov_b64 s[8:9], 0
.LBB87_134:
	s_andn2_b64 vcc, exec, s[8:9]
	s_cbranch_vccnz .LBB87_136
; %bb.135:
	v_xor_b32_e32 v5, v1, v2
	v_ffbh_i32_e32 v0, v2
	v_ashrrev_i32_e32 v5, 31, v5
	v_add_u32_e32 v0, -1, v0
	v_add_u32_e32 v5, 32, v5
	v_min_u32_e32 v0, v0, v5
	v_lshlrev_b64 v[5:6], v0, v[1:2]
	v_sub_u32_e32 v0, 32, v0
	v_min_u32_e32 v5, 1, v5
	v_or_b32_e32 v5, v6, v5
	v_cvt_f32_i32_e32 v5, v5
	v_ldexp_f32 v0, v5, v0
	v_cvt_f16_f32_e32 v0, v0
	global_store_short v[3:4], v0, off
.LBB87_136:
	s_mov_b64 s[8:9], 0
.LBB87_137:
	s_andn2_b64 vcc, exec, s[8:9]
	s_cbranch_vccnz .LBB87_153
; %bb.138:
	s_cmp_lt_i32 s10, 2
	s_mov_b64 s[8:9], -1
	s_cbranch_scc1 .LBB87_148
; %bb.139:
	s_cmp_lt_i32 s10, 3
	s_cbranch_scc1 .LBB87_145
; %bb.140:
	s_cmp_gt_i32 s10, 3
	s_cbranch_scc0 .LBB87_142
; %bb.141:
	global_store_dwordx2 v[3:4], v[1:2], off
	s_mov_b64 s[8:9], 0
.LBB87_142:
	s_andn2_b64 vcc, exec, s[8:9]
	s_cbranch_vccnz .LBB87_144
; %bb.143:
	global_store_dword v[3:4], v1, off
.LBB87_144:
	s_mov_b64 s[8:9], 0
.LBB87_145:
	s_andn2_b64 vcc, exec, s[8:9]
	s_cbranch_vccnz .LBB87_147
; %bb.146:
	global_store_short v[3:4], v1, off
.LBB87_147:
	s_mov_b64 s[8:9], 0
.LBB87_148:
	s_andn2_b64 vcc, exec, s[8:9]
	s_cbranch_vccnz .LBB87_153
; %bb.149:
	s_cmp_gt_i32 s10, 0
	s_mov_b64 s[8:9], -1
	s_cbranch_scc0 .LBB87_151
; %bb.150:
	global_store_byte v[3:4], v1, off
	s_mov_b64 s[8:9], 0
.LBB87_151:
	s_andn2_b64 vcc, exec, s[8:9]
	s_cbranch_vccnz .LBB87_153
; %bb.152:
	global_store_byte v[3:4], v1, off
.LBB87_153:
.LBB87_154:
	v_add_u32_e32 v11, 0x80, v11
	s_mov_b64 s[8:9], -1
	s_branch .LBB87_261
.LBB87_155:
	s_mov_b64 s[2:3], -1
                                        ; implicit-def: $vgpr3_vgpr4
.LBB87_156:
	s_mov_b64 s[8:9], 0
.LBB87_157:
	s_and_b64 vcc, exec, s[8:9]
	s_cbranch_vccz .LBB87_161
; %bb.158:
	s_cmp_eq_u32 s10, 29
	s_cbranch_scc0 .LBB87_160
; %bb.159:
	global_load_dwordx2 v[3:4], v[1:2], off
	s_mov_b64 s[0:1], -1
	s_mov_b64 s[2:3], 0
	s_branch .LBB87_161
.LBB87_160:
	s_mov_b64 s[2:3], -1
                                        ; implicit-def: $vgpr3_vgpr4
.LBB87_161:
	s_mov_b64 s[8:9], 0
.LBB87_162:
	s_and_b64 vcc, exec, s[8:9]
	s_cbranch_vccz .LBB87_180
; %bb.163:
	s_cmp_lt_i32 s10, 27
	s_cbranch_scc1 .LBB87_166
; %bb.164:
	s_cmp_gt_i32 s10, 27
	s_cbranch_scc0 .LBB87_167
; %bb.165:
	global_load_dword v3, v[1:2], off
	s_waitcnt vmcnt(1)
	v_mov_b32_e32 v4, 0
	s_mov_b64 s[0:1], 0
	s_branch .LBB87_168
.LBB87_166:
	s_mov_b64 s[0:1], -1
                                        ; implicit-def: $vgpr3_vgpr4
	s_branch .LBB87_171
.LBB87_167:
	s_mov_b64 s[0:1], -1
                                        ; implicit-def: $vgpr3_vgpr4
.LBB87_168:
	s_andn2_b64 vcc, exec, s[0:1]
	s_cbranch_vccnz .LBB87_170
; %bb.169:
	global_load_ushort v3, v[1:2], off
	s_mov_b32 s0, 0
	s_waitcnt vmcnt(1)
	v_mov_b32_e32 v4, s0
	s_waitcnt vmcnt(0)
	v_and_b32_e32 v3, 0xffff, v3
.LBB87_170:
	s_mov_b64 s[0:1], 0
.LBB87_171:
	s_andn2_b64 vcc, exec, s[0:1]
	s_cbranch_vccnz .LBB87_179
; %bb.172:
	global_load_ubyte v5, v[1:2], off
	s_movk_i32 s0, 0x7f
	s_mov_b64 s[8:9], 0
	s_waitcnt vmcnt(0)
	v_cmp_lt_i16_e32 vcc, s0, v5
	s_and_saveexec_b64 s[0:1], vcc
	s_xor_b64 s[0:1], exec, s[0:1]
; %bb.173:
	s_movk_i32 s8, 0x80
	v_cmp_ne_u16_e32 vcc, s8, v5
	s_and_b64 s[8:9], vcc, exec
; %bb.174:
	s_andn2_saveexec_b64 s[0:1], s[0:1]
; %bb.175:
	v_cmp_ne_u16_e32 vcc, 0, v5
	s_andn2_b64 s[8:9], s[8:9], exec
	s_and_b64 s[12:13], vcc, exec
	s_or_b64 s[8:9], s[8:9], s[12:13]
; %bb.176:
	s_or_b64 exec, exec, s[0:1]
	v_mov_b32_e32 v3, 0
	v_mov_b32_e32 v4, 0
	s_and_saveexec_b64 s[0:1], s[8:9]
	s_cbranch_execz .LBB87_178
; %bb.177:
	v_and_b32_e32 v4, 0xffff, v5
	v_lshlrev_b32_e32 v3, 24, v5
	v_and_b32_e32 v5, 7, v4
	v_ffbh_u32_e32 v7, v5
	v_min_u32_e32 v7, 32, v7
	v_subrev_u32_e32 v8, 28, v7
	v_bfe_u32 v6, v4, 3, 4
	v_lshlrev_b32_e32 v4, v8, v4
	v_sub_u32_e32 v7, 29, v7
	v_and_b32_e32 v4, 7, v4
	v_cmp_eq_u32_e32 vcc, 0, v6
	v_cndmask_b32_e32 v6, v6, v7, vcc
	v_cndmask_b32_e32 v4, v5, v4, vcc
	v_mov_b32_e32 v5, 0x3b800000
	v_lshlrev_b32_e32 v4, 20, v4
	v_and_b32_e32 v3, 0x80000000, v3
	v_lshl_add_u32 v5, v6, 23, v5
	v_or3_b32 v3, v3, v5, v4
	v_trunc_f32_e32 v3, v3
	s_mov_b32 s8, 0x2f800000
	v_mul_f32_e64 v4, |v3|, s8
	v_floor_f32_e32 v4, v4
	s_mov_b32 s8, 0xcf800000
	v_fma_f32 v5, v4, s8, |v3|
	v_cvt_u32_f32_e32 v5, v5
	v_cvt_u32_f32_e32 v4, v4
	v_ashrrev_i32_e32 v6, 31, v3
	v_xor_b32_e32 v3, v5, v6
	v_xor_b32_e32 v4, v4, v6
	v_sub_co_u32_e32 v3, vcc, v3, v6
	v_subb_co_u32_e32 v4, vcc, v4, v6, vcc
.LBB87_178:
	s_or_b64 exec, exec, s[0:1]
.LBB87_179:
	s_mov_b64 s[0:1], -1
.LBB87_180:
	s_branch .LBB87_211
.LBB87_181:
	s_cmp_gt_i32 s10, 22
	s_cbranch_scc0 .LBB87_191
; %bb.182:
	s_cmp_lt_i32 s10, 24
	s_cbranch_scc1 .LBB87_192
; %bb.183:
	s_cmp_gt_i32 s10, 24
	s_cbranch_scc0 .LBB87_193
; %bb.184:
	global_load_ubyte v5, v[1:2], off
	s_movk_i32 s0, 0x7f
	s_mov_b64 s[8:9], 0
	s_waitcnt vmcnt(0)
	v_cmp_lt_i16_e32 vcc, s0, v5
	s_and_saveexec_b64 s[0:1], vcc
	s_xor_b64 s[0:1], exec, s[0:1]
; %bb.185:
	s_movk_i32 s8, 0x80
	v_cmp_ne_u16_e32 vcc, s8, v5
	s_and_b64 s[8:9], vcc, exec
; %bb.186:
	s_andn2_saveexec_b64 s[0:1], s[0:1]
; %bb.187:
	v_cmp_ne_u16_e32 vcc, 0, v5
	s_andn2_b64 s[8:9], s[8:9], exec
	s_and_b64 s[12:13], vcc, exec
	s_or_b64 s[8:9], s[8:9], s[12:13]
; %bb.188:
	s_or_b64 exec, exec, s[0:1]
	v_mov_b32_e32 v3, 0
	v_mov_b32_e32 v4, 0
	s_and_saveexec_b64 s[0:1], s[8:9]
	s_cbranch_execz .LBB87_190
; %bb.189:
	v_and_b32_e32 v4, 0xffff, v5
	v_lshlrev_b32_e32 v3, 24, v5
	v_and_b32_e32 v5, 3, v4
	v_ffbh_u32_e32 v7, v5
	v_min_u32_e32 v7, 32, v7
	v_subrev_u32_e32 v8, 29, v7
	v_bfe_u32 v6, v4, 2, 5
	v_lshlrev_b32_e32 v4, v8, v4
	v_sub_u32_e32 v7, 30, v7
	v_and_b32_e32 v4, 3, v4
	v_cmp_eq_u32_e32 vcc, 0, v6
	v_cndmask_b32_e32 v6, v6, v7, vcc
	v_cndmask_b32_e32 v4, v5, v4, vcc
	v_mov_b32_e32 v5, 0x37800000
	v_lshlrev_b32_e32 v4, 21, v4
	v_and_b32_e32 v3, 0x80000000, v3
	v_lshl_add_u32 v5, v6, 23, v5
	v_or3_b32 v3, v3, v5, v4
	v_trunc_f32_e32 v3, v3
	s_mov_b32 s8, 0x2f800000
	v_mul_f32_e64 v4, |v3|, s8
	v_floor_f32_e32 v4, v4
	s_mov_b32 s8, 0xcf800000
	v_fma_f32 v5, v4, s8, |v3|
	v_cvt_u32_f32_e32 v5, v5
	v_cvt_u32_f32_e32 v4, v4
	v_ashrrev_i32_e32 v6, 31, v3
	v_xor_b32_e32 v3, v5, v6
	v_xor_b32_e32 v4, v4, v6
	v_sub_co_u32_e32 v3, vcc, v3, v6
	v_subb_co_u32_e32 v4, vcc, v4, v6, vcc
.LBB87_190:
	s_or_b64 exec, exec, s[0:1]
	s_mov_b64 s[0:1], 0
	s_branch .LBB87_194
.LBB87_191:
	s_mov_b64 s[8:9], -1
                                        ; implicit-def: $vgpr3_vgpr4
	s_branch .LBB87_200
.LBB87_192:
	s_mov_b64 s[0:1], -1
                                        ; implicit-def: $vgpr3_vgpr4
	s_branch .LBB87_197
.LBB87_193:
	s_mov_b64 s[0:1], -1
                                        ; implicit-def: $vgpr3_vgpr4
.LBB87_194:
	s_and_b64 vcc, exec, s[0:1]
	s_cbranch_vccz .LBB87_196
; %bb.195:
	global_load_ubyte v3, v[1:2], off
	s_mov_b32 s0, 0x7f800000
	s_brev_b32 s1, 1
	s_mov_b32 s8, 0x2f800000
	s_mov_b32 s9, 0xcf800000
	s_waitcnt vmcnt(0)
	v_lshlrev_b32_e32 v3, 24, v3
	v_and_b32_e32 v4, 0x7f000000, v3
	v_ffbh_u32_e32 v5, v4
	v_min_u32_e32 v5, 32, v5
	v_sub_u32_e64 v5, v5, 4 clamp
	v_lshlrev_b32_e32 v7, v5, v4
	v_lshlrev_b32_e32 v5, 23, v5
	v_lshrrev_b32_e32 v7, 4, v7
	v_add_u32_e32 v6, 0x1000000, v4
	v_sub_u32_e32 v5, v7, v5
	v_ashrrev_i32_e32 v6, 8, v6
	v_add_u32_e32 v5, 0x3c000000, v5
	v_and_or_b32 v5, v6, s0, v5
	v_cmp_ne_u32_e32 vcc, 0, v4
	v_cndmask_b32_e32 v4, 0, v5, vcc
	v_and_or_b32 v3, v3, s1, v4
	v_trunc_f32_e32 v3, v3
	v_mul_f32_e64 v4, |v3|, s8
	v_floor_f32_e32 v4, v4
	v_fma_f32 v5, v4, s9, |v3|
	v_cvt_u32_f32_e32 v5, v5
	v_cvt_u32_f32_e32 v4, v4
	v_ashrrev_i32_e32 v6, 31, v3
	v_xor_b32_e32 v3, v5, v6
	v_xor_b32_e32 v4, v4, v6
	v_sub_co_u32_e32 v3, vcc, v3, v6
	v_subb_co_u32_e32 v4, vcc, v4, v6, vcc
.LBB87_196:
	s_mov_b64 s[0:1], 0
.LBB87_197:
	s_andn2_b64 vcc, exec, s[0:1]
	s_cbranch_vccnz .LBB87_199
; %bb.198:
	global_load_ubyte v3, v[1:2], off
	s_movk_i32 s0, 0x7f00
	s_brev_b32 s1, 16
	s_brev_b32 s8, 1
	s_mov_b32 s9, 0x2f800000
	s_mov_b32 s11, 0xcf800000
	s_waitcnt vmcnt(0)
	v_lshlrev_b16_e32 v4, 8, v3
	v_lshlrev_b32_e32 v3, 25, v3
	v_lshrrev_b32_e32 v5, 4, v3
	v_and_or_b32 v6, v4, s0, 0.5
	v_or_b32_e32 v5, 0x70000000, v5
	v_add_f32_e32 v6, -0.5, v6
	v_mul_f32_e32 v5, 0x7800000, v5
	v_cmp_gt_u32_e32 vcc, s1, v3
	v_bfe_i32 v4, v4, 0, 16
	v_cndmask_b32_e32 v3, v5, v6, vcc
	v_and_or_b32 v3, v4, s8, v3
	v_trunc_f32_e32 v3, v3
	v_mul_f32_e64 v4, |v3|, s9
	v_floor_f32_e32 v4, v4
	v_fma_f32 v5, v4, s11, |v3|
	v_cvt_u32_f32_e32 v5, v5
	v_cvt_u32_f32_e32 v4, v4
	v_ashrrev_i32_e32 v6, 31, v3
	v_xor_b32_e32 v3, v5, v6
	v_xor_b32_e32 v4, v4, v6
	v_sub_co_u32_e32 v3, vcc, v3, v6
	v_subb_co_u32_e32 v4, vcc, v4, v6, vcc
.LBB87_199:
	s_mov_b64 s[8:9], 0
	s_mov_b64 s[0:1], -1
.LBB87_200:
	s_andn2_b64 vcc, exec, s[8:9]
	s_cbranch_vccnz .LBB87_211
; %bb.201:
	s_cmp_gt_i32 s10, 14
	s_cbranch_scc0 .LBB87_204
; %bb.202:
	s_cmp_eq_u32 s10, 15
	s_cbranch_scc0 .LBB87_205
; %bb.203:
	global_load_ushort v3, v[1:2], off
	s_mov_b32 s0, 0x2f800000
	s_mov_b32 s1, 0xcf800000
	s_mov_b64 s[2:3], 0
	s_waitcnt vmcnt(0)
	v_lshlrev_b32_e32 v3, 16, v3
	v_trunc_f32_e32 v3, v3
	v_mul_f32_e64 v4, |v3|, s0
	v_floor_f32_e32 v4, v4
	v_fma_f32 v5, v4, s1, |v3|
	v_cvt_u32_f32_e32 v5, v5
	v_cvt_u32_f32_e32 v4, v4
	v_ashrrev_i32_e32 v6, 31, v3
	s_mov_b64 s[0:1], -1
	v_xor_b32_e32 v3, v5, v6
	v_xor_b32_e32 v4, v4, v6
	v_sub_co_u32_e32 v3, vcc, v3, v6
	v_subb_co_u32_e32 v4, vcc, v4, v6, vcc
	s_branch .LBB87_206
.LBB87_204:
	s_mov_b64 s[8:9], -1
                                        ; implicit-def: $vgpr3_vgpr4
	s_branch .LBB87_207
.LBB87_205:
	s_mov_b64 s[2:3], -1
                                        ; implicit-def: $vgpr3_vgpr4
.LBB87_206:
	s_mov_b64 s[8:9], 0
.LBB87_207:
	s_and_b64 vcc, exec, s[8:9]
	s_cbranch_vccz .LBB87_211
; %bb.208:
	s_cmp_eq_u32 s10, 11
	s_cbranch_scc0 .LBB87_210
; %bb.209:
	global_load_ubyte v3, v[1:2], off
	s_mov_b32 s2, 0
	s_mov_b64 s[0:1], -1
	s_waitcnt vmcnt(1)
	v_mov_b32_e32 v4, s2
	s_mov_b64 s[2:3], 0
	s_waitcnt vmcnt(0)
	v_cmp_ne_u16_e32 vcc, 0, v3
	v_cndmask_b32_e64 v3, 0, 1, vcc
	s_branch .LBB87_211
.LBB87_210:
	s_mov_b64 s[2:3], -1
                                        ; implicit-def: $vgpr3_vgpr4
.LBB87_211:
	s_branch .LBB87_24
.LBB87_212:
	s_cmp_lt_i32 s10, 5
	s_cbranch_scc1 .LBB87_217
; %bb.213:
	s_cmp_lt_i32 s10, 8
	s_cbranch_scc1 .LBB87_218
; %bb.214:
	;; [unrolled: 3-line block ×3, first 2 shown]
	s_cmp_gt_i32 s10, 9
	s_cbranch_scc0 .LBB87_220
; %bb.216:
	global_load_dwordx2 v[3:4], v[1:2], off
	s_movk_i32 s0, 0xffe0
	s_waitcnt vmcnt(0)
	v_trunc_f64_e32 v[3:4], v[3:4]
	v_ldexp_f64 v[5:6], v[3:4], s0
	s_mov_b32 s0, 0
	s_mov_b32 s1, 0xc1f00000
	v_floor_f64_e32 v[5:6], v[5:6]
	v_fma_f64 v[7:8], v[5:6], s[0:1], v[3:4]
	v_cvt_i32_f64_e32 v4, v[5:6]
	s_mov_b64 s[0:1], 0
	v_cvt_u32_f64_e32 v3, v[7:8]
	s_branch .LBB87_221
.LBB87_217:
                                        ; implicit-def: $vgpr3_vgpr4
	s_branch .LBB87_239
.LBB87_218:
	s_mov_b64 s[0:1], -1
                                        ; implicit-def: $vgpr3_vgpr4
	s_branch .LBB87_227
.LBB87_219:
	s_mov_b64 s[0:1], -1
                                        ; implicit-def: $vgpr3_vgpr4
	s_branch .LBB87_224
.LBB87_220:
	s_mov_b64 s[0:1], -1
                                        ; implicit-def: $vgpr3_vgpr4
.LBB87_221:
	s_andn2_b64 vcc, exec, s[0:1]
	s_cbranch_vccnz .LBB87_223
; %bb.222:
	global_load_dword v3, v[1:2], off
	s_mov_b32 s0, 0x2f800000
	s_mov_b32 s1, 0xcf800000
	s_waitcnt vmcnt(0)
	v_trunc_f32_e32 v3, v3
	v_mul_f32_e64 v4, |v3|, s0
	v_floor_f32_e32 v4, v4
	v_cvt_u32_f32_e32 v5, v4
	v_fma_f32 v4, v4, s1, |v3|
	v_cvt_u32_f32_e32 v4, v4
	v_ashrrev_i32_e32 v6, 31, v3
	v_xor_b32_e32 v5, v5, v6
	v_xor_b32_e32 v3, v4, v6
	v_sub_co_u32_e32 v3, vcc, v3, v6
	v_subb_co_u32_e32 v4, vcc, v5, v6, vcc
.LBB87_223:
	s_mov_b64 s[0:1], 0
.LBB87_224:
	s_andn2_b64 vcc, exec, s[0:1]
	s_cbranch_vccnz .LBB87_226
; %bb.225:
	global_load_dword v3, v[1:2], off
	s_waitcnt vmcnt(0)
	v_cvt_f32_f16_e32 v3, v3
	v_cvt_i32_f32_e32 v3, v3
	v_ashrrev_i32_e32 v4, 31, v3
.LBB87_226:
	s_mov_b64 s[0:1], 0
.LBB87_227:
	s_andn2_b64 vcc, exec, s[0:1]
	s_cbranch_vccnz .LBB87_238
; %bb.228:
	s_cmp_lt_i32 s10, 6
	s_cbranch_scc1 .LBB87_231
; %bb.229:
	s_cmp_gt_i32 s10, 6
	s_cbranch_scc0 .LBB87_232
; %bb.230:
	global_load_dwordx2 v[3:4], v[1:2], off
	s_movk_i32 s0, 0xffe0
	s_waitcnt vmcnt(0)
	v_trunc_f64_e32 v[3:4], v[3:4]
	v_ldexp_f64 v[5:6], v[3:4], s0
	s_mov_b32 s0, 0
	s_mov_b32 s1, 0xc1f00000
	v_floor_f64_e32 v[5:6], v[5:6]
	v_fma_f64 v[7:8], v[5:6], s[0:1], v[3:4]
	v_cvt_i32_f64_e32 v4, v[5:6]
	s_mov_b64 s[0:1], 0
	v_cvt_u32_f64_e32 v3, v[7:8]
	s_branch .LBB87_233
.LBB87_231:
	s_mov_b64 s[0:1], -1
                                        ; implicit-def: $vgpr3_vgpr4
	s_branch .LBB87_236
.LBB87_232:
	s_mov_b64 s[0:1], -1
                                        ; implicit-def: $vgpr3_vgpr4
.LBB87_233:
	s_andn2_b64 vcc, exec, s[0:1]
	s_cbranch_vccnz .LBB87_235
; %bb.234:
	global_load_dword v3, v[1:2], off
	s_mov_b32 s0, 0x2f800000
	s_mov_b32 s1, 0xcf800000
	s_waitcnt vmcnt(0)
	v_trunc_f32_e32 v3, v3
	v_mul_f32_e64 v4, |v3|, s0
	v_floor_f32_e32 v4, v4
	v_cvt_u32_f32_e32 v5, v4
	v_fma_f32 v4, v4, s1, |v3|
	v_cvt_u32_f32_e32 v4, v4
	v_ashrrev_i32_e32 v6, 31, v3
	v_xor_b32_e32 v5, v5, v6
	v_xor_b32_e32 v3, v4, v6
	v_sub_co_u32_e32 v3, vcc, v3, v6
	v_subb_co_u32_e32 v4, vcc, v5, v6, vcc
.LBB87_235:
	s_mov_b64 s[0:1], 0
.LBB87_236:
	s_andn2_b64 vcc, exec, s[0:1]
	s_cbranch_vccnz .LBB87_238
; %bb.237:
	global_load_ushort v3, v[1:2], off
	s_waitcnt vmcnt(0)
	v_cvt_f32_f16_e32 v3, v3
	v_cvt_i32_f32_e32 v3, v3
	v_ashrrev_i32_e32 v4, 31, v3
.LBB87_238:
	s_cbranch_execnz .LBB87_258
.LBB87_239:
	s_cmp_lt_i32 s10, 2
	s_cbranch_scc1 .LBB87_243
; %bb.240:
	s_cmp_lt_i32 s10, 3
	s_cbranch_scc1 .LBB87_244
; %bb.241:
	s_cmp_gt_i32 s10, 3
	s_cbranch_scc0 .LBB87_245
; %bb.242:
	global_load_dwordx2 v[3:4], v[1:2], off
	s_mov_b64 s[0:1], 0
	s_branch .LBB87_246
.LBB87_243:
	s_mov_b64 s[0:1], -1
                                        ; implicit-def: $vgpr3_vgpr4
	s_branch .LBB87_252
.LBB87_244:
	s_mov_b64 s[0:1], -1
                                        ; implicit-def: $vgpr3_vgpr4
	s_branch .LBB87_249
.LBB87_245:
	s_mov_b64 s[0:1], -1
                                        ; implicit-def: $vgpr3_vgpr4
.LBB87_246:
	s_andn2_b64 vcc, exec, s[0:1]
	s_cbranch_vccnz .LBB87_248
; %bb.247:
	global_load_dword v3, v[1:2], off
	s_waitcnt vmcnt(0)
	v_ashrrev_i32_e32 v4, 31, v3
.LBB87_248:
	s_mov_b64 s[0:1], 0
.LBB87_249:
	s_andn2_b64 vcc, exec, s[0:1]
	s_cbranch_vccnz .LBB87_251
; %bb.250:
	global_load_ushort v3, v[1:2], off
	s_waitcnt vmcnt(0)
	v_bfe_i32 v3, v3, 0, 16
	v_ashrrev_i32_e32 v4, 31, v3
.LBB87_251:
	s_mov_b64 s[0:1], 0
.LBB87_252:
	s_andn2_b64 vcc, exec, s[0:1]
	s_cbranch_vccnz .LBB87_258
; %bb.253:
	s_cmp_gt_i32 s10, 0
	s_cbranch_scc0 .LBB87_255
; %bb.254:
	global_load_sbyte v3, v[1:2], off
	s_mov_b64 s[0:1], 0
	s_waitcnt vmcnt(0)
	v_bfe_i32 v3, v3, 0, 16
	v_ashrrev_i32_e32 v4, 31, v3
	s_branch .LBB87_256
.LBB87_255:
	s_mov_b64 s[0:1], -1
                                        ; implicit-def: $vgpr3_vgpr4
.LBB87_256:
	s_andn2_b64 vcc, exec, s[0:1]
	s_cbranch_vccnz .LBB87_258
; %bb.257:
	global_load_ubyte v1, v[1:2], off
	s_mov_b32 s0, 0
	s_waitcnt vmcnt(1)
	v_mov_b32_e32 v4, s0
	s_waitcnt vmcnt(0)
	v_and_b32_e32 v3, 0xffff, v1
.LBB87_258:
	s_branch .LBB87_25
.LBB87_259:
	s_mov_b64 s[0:1], 0
.LBB87_260:
	s_mov_b64 s[8:9], 0
                                        ; implicit-def: $vgpr11
.LBB87_261:
	s_and_b64 s[56:57], s[0:1], exec
	s_and_b64 s[58:59], s[2:3], exec
	s_orn2_b64 s[2:3], s[8:9], exec
.LBB87_262:
	s_or_b64 exec, exec, s[60:61]
	s_mov_b64 s[10:11], 0
	s_mov_b64 s[0:1], 0
                                        ; implicit-def: $vgpr1_vgpr2
                                        ; implicit-def: $vgpr0
                                        ; implicit-def: $vgpr5_vgpr6
	s_and_saveexec_b64 s[60:61], s[2:3]
	s_cbranch_execz .LBB87_269
; %bb.263:
	v_cmp_gt_i32_e32 vcc, s74, v11
	s_mov_b64 s[0:1], -1
	s_mov_b64 s[62:63], s[58:59]
	s_mov_b64 s[64:65], s[56:57]
	s_and_saveexec_b64 s[66:67], vcc
	s_cbranch_execz .LBB87_534
; %bb.264:
	s_andn2_b64 vcc, exec, s[40:41]
	s_cbranch_vccnz .LBB87_272
; %bb.265:
	s_andn2_b64 vcc, exec, s[54:55]
	s_cbranch_vccnz .LBB87_273
; %bb.266:
	s_add_i32 s68, s79, 1
	s_cmp_eq_u32 s76, 2
	s_cbranch_scc1 .LBB87_274
; %bb.267:
	s_and_b32 s45, s68, 28
	v_mov_b32_e32 v2, 0
	s_mov_b32 s69, 0
	s_mov_b64 s[62:63], s[34:35]
	s_mov_b64 s[64:65], s[52:53]
	v_mov_b32_e32 v0, 0
	v_mov_b32_e32 v1, v11
.LBB87_268:                             ; =>This Inner Loop Header: Depth=1
	s_load_dwordx8 s[16:23], s[62:63], 0x4
	s_load_dwordx4 s[0:3], s[62:63], 0x24
	s_load_dwordx8 s[8:15], s[64:65], 0x0
	s_add_u32 s62, s62, 48
	s_addc_u32 s63, s63, 0
	s_waitcnt vmcnt(0) lgkmcnt(0)
	v_mul_hi_u32 v3, s17, v1
	s_add_i32 s69, s69, 4
	s_add_u32 s64, s64, 32
	s_addc_u32 s65, s65, 0
	v_add_u32_e32 v3, v1, v3
	v_lshrrev_b32_e32 v3, s18, v3
	v_mul_lo_u32 v4, v3, s16
	v_mul_hi_u32 v5, s20, v3
	s_cmp_eq_u32 s45, s69
	v_sub_u32_e32 v1, v1, v4
	v_add_u32_e32 v4, v3, v5
	v_mul_lo_u32 v5, v1, s8
	v_mul_lo_u32 v6, v1, s9
	v_lshrrev_b32_e32 v1, s21, v4
	v_mul_lo_u32 v4, v1, s19
	v_mul_hi_u32 v7, s23, v1
	v_sub_u32_e32 v3, v3, v4
	v_add_u32_e32 v4, v1, v7
	v_lshrrev_b32_e32 v4, s0, v4
	v_mul_hi_u32 v8, s2, v4
	v_mul_lo_u32 v9, v4, s22
	v_mul_lo_u32 v7, v3, s10
	;; [unrolled: 1-line block ×3, first 2 shown]
	v_sub_u32_e32 v9, v1, v9
	v_add_u32_e32 v1, v4, v8
	v_lshrrev_b32_e32 v1, s3, v1
	v_mul_lo_u32 v8, v1, s1
	v_mul_lo_u32 v10, v9, s12
	;; [unrolled: 1-line block ×3, first 2 shown]
	v_add3_u32 v0, v5, v0, v7
	v_sub_u32_e32 v4, v4, v8
	v_mul_lo_u32 v8, v4, s14
	v_mul_lo_u32 v4, v4, s15
	v_add3_u32 v2, v6, v2, v3
	v_add3_u32 v0, v10, v0, v8
	;; [unrolled: 1-line block ×3, first 2 shown]
	s_cbranch_scc0 .LBB87_268
	s_branch .LBB87_275
.LBB87_269:
	s_or_b64 exec, exec, s[60:61]
	s_mov_b64 s[2:3], 0
	s_and_saveexec_b64 s[8:9], s[58:59]
	s_cbranch_execnz .LBB87_902
.LBB87_270:
	s_or_b64 exec, exec, s[8:9]
	s_and_saveexec_b64 s[8:9], s[64:65]
	s_xor_b64 s[8:9], exec, s[8:9]
	s_cbranch_execz .LBB87_903
.LBB87_271:
	global_load_ubyte v3, v[1:2], off
	s_mov_b32 s12, 0
	s_waitcnt vmcnt(1)
	v_mov_b32_e32 v6, s12
	s_or_b64 s[0:1], s[0:1], exec
	s_waitcnt vmcnt(0)
	v_cmp_ne_u16_e32 vcc, 0, v3
	v_cndmask_b32_e64 v5, 0, 1, vcc
	s_or_b64 exec, exec, s[8:9]
	s_and_saveexec_b64 s[8:9], s[10:11]
	s_cbranch_execz .LBB87_949
	s_branch .LBB87_904
.LBB87_272:
                                        ; implicit-def: $vgpr0
                                        ; implicit-def: $vgpr2
	s_andn2_b64 vcc, exec, s[0:1]
	s_cbranch_vccz .LBB87_279
	s_branch .LBB87_281
.LBB87_273:
	v_mov_b32_e32 v0, 0
	v_mov_b32_e32 v2, 0
	s_branch .LBB87_278
.LBB87_274:
	s_mov_b32 s45, 0
	v_mov_b32_e32 v0, 0
	v_mov_b32_e32 v2, 0
	v_mov_b32_e32 v1, v11
.LBB87_275:
	s_and_b32 s8, s68, 3
	s_cmp_eq_u32 s8, 0
	s_cbranch_scc1 .LBB87_278
; %bb.276:
	s_lshl_b32 s0, s45, 3
	s_add_u32 s0, s34, s0
	s_addc_u32 s1, s35, 0
	s_add_u32 s0, s0, 0xc4
	s_addc_u32 s1, s1, 0
	s_mul_i32 s2, s45, 12
	s_add_u32 s2, s34, s2
	s_addc_u32 s3, s35, 0
.LBB87_277:                             ; =>This Inner Loop Header: Depth=1
	s_load_dwordx2 s[10:11], s[2:3], 0x4
	s_load_dword s9, s[2:3], 0xc
	s_load_dwordx2 s[12:13], s[0:1], 0x0
	s_add_u32 s2, s2, 12
	s_addc_u32 s3, s3, 0
	s_waitcnt vmcnt(0) lgkmcnt(0)
	v_mul_hi_u32 v3, s11, v1
	s_add_u32 s0, s0, 8
	s_addc_u32 s1, s1, 0
	s_add_i32 s8, s8, -1
	v_add_u32_e32 v3, v1, v3
	v_lshrrev_b32_e32 v4, s9, v3
	v_mul_lo_u32 v3, v4, s10
	s_cmp_lg_u32 s8, 0
	v_sub_u32_e32 v3, v1, v3
	v_mad_u64_u32 v[0:1], s[10:11], v3, s12, v[0:1]
	v_mad_u64_u32 v[2:3], s[10:11], v3, s13, v[2:3]
	v_mov_b32_e32 v1, v4
	s_cbranch_scc1 .LBB87_277
.LBB87_278:
	s_cbranch_execnz .LBB87_281
.LBB87_279:
	v_mul_hi_u32 v0, s29, v11
	s_andn2_b64 vcc, exec, s[50:51]
	v_add_u32_e32 v0, v11, v0
	v_lshrrev_b32_e32 v1, s30, v0
	v_mul_lo_u32 v0, v1, s28
	v_sub_u32_e32 v2, v11, v0
	v_mul_lo_u32 v0, v2, s36
	v_mul_lo_u32 v2, v2, s37
	s_cbranch_vccnz .LBB87_281
; %bb.280:
	s_waitcnt vmcnt(0)
	v_mul_hi_u32 v3, s48, v1
	v_add_u32_e32 v3, v1, v3
	v_lshrrev_b32_e32 v3, s49, v3
	v_mul_lo_u32 v3, v3, s31
	v_sub_u32_e32 v3, v1, v3
	v_mad_u64_u32 v[0:1], s[0:1], v3, s38, v[0:1]
	v_mad_u64_u32 v[2:3], s[0:1], v3, s39, v[2:3]
.LBB87_281:
	s_waitcnt vmcnt(0)
	v_mov_b32_e32 v3, s27
	s_and_b32 s10, 0xffff, s78
	v_add_co_u32_e32 v1, vcc, s26, v2
	s_cmp_lt_i32 s10, 11
	v_addc_co_u32_e32 v2, vcc, 0, v3, vcc
	s_cbranch_scc1 .LBB87_288
; %bb.282:
	s_cmp_gt_i32 s10, 25
	s_cbranch_scc0 .LBB87_297
; %bb.283:
	s_cmp_gt_i32 s10, 28
	s_cbranch_scc0 .LBB87_299
	;; [unrolled: 3-line block ×4, first 2 shown]
; %bb.286:
	s_cmp_eq_u32 s10, 46
	s_mov_b64 s[8:9], 0
	s_cbranch_scc0 .LBB87_309
; %bb.287:
	global_load_dword v3, v[1:2], off
	s_mov_b32 s0, 0x2f800000
	s_mov_b32 s1, 0xcf800000
	s_mov_b64 s[2:3], 0
	s_waitcnt vmcnt(0)
	v_lshlrev_b32_e32 v3, 16, v3
	v_trunc_f32_e32 v3, v3
	v_mul_f32_e64 v4, |v3|, s0
	v_floor_f32_e32 v4, v4
	v_fma_f32 v5, v4, s1, |v3|
	v_cvt_u32_f32_e32 v5, v5
	v_cvt_u32_f32_e32 v4, v4
	v_ashrrev_i32_e32 v6, 31, v3
	s_mov_b64 s[0:1], -1
	v_xor_b32_e32 v3, v5, v6
	v_xor_b32_e32 v4, v4, v6
	v_sub_co_u32_e32 v3, vcc, v3, v6
	v_subb_co_u32_e32 v4, vcc, v4, v6, vcc
	s_branch .LBB87_310
.LBB87_288:
	s_mov_b64 s[0:1], 0
                                        ; implicit-def: $vgpr3_vgpr4
	s_mov_b64 s[2:3], s[58:59]
	s_cbranch_execnz .LBB87_483
.LBB87_289:
	s_andn2_b64 vcc, exec, s[0:1]
	s_cbranch_vccnz .LBB87_531
.LBB87_290:
	s_waitcnt vmcnt(0)
	v_lshlrev_b64 v[1:2], s44, v[3:4]
	v_mov_b32_e32 v4, s25
	s_and_b32 s14, s77, 0xff
	v_add_co_u32_e32 v3, vcc, s24, v0
	v_cndmask_b32_e64 v2, v2, 0, s[46:47]
	v_cndmask_b32_e64 v1, v1, 0, s[46:47]
	s_cmp_lt_i32 s14, 11
	v_addc_co_u32_e32 v4, vcc, 0, v4, vcc
	s_cbranch_scc1 .LBB87_298
; %bb.291:
	s_and_b32 s15, 0xffff, s14
	s_cmp_gt_i32 s15, 25
	s_cbranch_scc0 .LBB87_300
; %bb.292:
	s_cmp_gt_i32 s15, 28
	s_cbranch_scc0 .LBB87_302
; %bb.293:
	s_cmp_gt_i32 s15, 43
	s_cbranch_scc0 .LBB87_306
; %bb.294:
	s_cmp_gt_i32 s15, 45
	s_cbranch_scc0 .LBB87_313
; %bb.295:
	s_mov_b64 s[10:11], 0
	s_mov_b64 s[0:1], -1
	s_cmp_eq_u32 s15, 46
	s_mov_b64 s[8:9], 0
	s_cbranch_scc0 .LBB87_314
; %bb.296:
	v_xor_b32_e32 v5, v1, v2
	v_ffbh_i32_e32 v0, v2
	v_ashrrev_i32_e32 v5, 31, v5
	v_add_u32_e32 v0, -1, v0
	v_add_u32_e32 v5, 32, v5
	v_min_u32_e32 v0, v0, v5
	v_lshlrev_b64 v[5:6], v0, v[1:2]
	v_sub_u32_e32 v0, 32, v0
	v_min_u32_e32 v5, 1, v5
	v_or_b32_e32 v5, v6, v5
	v_cvt_f32_i32_e32 v5, v5
	s_movk_i32 s0, 0x7fff
	s_mov_b64 s[8:9], -1
	v_ldexp_f32 v0, v5, v0
	v_bfe_u32 v5, v0, 16, 1
	v_add3_u32 v0, v0, v5, s0
	v_lshrrev_b32_e32 v0, 16, v0
	global_store_dword v[3:4], v0, off
	s_mov_b64 s[0:1], 0
	s_branch .LBB87_314
.LBB87_297:
	s_mov_b64 s[8:9], -1
	s_mov_b64 s[0:1], 0
	s_mov_b64 s[2:3], s[58:59]
                                        ; implicit-def: $vgpr3_vgpr4
	s_branch .LBB87_451
.LBB87_298:
	s_mov_b64 s[10:11], -1
	s_mov_b64 s[8:9], 0
	s_mov_b64 s[0:1], s[56:57]
	s_branch .LBB87_383
.LBB87_299:
	s_mov_b64 s[8:9], -1
	s_mov_b64 s[0:1], 0
	s_mov_b64 s[2:3], s[58:59]
                                        ; implicit-def: $vgpr3_vgpr4
	s_branch .LBB87_432
.LBB87_300:
	s_mov_b64 s[10:11], -1
	s_mov_b64 s[8:9], 0
	s_mov_b64 s[0:1], s[56:57]
	s_branch .LBB87_341
.LBB87_301:
	s_mov_b64 s[8:9], -1
	s_mov_b64 s[0:1], 0
	s_mov_b64 s[2:3], s[58:59]
                                        ; implicit-def: $vgpr3_vgpr4
	s_branch .LBB87_427
.LBB87_302:
	s_mov_b64 s[10:11], -1
	s_mov_b64 s[8:9], 0
	s_mov_b64 s[0:1], s[56:57]
	s_branch .LBB87_324
.LBB87_303:
	s_andn2_saveexec_b64 s[12:13], s[12:13]
	s_cbranch_execz .LBB87_68
.LBB87_304:
	s_mov_b32 s16, 0x46000000
	v_add_f32_e64 v5, |v0|, s16
	v_and_b32_e32 v5, 0xff, v5
	v_cmp_ne_u32_e32 vcc, 0, v5
	s_andn2_b64 s[10:11], s[10:11], exec
	s_and_b64 s[16:17], vcc, exec
	s_or_b64 s[10:11], s[10:11], s[16:17]
	s_or_b64 exec, exec, s[12:13]
	v_mov_b32_e32 v6, 0
	s_and_saveexec_b64 s[12:13], s[10:11]
	s_cbranch_execnz .LBB87_69
	s_branch .LBB87_70
.LBB87_305:
	s_mov_b64 s[8:9], -1
	s_mov_b64 s[0:1], 0
	s_mov_b64 s[2:3], s[58:59]
                                        ; implicit-def: $vgpr3_vgpr4
	s_branch .LBB87_310
.LBB87_306:
	s_mov_b64 s[10:11], -1
	s_mov_b64 s[8:9], 0
	s_mov_b64 s[0:1], s[56:57]
	s_branch .LBB87_320
.LBB87_307:
	s_andn2_saveexec_b64 s[12:13], s[12:13]
	s_cbranch_execz .LBB87_81
.LBB87_308:
	s_mov_b32 s16, 0x42800000
	v_add_f32_e64 v5, |v0|, s16
	v_and_b32_e32 v5, 0xff, v5
	v_cmp_ne_u32_e32 vcc, 0, v5
	s_andn2_b64 s[10:11], s[10:11], exec
	s_and_b64 s[16:17], vcc, exec
	s_or_b64 s[10:11], s[10:11], s[16:17]
	s_or_b64 exec, exec, s[12:13]
	v_mov_b32_e32 v6, 0
	s_and_saveexec_b64 s[12:13], s[10:11]
	s_cbranch_execnz .LBB87_82
	s_branch .LBB87_83
.LBB87_309:
	s_mov_b64 s[2:3], -1
                                        ; implicit-def: $vgpr3_vgpr4
	s_mov_b64 s[0:1], 0
.LBB87_310:
	s_and_b64 vcc, exec, s[8:9]
	s_cbranch_vccz .LBB87_426
; %bb.311:
	s_cmp_eq_u32 s10, 44
	s_cbranch_scc0 .LBB87_425
; %bb.312:
	global_load_ubyte v3, v[1:2], off
	s_mov_b32 s0, 0x2f800000
	s_mov_b32 s1, 0xcf800000
	s_mov_b64 s[2:3], 0
	s_waitcnt vmcnt(0)
	v_lshlrev_b32_e32 v4, 23, v3
	v_trunc_f32_e32 v4, v4
	v_mul_f32_e64 v5, |v4|, s0
	v_floor_f32_e32 v5, v5
	v_fma_f32 v6, v5, s1, |v4|
	v_cvt_u32_f32_e32 v6, v6
	v_cvt_u32_f32_e32 v5, v5
	v_ashrrev_i32_e32 v4, 31, v4
	s_mov_b64 s[0:1], -1
	v_xor_b32_e32 v6, v6, v4
	v_xor_b32_e32 v5, v5, v4
	v_sub_co_u32_e32 v6, vcc, v6, v4
	v_subb_co_u32_e32 v4, vcc, v5, v4, vcc
	v_cmp_ne_u32_e32 vcc, 0, v3
	v_cndmask_b32_e32 v4, 0, v4, vcc
	v_cndmask_b32_e32 v3, 0, v6, vcc
	s_branch .LBB87_426
.LBB87_313:
	s_mov_b64 s[10:11], -1
	s_mov_b64 s[8:9], 0
	s_mov_b64 s[0:1], s[56:57]
.LBB87_314:
	s_and_b64 vcc, exec, s[10:11]
	s_cbranch_vccz .LBB87_319
; %bb.315:
	s_cmp_eq_u32 s15, 44
	s_mov_b64 s[0:1], -1
	s_cbranch_scc0 .LBB87_319
; %bb.316:
	v_xor_b32_e32 v5, v1, v2
	v_ffbh_i32_e32 v0, v2
	v_ashrrev_i32_e32 v5, 31, v5
	v_add_u32_e32 v0, -1, v0
	v_add_u32_e32 v5, 32, v5
	v_min_u32_e32 v0, v0, v5
	v_lshlrev_b64 v[5:6], v0, v[1:2]
	v_sub_u32_e32 v0, 32, v0
	v_min_u32_e32 v5, 1, v5
	v_or_b32_e32 v5, v6, v5
	v_cvt_f32_i32_e32 v5, v5
	s_movk_i32 s0, 0xff
	v_mov_b32_e32 v6, 0xff
	v_ldexp_f32 v0, v5, v0
	v_bfe_u32 v5, v0, 23, 8
	v_cmp_ne_u32_e32 vcc, s0, v5
	s_and_saveexec_b64 s[8:9], vcc
; %bb.317:
	s_mov_b32 s0, 0x3fffff
	v_lshrrev_b32_e32 v6, 23, v0
	v_and_b32_e32 v7, 0x400000, v0
	v_and_or_b32 v0, v0, s0, v5
	v_cmp_ne_u32_e32 vcc, 0, v7
	v_cmp_ne_u32_e64 s[0:1], 0, v0
	s_and_b64 s[0:1], vcc, s[0:1]
	v_cndmask_b32_e64 v0, 0, 1, s[0:1]
	v_add_u32_e32 v6, v6, v0
; %bb.318:
	s_or_b64 exec, exec, s[8:9]
	s_mov_b64 s[8:9], -1
	s_mov_b64 s[0:1], 0
	global_store_byte v[3:4], v6, off
.LBB87_319:
	s_mov_b64 s[10:11], 0
.LBB87_320:
	s_and_b64 vcc, exec, s[10:11]
	s_cbranch_vccz .LBB87_323
; %bb.321:
	s_cmp_eq_u32 s15, 29
	s_mov_b64 s[0:1], -1
	s_cbranch_scc0 .LBB87_323
; %bb.322:
	global_store_dwordx2 v[3:4], v[1:2], off
	s_mov_b64 s[8:9], -1
	s_mov_b64 s[0:1], 0
.LBB87_323:
	s_mov_b64 s[10:11], 0
.LBB87_324:
	s_and_b64 vcc, exec, s[10:11]
	s_cbranch_vccz .LBB87_340
; %bb.325:
	s_cmp_lt_i32 s15, 27
	s_mov_b64 s[8:9], -1
	s_cbranch_scc1 .LBB87_331
; %bb.326:
	s_cmp_gt_i32 s15, 27
	s_cbranch_scc0 .LBB87_328
; %bb.327:
	s_mov_b64 s[8:9], 0
	global_store_dword v[3:4], v1, off
.LBB87_328:
	s_andn2_b64 vcc, exec, s[8:9]
	s_cbranch_vccnz .LBB87_330
; %bb.329:
	global_store_short v[3:4], v1, off
.LBB87_330:
	s_mov_b64 s[8:9], 0
.LBB87_331:
	s_andn2_b64 vcc, exec, s[8:9]
	s_cbranch_vccnz .LBB87_339
; %bb.332:
	v_xor_b32_e32 v5, v1, v2
	v_ffbh_i32_e32 v0, v2
	v_ashrrev_i32_e32 v5, 31, v5
	v_add_u32_e32 v0, -1, v0
	v_add_u32_e32 v5, 32, v5
	v_min_u32_e32 v0, v0, v5
	v_lshlrev_b64 v[5:6], v0, v[1:2]
	v_sub_u32_e32 v0, 32, v0
	v_min_u32_e32 v5, 1, v5
	v_or_b32_e32 v5, v6, v5
	v_cvt_f32_i32_e32 v5, v5
	s_mov_b32 s8, 0x43800000
	v_mov_b32_e32 v6, 0x80
	v_ldexp_f32 v0, v5, v0
	v_and_b32_e32 v5, 0x7fffffff, v0
	v_cmp_gt_u32_e32 vcc, s8, v5
	s_and_saveexec_b64 s[8:9], vcc
	s_cbranch_execz .LBB87_338
; %bb.333:
	s_mov_b32 s10, 0x3bffffff
	v_cmp_lt_u32_e32 vcc, s10, v5
	s_mov_b64 s[10:11], 0
                                        ; implicit-def: $vgpr5
	s_and_saveexec_b64 s[12:13], vcc
	s_xor_b64 s[12:13], exec, s[12:13]
	s_cbranch_execz .LBB87_562
; %bb.334:
	v_bfe_u32 v5, v0, 20, 1
	s_mov_b32 s16, 0x487ffff
	v_add3_u32 v5, v0, v5, s16
	s_mov_b64 s[10:11], exec
	v_lshrrev_b32_e32 v5, 20, v5
	s_andn2_saveexec_b64 s[12:13], s[12:13]
	s_cbranch_execnz .LBB87_563
.LBB87_335:
	s_or_b64 exec, exec, s[12:13]
	v_mov_b32_e32 v6, 0
	s_and_saveexec_b64 s[12:13], s[10:11]
.LBB87_336:
	v_lshrrev_b32_e32 v0, 24, v0
	s_movk_i32 s10, 0x80
	v_and_or_b32 v6, v0, s10, v5
.LBB87_337:
	s_or_b64 exec, exec, s[12:13]
.LBB87_338:
	s_or_b64 exec, exec, s[8:9]
	global_store_byte v[3:4], v6, off
.LBB87_339:
	s_mov_b64 s[8:9], -1
.LBB87_340:
	s_mov_b64 s[10:11], 0
.LBB87_341:
	s_and_b64 vcc, exec, s[10:11]
	s_cbranch_vccz .LBB87_382
; %bb.342:
	s_cmp_gt_i32 s15, 22
	s_mov_b64 s[10:11], -1
	s_cbranch_scc0 .LBB87_374
; %bb.343:
	s_cmp_lt_i32 s15, 24
	s_mov_b64 s[8:9], -1
	s_cbranch_scc1 .LBB87_363
; %bb.344:
	s_cmp_gt_i32 s15, 24
	s_cbranch_scc0 .LBB87_352
; %bb.345:
	v_xor_b32_e32 v5, v1, v2
	v_ffbh_i32_e32 v0, v2
	v_ashrrev_i32_e32 v5, 31, v5
	v_add_u32_e32 v0, -1, v0
	v_add_u32_e32 v5, 32, v5
	v_min_u32_e32 v0, v0, v5
	v_lshlrev_b64 v[5:6], v0, v[1:2]
	v_sub_u32_e32 v0, 32, v0
	v_min_u32_e32 v5, 1, v5
	v_or_b32_e32 v5, v6, v5
	v_cvt_f32_i32_e32 v5, v5
	s_mov_b32 s8, 0x47800000
	v_mov_b32_e32 v6, 0x80
	v_ldexp_f32 v0, v5, v0
	v_and_b32_e32 v5, 0x7fffffff, v0
	v_cmp_gt_u32_e32 vcc, s8, v5
	s_and_saveexec_b64 s[8:9], vcc
	s_cbranch_execz .LBB87_351
; %bb.346:
	s_mov_b32 s10, 0x37ffffff
	v_cmp_lt_u32_e32 vcc, s10, v5
	s_mov_b64 s[10:11], 0
                                        ; implicit-def: $vgpr5
	s_and_saveexec_b64 s[12:13], vcc
	s_xor_b64 s[12:13], exec, s[12:13]
	s_cbranch_execz .LBB87_565
; %bb.347:
	v_bfe_u32 v5, v0, 21, 1
	s_mov_b32 s16, 0x88fffff
	v_add3_u32 v5, v0, v5, s16
	s_mov_b64 s[10:11], exec
	v_lshrrev_b32_e32 v5, 21, v5
	s_andn2_saveexec_b64 s[12:13], s[12:13]
	s_cbranch_execnz .LBB87_566
.LBB87_348:
	s_or_b64 exec, exec, s[12:13]
	v_mov_b32_e32 v6, 0
	s_and_saveexec_b64 s[12:13], s[10:11]
.LBB87_349:
	v_lshrrev_b32_e32 v0, 24, v0
	s_movk_i32 s10, 0x80
	v_and_or_b32 v6, v0, s10, v5
.LBB87_350:
	s_or_b64 exec, exec, s[12:13]
.LBB87_351:
	s_or_b64 exec, exec, s[8:9]
	s_mov_b64 s[8:9], 0
	global_store_byte v[3:4], v6, off
.LBB87_352:
	s_and_b64 vcc, exec, s[8:9]
	s_cbranch_vccz .LBB87_362
; %bb.353:
	v_xor_b32_e32 v5, v1, v2
	v_ffbh_i32_e32 v0, v2
	v_ashrrev_i32_e32 v5, 31, v5
	v_add_u32_e32 v0, -1, v0
	v_add_u32_e32 v5, 32, v5
	v_min_u32_e32 v0, v0, v5
	v_lshlrev_b64 v[5:6], v0, v[1:2]
	v_sub_u32_e32 v0, 32, v0
	v_min_u32_e32 v5, 1, v5
	v_or_b32_e32 v5, v6, v5
	v_cvt_f32_i32_e32 v5, v5
	s_mov_b32 s8, 0x43f00000
	v_ldexp_f32 v0, v5, v0
	v_and_b32_e32 v6, 0x7fffffff, v0
	v_cmp_gt_u32_e32 vcc, s8, v6
                                        ; implicit-def: $vgpr5
	s_and_saveexec_b64 s[8:9], vcc
	s_xor_b64 s[8:9], exec, s[8:9]
	s_cbranch_execz .LBB87_359
; %bb.354:
	s_mov_b32 s10, 0x3c7fffff
	v_cmp_lt_u32_e32 vcc, s10, v6
                                        ; implicit-def: $vgpr5
	s_and_saveexec_b64 s[10:11], vcc
	s_xor_b64 s[10:11], exec, s[10:11]
; %bb.355:
	v_bfe_u32 v5, v0, 20, 1
	s_mov_b32 s12, 0x407ffff
	v_add3_u32 v5, v0, v5, s12
	v_lshrrev_b32_e32 v6, 20, v5
	v_and_b32_e32 v5, 0xff00000, v5
	s_mov_b32 s12, 0x7f00000
	v_mov_b32_e32 v7, 0x7e
	v_cmp_ne_u32_e32 vcc, s12, v5
	v_cndmask_b32_e32 v5, v7, v6, vcc
; %bb.356:
	s_andn2_saveexec_b64 s[10:11], s[10:11]
; %bb.357:
	s_mov_b32 s12, 0x46800000
	v_add_f32_e64 v5, |v0|, s12
; %bb.358:
	s_or_b64 exec, exec, s[10:11]
                                        ; implicit-def: $vgpr6
.LBB87_359:
	s_andn2_saveexec_b64 s[8:9], s[8:9]
; %bb.360:
	s_mov_b32 s10, 0x7f800000
	v_mov_b32_e32 v5, 0x7e
	v_mov_b32_e32 v7, 0x7f
	v_cmp_lt_u32_e32 vcc, s10, v6
	v_cndmask_b32_e32 v5, v5, v7, vcc
; %bb.361:
	s_or_b64 exec, exec, s[8:9]
	v_lshrrev_b32_e32 v0, 24, v0
	s_movk_i32 s8, 0x80
	v_and_or_b32 v0, v0, s8, v5
	global_store_byte v[3:4], v0, off
.LBB87_362:
	s_mov_b64 s[8:9], 0
.LBB87_363:
	s_andn2_b64 vcc, exec, s[8:9]
	s_cbranch_vccnz .LBB87_373
; %bb.364:
	v_xor_b32_e32 v5, v1, v2
	v_ffbh_i32_e32 v0, v2
	v_ashrrev_i32_e32 v5, 31, v5
	v_add_u32_e32 v0, -1, v0
	v_add_u32_e32 v5, 32, v5
	v_min_u32_e32 v0, v0, v5
	v_lshlrev_b64 v[5:6], v0, v[1:2]
	v_sub_u32_e32 v0, 32, v0
	v_min_u32_e32 v5, 1, v5
	v_or_b32_e32 v5, v6, v5
	v_cvt_f32_i32_e32 v5, v5
	s_mov_b32 s8, 0x47800000
	v_ldexp_f32 v0, v5, v0
	v_and_b32_e32 v6, 0x7fffffff, v0
	v_cmp_gt_u32_e32 vcc, s8, v6
                                        ; implicit-def: $vgpr5
	s_and_saveexec_b64 s[8:9], vcc
	s_xor_b64 s[8:9], exec, s[8:9]
	s_cbranch_execz .LBB87_370
; %bb.365:
	s_mov_b32 s10, 0x387fffff
	v_cmp_lt_u32_e32 vcc, s10, v6
                                        ; implicit-def: $vgpr5
	s_and_saveexec_b64 s[10:11], vcc
	s_xor_b64 s[10:11], exec, s[10:11]
; %bb.366:
	v_bfe_u32 v5, v0, 21, 1
	s_mov_b32 s12, 0x80fffff
	v_add3_u32 v5, v0, v5, s12
	v_lshrrev_b32_e32 v5, 21, v5
; %bb.367:
	s_andn2_saveexec_b64 s[10:11], s[10:11]
; %bb.368:
	s_mov_b32 s12, 0x43000000
	v_add_f32_e64 v5, |v0|, s12
; %bb.369:
	s_or_b64 exec, exec, s[10:11]
                                        ; implicit-def: $vgpr6
.LBB87_370:
	s_andn2_saveexec_b64 s[8:9], s[8:9]
; %bb.371:
	s_mov_b32 s10, 0x7f800000
	v_mov_b32_e32 v5, 0x7c
	v_mov_b32_e32 v7, 0x7f
	v_cmp_lt_u32_e32 vcc, s10, v6
	v_cndmask_b32_e32 v5, v5, v7, vcc
; %bb.372:
	s_or_b64 exec, exec, s[8:9]
	v_lshrrev_b32_e32 v0, 24, v0
	s_movk_i32 s8, 0x80
	v_and_or_b32 v0, v0, s8, v5
	global_store_byte v[3:4], v0, off
.LBB87_373:
	s_mov_b64 s[10:11], 0
	s_mov_b64 s[8:9], -1
.LBB87_374:
	s_andn2_b64 vcc, exec, s[10:11]
	s_cbranch_vccnz .LBB87_382
; %bb.375:
	s_cmp_gt_i32 s15, 14
	s_mov_b64 s[10:11], -1
	s_cbranch_scc0 .LBB87_379
; %bb.376:
	s_cmp_eq_u32 s15, 15
	s_mov_b64 s[0:1], -1
	s_cbranch_scc0 .LBB87_378
; %bb.377:
	v_xor_b32_e32 v5, v1, v2
	v_ffbh_i32_e32 v0, v2
	v_ashrrev_i32_e32 v5, 31, v5
	v_add_u32_e32 v0, -1, v0
	v_add_u32_e32 v5, 32, v5
	v_min_u32_e32 v0, v0, v5
	v_lshlrev_b64 v[5:6], v0, v[1:2]
	v_sub_u32_e32 v0, 32, v0
	v_min_u32_e32 v5, 1, v5
	v_or_b32_e32 v5, v6, v5
	v_cvt_f32_i32_e32 v5, v5
	s_movk_i32 s0, 0x7fff
	s_mov_b64 s[8:9], -1
	v_ldexp_f32 v0, v5, v0
	v_bfe_u32 v5, v0, 16, 1
	v_add3_u32 v0, v0, v5, s0
	global_store_short_d16_hi v[3:4], v0, off
	s_mov_b64 s[0:1], 0
.LBB87_378:
	s_mov_b64 s[10:11], 0
.LBB87_379:
	s_and_b64 vcc, exec, s[10:11]
	s_cbranch_vccz .LBB87_382
; %bb.380:
	s_cmp_eq_u32 s15, 11
	s_mov_b64 s[0:1], -1
	s_cbranch_scc0 .LBB87_382
; %bb.381:
	v_cmp_ne_u64_e32 vcc, 0, v[1:2]
	s_mov_b64 s[0:1], 0
	v_cndmask_b32_e64 v0, 0, 1, vcc
	s_mov_b64 s[8:9], -1
	global_store_byte v[3:4], v0, off
.LBB87_382:
	s_mov_b64 s[10:11], 0
.LBB87_383:
	s_and_b64 vcc, exec, s[10:11]
	s_cbranch_vccz .LBB87_422
; %bb.384:
	s_and_b32 s10, 0xffff, s14
	s_cmp_lt_i32 s10, 5
	s_mov_b64 s[8:9], -1
	s_cbranch_scc1 .LBB87_405
; %bb.385:
	s_cmp_lt_i32 s10, 8
	s_cbranch_scc1 .LBB87_395
; %bb.386:
	s_cmp_lt_i32 s10, 9
	s_cbranch_scc1 .LBB87_392
; %bb.387:
	s_cmp_gt_i32 s10, 9
	s_cbranch_scc0 .LBB87_389
; %bb.388:
	v_cvt_f64_i32_e32 v[5:6], v2
	v_cvt_f64_u32_e32 v[7:8], v1
	s_mov_b64 s[8:9], 0
	v_ldexp_f64 v[5:6], v[5:6], 32
	v_add_f64 v[5:6], v[5:6], v[7:8]
	v_mov_b32_e32 v7, 0
	v_mov_b32_e32 v8, v7
	global_store_dwordx4 v[3:4], v[5:8], off
.LBB87_389:
	s_andn2_b64 vcc, exec, s[8:9]
	s_cbranch_vccnz .LBB87_391
; %bb.390:
	v_xor_b32_e32 v5, v1, v2
	v_ffbh_i32_e32 v0, v2
	v_ashrrev_i32_e32 v5, 31, v5
	v_add_u32_e32 v0, -1, v0
	v_add_u32_e32 v5, 32, v5
	v_min_u32_e32 v0, v0, v5
	v_lshlrev_b64 v[5:6], v0, v[1:2]
	v_sub_u32_e32 v0, 32, v0
	v_min_u32_e32 v5, 1, v5
	v_or_b32_e32 v5, v6, v5
	v_cvt_f32_i32_e32 v5, v5
	v_mov_b32_e32 v6, 0
	v_ldexp_f32 v5, v5, v0
	global_store_dwordx2 v[3:4], v[5:6], off
.LBB87_391:
	s_mov_b64 s[8:9], 0
.LBB87_392:
	s_andn2_b64 vcc, exec, s[8:9]
	s_cbranch_vccnz .LBB87_394
; %bb.393:
	v_xor_b32_e32 v5, v1, v2
	v_ffbh_i32_e32 v0, v2
	v_ashrrev_i32_e32 v5, 31, v5
	v_add_u32_e32 v0, -1, v0
	v_add_u32_e32 v5, 32, v5
	v_min_u32_e32 v0, v0, v5
	v_lshlrev_b64 v[5:6], v0, v[1:2]
	v_sub_u32_e32 v0, 32, v0
	v_min_u32_e32 v5, 1, v5
	v_or_b32_e32 v5, v6, v5
	v_cvt_f32_i32_e32 v5, v5
	v_ldexp_f32 v0, v5, v0
	v_cvt_f16_f32_e32 v0, v0
	global_store_dword v[3:4], v0, off
.LBB87_394:
	s_mov_b64 s[8:9], 0
.LBB87_395:
	s_andn2_b64 vcc, exec, s[8:9]
	s_cbranch_vccnz .LBB87_404
; %bb.396:
	s_cmp_lt_i32 s10, 6
	s_mov_b64 s[8:9], -1
	s_cbranch_scc1 .LBB87_402
; %bb.397:
	s_cmp_gt_i32 s10, 6
	s_cbranch_scc0 .LBB87_399
; %bb.398:
	v_cvt_f64_i32_e32 v[5:6], v2
	v_cvt_f64_u32_e32 v[7:8], v1
	s_mov_b64 s[8:9], 0
	v_ldexp_f64 v[5:6], v[5:6], 32
	v_add_f64 v[5:6], v[5:6], v[7:8]
	global_store_dwordx2 v[3:4], v[5:6], off
.LBB87_399:
	s_andn2_b64 vcc, exec, s[8:9]
	s_cbranch_vccnz .LBB87_401
; %bb.400:
	v_xor_b32_e32 v5, v1, v2
	v_ffbh_i32_e32 v0, v2
	v_ashrrev_i32_e32 v5, 31, v5
	v_add_u32_e32 v0, -1, v0
	v_add_u32_e32 v5, 32, v5
	v_min_u32_e32 v0, v0, v5
	v_lshlrev_b64 v[5:6], v0, v[1:2]
	v_sub_u32_e32 v0, 32, v0
	v_min_u32_e32 v5, 1, v5
	v_or_b32_e32 v5, v6, v5
	v_cvt_f32_i32_e32 v5, v5
	v_ldexp_f32 v0, v5, v0
	global_store_dword v[3:4], v0, off
.LBB87_401:
	s_mov_b64 s[8:9], 0
.LBB87_402:
	s_andn2_b64 vcc, exec, s[8:9]
	s_cbranch_vccnz .LBB87_404
; %bb.403:
	v_xor_b32_e32 v5, v1, v2
	v_ffbh_i32_e32 v0, v2
	v_ashrrev_i32_e32 v5, 31, v5
	v_add_u32_e32 v0, -1, v0
	v_add_u32_e32 v5, 32, v5
	v_min_u32_e32 v0, v0, v5
	v_lshlrev_b64 v[5:6], v0, v[1:2]
	v_sub_u32_e32 v0, 32, v0
	v_min_u32_e32 v5, 1, v5
	v_or_b32_e32 v5, v6, v5
	v_cvt_f32_i32_e32 v5, v5
	v_ldexp_f32 v0, v5, v0
	v_cvt_f16_f32_e32 v0, v0
	global_store_short v[3:4], v0, off
.LBB87_404:
	s_mov_b64 s[8:9], 0
.LBB87_405:
	s_andn2_b64 vcc, exec, s[8:9]
	s_cbranch_vccnz .LBB87_421
; %bb.406:
	s_cmp_lt_i32 s10, 2
	s_mov_b64 s[8:9], -1
	s_cbranch_scc1 .LBB87_416
; %bb.407:
	s_cmp_lt_i32 s10, 3
	s_cbranch_scc1 .LBB87_413
; %bb.408:
	s_cmp_gt_i32 s10, 3
	s_cbranch_scc0 .LBB87_410
; %bb.409:
	s_mov_b64 s[8:9], 0
	global_store_dwordx2 v[3:4], v[1:2], off
.LBB87_410:
	s_andn2_b64 vcc, exec, s[8:9]
	s_cbranch_vccnz .LBB87_412
; %bb.411:
	global_store_dword v[3:4], v1, off
.LBB87_412:
	s_mov_b64 s[8:9], 0
.LBB87_413:
	s_andn2_b64 vcc, exec, s[8:9]
	s_cbranch_vccnz .LBB87_415
; %bb.414:
	global_store_short v[3:4], v1, off
.LBB87_415:
	s_mov_b64 s[8:9], 0
.LBB87_416:
	s_andn2_b64 vcc, exec, s[8:9]
	s_cbranch_vccnz .LBB87_421
; %bb.417:
	s_cmp_gt_i32 s10, 0
	s_mov_b64 s[8:9], -1
	s_cbranch_scc0 .LBB87_419
; %bb.418:
	s_mov_b64 s[8:9], 0
	global_store_byte v[3:4], v1, off
.LBB87_419:
	s_andn2_b64 vcc, exec, s[8:9]
	s_cbranch_vccnz .LBB87_421
; %bb.420:
	global_store_byte v[3:4], v1, off
.LBB87_421:
	s_mov_b64 s[8:9], -1
.LBB87_422:
	s_andn2_b64 vcc, exec, s[8:9]
	s_cbranch_vccnz .LBB87_424
; %bb.423:
	v_add_u32_e32 v11, 0x80, v11
	s_mov_b64 s[8:9], -1
	s_branch .LBB87_533
.LBB87_424:
	s_mov_b64 s[8:9], 0
	s_branch .LBB87_532
.LBB87_425:
	s_mov_b64 s[2:3], -1
                                        ; implicit-def: $vgpr3_vgpr4
.LBB87_426:
	s_mov_b64 s[8:9], 0
.LBB87_427:
	s_and_b64 vcc, exec, s[8:9]
	s_cbranch_vccz .LBB87_431
; %bb.428:
	s_cmp_eq_u32 s10, 29
	s_cbranch_scc0 .LBB87_430
; %bb.429:
	global_load_dwordx2 v[3:4], v[1:2], off
	s_mov_b64 s[0:1], -1
	s_mov_b64 s[2:3], 0
	s_branch .LBB87_431
.LBB87_430:
	s_mov_b64 s[2:3], -1
                                        ; implicit-def: $vgpr3_vgpr4
.LBB87_431:
	s_mov_b64 s[8:9], 0
.LBB87_432:
	s_and_b64 vcc, exec, s[8:9]
	s_cbranch_vccz .LBB87_450
; %bb.433:
	s_cmp_lt_i32 s10, 27
	s_cbranch_scc1 .LBB87_436
; %bb.434:
	s_cmp_gt_i32 s10, 27
	s_cbranch_scc0 .LBB87_437
; %bb.435:
	global_load_dword v3, v[1:2], off
	s_waitcnt vmcnt(1)
	v_mov_b32_e32 v4, 0
	s_mov_b64 s[0:1], 0
	s_branch .LBB87_438
.LBB87_436:
	s_mov_b64 s[0:1], -1
                                        ; implicit-def: $vgpr3_vgpr4
	s_branch .LBB87_441
.LBB87_437:
	s_mov_b64 s[0:1], -1
                                        ; implicit-def: $vgpr3_vgpr4
.LBB87_438:
	s_andn2_b64 vcc, exec, s[0:1]
	s_cbranch_vccnz .LBB87_440
; %bb.439:
	global_load_ushort v3, v[1:2], off
	s_mov_b32 s0, 0
	s_waitcnt vmcnt(1)
	v_mov_b32_e32 v4, s0
	s_waitcnt vmcnt(0)
	v_and_b32_e32 v3, 0xffff, v3
.LBB87_440:
	s_mov_b64 s[0:1], 0
.LBB87_441:
	s_andn2_b64 vcc, exec, s[0:1]
	s_cbranch_vccnz .LBB87_449
; %bb.442:
	global_load_ubyte v5, v[1:2], off
	s_movk_i32 s0, 0x7f
	s_mov_b64 s[8:9], 0
	s_waitcnt vmcnt(0)
	v_cmp_lt_i16_e32 vcc, s0, v5
	s_and_saveexec_b64 s[0:1], vcc
	s_xor_b64 s[0:1], exec, s[0:1]
; %bb.443:
	s_movk_i32 s8, 0x80
	v_cmp_ne_u16_e32 vcc, s8, v5
	s_and_b64 s[8:9], vcc, exec
; %bb.444:
	s_andn2_saveexec_b64 s[0:1], s[0:1]
; %bb.445:
	v_cmp_ne_u16_e32 vcc, 0, v5
	s_andn2_b64 s[8:9], s[8:9], exec
	s_and_b64 s[12:13], vcc, exec
	s_or_b64 s[8:9], s[8:9], s[12:13]
; %bb.446:
	s_or_b64 exec, exec, s[0:1]
	v_mov_b32_e32 v3, 0
	v_mov_b32_e32 v4, 0
	s_and_saveexec_b64 s[0:1], s[8:9]
	s_cbranch_execz .LBB87_448
; %bb.447:
	v_and_b32_e32 v4, 0xffff, v5
	v_lshlrev_b32_e32 v3, 24, v5
	v_and_b32_e32 v5, 7, v4
	v_ffbh_u32_e32 v7, v5
	v_min_u32_e32 v7, 32, v7
	v_subrev_u32_e32 v8, 28, v7
	v_bfe_u32 v6, v4, 3, 4
	v_lshlrev_b32_e32 v4, v8, v4
	v_sub_u32_e32 v7, 29, v7
	v_and_b32_e32 v4, 7, v4
	v_cmp_eq_u32_e32 vcc, 0, v6
	v_cndmask_b32_e32 v6, v6, v7, vcc
	v_cndmask_b32_e32 v4, v5, v4, vcc
	v_mov_b32_e32 v5, 0x3b800000
	v_lshlrev_b32_e32 v4, 20, v4
	v_and_b32_e32 v3, 0x80000000, v3
	v_lshl_add_u32 v5, v6, 23, v5
	v_or3_b32 v3, v3, v5, v4
	v_trunc_f32_e32 v3, v3
	s_mov_b32 s8, 0x2f800000
	v_mul_f32_e64 v4, |v3|, s8
	v_floor_f32_e32 v4, v4
	s_mov_b32 s8, 0xcf800000
	v_fma_f32 v5, v4, s8, |v3|
	v_cvt_u32_f32_e32 v5, v5
	v_cvt_u32_f32_e32 v4, v4
	v_ashrrev_i32_e32 v6, 31, v3
	v_xor_b32_e32 v3, v5, v6
	v_xor_b32_e32 v4, v4, v6
	v_sub_co_u32_e32 v3, vcc, v3, v6
	v_subb_co_u32_e32 v4, vcc, v4, v6, vcc
.LBB87_448:
	s_or_b64 exec, exec, s[0:1]
.LBB87_449:
	s_mov_b64 s[0:1], -1
.LBB87_450:
	s_mov_b64 s[8:9], 0
.LBB87_451:
	s_and_b64 vcc, exec, s[8:9]
	s_cbranch_vccz .LBB87_482
; %bb.452:
	s_cmp_gt_i32 s10, 22
	s_cbranch_scc0 .LBB87_462
; %bb.453:
	s_cmp_lt_i32 s10, 24
	s_cbranch_scc1 .LBB87_463
; %bb.454:
	s_cmp_gt_i32 s10, 24
	s_cbranch_scc0 .LBB87_464
; %bb.455:
	global_load_ubyte v5, v[1:2], off
	s_movk_i32 s0, 0x7f
	s_mov_b64 s[8:9], 0
	s_waitcnt vmcnt(0)
	v_cmp_lt_i16_e32 vcc, s0, v5
	s_and_saveexec_b64 s[0:1], vcc
	s_xor_b64 s[0:1], exec, s[0:1]
; %bb.456:
	s_movk_i32 s8, 0x80
	v_cmp_ne_u16_e32 vcc, s8, v5
	s_and_b64 s[8:9], vcc, exec
; %bb.457:
	s_andn2_saveexec_b64 s[0:1], s[0:1]
; %bb.458:
	v_cmp_ne_u16_e32 vcc, 0, v5
	s_andn2_b64 s[8:9], s[8:9], exec
	s_and_b64 s[12:13], vcc, exec
	s_or_b64 s[8:9], s[8:9], s[12:13]
; %bb.459:
	s_or_b64 exec, exec, s[0:1]
	v_mov_b32_e32 v3, 0
	v_mov_b32_e32 v4, 0
	s_and_saveexec_b64 s[0:1], s[8:9]
	s_cbranch_execz .LBB87_461
; %bb.460:
	v_and_b32_e32 v4, 0xffff, v5
	v_lshlrev_b32_e32 v3, 24, v5
	v_and_b32_e32 v5, 3, v4
	v_ffbh_u32_e32 v7, v5
	v_min_u32_e32 v7, 32, v7
	v_subrev_u32_e32 v8, 29, v7
	v_bfe_u32 v6, v4, 2, 5
	v_lshlrev_b32_e32 v4, v8, v4
	v_sub_u32_e32 v7, 30, v7
	v_and_b32_e32 v4, 3, v4
	v_cmp_eq_u32_e32 vcc, 0, v6
	v_cndmask_b32_e32 v6, v6, v7, vcc
	v_cndmask_b32_e32 v4, v5, v4, vcc
	v_mov_b32_e32 v5, 0x37800000
	v_lshlrev_b32_e32 v4, 21, v4
	v_and_b32_e32 v3, 0x80000000, v3
	v_lshl_add_u32 v5, v6, 23, v5
	v_or3_b32 v3, v3, v5, v4
	v_trunc_f32_e32 v3, v3
	s_mov_b32 s8, 0x2f800000
	v_mul_f32_e64 v4, |v3|, s8
	v_floor_f32_e32 v4, v4
	s_mov_b32 s8, 0xcf800000
	v_fma_f32 v5, v4, s8, |v3|
	v_cvt_u32_f32_e32 v5, v5
	v_cvt_u32_f32_e32 v4, v4
	v_ashrrev_i32_e32 v6, 31, v3
	v_xor_b32_e32 v3, v5, v6
	v_xor_b32_e32 v4, v4, v6
	v_sub_co_u32_e32 v3, vcc, v3, v6
	v_subb_co_u32_e32 v4, vcc, v4, v6, vcc
.LBB87_461:
	s_or_b64 exec, exec, s[0:1]
	s_mov_b64 s[0:1], 0
	s_branch .LBB87_465
.LBB87_462:
	s_mov_b64 s[8:9], -1
                                        ; implicit-def: $vgpr3_vgpr4
	s_branch .LBB87_471
.LBB87_463:
	s_mov_b64 s[0:1], -1
                                        ; implicit-def: $vgpr3_vgpr4
	s_branch .LBB87_468
.LBB87_464:
	s_mov_b64 s[0:1], -1
                                        ; implicit-def: $vgpr3_vgpr4
.LBB87_465:
	s_and_b64 vcc, exec, s[0:1]
	s_cbranch_vccz .LBB87_467
; %bb.466:
	global_load_ubyte v3, v[1:2], off
	s_mov_b32 s0, 0x7f800000
	s_brev_b32 s1, 1
	s_mov_b32 s8, 0x2f800000
	s_mov_b32 s9, 0xcf800000
	s_waitcnt vmcnt(0)
	v_lshlrev_b32_e32 v3, 24, v3
	v_and_b32_e32 v4, 0x7f000000, v3
	v_ffbh_u32_e32 v5, v4
	v_min_u32_e32 v5, 32, v5
	v_sub_u32_e64 v5, v5, 4 clamp
	v_lshlrev_b32_e32 v7, v5, v4
	v_lshlrev_b32_e32 v5, 23, v5
	v_lshrrev_b32_e32 v7, 4, v7
	v_add_u32_e32 v6, 0x1000000, v4
	v_sub_u32_e32 v5, v7, v5
	v_ashrrev_i32_e32 v6, 8, v6
	v_add_u32_e32 v5, 0x3c000000, v5
	v_and_or_b32 v5, v6, s0, v5
	v_cmp_ne_u32_e32 vcc, 0, v4
	v_cndmask_b32_e32 v4, 0, v5, vcc
	v_and_or_b32 v3, v3, s1, v4
	v_trunc_f32_e32 v3, v3
	v_mul_f32_e64 v4, |v3|, s8
	v_floor_f32_e32 v4, v4
	v_fma_f32 v5, v4, s9, |v3|
	v_cvt_u32_f32_e32 v5, v5
	v_cvt_u32_f32_e32 v4, v4
	v_ashrrev_i32_e32 v6, 31, v3
	v_xor_b32_e32 v3, v5, v6
	v_xor_b32_e32 v4, v4, v6
	v_sub_co_u32_e32 v3, vcc, v3, v6
	v_subb_co_u32_e32 v4, vcc, v4, v6, vcc
.LBB87_467:
	s_mov_b64 s[0:1], 0
.LBB87_468:
	s_andn2_b64 vcc, exec, s[0:1]
	s_cbranch_vccnz .LBB87_470
; %bb.469:
	global_load_ubyte v3, v[1:2], off
	s_movk_i32 s0, 0x7f00
	s_brev_b32 s1, 16
	s_brev_b32 s8, 1
	s_mov_b32 s9, 0x2f800000
	s_mov_b32 s11, 0xcf800000
	s_waitcnt vmcnt(0)
	v_lshlrev_b16_e32 v4, 8, v3
	v_lshlrev_b32_e32 v3, 25, v3
	v_lshrrev_b32_e32 v5, 4, v3
	v_and_or_b32 v6, v4, s0, 0.5
	v_or_b32_e32 v5, 0x70000000, v5
	v_add_f32_e32 v6, -0.5, v6
	v_mul_f32_e32 v5, 0x7800000, v5
	v_cmp_gt_u32_e32 vcc, s1, v3
	v_bfe_i32 v4, v4, 0, 16
	v_cndmask_b32_e32 v3, v5, v6, vcc
	v_and_or_b32 v3, v4, s8, v3
	v_trunc_f32_e32 v3, v3
	v_mul_f32_e64 v4, |v3|, s9
	v_floor_f32_e32 v4, v4
	v_fma_f32 v5, v4, s11, |v3|
	v_cvt_u32_f32_e32 v5, v5
	v_cvt_u32_f32_e32 v4, v4
	v_ashrrev_i32_e32 v6, 31, v3
	v_xor_b32_e32 v3, v5, v6
	v_xor_b32_e32 v4, v4, v6
	v_sub_co_u32_e32 v3, vcc, v3, v6
	v_subb_co_u32_e32 v4, vcc, v4, v6, vcc
.LBB87_470:
	s_mov_b64 s[8:9], 0
	s_mov_b64 s[0:1], -1
.LBB87_471:
	s_andn2_b64 vcc, exec, s[8:9]
	s_cbranch_vccnz .LBB87_482
; %bb.472:
	s_cmp_gt_i32 s10, 14
	s_cbranch_scc0 .LBB87_475
; %bb.473:
	s_cmp_eq_u32 s10, 15
	s_cbranch_scc0 .LBB87_476
; %bb.474:
	global_load_ushort v3, v[1:2], off
	s_mov_b32 s0, 0x2f800000
	s_mov_b32 s1, 0xcf800000
	s_mov_b64 s[2:3], 0
	s_waitcnt vmcnt(0)
	v_lshlrev_b32_e32 v3, 16, v3
	v_trunc_f32_e32 v3, v3
	v_mul_f32_e64 v4, |v3|, s0
	v_floor_f32_e32 v4, v4
	v_fma_f32 v5, v4, s1, |v3|
	v_cvt_u32_f32_e32 v5, v5
	v_cvt_u32_f32_e32 v4, v4
	v_ashrrev_i32_e32 v6, 31, v3
	s_mov_b64 s[0:1], -1
	v_xor_b32_e32 v3, v5, v6
	v_xor_b32_e32 v4, v4, v6
	v_sub_co_u32_e32 v3, vcc, v3, v6
	v_subb_co_u32_e32 v4, vcc, v4, v6, vcc
	s_branch .LBB87_477
.LBB87_475:
	s_mov_b64 s[8:9], -1
                                        ; implicit-def: $vgpr3_vgpr4
	s_branch .LBB87_478
.LBB87_476:
	s_mov_b64 s[2:3], -1
                                        ; implicit-def: $vgpr3_vgpr4
.LBB87_477:
	s_mov_b64 s[8:9], 0
.LBB87_478:
	s_and_b64 vcc, exec, s[8:9]
	s_cbranch_vccz .LBB87_482
; %bb.479:
	s_cmp_eq_u32 s10, 11
	s_cbranch_scc0 .LBB87_481
; %bb.480:
	global_load_ubyte v3, v[1:2], off
	s_mov_b32 s2, 0
	s_mov_b64 s[0:1], -1
	s_waitcnt vmcnt(1)
	v_mov_b32_e32 v4, s2
	s_mov_b64 s[2:3], 0
	s_waitcnt vmcnt(0)
	v_cmp_ne_u16_e32 vcc, 0, v3
	v_cndmask_b32_e64 v3, 0, 1, vcc
	s_branch .LBB87_482
.LBB87_481:
	s_mov_b64 s[2:3], -1
                                        ; implicit-def: $vgpr3_vgpr4
.LBB87_482:
	s_branch .LBB87_289
.LBB87_483:
	s_cmp_lt_i32 s10, 5
	s_cbranch_scc1 .LBB87_488
; %bb.484:
	s_cmp_lt_i32 s10, 8
	s_cbranch_scc1 .LBB87_489
; %bb.485:
	;; [unrolled: 3-line block ×3, first 2 shown]
	s_cmp_gt_i32 s10, 9
	s_cbranch_scc0 .LBB87_491
; %bb.487:
	global_load_dwordx2 v[3:4], v[1:2], off
	s_movk_i32 s0, 0xffe0
	s_waitcnt vmcnt(0)
	v_trunc_f64_e32 v[3:4], v[3:4]
	v_ldexp_f64 v[5:6], v[3:4], s0
	s_mov_b32 s0, 0
	s_mov_b32 s1, 0xc1f00000
	v_floor_f64_e32 v[5:6], v[5:6]
	v_fma_f64 v[7:8], v[5:6], s[0:1], v[3:4]
	v_cvt_i32_f64_e32 v4, v[5:6]
	s_mov_b64 s[0:1], 0
	v_cvt_u32_f64_e32 v3, v[7:8]
	s_branch .LBB87_492
.LBB87_488:
	s_mov_b64 s[0:1], -1
                                        ; implicit-def: $vgpr3_vgpr4
	s_branch .LBB87_510
.LBB87_489:
	s_mov_b64 s[0:1], -1
                                        ; implicit-def: $vgpr3_vgpr4
	s_branch .LBB87_498
.LBB87_490:
	s_mov_b64 s[0:1], -1
                                        ; implicit-def: $vgpr3_vgpr4
	s_branch .LBB87_495
.LBB87_491:
	s_mov_b64 s[0:1], -1
                                        ; implicit-def: $vgpr3_vgpr4
.LBB87_492:
	s_andn2_b64 vcc, exec, s[0:1]
	s_cbranch_vccnz .LBB87_494
; %bb.493:
	global_load_dword v3, v[1:2], off
	s_mov_b32 s0, 0x2f800000
	s_mov_b32 s1, 0xcf800000
	s_waitcnt vmcnt(0)
	v_trunc_f32_e32 v3, v3
	v_mul_f32_e64 v4, |v3|, s0
	v_floor_f32_e32 v4, v4
	v_cvt_u32_f32_e32 v5, v4
	v_fma_f32 v4, v4, s1, |v3|
	v_cvt_u32_f32_e32 v4, v4
	v_ashrrev_i32_e32 v6, 31, v3
	v_xor_b32_e32 v5, v5, v6
	v_xor_b32_e32 v3, v4, v6
	v_sub_co_u32_e32 v3, vcc, v3, v6
	v_subb_co_u32_e32 v4, vcc, v5, v6, vcc
.LBB87_494:
	s_mov_b64 s[0:1], 0
.LBB87_495:
	s_andn2_b64 vcc, exec, s[0:1]
	s_cbranch_vccnz .LBB87_497
; %bb.496:
	global_load_dword v3, v[1:2], off
	s_waitcnt vmcnt(0)
	v_cvt_f32_f16_e32 v3, v3
	v_cvt_i32_f32_e32 v3, v3
	v_ashrrev_i32_e32 v4, 31, v3
.LBB87_497:
	s_mov_b64 s[0:1], 0
.LBB87_498:
	s_andn2_b64 vcc, exec, s[0:1]
	s_cbranch_vccnz .LBB87_509
; %bb.499:
	s_cmp_lt_i32 s10, 6
	s_cbranch_scc1 .LBB87_502
; %bb.500:
	s_cmp_gt_i32 s10, 6
	s_cbranch_scc0 .LBB87_503
; %bb.501:
	global_load_dwordx2 v[3:4], v[1:2], off
	s_movk_i32 s0, 0xffe0
	s_waitcnt vmcnt(0)
	v_trunc_f64_e32 v[3:4], v[3:4]
	v_ldexp_f64 v[5:6], v[3:4], s0
	s_mov_b32 s0, 0
	s_mov_b32 s1, 0xc1f00000
	v_floor_f64_e32 v[5:6], v[5:6]
	v_fma_f64 v[7:8], v[5:6], s[0:1], v[3:4]
	v_cvt_i32_f64_e32 v4, v[5:6]
	s_mov_b64 s[0:1], 0
	v_cvt_u32_f64_e32 v3, v[7:8]
	s_branch .LBB87_504
.LBB87_502:
	s_mov_b64 s[0:1], -1
                                        ; implicit-def: $vgpr3_vgpr4
	s_branch .LBB87_507
.LBB87_503:
	s_mov_b64 s[0:1], -1
                                        ; implicit-def: $vgpr3_vgpr4
.LBB87_504:
	s_andn2_b64 vcc, exec, s[0:1]
	s_cbranch_vccnz .LBB87_506
; %bb.505:
	global_load_dword v3, v[1:2], off
	s_mov_b32 s0, 0x2f800000
	s_mov_b32 s1, 0xcf800000
	s_waitcnt vmcnt(0)
	v_trunc_f32_e32 v3, v3
	v_mul_f32_e64 v4, |v3|, s0
	v_floor_f32_e32 v4, v4
	v_cvt_u32_f32_e32 v5, v4
	v_fma_f32 v4, v4, s1, |v3|
	v_cvt_u32_f32_e32 v4, v4
	v_ashrrev_i32_e32 v6, 31, v3
	v_xor_b32_e32 v5, v5, v6
	v_xor_b32_e32 v3, v4, v6
	v_sub_co_u32_e32 v3, vcc, v3, v6
	v_subb_co_u32_e32 v4, vcc, v5, v6, vcc
.LBB87_506:
	s_mov_b64 s[0:1], 0
.LBB87_507:
	s_andn2_b64 vcc, exec, s[0:1]
	s_cbranch_vccnz .LBB87_509
; %bb.508:
	global_load_ushort v3, v[1:2], off
	s_waitcnt vmcnt(0)
	v_cvt_f32_f16_e32 v3, v3
	v_cvt_i32_f32_e32 v3, v3
	v_ashrrev_i32_e32 v4, 31, v3
.LBB87_509:
	s_mov_b64 s[0:1], 0
.LBB87_510:
	s_andn2_b64 vcc, exec, s[0:1]
	s_cbranch_vccnz .LBB87_530
; %bb.511:
	s_cmp_lt_i32 s10, 2
	s_cbranch_scc1 .LBB87_515
; %bb.512:
	s_cmp_lt_i32 s10, 3
	s_cbranch_scc1 .LBB87_516
; %bb.513:
	s_cmp_gt_i32 s10, 3
	s_cbranch_scc0 .LBB87_517
; %bb.514:
	global_load_dwordx2 v[3:4], v[1:2], off
	s_mov_b64 s[0:1], 0
	s_branch .LBB87_518
.LBB87_515:
	s_mov_b64 s[0:1], -1
                                        ; implicit-def: $vgpr3_vgpr4
	s_branch .LBB87_524
.LBB87_516:
	s_mov_b64 s[0:1], -1
                                        ; implicit-def: $vgpr3_vgpr4
	s_branch .LBB87_521
.LBB87_517:
	s_mov_b64 s[0:1], -1
                                        ; implicit-def: $vgpr3_vgpr4
.LBB87_518:
	s_andn2_b64 vcc, exec, s[0:1]
	s_cbranch_vccnz .LBB87_520
; %bb.519:
	global_load_dword v3, v[1:2], off
	s_waitcnt vmcnt(0)
	v_ashrrev_i32_e32 v4, 31, v3
.LBB87_520:
	s_mov_b64 s[0:1], 0
.LBB87_521:
	s_andn2_b64 vcc, exec, s[0:1]
	s_cbranch_vccnz .LBB87_523
; %bb.522:
	global_load_ushort v3, v[1:2], off
	s_waitcnt vmcnt(0)
	v_bfe_i32 v3, v3, 0, 16
	v_ashrrev_i32_e32 v4, 31, v3
.LBB87_523:
	s_mov_b64 s[0:1], 0
.LBB87_524:
	s_andn2_b64 vcc, exec, s[0:1]
	s_cbranch_vccnz .LBB87_530
; %bb.525:
	s_cmp_gt_i32 s10, 0
	s_cbranch_scc0 .LBB87_527
; %bb.526:
	global_load_sbyte v3, v[1:2], off
	s_mov_b64 s[0:1], 0
	s_waitcnt vmcnt(0)
	v_bfe_i32 v3, v3, 0, 16
	v_ashrrev_i32_e32 v4, 31, v3
	s_branch .LBB87_528
.LBB87_527:
	s_mov_b64 s[0:1], -1
                                        ; implicit-def: $vgpr3_vgpr4
.LBB87_528:
	s_andn2_b64 vcc, exec, s[0:1]
	s_cbranch_vccnz .LBB87_530
; %bb.529:
	global_load_ubyte v1, v[1:2], off
	s_mov_b32 s0, 0
	s_waitcnt vmcnt(1)
	v_mov_b32_e32 v4, s0
	s_waitcnt vmcnt(0)
	v_and_b32_e32 v3, 0xffff, v1
.LBB87_530:
	s_branch .LBB87_290
.LBB87_531:
	s_mov_b64 s[8:9], 0
	s_mov_b64 s[0:1], s[56:57]
.LBB87_532:
                                        ; implicit-def: $vgpr11
.LBB87_533:
	s_andn2_b64 s[10:11], s[56:57], exec
	s_and_b64 s[0:1], s[0:1], exec
	s_or_b64 s[64:65], s[10:11], s[0:1]
	s_andn2_b64 s[0:1], s[58:59], exec
	s_and_b64 s[2:3], s[2:3], exec
	s_or_b64 s[62:63], s[0:1], s[2:3]
	s_orn2_b64 s[0:1], s[8:9], exec
.LBB87_534:
	s_or_b64 exec, exec, s[66:67]
	s_mov_b64 s[2:3], 0
	s_mov_b64 s[8:9], 0
	s_mov_b64 s[10:11], 0
                                        ; implicit-def: $vgpr1_vgpr2
                                        ; implicit-def: $vgpr0
                                        ; implicit-def: $vgpr5_vgpr6
	s_and_saveexec_b64 s[66:67], s[0:1]
	s_cbranch_execz .LBB87_901
; %bb.535:
	v_cmp_gt_i32_e32 vcc, s74, v11
	s_mov_b64 s[2:3], -1
	s_mov_b64 s[70:71], s[62:63]
	s_mov_b64 s[72:73], s[64:65]
	s_and_saveexec_b64 s[68:69], vcc
	s_cbranch_execz .LBB87_805
; %bb.536:
	s_andn2_b64 vcc, exec, s[40:41]
	s_cbranch_vccnz .LBB87_541
; %bb.537:
	s_andn2_b64 vcc, exec, s[54:55]
	s_cbranch_vccnz .LBB87_542
; %bb.538:
	s_add_i32 s75, s79, 1
	s_cmp_eq_u32 s76, 2
	s_cbranch_scc1 .LBB87_543
; %bb.539:
	s_and_b32 s45, s75, 28
	v_mov_b32_e32 v2, 0
	s_mov_b32 s80, 0
	s_mov_b64 s[70:71], s[34:35]
	s_mov_b64 s[72:73], s[52:53]
	v_mov_b32_e32 v0, 0
	v_mov_b32_e32 v1, v11
.LBB87_540:                             ; =>This Inner Loop Header: Depth=1
	s_load_dwordx8 s[16:23], s[70:71], 0x4
	s_load_dwordx4 s[0:3], s[70:71], 0x24
	s_load_dwordx8 s[8:15], s[72:73], 0x0
	s_add_u32 s70, s70, 48
	s_addc_u32 s71, s71, 0
	s_waitcnt vmcnt(0) lgkmcnt(0)
	v_mul_hi_u32 v3, s17, v1
	s_add_i32 s80, s80, 4
	s_add_u32 s72, s72, 32
	s_addc_u32 s73, s73, 0
	v_add_u32_e32 v3, v1, v3
	v_lshrrev_b32_e32 v3, s18, v3
	v_mul_lo_u32 v4, v3, s16
	v_mul_hi_u32 v5, s20, v3
	s_cmp_eq_u32 s45, s80
	v_sub_u32_e32 v1, v1, v4
	v_add_u32_e32 v4, v3, v5
	v_mul_lo_u32 v5, v1, s8
	v_mul_lo_u32 v6, v1, s9
	v_lshrrev_b32_e32 v1, s21, v4
	v_mul_lo_u32 v4, v1, s19
	v_mul_hi_u32 v7, s23, v1
	v_sub_u32_e32 v3, v3, v4
	v_add_u32_e32 v4, v1, v7
	v_lshrrev_b32_e32 v4, s0, v4
	v_mul_hi_u32 v8, s2, v4
	v_mul_lo_u32 v9, v4, s22
	v_mul_lo_u32 v7, v3, s10
	;; [unrolled: 1-line block ×3, first 2 shown]
	v_sub_u32_e32 v9, v1, v9
	v_add_u32_e32 v1, v4, v8
	v_lshrrev_b32_e32 v1, s3, v1
	v_mul_lo_u32 v8, v1, s1
	v_mul_lo_u32 v10, v9, s12
	;; [unrolled: 1-line block ×3, first 2 shown]
	v_add3_u32 v0, v5, v0, v7
	v_sub_u32_e32 v4, v4, v8
	v_mul_lo_u32 v8, v4, s14
	v_mul_lo_u32 v4, v4, s15
	v_add3_u32 v2, v6, v2, v3
	v_add3_u32 v0, v10, v0, v8
	;; [unrolled: 1-line block ×3, first 2 shown]
	s_cbranch_scc0 .LBB87_540
	s_branch .LBB87_544
.LBB87_541:
	s_mov_b64 s[0:1], -1
                                        ; implicit-def: $vgpr0
                                        ; implicit-def: $vgpr2
	s_branch .LBB87_548
.LBB87_542:
	v_mov_b32_e32 v0, 0
	v_mov_b32_e32 v2, 0
	s_branch .LBB87_547
.LBB87_543:
	s_mov_b32 s45, 0
	v_mov_b32_e32 v0, 0
	v_mov_b32_e32 v2, 0
	;; [unrolled: 1-line block ×3, first 2 shown]
.LBB87_544:
	s_and_b32 s8, s75, 3
	s_cmp_eq_u32 s8, 0
	s_cbranch_scc1 .LBB87_547
; %bb.545:
	s_lshl_b32 s0, s45, 3
	s_add_u32 s0, s34, s0
	s_addc_u32 s1, s35, 0
	s_add_u32 s0, s0, 0xc4
	s_addc_u32 s1, s1, 0
	s_mul_i32 s2, s45, 12
	s_add_u32 s2, s34, s2
	s_addc_u32 s3, s35, 0
.LBB87_546:                             ; =>This Inner Loop Header: Depth=1
	s_load_dwordx2 s[10:11], s[2:3], 0x4
	s_load_dword s9, s[2:3], 0xc
	s_load_dwordx2 s[12:13], s[0:1], 0x0
	s_add_u32 s2, s2, 12
	s_addc_u32 s3, s3, 0
	s_waitcnt vmcnt(0) lgkmcnt(0)
	v_mul_hi_u32 v3, s11, v1
	s_add_u32 s0, s0, 8
	s_addc_u32 s1, s1, 0
	s_add_i32 s8, s8, -1
	v_add_u32_e32 v3, v1, v3
	v_lshrrev_b32_e32 v4, s9, v3
	v_mul_lo_u32 v3, v4, s10
	s_cmp_lg_u32 s8, 0
	v_sub_u32_e32 v3, v1, v3
	v_mad_u64_u32 v[0:1], s[10:11], v3, s12, v[0:1]
	v_mad_u64_u32 v[2:3], s[10:11], v3, s13, v[2:3]
	v_mov_b32_e32 v1, v4
	s_cbranch_scc1 .LBB87_546
.LBB87_547:
	s_mov_b64 s[0:1], 0
.LBB87_548:
	s_andn2_b64 vcc, exec, s[0:1]
	s_cbranch_vccnz .LBB87_551
; %bb.549:
	v_mul_hi_u32 v0, s29, v11
	s_andn2_b64 vcc, exec, s[50:51]
	v_add_u32_e32 v0, v11, v0
	v_lshrrev_b32_e32 v1, s30, v0
	v_mul_lo_u32 v0, v1, s28
	v_sub_u32_e32 v2, v11, v0
	v_mul_lo_u32 v0, v2, s36
	v_mul_lo_u32 v2, v2, s37
	s_cbranch_vccnz .LBB87_551
; %bb.550:
	s_waitcnt vmcnt(0)
	v_mul_hi_u32 v3, s48, v1
	v_add_u32_e32 v3, v1, v3
	v_lshrrev_b32_e32 v3, s49, v3
	v_mul_lo_u32 v3, v3, s31
	v_sub_u32_e32 v3, v1, v3
	v_mad_u64_u32 v[0:1], s[0:1], v3, s38, v[0:1]
	v_mad_u64_u32 v[2:3], s[0:1], v3, s39, v[2:3]
.LBB87_551:
	s_waitcnt vmcnt(0)
	v_mov_b32_e32 v3, s27
	s_and_b32 s10, 0xffff, s78
	v_add_co_u32_e32 v1, vcc, s26, v2
	s_cmp_lt_i32 s10, 11
	v_addc_co_u32_e32 v2, vcc, 0, v3, vcc
	s_cbranch_scc1 .LBB87_558
; %bb.552:
	s_cmp_gt_i32 s10, 25
	s_cbranch_scc0 .LBB87_559
; %bb.553:
	s_cmp_gt_i32 s10, 28
	s_cbranch_scc0 .LBB87_560
	;; [unrolled: 3-line block ×4, first 2 shown]
; %bb.556:
	s_cmp_eq_u32 s10, 46
	s_mov_b64 s[8:9], 0
	s_cbranch_scc0 .LBB87_567
; %bb.557:
	global_load_dword v3, v[1:2], off
	s_mov_b32 s0, 0x2f800000
	s_mov_b32 s1, 0xcf800000
	s_mov_b64 s[2:3], 0
	s_waitcnt vmcnt(0)
	v_lshlrev_b32_e32 v3, 16, v3
	v_trunc_f32_e32 v3, v3
	v_mul_f32_e64 v4, |v3|, s0
	v_floor_f32_e32 v4, v4
	v_fma_f32 v5, v4, s1, |v3|
	v_cvt_u32_f32_e32 v5, v5
	v_cvt_u32_f32_e32 v4, v4
	v_ashrrev_i32_e32 v6, 31, v3
	s_mov_b64 s[0:1], -1
	v_xor_b32_e32 v3, v5, v6
	v_xor_b32_e32 v4, v4, v6
	v_sub_co_u32_e32 v3, vcc, v3, v6
	v_subb_co_u32_e32 v4, vcc, v4, v6, vcc
	s_branch .LBB87_568
.LBB87_558:
	s_mov_b64 s[8:9], -1
	s_mov_b64 s[0:1], 0
                                        ; implicit-def: $vgpr3_vgpr4
	s_mov_b64 s[2:3], s[62:63]
	s_branch .LBB87_629
.LBB87_559:
	s_mov_b64 s[8:9], -1
	s_mov_b64 s[0:1], 0
	s_mov_b64 s[2:3], s[62:63]
                                        ; implicit-def: $vgpr3_vgpr4
	s_branch .LBB87_597
.LBB87_560:
	s_mov_b64 s[8:9], -1
	s_mov_b64 s[0:1], 0
	s_mov_b64 s[2:3], s[62:63]
                                        ; implicit-def: $vgpr3_vgpr4
	s_branch .LBB87_578
.LBB87_561:
	s_mov_b64 s[8:9], -1
	s_mov_b64 s[0:1], 0
	s_mov_b64 s[2:3], s[62:63]
                                        ; implicit-def: $vgpr3_vgpr4
	s_branch .LBB87_573
.LBB87_562:
	s_andn2_saveexec_b64 s[12:13], s[12:13]
	s_cbranch_execz .LBB87_335
.LBB87_563:
	s_mov_b32 s16, 0x46000000
	v_add_f32_e64 v5, |v0|, s16
	v_and_b32_e32 v5, 0xff, v5
	v_cmp_ne_u32_e32 vcc, 0, v5
	s_andn2_b64 s[10:11], s[10:11], exec
	s_and_b64 s[16:17], vcc, exec
	s_or_b64 s[10:11], s[10:11], s[16:17]
	s_or_b64 exec, exec, s[12:13]
	v_mov_b32_e32 v6, 0
	s_and_saveexec_b64 s[12:13], s[10:11]
	s_cbranch_execnz .LBB87_336
	s_branch .LBB87_337
.LBB87_564:
	s_mov_b64 s[8:9], -1
	s_mov_b64 s[0:1], 0
	s_mov_b64 s[2:3], s[62:63]
                                        ; implicit-def: $vgpr3_vgpr4
	s_branch .LBB87_568
.LBB87_565:
	s_andn2_saveexec_b64 s[12:13], s[12:13]
	s_cbranch_execz .LBB87_348
.LBB87_566:
	s_mov_b32 s16, 0x42800000
	v_add_f32_e64 v5, |v0|, s16
	v_and_b32_e32 v5, 0xff, v5
	v_cmp_ne_u32_e32 vcc, 0, v5
	s_andn2_b64 s[10:11], s[10:11], exec
	s_and_b64 s[16:17], vcc, exec
	s_or_b64 s[10:11], s[10:11], s[16:17]
	s_or_b64 exec, exec, s[12:13]
	v_mov_b32_e32 v6, 0
	s_and_saveexec_b64 s[12:13], s[10:11]
	s_cbranch_execnz .LBB87_349
	s_branch .LBB87_350
.LBB87_567:
	s_mov_b64 s[2:3], -1
                                        ; implicit-def: $vgpr3_vgpr4
	s_mov_b64 s[0:1], 0
.LBB87_568:
	s_and_b64 vcc, exec, s[8:9]
	s_cbranch_vccz .LBB87_572
; %bb.569:
	s_cmp_eq_u32 s10, 44
	s_cbranch_scc0 .LBB87_571
; %bb.570:
	global_load_ubyte v3, v[1:2], off
	s_mov_b32 s0, 0x2f800000
	s_mov_b32 s1, 0xcf800000
	s_mov_b64 s[2:3], 0
	s_waitcnt vmcnt(0)
	v_lshlrev_b32_e32 v4, 23, v3
	v_trunc_f32_e32 v4, v4
	v_mul_f32_e64 v5, |v4|, s0
	v_floor_f32_e32 v5, v5
	v_fma_f32 v6, v5, s1, |v4|
	v_cvt_u32_f32_e32 v6, v6
	v_cvt_u32_f32_e32 v5, v5
	v_ashrrev_i32_e32 v4, 31, v4
	s_mov_b64 s[0:1], -1
	v_xor_b32_e32 v6, v6, v4
	v_xor_b32_e32 v5, v5, v4
	v_sub_co_u32_e32 v6, vcc, v6, v4
	v_subb_co_u32_e32 v4, vcc, v5, v4, vcc
	v_cmp_ne_u32_e32 vcc, 0, v3
	v_cndmask_b32_e32 v4, 0, v4, vcc
	v_cndmask_b32_e32 v3, 0, v6, vcc
	s_branch .LBB87_572
.LBB87_571:
	s_mov_b64 s[2:3], -1
                                        ; implicit-def: $vgpr3_vgpr4
.LBB87_572:
	s_mov_b64 s[8:9], 0
.LBB87_573:
	s_and_b64 vcc, exec, s[8:9]
	s_cbranch_vccz .LBB87_577
; %bb.574:
	s_cmp_eq_u32 s10, 29
	s_cbranch_scc0 .LBB87_576
; %bb.575:
	global_load_dwordx2 v[3:4], v[1:2], off
	s_mov_b64 s[0:1], -1
	s_mov_b64 s[2:3], 0
	s_branch .LBB87_577
.LBB87_576:
	s_mov_b64 s[2:3], -1
                                        ; implicit-def: $vgpr3_vgpr4
.LBB87_577:
	s_mov_b64 s[8:9], 0
.LBB87_578:
	s_and_b64 vcc, exec, s[8:9]
	s_cbranch_vccz .LBB87_596
; %bb.579:
	s_cmp_lt_i32 s10, 27
	s_cbranch_scc1 .LBB87_582
; %bb.580:
	s_cmp_gt_i32 s10, 27
	s_cbranch_scc0 .LBB87_583
; %bb.581:
	global_load_dword v3, v[1:2], off
	s_waitcnt vmcnt(1)
	v_mov_b32_e32 v4, 0
	s_mov_b64 s[0:1], 0
	s_branch .LBB87_584
.LBB87_582:
	s_mov_b64 s[0:1], -1
                                        ; implicit-def: $vgpr3_vgpr4
	s_branch .LBB87_587
.LBB87_583:
	s_mov_b64 s[0:1], -1
                                        ; implicit-def: $vgpr3_vgpr4
.LBB87_584:
	s_andn2_b64 vcc, exec, s[0:1]
	s_cbranch_vccnz .LBB87_586
; %bb.585:
	global_load_ushort v3, v[1:2], off
	s_mov_b32 s0, 0
	s_waitcnt vmcnt(1)
	v_mov_b32_e32 v4, s0
	s_waitcnt vmcnt(0)
	v_and_b32_e32 v3, 0xffff, v3
.LBB87_586:
	s_mov_b64 s[0:1], 0
.LBB87_587:
	s_andn2_b64 vcc, exec, s[0:1]
	s_cbranch_vccnz .LBB87_595
; %bb.588:
	global_load_ubyte v5, v[1:2], off
	s_movk_i32 s0, 0x7f
	s_mov_b64 s[8:9], 0
	s_waitcnt vmcnt(0)
	v_cmp_lt_i16_e32 vcc, s0, v5
	s_and_saveexec_b64 s[0:1], vcc
	s_xor_b64 s[0:1], exec, s[0:1]
; %bb.589:
	s_movk_i32 s8, 0x80
	v_cmp_ne_u16_e32 vcc, s8, v5
	s_and_b64 s[8:9], vcc, exec
; %bb.590:
	s_andn2_saveexec_b64 s[0:1], s[0:1]
; %bb.591:
	v_cmp_ne_u16_e32 vcc, 0, v5
	s_andn2_b64 s[8:9], s[8:9], exec
	s_and_b64 s[12:13], vcc, exec
	s_or_b64 s[8:9], s[8:9], s[12:13]
; %bb.592:
	s_or_b64 exec, exec, s[0:1]
	v_mov_b32_e32 v3, 0
	v_mov_b32_e32 v4, 0
	s_and_saveexec_b64 s[0:1], s[8:9]
	s_cbranch_execz .LBB87_594
; %bb.593:
	v_and_b32_e32 v4, 0xffff, v5
	v_lshlrev_b32_e32 v3, 24, v5
	v_and_b32_e32 v5, 7, v4
	v_ffbh_u32_e32 v7, v5
	v_min_u32_e32 v7, 32, v7
	v_subrev_u32_e32 v8, 28, v7
	v_bfe_u32 v6, v4, 3, 4
	v_lshlrev_b32_e32 v4, v8, v4
	v_sub_u32_e32 v7, 29, v7
	v_and_b32_e32 v4, 7, v4
	v_cmp_eq_u32_e32 vcc, 0, v6
	v_cndmask_b32_e32 v6, v6, v7, vcc
	v_cndmask_b32_e32 v4, v5, v4, vcc
	v_mov_b32_e32 v5, 0x3b800000
	v_lshlrev_b32_e32 v4, 20, v4
	v_and_b32_e32 v3, 0x80000000, v3
	v_lshl_add_u32 v5, v6, 23, v5
	v_or3_b32 v3, v3, v5, v4
	v_trunc_f32_e32 v3, v3
	s_mov_b32 s8, 0x2f800000
	v_mul_f32_e64 v4, |v3|, s8
	v_floor_f32_e32 v4, v4
	s_mov_b32 s8, 0xcf800000
	v_fma_f32 v5, v4, s8, |v3|
	v_cvt_u32_f32_e32 v5, v5
	v_cvt_u32_f32_e32 v4, v4
	v_ashrrev_i32_e32 v6, 31, v3
	v_xor_b32_e32 v3, v5, v6
	v_xor_b32_e32 v4, v4, v6
	v_sub_co_u32_e32 v3, vcc, v3, v6
	v_subb_co_u32_e32 v4, vcc, v4, v6, vcc
.LBB87_594:
	s_or_b64 exec, exec, s[0:1]
.LBB87_595:
	s_mov_b64 s[0:1], -1
.LBB87_596:
	s_mov_b64 s[8:9], 0
.LBB87_597:
	s_and_b64 vcc, exec, s[8:9]
	s_cbranch_vccz .LBB87_628
; %bb.598:
	s_cmp_gt_i32 s10, 22
	s_cbranch_scc0 .LBB87_608
; %bb.599:
	s_cmp_lt_i32 s10, 24
	s_cbranch_scc1 .LBB87_609
; %bb.600:
	s_cmp_gt_i32 s10, 24
	s_cbranch_scc0 .LBB87_610
; %bb.601:
	global_load_ubyte v5, v[1:2], off
	s_movk_i32 s0, 0x7f
	s_mov_b64 s[8:9], 0
	s_waitcnt vmcnt(0)
	v_cmp_lt_i16_e32 vcc, s0, v5
	s_and_saveexec_b64 s[0:1], vcc
	s_xor_b64 s[0:1], exec, s[0:1]
; %bb.602:
	s_movk_i32 s8, 0x80
	v_cmp_ne_u16_e32 vcc, s8, v5
	s_and_b64 s[8:9], vcc, exec
; %bb.603:
	s_andn2_saveexec_b64 s[0:1], s[0:1]
; %bb.604:
	v_cmp_ne_u16_e32 vcc, 0, v5
	s_andn2_b64 s[8:9], s[8:9], exec
	s_and_b64 s[12:13], vcc, exec
	s_or_b64 s[8:9], s[8:9], s[12:13]
; %bb.605:
	s_or_b64 exec, exec, s[0:1]
	v_mov_b32_e32 v3, 0
	v_mov_b32_e32 v4, 0
	s_and_saveexec_b64 s[0:1], s[8:9]
	s_cbranch_execz .LBB87_607
; %bb.606:
	v_and_b32_e32 v4, 0xffff, v5
	v_lshlrev_b32_e32 v3, 24, v5
	v_and_b32_e32 v5, 3, v4
	v_ffbh_u32_e32 v7, v5
	v_min_u32_e32 v7, 32, v7
	v_subrev_u32_e32 v8, 29, v7
	v_bfe_u32 v6, v4, 2, 5
	v_lshlrev_b32_e32 v4, v8, v4
	v_sub_u32_e32 v7, 30, v7
	v_and_b32_e32 v4, 3, v4
	v_cmp_eq_u32_e32 vcc, 0, v6
	v_cndmask_b32_e32 v6, v6, v7, vcc
	v_cndmask_b32_e32 v4, v5, v4, vcc
	v_mov_b32_e32 v5, 0x37800000
	v_lshlrev_b32_e32 v4, 21, v4
	v_and_b32_e32 v3, 0x80000000, v3
	v_lshl_add_u32 v5, v6, 23, v5
	v_or3_b32 v3, v3, v5, v4
	v_trunc_f32_e32 v3, v3
	s_mov_b32 s8, 0x2f800000
	v_mul_f32_e64 v4, |v3|, s8
	v_floor_f32_e32 v4, v4
	s_mov_b32 s8, 0xcf800000
	v_fma_f32 v5, v4, s8, |v3|
	v_cvt_u32_f32_e32 v5, v5
	v_cvt_u32_f32_e32 v4, v4
	v_ashrrev_i32_e32 v6, 31, v3
	v_xor_b32_e32 v3, v5, v6
	v_xor_b32_e32 v4, v4, v6
	v_sub_co_u32_e32 v3, vcc, v3, v6
	v_subb_co_u32_e32 v4, vcc, v4, v6, vcc
.LBB87_607:
	s_or_b64 exec, exec, s[0:1]
	s_mov_b64 s[0:1], 0
	s_branch .LBB87_611
.LBB87_608:
	s_mov_b64 s[8:9], -1
                                        ; implicit-def: $vgpr3_vgpr4
	s_branch .LBB87_617
.LBB87_609:
	s_mov_b64 s[0:1], -1
                                        ; implicit-def: $vgpr3_vgpr4
	s_branch .LBB87_614
.LBB87_610:
	s_mov_b64 s[0:1], -1
                                        ; implicit-def: $vgpr3_vgpr4
.LBB87_611:
	s_and_b64 vcc, exec, s[0:1]
	s_cbranch_vccz .LBB87_613
; %bb.612:
	global_load_ubyte v3, v[1:2], off
	s_mov_b32 s0, 0x7f800000
	s_brev_b32 s1, 1
	s_mov_b32 s8, 0x2f800000
	s_mov_b32 s9, 0xcf800000
	s_waitcnt vmcnt(0)
	v_lshlrev_b32_e32 v3, 24, v3
	v_and_b32_e32 v4, 0x7f000000, v3
	v_ffbh_u32_e32 v5, v4
	v_min_u32_e32 v5, 32, v5
	v_sub_u32_e64 v5, v5, 4 clamp
	v_lshlrev_b32_e32 v7, v5, v4
	v_lshlrev_b32_e32 v5, 23, v5
	v_lshrrev_b32_e32 v7, 4, v7
	v_add_u32_e32 v6, 0x1000000, v4
	v_sub_u32_e32 v5, v7, v5
	v_ashrrev_i32_e32 v6, 8, v6
	v_add_u32_e32 v5, 0x3c000000, v5
	v_and_or_b32 v5, v6, s0, v5
	v_cmp_ne_u32_e32 vcc, 0, v4
	v_cndmask_b32_e32 v4, 0, v5, vcc
	v_and_or_b32 v3, v3, s1, v4
	v_trunc_f32_e32 v3, v3
	v_mul_f32_e64 v4, |v3|, s8
	v_floor_f32_e32 v4, v4
	v_fma_f32 v5, v4, s9, |v3|
	v_cvt_u32_f32_e32 v5, v5
	v_cvt_u32_f32_e32 v4, v4
	v_ashrrev_i32_e32 v6, 31, v3
	v_xor_b32_e32 v3, v5, v6
	v_xor_b32_e32 v4, v4, v6
	v_sub_co_u32_e32 v3, vcc, v3, v6
	v_subb_co_u32_e32 v4, vcc, v4, v6, vcc
.LBB87_613:
	s_mov_b64 s[0:1], 0
.LBB87_614:
	s_andn2_b64 vcc, exec, s[0:1]
	s_cbranch_vccnz .LBB87_616
; %bb.615:
	global_load_ubyte v3, v[1:2], off
	s_movk_i32 s0, 0x7f00
	s_brev_b32 s1, 16
	s_brev_b32 s8, 1
	s_mov_b32 s9, 0x2f800000
	s_mov_b32 s11, 0xcf800000
	s_waitcnt vmcnt(0)
	v_lshlrev_b16_e32 v4, 8, v3
	v_lshlrev_b32_e32 v3, 25, v3
	v_lshrrev_b32_e32 v5, 4, v3
	v_and_or_b32 v6, v4, s0, 0.5
	v_or_b32_e32 v5, 0x70000000, v5
	v_add_f32_e32 v6, -0.5, v6
	v_mul_f32_e32 v5, 0x7800000, v5
	v_cmp_gt_u32_e32 vcc, s1, v3
	v_bfe_i32 v4, v4, 0, 16
	v_cndmask_b32_e32 v3, v5, v6, vcc
	v_and_or_b32 v3, v4, s8, v3
	v_trunc_f32_e32 v3, v3
	v_mul_f32_e64 v4, |v3|, s9
	v_floor_f32_e32 v4, v4
	v_fma_f32 v5, v4, s11, |v3|
	v_cvt_u32_f32_e32 v5, v5
	v_cvt_u32_f32_e32 v4, v4
	v_ashrrev_i32_e32 v6, 31, v3
	v_xor_b32_e32 v3, v5, v6
	v_xor_b32_e32 v4, v4, v6
	v_sub_co_u32_e32 v3, vcc, v3, v6
	v_subb_co_u32_e32 v4, vcc, v4, v6, vcc
.LBB87_616:
	s_mov_b64 s[8:9], 0
	s_mov_b64 s[0:1], -1
.LBB87_617:
	s_andn2_b64 vcc, exec, s[8:9]
	s_cbranch_vccnz .LBB87_628
; %bb.618:
	s_cmp_gt_i32 s10, 14
	s_cbranch_scc0 .LBB87_621
; %bb.619:
	s_cmp_eq_u32 s10, 15
	s_cbranch_scc0 .LBB87_622
; %bb.620:
	global_load_ushort v3, v[1:2], off
	s_mov_b32 s0, 0x2f800000
	s_mov_b32 s1, 0xcf800000
	s_mov_b64 s[2:3], 0
	s_waitcnt vmcnt(0)
	v_lshlrev_b32_e32 v3, 16, v3
	v_trunc_f32_e32 v3, v3
	v_mul_f32_e64 v4, |v3|, s0
	v_floor_f32_e32 v4, v4
	v_fma_f32 v5, v4, s1, |v3|
	v_cvt_u32_f32_e32 v5, v5
	v_cvt_u32_f32_e32 v4, v4
	v_ashrrev_i32_e32 v6, 31, v3
	s_mov_b64 s[0:1], -1
	v_xor_b32_e32 v3, v5, v6
	v_xor_b32_e32 v4, v4, v6
	v_sub_co_u32_e32 v3, vcc, v3, v6
	v_subb_co_u32_e32 v4, vcc, v4, v6, vcc
	s_branch .LBB87_623
.LBB87_621:
	s_mov_b64 s[8:9], -1
                                        ; implicit-def: $vgpr3_vgpr4
	s_branch .LBB87_624
.LBB87_622:
	s_mov_b64 s[2:3], -1
                                        ; implicit-def: $vgpr3_vgpr4
.LBB87_623:
	s_mov_b64 s[8:9], 0
.LBB87_624:
	s_and_b64 vcc, exec, s[8:9]
	s_cbranch_vccz .LBB87_628
; %bb.625:
	s_cmp_eq_u32 s10, 11
	s_cbranch_scc0 .LBB87_627
; %bb.626:
	global_load_ubyte v3, v[1:2], off
	s_mov_b32 s2, 0
	s_mov_b64 s[0:1], -1
	s_waitcnt vmcnt(1)
	v_mov_b32_e32 v4, s2
	s_mov_b64 s[2:3], 0
	s_waitcnt vmcnt(0)
	v_cmp_ne_u16_e32 vcc, 0, v3
	v_cndmask_b32_e64 v3, 0, 1, vcc
	s_branch .LBB87_628
.LBB87_627:
	s_mov_b64 s[2:3], -1
                                        ; implicit-def: $vgpr3_vgpr4
.LBB87_628:
	s_mov_b64 s[8:9], 0
.LBB87_629:
	s_and_b64 vcc, exec, s[8:9]
	s_cbranch_vccz .LBB87_678
; %bb.630:
	s_cmp_lt_i32 s10, 5
	s_cbranch_scc1 .LBB87_635
; %bb.631:
	s_cmp_lt_i32 s10, 8
	s_cbranch_scc1 .LBB87_636
; %bb.632:
	s_cmp_lt_i32 s10, 9
	s_cbranch_scc1 .LBB87_637
; %bb.633:
	s_cmp_gt_i32 s10, 9
	s_cbranch_scc0 .LBB87_638
; %bb.634:
	global_load_dwordx2 v[3:4], v[1:2], off
	s_movk_i32 s0, 0xffe0
	s_waitcnt vmcnt(0)
	v_trunc_f64_e32 v[3:4], v[3:4]
	v_ldexp_f64 v[5:6], v[3:4], s0
	s_mov_b32 s0, 0
	s_mov_b32 s1, 0xc1f00000
	v_floor_f64_e32 v[5:6], v[5:6]
	v_fma_f64 v[7:8], v[5:6], s[0:1], v[3:4]
	v_cvt_i32_f64_e32 v4, v[5:6]
	s_mov_b64 s[0:1], 0
	v_cvt_u32_f64_e32 v3, v[7:8]
	s_branch .LBB87_639
.LBB87_635:
	s_mov_b64 s[0:1], -1
                                        ; implicit-def: $vgpr3_vgpr4
	s_branch .LBB87_657
.LBB87_636:
	s_mov_b64 s[0:1], -1
                                        ; implicit-def: $vgpr3_vgpr4
	s_branch .LBB87_645
.LBB87_637:
	s_mov_b64 s[0:1], -1
                                        ; implicit-def: $vgpr3_vgpr4
	s_branch .LBB87_642
.LBB87_638:
	s_mov_b64 s[0:1], -1
                                        ; implicit-def: $vgpr3_vgpr4
.LBB87_639:
	s_andn2_b64 vcc, exec, s[0:1]
	s_cbranch_vccnz .LBB87_641
; %bb.640:
	global_load_dword v3, v[1:2], off
	s_mov_b32 s0, 0x2f800000
	s_mov_b32 s1, 0xcf800000
	s_waitcnt vmcnt(0)
	v_trunc_f32_e32 v3, v3
	v_mul_f32_e64 v4, |v3|, s0
	v_floor_f32_e32 v4, v4
	v_cvt_u32_f32_e32 v5, v4
	v_fma_f32 v4, v4, s1, |v3|
	v_cvt_u32_f32_e32 v4, v4
	v_ashrrev_i32_e32 v6, 31, v3
	v_xor_b32_e32 v5, v5, v6
	v_xor_b32_e32 v3, v4, v6
	v_sub_co_u32_e32 v3, vcc, v3, v6
	v_subb_co_u32_e32 v4, vcc, v5, v6, vcc
.LBB87_641:
	s_mov_b64 s[0:1], 0
.LBB87_642:
	s_andn2_b64 vcc, exec, s[0:1]
	s_cbranch_vccnz .LBB87_644
; %bb.643:
	global_load_dword v3, v[1:2], off
	s_waitcnt vmcnt(0)
	v_cvt_f32_f16_e32 v3, v3
	v_cvt_i32_f32_e32 v3, v3
	v_ashrrev_i32_e32 v4, 31, v3
.LBB87_644:
	s_mov_b64 s[0:1], 0
.LBB87_645:
	s_andn2_b64 vcc, exec, s[0:1]
	s_cbranch_vccnz .LBB87_656
; %bb.646:
	s_cmp_lt_i32 s10, 6
	s_cbranch_scc1 .LBB87_649
; %bb.647:
	s_cmp_gt_i32 s10, 6
	s_cbranch_scc0 .LBB87_650
; %bb.648:
	global_load_dwordx2 v[3:4], v[1:2], off
	s_movk_i32 s0, 0xffe0
	s_waitcnt vmcnt(0)
	v_trunc_f64_e32 v[3:4], v[3:4]
	v_ldexp_f64 v[5:6], v[3:4], s0
	s_mov_b32 s0, 0
	s_mov_b32 s1, 0xc1f00000
	v_floor_f64_e32 v[5:6], v[5:6]
	v_fma_f64 v[7:8], v[5:6], s[0:1], v[3:4]
	v_cvt_i32_f64_e32 v4, v[5:6]
	s_mov_b64 s[0:1], 0
	v_cvt_u32_f64_e32 v3, v[7:8]
	s_branch .LBB87_651
.LBB87_649:
	s_mov_b64 s[0:1], -1
                                        ; implicit-def: $vgpr3_vgpr4
	s_branch .LBB87_654
.LBB87_650:
	s_mov_b64 s[0:1], -1
                                        ; implicit-def: $vgpr3_vgpr4
.LBB87_651:
	s_andn2_b64 vcc, exec, s[0:1]
	s_cbranch_vccnz .LBB87_653
; %bb.652:
	global_load_dword v3, v[1:2], off
	s_mov_b32 s0, 0x2f800000
	s_mov_b32 s1, 0xcf800000
	s_waitcnt vmcnt(0)
	v_trunc_f32_e32 v3, v3
	v_mul_f32_e64 v4, |v3|, s0
	v_floor_f32_e32 v4, v4
	v_cvt_u32_f32_e32 v5, v4
	v_fma_f32 v4, v4, s1, |v3|
	v_cvt_u32_f32_e32 v4, v4
	v_ashrrev_i32_e32 v6, 31, v3
	v_xor_b32_e32 v5, v5, v6
	v_xor_b32_e32 v3, v4, v6
	v_sub_co_u32_e32 v3, vcc, v3, v6
	v_subb_co_u32_e32 v4, vcc, v5, v6, vcc
.LBB87_653:
	s_mov_b64 s[0:1], 0
.LBB87_654:
	s_andn2_b64 vcc, exec, s[0:1]
	s_cbranch_vccnz .LBB87_656
; %bb.655:
	global_load_ushort v3, v[1:2], off
	s_waitcnt vmcnt(0)
	v_cvt_f32_f16_e32 v3, v3
	v_cvt_i32_f32_e32 v3, v3
	v_ashrrev_i32_e32 v4, 31, v3
.LBB87_656:
	s_mov_b64 s[0:1], 0
.LBB87_657:
	s_andn2_b64 vcc, exec, s[0:1]
	s_cbranch_vccnz .LBB87_677
; %bb.658:
	s_cmp_lt_i32 s10, 2
	s_cbranch_scc1 .LBB87_662
; %bb.659:
	s_cmp_lt_i32 s10, 3
	s_cbranch_scc1 .LBB87_663
; %bb.660:
	s_cmp_gt_i32 s10, 3
	s_cbranch_scc0 .LBB87_664
; %bb.661:
	global_load_dwordx2 v[3:4], v[1:2], off
	s_mov_b64 s[0:1], 0
	s_branch .LBB87_665
.LBB87_662:
	s_mov_b64 s[0:1], -1
                                        ; implicit-def: $vgpr3_vgpr4
	s_branch .LBB87_671
.LBB87_663:
	s_mov_b64 s[0:1], -1
                                        ; implicit-def: $vgpr3_vgpr4
	s_branch .LBB87_668
.LBB87_664:
	s_mov_b64 s[0:1], -1
                                        ; implicit-def: $vgpr3_vgpr4
.LBB87_665:
	s_andn2_b64 vcc, exec, s[0:1]
	s_cbranch_vccnz .LBB87_667
; %bb.666:
	global_load_dword v3, v[1:2], off
	s_waitcnt vmcnt(0)
	v_ashrrev_i32_e32 v4, 31, v3
.LBB87_667:
	s_mov_b64 s[0:1], 0
.LBB87_668:
	s_andn2_b64 vcc, exec, s[0:1]
	s_cbranch_vccnz .LBB87_670
; %bb.669:
	global_load_ushort v3, v[1:2], off
	s_waitcnt vmcnt(0)
	v_bfe_i32 v3, v3, 0, 16
	v_ashrrev_i32_e32 v4, 31, v3
.LBB87_670:
	s_mov_b64 s[0:1], 0
.LBB87_671:
	s_andn2_b64 vcc, exec, s[0:1]
	s_cbranch_vccnz .LBB87_677
; %bb.672:
	s_cmp_gt_i32 s10, 0
	s_cbranch_scc0 .LBB87_674
; %bb.673:
	global_load_sbyte v3, v[1:2], off
	s_mov_b64 s[0:1], 0
	s_waitcnt vmcnt(0)
	v_bfe_i32 v3, v3, 0, 16
	v_ashrrev_i32_e32 v4, 31, v3
	s_branch .LBB87_675
.LBB87_674:
	s_mov_b64 s[0:1], -1
                                        ; implicit-def: $vgpr3_vgpr4
.LBB87_675:
	s_andn2_b64 vcc, exec, s[0:1]
	s_cbranch_vccnz .LBB87_677
; %bb.676:
	global_load_ubyte v1, v[1:2], off
	s_mov_b32 s0, 0
	s_waitcnt vmcnt(1)
	v_mov_b32_e32 v4, s0
	s_waitcnt vmcnt(0)
	v_and_b32_e32 v3, 0xffff, v1
.LBB87_677:
	s_mov_b64 s[0:1], -1
.LBB87_678:
	s_andn2_b64 vcc, exec, s[0:1]
	s_cbranch_vccnz .LBB87_686
; %bb.679:
	s_waitcnt vmcnt(0)
	v_lshlrev_b64 v[1:2], s44, v[3:4]
	v_mov_b32_e32 v4, s25
	s_and_b32 s14, s77, 0xff
	v_add_co_u32_e32 v3, vcc, s24, v0
	v_cndmask_b32_e64 v2, v2, 0, s[46:47]
	v_cndmask_b32_e64 v1, v1, 0, s[46:47]
	s_cmp_lt_i32 s14, 11
	v_addc_co_u32_e32 v4, vcc, 0, v4, vcc
	s_cbranch_scc1 .LBB87_687
; %bb.680:
	s_and_b32 s15, 0xffff, s14
	s_cmp_gt_i32 s15, 25
	s_cbranch_scc0 .LBB87_688
; %bb.681:
	s_cmp_gt_i32 s15, 28
	s_cbranch_scc0 .LBB87_689
; %bb.682:
	s_cmp_gt_i32 s15, 43
	s_cbranch_scc0 .LBB87_690
; %bb.683:
	s_cmp_gt_i32 s15, 45
	s_cbranch_scc0 .LBB87_691
; %bb.684:
	s_mov_b64 s[10:11], 0
	s_mov_b64 s[0:1], -1
	s_cmp_eq_u32 s15, 46
	s_mov_b64 s[8:9], 0
	s_cbranch_scc0 .LBB87_692
; %bb.685:
	v_xor_b32_e32 v5, v1, v2
	v_ffbh_i32_e32 v0, v2
	v_ashrrev_i32_e32 v5, 31, v5
	v_add_u32_e32 v0, -1, v0
	v_add_u32_e32 v5, 32, v5
	v_min_u32_e32 v0, v0, v5
	v_lshlrev_b64 v[5:6], v0, v[1:2]
	v_sub_u32_e32 v0, 32, v0
	v_min_u32_e32 v5, 1, v5
	v_or_b32_e32 v5, v6, v5
	v_cvt_f32_i32_e32 v5, v5
	s_movk_i32 s0, 0x7fff
	s_mov_b64 s[8:9], -1
	v_ldexp_f32 v0, v5, v0
	v_bfe_u32 v5, v0, 16, 1
	v_add3_u32 v0, v0, v5, s0
	v_lshrrev_b32_e32 v0, 16, v0
	global_store_dword v[3:4], v0, off
	s_mov_b64 s[0:1], 0
	s_branch .LBB87_692
.LBB87_686:
	s_mov_b64 s[8:9], 0
	s_mov_b64 s[0:1], s[64:65]
	s_branch .LBB87_803
.LBB87_687:
	s_mov_b64 s[10:11], -1
	s_mov_b64 s[8:9], 0
	s_mov_b64 s[0:1], s[64:65]
	s_branch .LBB87_761
.LBB87_688:
	s_mov_b64 s[10:11], -1
	s_mov_b64 s[8:9], 0
	s_mov_b64 s[0:1], s[64:65]
	s_branch .LBB87_719
.LBB87_689:
	s_mov_b64 s[10:11], -1
	s_mov_b64 s[8:9], 0
	s_mov_b64 s[0:1], s[64:65]
	s_branch .LBB87_702
.LBB87_690:
	s_mov_b64 s[10:11], -1
	s_mov_b64 s[8:9], 0
	s_mov_b64 s[0:1], s[64:65]
	s_branch .LBB87_698
.LBB87_691:
	s_mov_b64 s[10:11], -1
	s_mov_b64 s[8:9], 0
	s_mov_b64 s[0:1], s[64:65]
.LBB87_692:
	s_and_b64 vcc, exec, s[10:11]
	s_cbranch_vccz .LBB87_697
; %bb.693:
	s_cmp_eq_u32 s15, 44
	s_mov_b64 s[0:1], -1
	s_cbranch_scc0 .LBB87_697
; %bb.694:
	v_xor_b32_e32 v5, v1, v2
	v_ffbh_i32_e32 v0, v2
	v_ashrrev_i32_e32 v5, 31, v5
	v_add_u32_e32 v0, -1, v0
	v_add_u32_e32 v5, 32, v5
	v_min_u32_e32 v0, v0, v5
	v_lshlrev_b64 v[5:6], v0, v[1:2]
	v_sub_u32_e32 v0, 32, v0
	v_min_u32_e32 v5, 1, v5
	v_or_b32_e32 v5, v6, v5
	v_cvt_f32_i32_e32 v5, v5
	s_movk_i32 s0, 0xff
	v_mov_b32_e32 v6, 0xff
	v_ldexp_f32 v0, v5, v0
	v_bfe_u32 v5, v0, 23, 8
	v_cmp_ne_u32_e32 vcc, s0, v5
	s_and_saveexec_b64 s[8:9], vcc
; %bb.695:
	s_mov_b32 s0, 0x3fffff
	v_lshrrev_b32_e32 v6, 23, v0
	v_and_b32_e32 v7, 0x400000, v0
	v_and_or_b32 v0, v0, s0, v5
	v_cmp_ne_u32_e32 vcc, 0, v7
	v_cmp_ne_u32_e64 s[0:1], 0, v0
	s_and_b64 s[0:1], vcc, s[0:1]
	v_cndmask_b32_e64 v0, 0, 1, s[0:1]
	v_add_u32_e32 v6, v6, v0
; %bb.696:
	s_or_b64 exec, exec, s[8:9]
	s_mov_b64 s[8:9], -1
	s_mov_b64 s[0:1], 0
	global_store_byte v[3:4], v6, off
.LBB87_697:
	s_mov_b64 s[10:11], 0
.LBB87_698:
	s_and_b64 vcc, exec, s[10:11]
	s_cbranch_vccz .LBB87_701
; %bb.699:
	s_cmp_eq_u32 s15, 29
	s_mov_b64 s[0:1], -1
	s_cbranch_scc0 .LBB87_701
; %bb.700:
	global_store_dwordx2 v[3:4], v[1:2], off
	s_mov_b64 s[8:9], -1
	s_mov_b64 s[0:1], 0
.LBB87_701:
	s_mov_b64 s[10:11], 0
.LBB87_702:
	s_and_b64 vcc, exec, s[10:11]
	s_cbranch_vccz .LBB87_718
; %bb.703:
	s_cmp_lt_i32 s15, 27
	s_mov_b64 s[8:9], -1
	s_cbranch_scc1 .LBB87_709
; %bb.704:
	s_cmp_gt_i32 s15, 27
	s_cbranch_scc0 .LBB87_706
; %bb.705:
	s_mov_b64 s[8:9], 0
	global_store_dword v[3:4], v1, off
.LBB87_706:
	s_andn2_b64 vcc, exec, s[8:9]
	s_cbranch_vccnz .LBB87_708
; %bb.707:
	global_store_short v[3:4], v1, off
.LBB87_708:
	s_mov_b64 s[8:9], 0
.LBB87_709:
	s_andn2_b64 vcc, exec, s[8:9]
	s_cbranch_vccnz .LBB87_717
; %bb.710:
	v_xor_b32_e32 v5, v1, v2
	v_ffbh_i32_e32 v0, v2
	v_ashrrev_i32_e32 v5, 31, v5
	v_add_u32_e32 v0, -1, v0
	v_add_u32_e32 v5, 32, v5
	v_min_u32_e32 v0, v0, v5
	v_lshlrev_b64 v[5:6], v0, v[1:2]
	v_sub_u32_e32 v0, 32, v0
	v_min_u32_e32 v5, 1, v5
	v_or_b32_e32 v5, v6, v5
	v_cvt_f32_i32_e32 v5, v5
	s_mov_b32 s8, 0x43800000
	v_mov_b32_e32 v6, 0x80
	v_ldexp_f32 v0, v5, v0
	v_and_b32_e32 v5, 0x7fffffff, v0
	v_cmp_gt_u32_e32 vcc, s8, v5
	s_and_saveexec_b64 s[8:9], vcc
	s_cbranch_execz .LBB87_716
; %bb.711:
	s_mov_b32 s10, 0x3bffffff
	v_cmp_lt_u32_e32 vcc, s10, v5
	s_mov_b64 s[10:11], 0
                                        ; implicit-def: $vgpr5
	s_and_saveexec_b64 s[12:13], vcc
	s_xor_b64 s[12:13], exec, s[12:13]
	s_cbranch_execz .LBB87_833
; %bb.712:
	v_bfe_u32 v5, v0, 20, 1
	s_mov_b32 s16, 0x487ffff
	v_add3_u32 v5, v0, v5, s16
	s_mov_b64 s[10:11], exec
	v_lshrrev_b32_e32 v5, 20, v5
	s_andn2_saveexec_b64 s[12:13], s[12:13]
	s_cbranch_execnz .LBB87_834
.LBB87_713:
	s_or_b64 exec, exec, s[12:13]
	v_mov_b32_e32 v6, 0
	s_and_saveexec_b64 s[12:13], s[10:11]
.LBB87_714:
	v_lshrrev_b32_e32 v0, 24, v0
	s_movk_i32 s10, 0x80
	v_and_or_b32 v6, v0, s10, v5
.LBB87_715:
	s_or_b64 exec, exec, s[12:13]
.LBB87_716:
	s_or_b64 exec, exec, s[8:9]
	global_store_byte v[3:4], v6, off
.LBB87_717:
	s_mov_b64 s[8:9], -1
.LBB87_718:
	s_mov_b64 s[10:11], 0
.LBB87_719:
	s_and_b64 vcc, exec, s[10:11]
	s_cbranch_vccz .LBB87_760
; %bb.720:
	s_cmp_gt_i32 s15, 22
	s_mov_b64 s[10:11], -1
	s_cbranch_scc0 .LBB87_752
; %bb.721:
	s_cmp_lt_i32 s15, 24
	s_mov_b64 s[8:9], -1
	s_cbranch_scc1 .LBB87_741
; %bb.722:
	s_cmp_gt_i32 s15, 24
	s_cbranch_scc0 .LBB87_730
; %bb.723:
	v_xor_b32_e32 v5, v1, v2
	v_ffbh_i32_e32 v0, v2
	v_ashrrev_i32_e32 v5, 31, v5
	v_add_u32_e32 v0, -1, v0
	v_add_u32_e32 v5, 32, v5
	v_min_u32_e32 v0, v0, v5
	v_lshlrev_b64 v[5:6], v0, v[1:2]
	v_sub_u32_e32 v0, 32, v0
	v_min_u32_e32 v5, 1, v5
	v_or_b32_e32 v5, v6, v5
	v_cvt_f32_i32_e32 v5, v5
	s_mov_b32 s8, 0x47800000
	v_mov_b32_e32 v6, 0x80
	v_ldexp_f32 v0, v5, v0
	v_and_b32_e32 v5, 0x7fffffff, v0
	v_cmp_gt_u32_e32 vcc, s8, v5
	s_and_saveexec_b64 s[8:9], vcc
	s_cbranch_execz .LBB87_729
; %bb.724:
	s_mov_b32 s10, 0x37ffffff
	v_cmp_lt_u32_e32 vcc, s10, v5
	s_mov_b64 s[10:11], 0
                                        ; implicit-def: $vgpr5
	s_and_saveexec_b64 s[12:13], vcc
	s_xor_b64 s[12:13], exec, s[12:13]
	s_cbranch_execz .LBB87_836
; %bb.725:
	v_bfe_u32 v5, v0, 21, 1
	s_mov_b32 s16, 0x88fffff
	v_add3_u32 v5, v0, v5, s16
	s_mov_b64 s[10:11], exec
	v_lshrrev_b32_e32 v5, 21, v5
	s_andn2_saveexec_b64 s[12:13], s[12:13]
	s_cbranch_execnz .LBB87_837
.LBB87_726:
	s_or_b64 exec, exec, s[12:13]
	v_mov_b32_e32 v6, 0
	s_and_saveexec_b64 s[12:13], s[10:11]
.LBB87_727:
	v_lshrrev_b32_e32 v0, 24, v0
	s_movk_i32 s10, 0x80
	v_and_or_b32 v6, v0, s10, v5
.LBB87_728:
	s_or_b64 exec, exec, s[12:13]
.LBB87_729:
	s_or_b64 exec, exec, s[8:9]
	s_mov_b64 s[8:9], 0
	global_store_byte v[3:4], v6, off
.LBB87_730:
	s_and_b64 vcc, exec, s[8:9]
	s_cbranch_vccz .LBB87_740
; %bb.731:
	v_xor_b32_e32 v5, v1, v2
	v_ffbh_i32_e32 v0, v2
	v_ashrrev_i32_e32 v5, 31, v5
	v_add_u32_e32 v0, -1, v0
	v_add_u32_e32 v5, 32, v5
	v_min_u32_e32 v0, v0, v5
	v_lshlrev_b64 v[5:6], v0, v[1:2]
	v_sub_u32_e32 v0, 32, v0
	v_min_u32_e32 v5, 1, v5
	v_or_b32_e32 v5, v6, v5
	v_cvt_f32_i32_e32 v5, v5
	s_mov_b32 s8, 0x43f00000
	v_ldexp_f32 v0, v5, v0
	v_and_b32_e32 v6, 0x7fffffff, v0
	v_cmp_gt_u32_e32 vcc, s8, v6
                                        ; implicit-def: $vgpr5
	s_and_saveexec_b64 s[8:9], vcc
	s_xor_b64 s[8:9], exec, s[8:9]
	s_cbranch_execz .LBB87_737
; %bb.732:
	s_mov_b32 s10, 0x3c7fffff
	v_cmp_lt_u32_e32 vcc, s10, v6
                                        ; implicit-def: $vgpr5
	s_and_saveexec_b64 s[10:11], vcc
	s_xor_b64 s[10:11], exec, s[10:11]
; %bb.733:
	v_bfe_u32 v5, v0, 20, 1
	s_mov_b32 s12, 0x407ffff
	v_add3_u32 v5, v0, v5, s12
	v_lshrrev_b32_e32 v6, 20, v5
	v_and_b32_e32 v5, 0xff00000, v5
	s_mov_b32 s12, 0x7f00000
	v_mov_b32_e32 v7, 0x7e
	v_cmp_ne_u32_e32 vcc, s12, v5
	v_cndmask_b32_e32 v5, v7, v6, vcc
; %bb.734:
	s_andn2_saveexec_b64 s[10:11], s[10:11]
; %bb.735:
	s_mov_b32 s12, 0x46800000
	v_add_f32_e64 v5, |v0|, s12
; %bb.736:
	s_or_b64 exec, exec, s[10:11]
                                        ; implicit-def: $vgpr6
.LBB87_737:
	s_andn2_saveexec_b64 s[8:9], s[8:9]
; %bb.738:
	s_mov_b32 s10, 0x7f800000
	v_mov_b32_e32 v5, 0x7e
	v_mov_b32_e32 v7, 0x7f
	v_cmp_lt_u32_e32 vcc, s10, v6
	v_cndmask_b32_e32 v5, v5, v7, vcc
; %bb.739:
	s_or_b64 exec, exec, s[8:9]
	v_lshrrev_b32_e32 v0, 24, v0
	s_movk_i32 s8, 0x80
	v_and_or_b32 v0, v0, s8, v5
	global_store_byte v[3:4], v0, off
.LBB87_740:
	s_mov_b64 s[8:9], 0
.LBB87_741:
	s_andn2_b64 vcc, exec, s[8:9]
	s_cbranch_vccnz .LBB87_751
; %bb.742:
	v_xor_b32_e32 v5, v1, v2
	v_ffbh_i32_e32 v0, v2
	v_ashrrev_i32_e32 v5, 31, v5
	v_add_u32_e32 v0, -1, v0
	v_add_u32_e32 v5, 32, v5
	v_min_u32_e32 v0, v0, v5
	v_lshlrev_b64 v[5:6], v0, v[1:2]
	v_sub_u32_e32 v0, 32, v0
	v_min_u32_e32 v5, 1, v5
	v_or_b32_e32 v5, v6, v5
	v_cvt_f32_i32_e32 v5, v5
	s_mov_b32 s8, 0x47800000
	v_ldexp_f32 v0, v5, v0
	v_and_b32_e32 v6, 0x7fffffff, v0
	v_cmp_gt_u32_e32 vcc, s8, v6
                                        ; implicit-def: $vgpr5
	s_and_saveexec_b64 s[8:9], vcc
	s_xor_b64 s[8:9], exec, s[8:9]
	s_cbranch_execz .LBB87_748
; %bb.743:
	s_mov_b32 s10, 0x387fffff
	v_cmp_lt_u32_e32 vcc, s10, v6
                                        ; implicit-def: $vgpr5
	s_and_saveexec_b64 s[10:11], vcc
	s_xor_b64 s[10:11], exec, s[10:11]
; %bb.744:
	v_bfe_u32 v5, v0, 21, 1
	s_mov_b32 s12, 0x80fffff
	v_add3_u32 v5, v0, v5, s12
	v_lshrrev_b32_e32 v5, 21, v5
; %bb.745:
	s_andn2_saveexec_b64 s[10:11], s[10:11]
; %bb.746:
	s_mov_b32 s12, 0x43000000
	v_add_f32_e64 v5, |v0|, s12
; %bb.747:
	s_or_b64 exec, exec, s[10:11]
                                        ; implicit-def: $vgpr6
.LBB87_748:
	s_andn2_saveexec_b64 s[8:9], s[8:9]
; %bb.749:
	s_mov_b32 s10, 0x7f800000
	v_mov_b32_e32 v5, 0x7c
	v_mov_b32_e32 v7, 0x7f
	v_cmp_lt_u32_e32 vcc, s10, v6
	v_cndmask_b32_e32 v5, v5, v7, vcc
; %bb.750:
	s_or_b64 exec, exec, s[8:9]
	v_lshrrev_b32_e32 v0, 24, v0
	s_movk_i32 s8, 0x80
	v_and_or_b32 v0, v0, s8, v5
	global_store_byte v[3:4], v0, off
.LBB87_751:
	s_mov_b64 s[10:11], 0
	s_mov_b64 s[8:9], -1
.LBB87_752:
	s_andn2_b64 vcc, exec, s[10:11]
	s_cbranch_vccnz .LBB87_760
; %bb.753:
	s_cmp_gt_i32 s15, 14
	s_mov_b64 s[10:11], -1
	s_cbranch_scc0 .LBB87_757
; %bb.754:
	s_cmp_eq_u32 s15, 15
	s_mov_b64 s[0:1], -1
	s_cbranch_scc0 .LBB87_756
; %bb.755:
	v_xor_b32_e32 v5, v1, v2
	v_ffbh_i32_e32 v0, v2
	v_ashrrev_i32_e32 v5, 31, v5
	v_add_u32_e32 v0, -1, v0
	v_add_u32_e32 v5, 32, v5
	v_min_u32_e32 v0, v0, v5
	v_lshlrev_b64 v[5:6], v0, v[1:2]
	v_sub_u32_e32 v0, 32, v0
	v_min_u32_e32 v5, 1, v5
	v_or_b32_e32 v5, v6, v5
	v_cvt_f32_i32_e32 v5, v5
	s_movk_i32 s0, 0x7fff
	s_mov_b64 s[8:9], -1
	v_ldexp_f32 v0, v5, v0
	v_bfe_u32 v5, v0, 16, 1
	v_add3_u32 v0, v0, v5, s0
	global_store_short_d16_hi v[3:4], v0, off
	s_mov_b64 s[0:1], 0
.LBB87_756:
	s_mov_b64 s[10:11], 0
.LBB87_757:
	s_and_b64 vcc, exec, s[10:11]
	s_cbranch_vccz .LBB87_760
; %bb.758:
	s_cmp_eq_u32 s15, 11
	s_mov_b64 s[0:1], -1
	s_cbranch_scc0 .LBB87_760
; %bb.759:
	v_cmp_ne_u64_e32 vcc, 0, v[1:2]
	s_mov_b64 s[0:1], 0
	v_cndmask_b32_e64 v0, 0, 1, vcc
	s_mov_b64 s[8:9], -1
	global_store_byte v[3:4], v0, off
.LBB87_760:
	s_mov_b64 s[10:11], 0
.LBB87_761:
	s_and_b64 vcc, exec, s[10:11]
	s_cbranch_vccz .LBB87_800
; %bb.762:
	s_and_b32 s10, 0xffff, s14
	s_cmp_lt_i32 s10, 5
	s_mov_b64 s[8:9], -1
	s_cbranch_scc1 .LBB87_783
; %bb.763:
	s_cmp_lt_i32 s10, 8
	s_cbranch_scc1 .LBB87_773
; %bb.764:
	s_cmp_lt_i32 s10, 9
	s_cbranch_scc1 .LBB87_770
; %bb.765:
	s_cmp_gt_i32 s10, 9
	s_cbranch_scc0 .LBB87_767
; %bb.766:
	v_cvt_f64_i32_e32 v[5:6], v2
	v_cvt_f64_u32_e32 v[7:8], v1
	s_mov_b64 s[8:9], 0
	v_ldexp_f64 v[5:6], v[5:6], 32
	v_add_f64 v[5:6], v[5:6], v[7:8]
	v_mov_b32_e32 v7, 0
	v_mov_b32_e32 v8, v7
	global_store_dwordx4 v[3:4], v[5:8], off
.LBB87_767:
	s_andn2_b64 vcc, exec, s[8:9]
	s_cbranch_vccnz .LBB87_769
; %bb.768:
	v_xor_b32_e32 v5, v1, v2
	v_ffbh_i32_e32 v0, v2
	v_ashrrev_i32_e32 v5, 31, v5
	v_add_u32_e32 v0, -1, v0
	v_add_u32_e32 v5, 32, v5
	v_min_u32_e32 v0, v0, v5
	v_lshlrev_b64 v[5:6], v0, v[1:2]
	v_sub_u32_e32 v0, 32, v0
	v_min_u32_e32 v5, 1, v5
	v_or_b32_e32 v5, v6, v5
	v_cvt_f32_i32_e32 v5, v5
	v_mov_b32_e32 v6, 0
	v_ldexp_f32 v5, v5, v0
	global_store_dwordx2 v[3:4], v[5:6], off
.LBB87_769:
	s_mov_b64 s[8:9], 0
.LBB87_770:
	s_andn2_b64 vcc, exec, s[8:9]
	s_cbranch_vccnz .LBB87_772
; %bb.771:
	v_xor_b32_e32 v5, v1, v2
	v_ffbh_i32_e32 v0, v2
	v_ashrrev_i32_e32 v5, 31, v5
	v_add_u32_e32 v0, -1, v0
	v_add_u32_e32 v5, 32, v5
	v_min_u32_e32 v0, v0, v5
	v_lshlrev_b64 v[5:6], v0, v[1:2]
	v_sub_u32_e32 v0, 32, v0
	v_min_u32_e32 v5, 1, v5
	v_or_b32_e32 v5, v6, v5
	v_cvt_f32_i32_e32 v5, v5
	v_ldexp_f32 v0, v5, v0
	v_cvt_f16_f32_e32 v0, v0
	global_store_dword v[3:4], v0, off
.LBB87_772:
	s_mov_b64 s[8:9], 0
.LBB87_773:
	s_andn2_b64 vcc, exec, s[8:9]
	s_cbranch_vccnz .LBB87_782
; %bb.774:
	s_cmp_lt_i32 s10, 6
	s_mov_b64 s[8:9], -1
	s_cbranch_scc1 .LBB87_780
; %bb.775:
	s_cmp_gt_i32 s10, 6
	s_cbranch_scc0 .LBB87_777
; %bb.776:
	v_cvt_f64_i32_e32 v[5:6], v2
	v_cvt_f64_u32_e32 v[7:8], v1
	s_mov_b64 s[8:9], 0
	v_ldexp_f64 v[5:6], v[5:6], 32
	v_add_f64 v[5:6], v[5:6], v[7:8]
	global_store_dwordx2 v[3:4], v[5:6], off
.LBB87_777:
	s_andn2_b64 vcc, exec, s[8:9]
	s_cbranch_vccnz .LBB87_779
; %bb.778:
	v_xor_b32_e32 v5, v1, v2
	v_ffbh_i32_e32 v0, v2
	v_ashrrev_i32_e32 v5, 31, v5
	v_add_u32_e32 v0, -1, v0
	v_add_u32_e32 v5, 32, v5
	v_min_u32_e32 v0, v0, v5
	v_lshlrev_b64 v[5:6], v0, v[1:2]
	v_sub_u32_e32 v0, 32, v0
	v_min_u32_e32 v5, 1, v5
	v_or_b32_e32 v5, v6, v5
	v_cvt_f32_i32_e32 v5, v5
	v_ldexp_f32 v0, v5, v0
	global_store_dword v[3:4], v0, off
.LBB87_779:
	s_mov_b64 s[8:9], 0
.LBB87_780:
	s_andn2_b64 vcc, exec, s[8:9]
	s_cbranch_vccnz .LBB87_782
; %bb.781:
	v_xor_b32_e32 v5, v1, v2
	v_ffbh_i32_e32 v0, v2
	v_ashrrev_i32_e32 v5, 31, v5
	v_add_u32_e32 v0, -1, v0
	v_add_u32_e32 v5, 32, v5
	v_min_u32_e32 v0, v0, v5
	v_lshlrev_b64 v[5:6], v0, v[1:2]
	v_sub_u32_e32 v0, 32, v0
	v_min_u32_e32 v5, 1, v5
	v_or_b32_e32 v5, v6, v5
	v_cvt_f32_i32_e32 v5, v5
	v_ldexp_f32 v0, v5, v0
	v_cvt_f16_f32_e32 v0, v0
	global_store_short v[3:4], v0, off
.LBB87_782:
	s_mov_b64 s[8:9], 0
.LBB87_783:
	s_andn2_b64 vcc, exec, s[8:9]
	s_cbranch_vccnz .LBB87_799
; %bb.784:
	s_cmp_lt_i32 s10, 2
	s_mov_b64 s[8:9], -1
	s_cbranch_scc1 .LBB87_794
; %bb.785:
	s_cmp_lt_i32 s10, 3
	s_cbranch_scc1 .LBB87_791
; %bb.786:
	s_cmp_gt_i32 s10, 3
	s_cbranch_scc0 .LBB87_788
; %bb.787:
	s_mov_b64 s[8:9], 0
	global_store_dwordx2 v[3:4], v[1:2], off
.LBB87_788:
	s_andn2_b64 vcc, exec, s[8:9]
	s_cbranch_vccnz .LBB87_790
; %bb.789:
	global_store_dword v[3:4], v1, off
.LBB87_790:
	s_mov_b64 s[8:9], 0
.LBB87_791:
	s_andn2_b64 vcc, exec, s[8:9]
	s_cbranch_vccnz .LBB87_793
; %bb.792:
	global_store_short v[3:4], v1, off
.LBB87_793:
	s_mov_b64 s[8:9], 0
.LBB87_794:
	s_andn2_b64 vcc, exec, s[8:9]
	s_cbranch_vccnz .LBB87_799
; %bb.795:
	s_cmp_gt_i32 s10, 0
	s_mov_b64 s[8:9], -1
	s_cbranch_scc0 .LBB87_797
; %bb.796:
	s_mov_b64 s[8:9], 0
	global_store_byte v[3:4], v1, off
.LBB87_797:
	s_andn2_b64 vcc, exec, s[8:9]
	s_cbranch_vccnz .LBB87_799
; %bb.798:
	global_store_byte v[3:4], v1, off
.LBB87_799:
	s_mov_b64 s[8:9], -1
.LBB87_800:
	s_andn2_b64 vcc, exec, s[8:9]
	s_cbranch_vccnz .LBB87_802
; %bb.801:
	v_add_u32_e32 v11, 0x80, v11
	s_mov_b64 s[8:9], -1
	s_branch .LBB87_804
.LBB87_802:
	s_mov_b64 s[8:9], 0
.LBB87_803:
                                        ; implicit-def: $vgpr11
.LBB87_804:
	s_andn2_b64 s[10:11], s[64:65], exec
	s_and_b64 s[0:1], s[0:1], exec
	s_or_b64 s[72:73], s[10:11], s[0:1]
	s_andn2_b64 s[0:1], s[62:63], exec
	s_and_b64 s[2:3], s[2:3], exec
	s_or_b64 s[70:71], s[0:1], s[2:3]
	s_orn2_b64 s[2:3], s[8:9], exec
.LBB87_805:
	s_or_b64 exec, exec, s[68:69]
	s_mov_b64 s[0:1], 0
	s_mov_b64 s[8:9], 0
	;; [unrolled: 1-line block ×3, first 2 shown]
                                        ; implicit-def: $vgpr1_vgpr2
                                        ; implicit-def: $vgpr0
                                        ; implicit-def: $vgpr5_vgpr6
	s_and_saveexec_b64 s[68:69], s[2:3]
	s_cbranch_execz .LBB87_900
; %bb.806:
	v_cmp_gt_i32_e32 vcc, s74, v11
	s_mov_b64 s[2:3], 0
	s_mov_b64 s[12:13], s[70:71]
                                        ; implicit-def: $vgpr1_vgpr2
                                        ; implicit-def: $vgpr0
                                        ; implicit-def: $vgpr5_vgpr6
	s_and_saveexec_b64 s[74:75], vcc
	s_cbranch_execz .LBB87_899
; %bb.807:
	s_andn2_b64 vcc, exec, s[40:41]
	s_cbranch_vccnz .LBB87_812
; %bb.808:
	s_andn2_b64 vcc, exec, s[54:55]
	s_cbranch_vccnz .LBB87_813
; %bb.809:
	s_add_i32 s79, s79, 1
	s_cmp_eq_u32 s76, 2
	s_cbranch_scc1 .LBB87_814
; %bb.810:
	s_and_b32 s45, s79, 28
	v_mov_b32_e32 v2, 0
	s_mov_b32 s80, 0
	s_mov_b64 s[54:55], s[34:35]
	v_mov_b32_e32 v0, 0
	v_mov_b32_e32 v1, v11
.LBB87_811:                             ; =>This Inner Loop Header: Depth=1
	s_load_dwordx8 s[16:23], s[54:55], 0x4
	s_load_dwordx4 s[0:3], s[54:55], 0x24
	s_load_dwordx8 s[8:15], s[52:53], 0x0
	s_add_u32 s54, s54, 48
	s_addc_u32 s55, s55, 0
	s_waitcnt vmcnt(0) lgkmcnt(0)
	v_mul_hi_u32 v3, s17, v1
	s_add_i32 s80, s80, 4
	s_add_u32 s52, s52, 32
	s_addc_u32 s53, s53, 0
	v_add_u32_e32 v3, v1, v3
	v_lshrrev_b32_e32 v3, s18, v3
	v_mul_lo_u32 v4, v3, s16
	v_mul_hi_u32 v5, s20, v3
	s_cmp_eq_u32 s45, s80
	v_sub_u32_e32 v1, v1, v4
	v_add_u32_e32 v4, v3, v5
	v_mul_lo_u32 v5, v1, s8
	v_mul_lo_u32 v6, v1, s9
	v_lshrrev_b32_e32 v1, s21, v4
	v_mul_lo_u32 v4, v1, s19
	v_mul_hi_u32 v7, s23, v1
	v_sub_u32_e32 v3, v3, v4
	v_add_u32_e32 v4, v1, v7
	v_lshrrev_b32_e32 v4, s0, v4
	v_mul_hi_u32 v8, s2, v4
	v_mul_lo_u32 v9, v4, s22
	v_mul_lo_u32 v7, v3, s10
	;; [unrolled: 1-line block ×3, first 2 shown]
	v_sub_u32_e32 v9, v1, v9
	v_add_u32_e32 v1, v4, v8
	v_lshrrev_b32_e32 v1, s3, v1
	v_mul_lo_u32 v8, v1, s1
	v_mul_lo_u32 v10, v9, s12
	v_mul_lo_u32 v9, v9, s13
	v_add3_u32 v0, v5, v0, v7
	v_sub_u32_e32 v4, v4, v8
	v_mul_lo_u32 v8, v4, s14
	v_mul_lo_u32 v4, v4, s15
	v_add3_u32 v2, v6, v2, v3
	v_add3_u32 v0, v10, v0, v8
	;; [unrolled: 1-line block ×3, first 2 shown]
	s_cbranch_scc0 .LBB87_811
	s_branch .LBB87_815
.LBB87_812:
	s_mov_b64 s[0:1], -1
                                        ; implicit-def: $vgpr0
                                        ; implicit-def: $vgpr2
	s_branch .LBB87_819
.LBB87_813:
	v_mov_b32_e32 v0, 0
	v_mov_b32_e32 v2, 0
	s_branch .LBB87_818
.LBB87_814:
	s_mov_b32 s45, 0
	v_mov_b32_e32 v0, 0
	v_mov_b32_e32 v2, 0
	;; [unrolled: 1-line block ×3, first 2 shown]
.LBB87_815:
	s_and_b32 s8, s79, 3
	s_cmp_eq_u32 s8, 0
	s_cbranch_scc1 .LBB87_818
; %bb.816:
	s_lshl_b32 s0, s45, 3
	s_add_u32 s0, s34, s0
	s_addc_u32 s1, s35, 0
	s_add_u32 s0, s0, 0xc4
	s_addc_u32 s1, s1, 0
	s_mul_i32 s2, s45, 12
	s_add_u32 s2, s34, s2
	s_addc_u32 s3, s35, 0
.LBB87_817:                             ; =>This Inner Loop Header: Depth=1
	s_load_dwordx2 s[10:11], s[2:3], 0x4
	s_load_dword s9, s[2:3], 0xc
	s_load_dwordx2 s[12:13], s[0:1], 0x0
	s_add_u32 s2, s2, 12
	s_addc_u32 s3, s3, 0
	s_waitcnt vmcnt(0) lgkmcnt(0)
	v_mul_hi_u32 v3, s11, v1
	s_add_u32 s0, s0, 8
	s_addc_u32 s1, s1, 0
	s_add_i32 s8, s8, -1
	v_add_u32_e32 v3, v1, v3
	v_lshrrev_b32_e32 v4, s9, v3
	v_mul_lo_u32 v3, v4, s10
	s_cmp_lg_u32 s8, 0
	v_sub_u32_e32 v3, v1, v3
	v_mad_u64_u32 v[0:1], s[10:11], v3, s12, v[0:1]
	v_mad_u64_u32 v[2:3], s[10:11], v3, s13, v[2:3]
	v_mov_b32_e32 v1, v4
	s_cbranch_scc1 .LBB87_817
.LBB87_818:
	s_mov_b64 s[0:1], 0
.LBB87_819:
	s_andn2_b64 vcc, exec, s[0:1]
	s_cbranch_vccnz .LBB87_822
; %bb.820:
	v_mul_hi_u32 v0, s29, v11
	s_andn2_b64 vcc, exec, s[50:51]
	v_add_u32_e32 v0, v11, v0
	v_lshrrev_b32_e32 v1, s30, v0
	v_mul_lo_u32 v0, v1, s28
	v_sub_u32_e32 v2, v11, v0
	v_mul_lo_u32 v0, v2, s36
	v_mul_lo_u32 v2, v2, s37
	s_cbranch_vccnz .LBB87_822
; %bb.821:
	s_waitcnt vmcnt(0)
	v_mul_hi_u32 v3, s48, v1
	v_add_u32_e32 v3, v1, v3
	v_lshrrev_b32_e32 v3, s49, v3
	v_mul_lo_u32 v3, v3, s31
	v_sub_u32_e32 v3, v1, v3
	v_mad_u64_u32 v[0:1], s[0:1], v3, s38, v[0:1]
	v_mad_u64_u32 v[2:3], s[0:1], v3, s39, v[2:3]
.LBB87_822:
	s_waitcnt vmcnt(0)
	v_mov_b32_e32 v3, s27
	s_and_b32 s12, 0xffff, s78
	v_add_co_u32_e32 v1, vcc, s26, v2
	s_cmp_lt_i32 s12, 11
	v_addc_co_u32_e32 v2, vcc, 0, v3, vcc
	s_cbranch_scc1 .LBB87_829
; %bb.823:
	s_cmp_gt_i32 s12, 25
	s_mov_b64 s[2:3], 0
	s_cbranch_scc0 .LBB87_830
; %bb.824:
	s_cmp_gt_i32 s12, 28
	s_cbranch_scc0 .LBB87_831
; %bb.825:
	s_cmp_gt_i32 s12, 43
	;; [unrolled: 3-line block ×3, first 2 shown]
	s_cbranch_scc0 .LBB87_835
; %bb.827:
	s_cmp_eq_u32 s12, 46
	s_mov_b64 s[10:11], 0
	s_cbranch_scc0 .LBB87_838
; %bb.828:
	global_load_dword v3, v[1:2], off
	s_mov_b32 s0, 0x2f800000
	s_mov_b32 s1, 0xcf800000
	s_mov_b64 s[8:9], -1
	s_waitcnt vmcnt(0)
	v_lshlrev_b32_e32 v3, 16, v3
	v_trunc_f32_e32 v3, v3
	v_mul_f32_e64 v4, |v3|, s0
	v_floor_f32_e32 v4, v4
	v_fma_f32 v5, v4, s1, |v3|
	v_cvt_u32_f32_e32 v5, v5
	v_cvt_u32_f32_e32 v4, v4
	v_ashrrev_i32_e32 v3, 31, v3
	s_mov_b64 s[0:1], 0
	v_xor_b32_e32 v5, v5, v3
	v_xor_b32_e32 v4, v4, v3
	v_sub_co_u32_e32 v5, vcc, v5, v3
	v_subb_co_u32_e32 v6, vcc, v4, v3, vcc
	s_branch .LBB87_839
.LBB87_829:
	s_mov_b64 s[12:13], -1
	s_mov_b64 s[8:9], 0
	s_mov_b64 s[2:3], 0
	s_mov_b64 s[0:1], s[70:71]
                                        ; implicit-def: $vgpr5_vgpr6
	s_branch .LBB87_898
.LBB87_830:
	s_mov_b64 s[10:11], -1
	s_mov_b64 s[8:9], 0
	s_mov_b64 s[0:1], s[70:71]
                                        ; implicit-def: $vgpr5_vgpr6
	s_branch .LBB87_868
.LBB87_831:
	s_mov_b64 s[10:11], -1
	s_mov_b64 s[8:9], 0
	s_mov_b64 s[0:1], s[70:71]
                                        ; implicit-def: $vgpr5_vgpr6
	s_branch .LBB87_849
.LBB87_832:
	s_mov_b64 s[10:11], -1
	s_mov_b64 s[8:9], 0
	s_mov_b64 s[0:1], s[70:71]
                                        ; implicit-def: $vgpr5_vgpr6
	s_branch .LBB87_844
.LBB87_833:
	s_andn2_saveexec_b64 s[12:13], s[12:13]
	s_cbranch_execz .LBB87_713
.LBB87_834:
	s_mov_b32 s16, 0x46000000
	v_add_f32_e64 v5, |v0|, s16
	v_and_b32_e32 v5, 0xff, v5
	v_cmp_ne_u32_e32 vcc, 0, v5
	s_andn2_b64 s[10:11], s[10:11], exec
	s_and_b64 s[16:17], vcc, exec
	s_or_b64 s[10:11], s[10:11], s[16:17]
	s_or_b64 exec, exec, s[12:13]
	v_mov_b32_e32 v6, 0
	s_and_saveexec_b64 s[12:13], s[10:11]
	s_cbranch_execnz .LBB87_714
	s_branch .LBB87_715
.LBB87_835:
	s_mov_b64 s[10:11], -1
	s_mov_b64 s[8:9], 0
	s_mov_b64 s[0:1], s[70:71]
                                        ; implicit-def: $vgpr5_vgpr6
	s_branch .LBB87_839
.LBB87_836:
	s_andn2_saveexec_b64 s[12:13], s[12:13]
	s_cbranch_execz .LBB87_726
.LBB87_837:
	s_mov_b32 s16, 0x42800000
	v_add_f32_e64 v5, |v0|, s16
	v_and_b32_e32 v5, 0xff, v5
	v_cmp_ne_u32_e32 vcc, 0, v5
	s_andn2_b64 s[10:11], s[10:11], exec
	s_and_b64 s[16:17], vcc, exec
	s_or_b64 s[10:11], s[10:11], s[16:17]
	s_or_b64 exec, exec, s[12:13]
	v_mov_b32_e32 v6, 0
	s_and_saveexec_b64 s[12:13], s[10:11]
	s_cbranch_execnz .LBB87_727
	s_branch .LBB87_728
.LBB87_838:
	s_mov_b64 s[0:1], -1
                                        ; implicit-def: $vgpr5_vgpr6
	s_mov_b64 s[8:9], 0
.LBB87_839:
	s_and_b64 vcc, exec, s[10:11]
	s_cbranch_vccz .LBB87_843
; %bb.840:
	s_cmp_eq_u32 s12, 44
	s_cbranch_scc0 .LBB87_842
; %bb.841:
	global_load_ubyte v3, v[1:2], off
	s_mov_b32 s0, 0x2f800000
	s_mov_b32 s1, 0xcf800000
	s_mov_b64 s[8:9], -1
	s_waitcnt vmcnt(0)
	v_lshlrev_b32_e32 v4, 23, v3
	v_trunc_f32_e32 v4, v4
	v_mul_f32_e64 v5, |v4|, s0
	v_floor_f32_e32 v5, v5
	v_fma_f32 v6, v5, s1, |v4|
	v_cvt_u32_f32_e32 v6, v6
	v_cvt_u32_f32_e32 v5, v5
	v_ashrrev_i32_e32 v4, 31, v4
	s_mov_b64 s[0:1], 0
	v_xor_b32_e32 v6, v6, v4
	v_xor_b32_e32 v5, v5, v4
	v_sub_co_u32_e32 v7, vcc, v6, v4
	v_subb_co_u32_e32 v4, vcc, v5, v4, vcc
	v_cmp_ne_u32_e32 vcc, 0, v3
	v_cndmask_b32_e32 v6, 0, v4, vcc
	v_cndmask_b32_e32 v5, 0, v7, vcc
	s_branch .LBB87_843
.LBB87_842:
	s_mov_b64 s[0:1], -1
                                        ; implicit-def: $vgpr5_vgpr6
.LBB87_843:
	s_mov_b64 s[10:11], 0
.LBB87_844:
	s_and_b64 vcc, exec, s[10:11]
	s_cbranch_vccz .LBB87_848
; %bb.845:
	s_cmp_eq_u32 s12, 29
	s_cbranch_scc0 .LBB87_847
; %bb.846:
	global_load_dwordx2 v[5:6], v[1:2], off
	s_mov_b64 s[0:1], 0
	s_mov_b64 s[8:9], -1
	s_branch .LBB87_848
.LBB87_847:
	s_mov_b64 s[0:1], -1
                                        ; implicit-def: $vgpr5_vgpr6
.LBB87_848:
	s_mov_b64 s[10:11], 0
.LBB87_849:
	s_and_b64 vcc, exec, s[10:11]
	s_cbranch_vccz .LBB87_867
; %bb.850:
	s_cmp_lt_i32 s12, 27
	s_cbranch_scc1 .LBB87_853
; %bb.851:
	s_cmp_gt_i32 s12, 27
	s_cbranch_scc0 .LBB87_854
; %bb.852:
	global_load_dword v5, v[1:2], off
	s_waitcnt vmcnt(1)
	v_mov_b32_e32 v6, 0
	s_mov_b64 s[8:9], 0
	s_branch .LBB87_855
.LBB87_853:
	s_mov_b64 s[8:9], -1
                                        ; implicit-def: $vgpr5_vgpr6
	s_branch .LBB87_858
.LBB87_854:
	s_mov_b64 s[8:9], -1
                                        ; implicit-def: $vgpr5_vgpr6
.LBB87_855:
	s_andn2_b64 vcc, exec, s[8:9]
	s_cbranch_vccnz .LBB87_857
; %bb.856:
	global_load_ushort v3, v[1:2], off
	s_mov_b32 s8, 0
	s_waitcnt vmcnt(1)
	v_mov_b32_e32 v6, s8
	s_waitcnt vmcnt(0)
	v_and_b32_e32 v5, 0xffff, v3
.LBB87_857:
	s_mov_b64 s[8:9], 0
.LBB87_858:
	s_andn2_b64 vcc, exec, s[8:9]
	s_cbranch_vccnz .LBB87_866
; %bb.859:
	global_load_ubyte v3, v[1:2], off
	s_movk_i32 s8, 0x7f
	s_mov_b64 s[10:11], 0
	s_waitcnt vmcnt(0)
	v_cmp_lt_i16_e32 vcc, s8, v3
	s_and_saveexec_b64 s[8:9], vcc
	s_xor_b64 s[8:9], exec, s[8:9]
; %bb.860:
	s_movk_i32 s10, 0x80
	v_cmp_ne_u16_e32 vcc, s10, v3
	s_and_b64 s[10:11], vcc, exec
; %bb.861:
	s_andn2_saveexec_b64 s[8:9], s[8:9]
; %bb.862:
	v_cmp_ne_u16_e32 vcc, 0, v3
	s_andn2_b64 s[10:11], s[10:11], exec
	s_and_b64 s[14:15], vcc, exec
	s_or_b64 s[10:11], s[10:11], s[14:15]
; %bb.863:
	s_or_b64 exec, exec, s[8:9]
	v_mov_b32_e32 v5, 0
	v_mov_b32_e32 v6, 0
	s_and_saveexec_b64 s[8:9], s[10:11]
	s_cbranch_execz .LBB87_865
; %bb.864:
	v_lshlrev_b32_e32 v4, 24, v3
	v_and_b32_e32 v3, 0xffff, v3
	v_and_b32_e32 v5, 7, v3
	v_ffbh_u32_e32 v7, v5
	v_min_u32_e32 v7, 32, v7
	v_subrev_u32_e32 v8, 28, v7
	v_bfe_u32 v6, v3, 3, 4
	v_lshlrev_b32_e32 v3, v8, v3
	v_sub_u32_e32 v7, 29, v7
	v_and_b32_e32 v3, 7, v3
	v_cmp_eq_u32_e32 vcc, 0, v6
	v_cndmask_b32_e32 v6, v6, v7, vcc
	v_cndmask_b32_e32 v3, v5, v3, vcc
	v_mov_b32_e32 v5, 0x3b800000
	v_lshlrev_b32_e32 v3, 20, v3
	v_and_b32_e32 v4, 0x80000000, v4
	v_lshl_add_u32 v5, v6, 23, v5
	v_or3_b32 v3, v4, v5, v3
	v_trunc_f32_e32 v3, v3
	s_mov_b32 s10, 0x2f800000
	v_mul_f32_e64 v4, |v3|, s10
	v_floor_f32_e32 v4, v4
	s_mov_b32 s10, 0xcf800000
	v_fma_f32 v5, v4, s10, |v3|
	v_cvt_u32_f32_e32 v5, v5
	v_cvt_u32_f32_e32 v4, v4
	v_ashrrev_i32_e32 v3, 31, v3
	v_xor_b32_e32 v5, v5, v3
	v_xor_b32_e32 v4, v4, v3
	v_sub_co_u32_e32 v5, vcc, v5, v3
	v_subb_co_u32_e32 v6, vcc, v4, v3, vcc
.LBB87_865:
	s_or_b64 exec, exec, s[8:9]
.LBB87_866:
	s_mov_b64 s[8:9], -1
.LBB87_867:
	s_mov_b64 s[10:11], 0
.LBB87_868:
	s_and_b64 vcc, exec, s[10:11]
	s_cbranch_vccz .LBB87_897
; %bb.869:
	s_cmp_gt_i32 s12, 22
	s_cbranch_scc0 .LBB87_879
; %bb.870:
	s_cmp_lt_i32 s12, 24
	s_cbranch_scc1 .LBB87_880
; %bb.871:
	s_cmp_gt_i32 s12, 24
	s_cbranch_scc0 .LBB87_881
; %bb.872:
	global_load_ubyte v3, v[1:2], off
	s_movk_i32 s2, 0x7f
	s_mov_b64 s[8:9], 0
	s_waitcnt vmcnt(0)
	v_cmp_lt_i16_e32 vcc, s2, v3
	s_and_saveexec_b64 s[2:3], vcc
	s_xor_b64 s[2:3], exec, s[2:3]
; %bb.873:
	s_movk_i32 s8, 0x80
	v_cmp_ne_u16_e32 vcc, s8, v3
	s_and_b64 s[8:9], vcc, exec
; %bb.874:
	s_andn2_saveexec_b64 s[2:3], s[2:3]
; %bb.875:
	v_cmp_ne_u16_e32 vcc, 0, v3
	s_andn2_b64 s[8:9], s[8:9], exec
	s_and_b64 s[10:11], vcc, exec
	s_or_b64 s[8:9], s[8:9], s[10:11]
; %bb.876:
	s_or_b64 exec, exec, s[2:3]
	v_mov_b32_e32 v5, 0
	v_mov_b32_e32 v6, 0
	s_and_saveexec_b64 s[2:3], s[8:9]
	s_cbranch_execz .LBB87_878
; %bb.877:
	v_lshlrev_b32_e32 v4, 24, v3
	v_and_b32_e32 v3, 0xffff, v3
	v_and_b32_e32 v5, 3, v3
	v_ffbh_u32_e32 v7, v5
	v_min_u32_e32 v7, 32, v7
	v_subrev_u32_e32 v8, 29, v7
	v_bfe_u32 v6, v3, 2, 5
	v_lshlrev_b32_e32 v3, v8, v3
	v_sub_u32_e32 v7, 30, v7
	v_and_b32_e32 v3, 3, v3
	v_cmp_eq_u32_e32 vcc, 0, v6
	v_cndmask_b32_e32 v6, v6, v7, vcc
	v_cndmask_b32_e32 v3, v5, v3, vcc
	v_mov_b32_e32 v5, 0x37800000
	v_lshlrev_b32_e32 v3, 21, v3
	v_and_b32_e32 v4, 0x80000000, v4
	v_lshl_add_u32 v5, v6, 23, v5
	v_or3_b32 v3, v4, v5, v3
	v_trunc_f32_e32 v3, v3
	s_mov_b32 s8, 0x2f800000
	v_mul_f32_e64 v4, |v3|, s8
	v_floor_f32_e32 v4, v4
	s_mov_b32 s8, 0xcf800000
	v_fma_f32 v5, v4, s8, |v3|
	v_cvt_u32_f32_e32 v5, v5
	v_cvt_u32_f32_e32 v4, v4
	v_ashrrev_i32_e32 v3, 31, v3
	v_xor_b32_e32 v5, v5, v3
	v_xor_b32_e32 v4, v4, v3
	v_sub_co_u32_e32 v5, vcc, v5, v3
	v_subb_co_u32_e32 v6, vcc, v4, v3, vcc
.LBB87_878:
	s_or_b64 exec, exec, s[2:3]
	s_mov_b64 s[2:3], 0
	s_branch .LBB87_882
.LBB87_879:
	s_mov_b64 s[2:3], -1
                                        ; implicit-def: $vgpr5_vgpr6
	s_branch .LBB87_888
.LBB87_880:
	s_mov_b64 s[2:3], -1
                                        ; implicit-def: $vgpr5_vgpr6
	s_branch .LBB87_885
.LBB87_881:
	s_mov_b64 s[2:3], -1
                                        ; implicit-def: $vgpr5_vgpr6
.LBB87_882:
	s_and_b64 vcc, exec, s[2:3]
	s_cbranch_vccz .LBB87_884
; %bb.883:
	global_load_ubyte v3, v[1:2], off
	s_mov_b32 s2, 0x7f800000
	s_brev_b32 s3, 1
	s_mov_b32 s8, 0x2f800000
	s_mov_b32 s9, 0xcf800000
	s_waitcnt vmcnt(0)
	v_lshlrev_b32_e32 v3, 24, v3
	v_and_b32_e32 v4, 0x7f000000, v3
	v_ffbh_u32_e32 v5, v4
	v_min_u32_e32 v5, 32, v5
	v_sub_u32_e64 v5, v5, 4 clamp
	v_lshlrev_b32_e32 v7, v5, v4
	v_lshlrev_b32_e32 v5, 23, v5
	v_lshrrev_b32_e32 v7, 4, v7
	v_add_u32_e32 v6, 0x1000000, v4
	v_sub_u32_e32 v5, v7, v5
	v_ashrrev_i32_e32 v6, 8, v6
	v_add_u32_e32 v5, 0x3c000000, v5
	v_and_or_b32 v5, v6, s2, v5
	v_cmp_ne_u32_e32 vcc, 0, v4
	v_cndmask_b32_e32 v4, 0, v5, vcc
	v_and_or_b32 v3, v3, s3, v4
	v_trunc_f32_e32 v3, v3
	v_mul_f32_e64 v4, |v3|, s8
	v_floor_f32_e32 v4, v4
	v_fma_f32 v5, v4, s9, |v3|
	v_cvt_u32_f32_e32 v5, v5
	v_cvt_u32_f32_e32 v4, v4
	v_ashrrev_i32_e32 v3, 31, v3
	v_xor_b32_e32 v5, v5, v3
	v_xor_b32_e32 v4, v4, v3
	v_sub_co_u32_e32 v5, vcc, v5, v3
	v_subb_co_u32_e32 v6, vcc, v4, v3, vcc
.LBB87_884:
	s_mov_b64 s[2:3], 0
.LBB87_885:
	s_andn2_b64 vcc, exec, s[2:3]
	s_cbranch_vccnz .LBB87_887
; %bb.886:
	global_load_ubyte v3, v[1:2], off
	s_movk_i32 s2, 0x7f00
	s_brev_b32 s3, 16
	s_brev_b32 s8, 1
	s_mov_b32 s9, 0x2f800000
	s_mov_b32 s10, 0xcf800000
	s_waitcnt vmcnt(0)
	v_lshlrev_b16_e32 v4, 8, v3
	v_lshlrev_b32_e32 v3, 25, v3
	v_lshrrev_b32_e32 v5, 4, v3
	v_and_or_b32 v6, v4, s2, 0.5
	v_or_b32_e32 v5, 0x70000000, v5
	v_add_f32_e32 v6, -0.5, v6
	v_mul_f32_e32 v5, 0x7800000, v5
	v_cmp_gt_u32_e32 vcc, s3, v3
	v_bfe_i32 v4, v4, 0, 16
	v_cndmask_b32_e32 v3, v5, v6, vcc
	v_and_or_b32 v3, v4, s8, v3
	v_trunc_f32_e32 v3, v3
	v_mul_f32_e64 v4, |v3|, s9
	v_floor_f32_e32 v4, v4
	v_fma_f32 v5, v4, s10, |v3|
	v_cvt_u32_f32_e32 v5, v5
	v_cvt_u32_f32_e32 v4, v4
	v_ashrrev_i32_e32 v3, 31, v3
	v_xor_b32_e32 v5, v5, v3
	v_xor_b32_e32 v4, v4, v3
	v_sub_co_u32_e32 v5, vcc, v5, v3
	v_subb_co_u32_e32 v6, vcc, v4, v3, vcc
.LBB87_887:
	s_mov_b64 s[2:3], 0
	s_mov_b64 s[8:9], -1
.LBB87_888:
	s_andn2_b64 vcc, exec, s[2:3]
	s_mov_b64 s[2:3], 0
	s_cbranch_vccnz .LBB87_897
; %bb.889:
	s_cmp_gt_i32 s12, 14
	s_cbranch_scc0 .LBB87_892
; %bb.890:
	s_cmp_eq_u32 s12, 15
	s_cbranch_scc0 .LBB87_893
; %bb.891:
	global_load_ushort v3, v[1:2], off
	s_mov_b32 s0, 0x2f800000
	s_mov_b32 s1, 0xcf800000
	s_mov_b64 s[8:9], -1
	s_waitcnt vmcnt(0)
	v_lshlrev_b32_e32 v3, 16, v3
	v_trunc_f32_e32 v3, v3
	v_mul_f32_e64 v4, |v3|, s0
	v_floor_f32_e32 v4, v4
	v_fma_f32 v5, v4, s1, |v3|
	v_cvt_u32_f32_e32 v5, v5
	v_cvt_u32_f32_e32 v4, v4
	v_ashrrev_i32_e32 v3, 31, v3
	s_mov_b64 s[0:1], 0
	v_xor_b32_e32 v5, v5, v3
	v_xor_b32_e32 v4, v4, v3
	v_sub_co_u32_e32 v5, vcc, v5, v3
	v_subb_co_u32_e32 v6, vcc, v4, v3, vcc
	s_branch .LBB87_894
.LBB87_892:
	s_mov_b64 s[10:11], -1
                                        ; implicit-def: $vgpr5_vgpr6
	s_branch .LBB87_895
.LBB87_893:
	s_mov_b64 s[0:1], -1
                                        ; implicit-def: $vgpr5_vgpr6
.LBB87_894:
	s_mov_b64 s[10:11], 0
.LBB87_895:
	s_and_b64 vcc, exec, s[10:11]
	s_cbranch_vccz .LBB87_897
; %bb.896:
	s_cmp_lg_u32 s12, 11
	s_cselect_b64 s[10:11], -1, 0
	s_andn2_b64 s[0:1], s[0:1], exec
	s_and_b64 s[10:11], s[10:11], exec
	s_mov_b64 s[2:3], -1
	s_or_b64 s[0:1], s[0:1], s[10:11]
.LBB87_897:
	s_mov_b64 s[12:13], 0
.LBB87_898:
	s_and_b64 s[10:11], s[8:9], exec
	s_and_b64 s[8:9], s[12:13], exec
	s_andn2_b64 s[12:13], s[70:71], exec
	s_and_b64 s[0:1], s[0:1], exec
	s_and_b64 s[2:3], s[2:3], exec
	s_or_b64 s[12:13], s[12:13], s[0:1]
.LBB87_899:
	s_or_b64 exec, exec, s[74:75]
	s_and_b64 s[0:1], s[2:3], exec
	s_andn2_b64 s[2:3], s[70:71], exec
	s_and_b64 s[12:13], s[12:13], exec
	s_and_b64 s[10:11], s[10:11], exec
	;; [unrolled: 1-line block ×3, first 2 shown]
	s_or_b64 s[70:71], s[2:3], s[12:13]
.LBB87_900:
	s_or_b64 exec, exec, s[68:69]
	s_andn2_b64 s[2:3], s[64:65], exec
	s_and_b64 s[12:13], s[72:73], exec
	s_or_b64 s[64:65], s[2:3], s[12:13]
	s_and_b64 s[2:3], s[0:1], exec
	s_andn2_b64 s[0:1], s[62:63], exec
	s_and_b64 s[12:13], s[70:71], exec
	s_and_b64 s[10:11], s[10:11], exec
	;; [unrolled: 1-line block ×3, first 2 shown]
	s_or_b64 s[62:63], s[0:1], s[12:13]
.LBB87_901:
	s_or_b64 exec, exec, s[66:67]
	s_andn2_b64 s[0:1], s[56:57], exec
	s_and_b64 s[12:13], s[64:65], exec
	s_or_b64 s[56:57], s[0:1], s[12:13]
	s_and_b64 s[0:1], s[10:11], exec
	s_and_b64 s[10:11], s[8:9], exec
	;; [unrolled: 1-line block ×3, first 2 shown]
	s_andn2_b64 s[2:3], s[58:59], exec
	s_and_b64 s[8:9], s[62:63], exec
	s_or_b64 s[58:59], s[2:3], s[8:9]
	s_or_b64 exec, exec, s[60:61]
	s_mov_b64 s[2:3], 0
	s_and_saveexec_b64 s[8:9], s[58:59]
	s_cbranch_execz .LBB87_270
.LBB87_902:
	s_mov_b64 s[2:3], exec
	s_andn2_b64 s[64:65], s[64:65], exec
	s_trap 2
	s_or_b64 exec, exec, s[8:9]
	s_and_saveexec_b64 s[8:9], s[64:65]
	s_xor_b64 s[8:9], exec, s[8:9]
	s_cbranch_execnz .LBB87_271
.LBB87_903:
	s_or_b64 exec, exec, s[8:9]
	s_and_saveexec_b64 s[8:9], s[10:11]
	s_cbranch_execz .LBB87_949
.LBB87_904:
	s_sext_i32_i16 s10, s78
	s_cmp_lt_i32 s10, 5
	s_cbranch_scc1 .LBB87_909
; %bb.905:
	s_cmp_lt_i32 s10, 8
	s_cbranch_scc1 .LBB87_910
; %bb.906:
	;; [unrolled: 3-line block ×3, first 2 shown]
	s_cmp_gt_i32 s10, 9
	s_cbranch_scc0 .LBB87_912
; %bb.908:
	global_load_dwordx2 v[3:4], v[1:2], off
	s_movk_i32 s10, 0xffe0
	s_waitcnt vmcnt(0)
	v_trunc_f64_e32 v[3:4], v[3:4]
	v_ldexp_f64 v[5:6], v[3:4], s10
	s_mov_b32 s10, 0
	s_mov_b32 s11, 0xc1f00000
	v_floor_f64_e32 v[5:6], v[5:6]
	v_fma_f64 v[3:4], v[5:6], s[10:11], v[3:4]
	v_cvt_i32_f64_e32 v6, v[5:6]
	s_mov_b64 s[10:11], 0
	v_cvt_u32_f64_e32 v5, v[3:4]
	s_branch .LBB87_913
.LBB87_909:
                                        ; implicit-def: $vgpr5_vgpr6
	s_branch .LBB87_930
.LBB87_910:
                                        ; implicit-def: $vgpr5_vgpr6
	s_branch .LBB87_919
.LBB87_911:
	s_mov_b64 s[10:11], -1
                                        ; implicit-def: $vgpr5_vgpr6
	s_branch .LBB87_916
.LBB87_912:
	s_mov_b64 s[10:11], -1
                                        ; implicit-def: $vgpr5_vgpr6
.LBB87_913:
	s_andn2_b64 vcc, exec, s[10:11]
	s_cbranch_vccnz .LBB87_915
; %bb.914:
	global_load_dword v3, v[1:2], off
	s_mov_b32 s10, 0x2f800000
	s_mov_b32 s11, 0xcf800000
	s_waitcnt vmcnt(0)
	v_trunc_f32_e32 v3, v3
	v_mul_f32_e64 v4, |v3|, s10
	v_floor_f32_e32 v4, v4
	v_cvt_u32_f32_e32 v5, v4
	v_fma_f32 v4, v4, s11, |v3|
	v_cvt_u32_f32_e32 v4, v4
	v_ashrrev_i32_e32 v3, 31, v3
	v_xor_b32_e32 v6, v5, v3
	v_xor_b32_e32 v4, v4, v3
	v_sub_co_u32_e32 v5, vcc, v4, v3
	v_subb_co_u32_e32 v6, vcc, v6, v3, vcc
.LBB87_915:
	s_mov_b64 s[10:11], 0
.LBB87_916:
	s_andn2_b64 vcc, exec, s[10:11]
	s_cbranch_vccnz .LBB87_918
; %bb.917:
	global_load_dword v3, v[1:2], off
	s_waitcnt vmcnt(0)
	v_cvt_f32_f16_e32 v3, v3
	v_cvt_i32_f32_e32 v5, v3
	v_ashrrev_i32_e32 v6, 31, v5
.LBB87_918:
	s_cbranch_execnz .LBB87_929
.LBB87_919:
	s_sext_i32_i16 s10, s78
	s_cmp_lt_i32 s10, 6
	s_cbranch_scc1 .LBB87_922
; %bb.920:
	s_cmp_gt_i32 s10, 6
	s_cbranch_scc0 .LBB87_923
; %bb.921:
	global_load_dwordx2 v[3:4], v[1:2], off
	s_movk_i32 s10, 0xffe0
	s_waitcnt vmcnt(0)
	v_trunc_f64_e32 v[3:4], v[3:4]
	v_ldexp_f64 v[5:6], v[3:4], s10
	s_mov_b32 s10, 0
	s_mov_b32 s11, 0xc1f00000
	v_floor_f64_e32 v[5:6], v[5:6]
	v_fma_f64 v[3:4], v[5:6], s[10:11], v[3:4]
	v_cvt_i32_f64_e32 v6, v[5:6]
	s_mov_b64 s[10:11], 0
	v_cvt_u32_f64_e32 v5, v[3:4]
	s_branch .LBB87_924
.LBB87_922:
	s_mov_b64 s[10:11], -1
                                        ; implicit-def: $vgpr5_vgpr6
	s_branch .LBB87_927
.LBB87_923:
	s_mov_b64 s[10:11], -1
                                        ; implicit-def: $vgpr5_vgpr6
.LBB87_924:
	s_andn2_b64 vcc, exec, s[10:11]
	s_cbranch_vccnz .LBB87_926
; %bb.925:
	global_load_dword v3, v[1:2], off
	s_mov_b32 s10, 0x2f800000
	s_mov_b32 s11, 0xcf800000
	s_waitcnt vmcnt(0)
	v_trunc_f32_e32 v3, v3
	v_mul_f32_e64 v4, |v3|, s10
	v_floor_f32_e32 v4, v4
	v_cvt_u32_f32_e32 v5, v4
	v_fma_f32 v4, v4, s11, |v3|
	v_cvt_u32_f32_e32 v4, v4
	v_ashrrev_i32_e32 v3, 31, v3
	v_xor_b32_e32 v6, v5, v3
	v_xor_b32_e32 v4, v4, v3
	v_sub_co_u32_e32 v5, vcc, v4, v3
	v_subb_co_u32_e32 v6, vcc, v6, v3, vcc
.LBB87_926:
	s_mov_b64 s[10:11], 0
.LBB87_927:
	s_andn2_b64 vcc, exec, s[10:11]
	s_cbranch_vccnz .LBB87_929
; %bb.928:
	global_load_ushort v3, v[1:2], off
	s_waitcnt vmcnt(0)
	v_cvt_f32_f16_e32 v3, v3
	v_cvt_i32_f32_e32 v5, v3
	v_ashrrev_i32_e32 v6, 31, v5
.LBB87_929:
	s_cbranch_execnz .LBB87_948
.LBB87_930:
	s_sext_i32_i16 s10, s78
	s_cmp_lt_i32 s10, 2
	s_cbranch_scc1 .LBB87_934
; %bb.931:
	s_cmp_lt_i32 s10, 3
	s_cbranch_scc1 .LBB87_935
; %bb.932:
	s_cmp_gt_i32 s10, 3
	s_cbranch_scc0 .LBB87_936
; %bb.933:
	global_load_dwordx2 v[5:6], v[1:2], off
	s_mov_b64 s[10:11], 0
	s_branch .LBB87_937
.LBB87_934:
                                        ; implicit-def: $vgpr5_vgpr6
	s_branch .LBB87_943
.LBB87_935:
	s_mov_b64 s[10:11], -1
                                        ; implicit-def: $vgpr5_vgpr6
	s_branch .LBB87_940
.LBB87_936:
	s_mov_b64 s[10:11], -1
                                        ; implicit-def: $vgpr5_vgpr6
.LBB87_937:
	s_andn2_b64 vcc, exec, s[10:11]
	s_cbranch_vccnz .LBB87_939
; %bb.938:
	global_load_dword v5, v[1:2], off
	s_waitcnt vmcnt(0)
	v_ashrrev_i32_e32 v6, 31, v5
.LBB87_939:
	s_mov_b64 s[10:11], 0
.LBB87_940:
	s_andn2_b64 vcc, exec, s[10:11]
	s_cbranch_vccnz .LBB87_942
; %bb.941:
	global_load_ushort v3, v[1:2], off
	s_waitcnt vmcnt(0)
	v_bfe_i32 v5, v3, 0, 16
	v_ashrrev_i32_e32 v6, 31, v5
.LBB87_942:
	s_cbranch_execnz .LBB87_948
.LBB87_943:
	s_sext_i32_i16 s10, s78
	s_cmp_gt_i32 s10, 0
	s_cbranch_scc0 .LBB87_945
; %bb.944:
	global_load_sbyte v3, v[1:2], off
	s_mov_b64 s[10:11], 0
	s_waitcnt vmcnt(0)
	v_bfe_i32 v5, v3, 0, 16
	v_ashrrev_i32_e32 v6, 31, v5
	s_branch .LBB87_946
.LBB87_945:
	s_mov_b64 s[10:11], -1
                                        ; implicit-def: $vgpr5_vgpr6
.LBB87_946:
	s_andn2_b64 vcc, exec, s[10:11]
	s_cbranch_vccnz .LBB87_948
; %bb.947:
	global_load_ubyte v1, v[1:2], off
	s_mov_b32 s10, 0
	s_waitcnt vmcnt(1)
	v_mov_b32_e32 v6, s10
	s_waitcnt vmcnt(0)
	v_and_b32_e32 v5, 0xffff, v1
.LBB87_948:
	s_or_b64 s[0:1], s[0:1], exec
.LBB87_949:
	s_or_b64 exec, exec, s[8:9]
	s_mov_b64 s[12:13], 0
	s_mov_b64 s[10:11], 0
                                        ; implicit-def: $sgpr18
                                        ; implicit-def: $vgpr3_vgpr4
                                        ; implicit-def: $vgpr1_vgpr2
	s_and_saveexec_b64 s[8:9], s[0:1]
	s_cbranch_execz .LBB87_957
; %bb.950:
	s_waitcnt vmcnt(0)
	v_lshlrev_b64 v[1:2], s44, v[5:6]
	v_mov_b32_e32 v4, s25
	s_and_b32 s18, s77, 0xff
	v_add_co_u32_e32 v3, vcc, s24, v0
	v_cndmask_b32_e64 v2, v2, 0, s[46:47]
	v_cndmask_b32_e64 v1, v1, 0, s[46:47]
	s_cmp_lt_i32 s18, 11
	v_addc_co_u32_e32 v4, vcc, 0, v4, vcc
	s_cbranch_scc1 .LBB87_960
; %bb.951:
	s_and_b32 s19, 0xffff, s18
	s_mov_b64 s[12:13], -1
	s_cmp_gt_i32 s19, 25
	s_mov_b64 s[0:1], s[56:57]
	s_cbranch_scc0 .LBB87_988
; %bb.952:
	s_mov_b64 s[10:11], -1
	s_cmp_gt_i32 s19, 28
	s_mov_b64 s[0:1], s[56:57]
	s_cbranch_scc0 .LBB87_972
; %bb.953:
	s_cmp_gt_i32 s19, 43
	s_mov_b64 s[0:1], s[56:57]
	s_cbranch_scc0 .LBB87_968
; %bb.954:
	;; [unrolled: 4-line block ×3, first 2 shown]
	s_cmp_eq_u32 s19, 46
	s_mov_b64 s[0:1], -1
	s_cbranch_scc0 .LBB87_961
; %bb.956:
	v_xor_b32_e32 v5, v1, v2
	v_ffbh_i32_e32 v0, v2
	v_ashrrev_i32_e32 v5, 31, v5
	v_add_u32_e32 v0, -1, v0
	v_add_u32_e32 v5, 32, v5
	v_min_u32_e32 v0, v0, v5
	v_lshlrev_b64 v[5:6], v0, v[1:2]
	v_sub_u32_e32 v0, 32, v0
	v_min_u32_e32 v5, 1, v5
	v_or_b32_e32 v5, v6, v5
	v_cvt_f32_i32_e32 v5, v5
	s_movk_i32 s0, 0x7fff
	s_mov_b64 s[10:11], 0
	v_ldexp_f32 v0, v5, v0
	v_bfe_u32 v5, v0, 16, 1
	v_add3_u32 v0, v0, v5, s0
	v_lshrrev_b32_e32 v0, 16, v0
	global_store_dword v[3:4], v0, off
	s_mov_b64 s[0:1], 0
	s_branch .LBB87_962
.LBB87_957:
	s_or_b64 exec, exec, s[8:9]
	s_and_saveexec_b64 s[0:1], s[56:57]
	s_cbranch_execnz .LBB87_1030
.LBB87_958:
	s_or_b64 exec, exec, s[0:1]
	s_and_saveexec_b64 s[0:1], s[12:13]
	s_xor_b64 s[0:1], exec, s[0:1]
	s_cbranch_execz .LBB87_1031
.LBB87_959:
	v_cmp_ne_u64_e32 vcc, 0, v[1:2]
	v_cndmask_b32_e64 v0, 0, 1, vcc
	s_waitcnt vmcnt(0)
	global_store_byte v[3:4], v0, off
	s_or_b64 exec, exec, s[0:1]
	s_and_saveexec_b64 s[0:1], s[10:11]
	s_xor_b64 s[0:1], exec, s[0:1]
	s_cbranch_execz .LBB87_1069
	s_branch .LBB87_1032
.LBB87_960:
	s_mov_b64 s[10:11], -1
	s_mov_b64 s[0:1], s[56:57]
	s_branch .LBB87_1029
.LBB87_961:
	s_mov_b64 s[10:11], 0
.LBB87_962:
	s_and_b64 vcc, exec, s[10:11]
	s_cbranch_vccz .LBB87_967
; %bb.963:
	s_cmp_eq_u32 s19, 44
	s_mov_b64 s[0:1], -1
	s_cbranch_scc0 .LBB87_967
; %bb.964:
	v_xor_b32_e32 v5, v1, v2
	v_ffbh_i32_e32 v0, v2
	v_ashrrev_i32_e32 v5, 31, v5
	v_add_u32_e32 v0, -1, v0
	v_add_u32_e32 v5, 32, v5
	v_min_u32_e32 v0, v0, v5
	v_lshlrev_b64 v[5:6], v0, v[1:2]
	v_sub_u32_e32 v0, 32, v0
	v_min_u32_e32 v5, 1, v5
	v_or_b32_e32 v5, v6, v5
	v_cvt_f32_i32_e32 v5, v5
	s_movk_i32 s0, 0xff
	v_mov_b32_e32 v6, 0xff
	v_ldexp_f32 v0, v5, v0
	v_bfe_u32 v5, v0, 23, 8
	v_cmp_ne_u32_e32 vcc, s0, v5
	s_and_saveexec_b64 s[10:11], vcc
; %bb.965:
	s_mov_b32 s0, 0x3fffff
	v_lshrrev_b32_e32 v6, 23, v0
	v_and_b32_e32 v7, 0x400000, v0
	v_and_or_b32 v0, v0, s0, v5
	v_cmp_ne_u32_e32 vcc, 0, v7
	v_cmp_ne_u32_e64 s[0:1], 0, v0
	s_and_b64 s[0:1], vcc, s[0:1]
	v_cndmask_b32_e64 v0, 0, 1, s[0:1]
	v_add_u32_e32 v6, v6, v0
; %bb.966:
	s_or_b64 exec, exec, s[10:11]
	s_mov_b64 s[0:1], 0
	global_store_byte v[3:4], v6, off
.LBB87_967:
	s_mov_b64 s[10:11], 0
.LBB87_968:
	s_and_b64 vcc, exec, s[10:11]
	s_cbranch_vccz .LBB87_971
; %bb.969:
	s_cmp_eq_u32 s19, 29
	s_mov_b64 s[0:1], -1
	s_cbranch_scc0 .LBB87_971
; %bb.970:
	global_store_dwordx2 v[3:4], v[1:2], off
	s_mov_b64 s[0:1], 0
.LBB87_971:
	s_mov_b64 s[10:11], 0
.LBB87_972:
	s_and_b64 vcc, exec, s[10:11]
	s_cbranch_vccz .LBB87_987
; %bb.973:
	s_cmp_lt_i32 s19, 27
	s_mov_b64 s[10:11], -1
	s_cbranch_scc1 .LBB87_979
; %bb.974:
	s_cmp_gt_i32 s19, 27
	s_cbranch_scc0 .LBB87_976
; %bb.975:
	s_mov_b64 s[10:11], 0
	global_store_dword v[3:4], v1, off
.LBB87_976:
	s_andn2_b64 vcc, exec, s[10:11]
	s_cbranch_vccnz .LBB87_978
; %bb.977:
	global_store_short v[3:4], v1, off
.LBB87_978:
	s_mov_b64 s[10:11], 0
.LBB87_979:
	s_andn2_b64 vcc, exec, s[10:11]
	s_cbranch_vccnz .LBB87_987
; %bb.980:
	v_xor_b32_e32 v5, v1, v2
	v_ffbh_i32_e32 v0, v2
	v_ashrrev_i32_e32 v5, 31, v5
	v_add_u32_e32 v0, -1, v0
	v_add_u32_e32 v5, 32, v5
	v_min_u32_e32 v0, v0, v5
	v_lshlrev_b64 v[5:6], v0, v[1:2]
	v_sub_u32_e32 v0, 32, v0
	v_min_u32_e32 v5, 1, v5
	v_or_b32_e32 v5, v6, v5
	v_cvt_f32_i32_e32 v5, v5
	s_mov_b32 s10, 0x43800000
	v_mov_b32_e32 v6, 0x80
	v_ldexp_f32 v0, v5, v0
	v_and_b32_e32 v5, 0x7fffffff, v0
	v_cmp_gt_u32_e32 vcc, s10, v5
	s_and_saveexec_b64 s[10:11], vcc
	s_cbranch_execz .LBB87_986
; %bb.981:
	s_mov_b32 s12, 0x3bffffff
	v_cmp_lt_u32_e32 vcc, s12, v5
	s_mov_b64 s[12:13], 0
                                        ; implicit-def: $vgpr5
	s_and_saveexec_b64 s[14:15], vcc
	s_xor_b64 s[14:15], exec, s[14:15]
	s_cbranch_execz .LBB87_1140
; %bb.982:
	v_bfe_u32 v5, v0, 20, 1
	s_mov_b32 s16, 0x487ffff
	v_add3_u32 v5, v0, v5, s16
	s_mov_b64 s[12:13], exec
	v_lshrrev_b32_e32 v5, 20, v5
	s_andn2_saveexec_b64 s[14:15], s[14:15]
	s_cbranch_execnz .LBB87_1141
.LBB87_983:
	s_or_b64 exec, exec, s[14:15]
	v_mov_b32_e32 v6, 0
	s_and_saveexec_b64 s[14:15], s[12:13]
.LBB87_984:
	v_lshrrev_b32_e32 v0, 24, v0
	s_movk_i32 s12, 0x80
	v_and_or_b32 v6, v0, s12, v5
.LBB87_985:
	s_or_b64 exec, exec, s[14:15]
.LBB87_986:
	s_or_b64 exec, exec, s[10:11]
	global_store_byte v[3:4], v6, off
.LBB87_987:
	s_mov_b64 s[12:13], 0
.LBB87_988:
	s_mov_b64 s[10:11], 0
	s_and_b64 vcc, exec, s[12:13]
	s_cbranch_vccz .LBB87_1028
; %bb.989:
	s_cmp_gt_i32 s19, 22
	s_mov_b64 s[12:13], -1
	s_cbranch_scc0 .LBB87_1021
; %bb.990:
	s_cmp_lt_i32 s19, 24
	s_cbranch_scc1 .LBB87_1010
; %bb.991:
	s_cmp_gt_i32 s19, 24
	s_cbranch_scc0 .LBB87_999
; %bb.992:
	v_xor_b32_e32 v5, v1, v2
	v_ffbh_i32_e32 v0, v2
	v_ashrrev_i32_e32 v5, 31, v5
	v_add_u32_e32 v0, -1, v0
	v_add_u32_e32 v5, 32, v5
	v_min_u32_e32 v0, v0, v5
	v_lshlrev_b64 v[5:6], v0, v[1:2]
	v_sub_u32_e32 v0, 32, v0
	v_min_u32_e32 v5, 1, v5
	v_or_b32_e32 v5, v6, v5
	v_cvt_f32_i32_e32 v5, v5
	s_mov_b32 s12, 0x47800000
	v_mov_b32_e32 v6, 0x80
	v_ldexp_f32 v0, v5, v0
	v_and_b32_e32 v5, 0x7fffffff, v0
	v_cmp_gt_u32_e32 vcc, s12, v5
	s_and_saveexec_b64 s[12:13], vcc
	s_cbranch_execz .LBB87_998
; %bb.993:
	s_mov_b32 s14, 0x37ffffff
	v_cmp_lt_u32_e32 vcc, s14, v5
	s_mov_b64 s[14:15], 0
                                        ; implicit-def: $vgpr5
	s_and_saveexec_b64 s[16:17], vcc
	s_xor_b64 s[16:17], exec, s[16:17]
	s_cbranch_execz .LBB87_1260
; %bb.994:
	v_bfe_u32 v5, v0, 21, 1
	s_mov_b32 s20, 0x88fffff
	v_add3_u32 v5, v0, v5, s20
	s_mov_b64 s[14:15], exec
	v_lshrrev_b32_e32 v5, 21, v5
	s_andn2_saveexec_b64 s[16:17], s[16:17]
	s_cbranch_execnz .LBB87_1261
.LBB87_995:
	s_or_b64 exec, exec, s[16:17]
	v_mov_b32_e32 v6, 0
	s_and_saveexec_b64 s[16:17], s[14:15]
.LBB87_996:
	v_lshrrev_b32_e32 v0, 24, v0
	s_movk_i32 s14, 0x80
	v_and_or_b32 v6, v0, s14, v5
.LBB87_997:
	s_or_b64 exec, exec, s[16:17]
.LBB87_998:
	s_or_b64 exec, exec, s[12:13]
	s_mov_b64 s[12:13], 0
	global_store_byte v[3:4], v6, off
.LBB87_999:
	s_and_b64 vcc, exec, s[12:13]
	s_cbranch_vccz .LBB87_1009
; %bb.1000:
	v_xor_b32_e32 v5, v1, v2
	v_ffbh_i32_e32 v0, v2
	v_ashrrev_i32_e32 v5, 31, v5
	v_add_u32_e32 v0, -1, v0
	v_add_u32_e32 v5, 32, v5
	v_min_u32_e32 v0, v0, v5
	v_lshlrev_b64 v[5:6], v0, v[1:2]
	v_sub_u32_e32 v0, 32, v0
	v_min_u32_e32 v5, 1, v5
	v_or_b32_e32 v5, v6, v5
	v_cvt_f32_i32_e32 v5, v5
	s_mov_b32 s12, 0x43f00000
	v_ldexp_f32 v0, v5, v0
	v_and_b32_e32 v6, 0x7fffffff, v0
	v_cmp_gt_u32_e32 vcc, s12, v6
                                        ; implicit-def: $vgpr5
	s_and_saveexec_b64 s[12:13], vcc
	s_xor_b64 s[12:13], exec, s[12:13]
	s_cbranch_execz .LBB87_1006
; %bb.1001:
	s_mov_b32 s14, 0x3c7fffff
	v_cmp_lt_u32_e32 vcc, s14, v6
                                        ; implicit-def: $vgpr5
	s_and_saveexec_b64 s[14:15], vcc
	s_xor_b64 s[14:15], exec, s[14:15]
; %bb.1002:
	v_bfe_u32 v5, v0, 20, 1
	s_mov_b32 s16, 0x407ffff
	v_add3_u32 v5, v0, v5, s16
	v_lshrrev_b32_e32 v6, 20, v5
	v_and_b32_e32 v5, 0xff00000, v5
	s_mov_b32 s16, 0x7f00000
	v_mov_b32_e32 v7, 0x7e
	v_cmp_ne_u32_e32 vcc, s16, v5
	v_cndmask_b32_e32 v5, v7, v6, vcc
; %bb.1003:
	s_andn2_saveexec_b64 s[14:15], s[14:15]
; %bb.1004:
	s_mov_b32 s16, 0x46800000
	v_add_f32_e64 v5, |v0|, s16
; %bb.1005:
	s_or_b64 exec, exec, s[14:15]
                                        ; implicit-def: $vgpr6
.LBB87_1006:
	s_andn2_saveexec_b64 s[12:13], s[12:13]
; %bb.1007:
	s_mov_b32 s14, 0x7f800000
	v_mov_b32_e32 v5, 0x7e
	v_mov_b32_e32 v7, 0x7f
	v_cmp_lt_u32_e32 vcc, s14, v6
	v_cndmask_b32_e32 v5, v5, v7, vcc
; %bb.1008:
	s_or_b64 exec, exec, s[12:13]
	v_lshrrev_b32_e32 v0, 24, v0
	s_movk_i32 s12, 0x80
	v_and_or_b32 v0, v0, s12, v5
	global_store_byte v[3:4], v0, off
.LBB87_1009:
	s_mov_b64 s[12:13], 0
.LBB87_1010:
	s_andn2_b64 vcc, exec, s[12:13]
	s_cbranch_vccnz .LBB87_1020
; %bb.1011:
	v_xor_b32_e32 v5, v1, v2
	v_ffbh_i32_e32 v0, v2
	v_ashrrev_i32_e32 v5, 31, v5
	v_add_u32_e32 v0, -1, v0
	v_add_u32_e32 v5, 32, v5
	v_min_u32_e32 v0, v0, v5
	v_lshlrev_b64 v[5:6], v0, v[1:2]
	v_sub_u32_e32 v0, 32, v0
	v_min_u32_e32 v5, 1, v5
	v_or_b32_e32 v5, v6, v5
	v_cvt_f32_i32_e32 v5, v5
	s_mov_b32 s12, 0x47800000
	v_ldexp_f32 v0, v5, v0
	v_and_b32_e32 v6, 0x7fffffff, v0
	v_cmp_gt_u32_e32 vcc, s12, v6
                                        ; implicit-def: $vgpr5
	s_and_saveexec_b64 s[12:13], vcc
	s_xor_b64 s[12:13], exec, s[12:13]
	s_cbranch_execz .LBB87_1017
; %bb.1012:
	s_mov_b32 s14, 0x387fffff
	v_cmp_lt_u32_e32 vcc, s14, v6
                                        ; implicit-def: $vgpr5
	s_and_saveexec_b64 s[14:15], vcc
	s_xor_b64 s[14:15], exec, s[14:15]
; %bb.1013:
	v_bfe_u32 v5, v0, 21, 1
	s_mov_b32 s16, 0x80fffff
	v_add3_u32 v5, v0, v5, s16
	v_lshrrev_b32_e32 v5, 21, v5
; %bb.1014:
	s_andn2_saveexec_b64 s[14:15], s[14:15]
; %bb.1015:
	s_mov_b32 s16, 0x43000000
	v_add_f32_e64 v5, |v0|, s16
; %bb.1016:
	s_or_b64 exec, exec, s[14:15]
                                        ; implicit-def: $vgpr6
.LBB87_1017:
	s_andn2_saveexec_b64 s[12:13], s[12:13]
; %bb.1018:
	s_mov_b32 s14, 0x7f800000
	v_mov_b32_e32 v5, 0x7c
	v_mov_b32_e32 v7, 0x7f
	v_cmp_lt_u32_e32 vcc, s14, v6
	v_cndmask_b32_e32 v5, v5, v7, vcc
; %bb.1019:
	s_or_b64 exec, exec, s[12:13]
	v_lshrrev_b32_e32 v0, 24, v0
	s_movk_i32 s12, 0x80
	v_and_or_b32 v0, v0, s12, v5
	global_store_byte v[3:4], v0, off
.LBB87_1020:
	s_mov_b64 s[12:13], 0
.LBB87_1021:
	s_andn2_b64 vcc, exec, s[12:13]
	s_mov_b64 s[12:13], 0
	s_cbranch_vccnz .LBB87_1029
; %bb.1022:
	s_cmp_gt_i32 s19, 14
	s_mov_b64 s[14:15], -1
	s_cbranch_scc0 .LBB87_1026
; %bb.1023:
	s_cmp_eq_u32 s19, 15
	s_mov_b64 s[0:1], -1
	s_cbranch_scc0 .LBB87_1025
; %bb.1024:
	v_xor_b32_e32 v5, v1, v2
	v_ffbh_i32_e32 v0, v2
	v_ashrrev_i32_e32 v5, 31, v5
	v_add_u32_e32 v0, -1, v0
	v_add_u32_e32 v5, 32, v5
	v_min_u32_e32 v0, v0, v5
	v_lshlrev_b64 v[5:6], v0, v[1:2]
	v_sub_u32_e32 v0, 32, v0
	v_min_u32_e32 v5, 1, v5
	v_or_b32_e32 v5, v6, v5
	v_cvt_f32_i32_e32 v5, v5
	s_movk_i32 s0, 0x7fff
	v_ldexp_f32 v0, v5, v0
	v_bfe_u32 v5, v0, 16, 1
	v_add3_u32 v0, v0, v5, s0
	global_store_short_d16_hi v[3:4], v0, off
	s_mov_b64 s[0:1], 0
.LBB87_1025:
	s_mov_b64 s[14:15], 0
.LBB87_1026:
	s_and_b64 vcc, exec, s[14:15]
	s_cbranch_vccz .LBB87_1029
; %bb.1027:
	s_cmp_lg_u32 s19, 11
	s_cselect_b64 s[14:15], -1, 0
	s_andn2_b64 s[0:1], s[0:1], exec
	s_and_b64 s[14:15], s[14:15], exec
	s_mov_b64 s[12:13], -1
	s_or_b64 s[0:1], s[0:1], s[14:15]
	s_branch .LBB87_1029
.LBB87_1028:
	s_mov_b64 s[12:13], 0
.LBB87_1029:
	s_andn2_b64 s[14:15], s[56:57], exec
	s_and_b64 s[0:1], s[0:1], exec
	s_and_b64 s[10:11], s[10:11], exec
	;; [unrolled: 1-line block ×3, first 2 shown]
	s_or_b64 s[56:57], s[14:15], s[0:1]
	s_or_b64 exec, exec, s[8:9]
	s_and_saveexec_b64 s[0:1], s[56:57]
	s_cbranch_execz .LBB87_958
.LBB87_1030:
	s_or_b64 s[2:3], s[2:3], exec
	s_andn2_b64 s[12:13], s[12:13], exec
	s_trap 2
	s_or_b64 exec, exec, s[0:1]
	s_and_saveexec_b64 s[0:1], s[12:13]
	s_xor_b64 s[0:1], exec, s[0:1]
	s_cbranch_execnz .LBB87_959
.LBB87_1031:
	s_or_b64 exec, exec, s[0:1]
	s_and_saveexec_b64 s[0:1], s[10:11]
	s_xor_b64 s[0:1], exec, s[0:1]
	s_cbranch_execz .LBB87_1069
.LBB87_1032:
	s_sext_i32_i16 s10, s18
	s_cmp_lt_i32 s10, 5
	s_mov_b64 s[8:9], -1
	s_cbranch_scc1 .LBB87_1053
; %bb.1033:
	s_cmp_lt_i32 s10, 8
	s_cbranch_scc1 .LBB87_1043
; %bb.1034:
	s_cmp_lt_i32 s10, 9
	s_cbranch_scc1 .LBB87_1040
; %bb.1035:
	s_cmp_gt_i32 s10, 9
	s_cbranch_scc0 .LBB87_1037
; %bb.1036:
	s_waitcnt vmcnt(0)
	v_cvt_f64_i32_e32 v[5:6], v2
	v_cvt_f64_u32_e32 v[7:8], v1
	s_mov_b64 s[8:9], 0
	v_ldexp_f64 v[5:6], v[5:6], 32
	v_add_f64 v[5:6], v[5:6], v[7:8]
	v_mov_b32_e32 v7, 0
	v_mov_b32_e32 v8, v7
	global_store_dwordx4 v[3:4], v[5:8], off
.LBB87_1037:
	s_andn2_b64 vcc, exec, s[8:9]
	s_cbranch_vccnz .LBB87_1039
; %bb.1038:
	s_waitcnt vmcnt(0)
	v_xor_b32_e32 v5, v1, v2
	v_ffbh_i32_e32 v0, v2
	v_ashrrev_i32_e32 v5, 31, v5
	v_add_u32_e32 v0, -1, v0
	v_add_u32_e32 v5, 32, v5
	v_min_u32_e32 v0, v0, v5
	v_lshlrev_b64 v[5:6], v0, v[1:2]
	v_sub_u32_e32 v0, 32, v0
	v_min_u32_e32 v5, 1, v5
	v_or_b32_e32 v5, v6, v5
	v_cvt_f32_i32_e32 v5, v5
	v_mov_b32_e32 v6, 0
	v_ldexp_f32 v5, v5, v0
	global_store_dwordx2 v[3:4], v[5:6], off
.LBB87_1039:
	s_mov_b64 s[8:9], 0
.LBB87_1040:
	s_andn2_b64 vcc, exec, s[8:9]
	s_cbranch_vccnz .LBB87_1042
; %bb.1041:
	s_waitcnt vmcnt(0)
	v_xor_b32_e32 v5, v1, v2
	v_ffbh_i32_e32 v0, v2
	v_ashrrev_i32_e32 v5, 31, v5
	v_add_u32_e32 v0, -1, v0
	v_add_u32_e32 v5, 32, v5
	v_min_u32_e32 v0, v0, v5
	v_lshlrev_b64 v[5:6], v0, v[1:2]
	v_sub_u32_e32 v0, 32, v0
	v_min_u32_e32 v5, 1, v5
	v_or_b32_e32 v5, v6, v5
	v_cvt_f32_i32_e32 v5, v5
	v_ldexp_f32 v0, v5, v0
	v_cvt_f16_f32_e32 v0, v0
	global_store_dword v[3:4], v0, off
.LBB87_1042:
	s_mov_b64 s[8:9], 0
.LBB87_1043:
	s_andn2_b64 vcc, exec, s[8:9]
	s_cbranch_vccnz .LBB87_1052
; %bb.1044:
	s_sext_i32_i16 s10, s18
	s_cmp_lt_i32 s10, 6
	s_mov_b64 s[8:9], -1
	s_cbranch_scc1 .LBB87_1050
; %bb.1045:
	s_cmp_gt_i32 s10, 6
	s_cbranch_scc0 .LBB87_1047
; %bb.1046:
	s_waitcnt vmcnt(0)
	v_cvt_f64_i32_e32 v[5:6], v2
	v_cvt_f64_u32_e32 v[7:8], v1
	s_mov_b64 s[8:9], 0
	v_ldexp_f64 v[5:6], v[5:6], 32
	v_add_f64 v[5:6], v[5:6], v[7:8]
	global_store_dwordx2 v[3:4], v[5:6], off
.LBB87_1047:
	s_andn2_b64 vcc, exec, s[8:9]
	s_cbranch_vccnz .LBB87_1049
; %bb.1048:
	s_waitcnt vmcnt(0)
	v_xor_b32_e32 v5, v1, v2
	v_ffbh_i32_e32 v0, v2
	v_ashrrev_i32_e32 v5, 31, v5
	v_add_u32_e32 v0, -1, v0
	v_add_u32_e32 v5, 32, v5
	v_min_u32_e32 v0, v0, v5
	v_lshlrev_b64 v[5:6], v0, v[1:2]
	v_sub_u32_e32 v0, 32, v0
	v_min_u32_e32 v5, 1, v5
	v_or_b32_e32 v5, v6, v5
	v_cvt_f32_i32_e32 v5, v5
	v_ldexp_f32 v0, v5, v0
	global_store_dword v[3:4], v0, off
.LBB87_1049:
	s_mov_b64 s[8:9], 0
.LBB87_1050:
	s_andn2_b64 vcc, exec, s[8:9]
	s_cbranch_vccnz .LBB87_1052
; %bb.1051:
	s_waitcnt vmcnt(0)
	v_xor_b32_e32 v5, v1, v2
	v_ffbh_i32_e32 v0, v2
	v_ashrrev_i32_e32 v5, 31, v5
	v_add_u32_e32 v0, -1, v0
	v_add_u32_e32 v5, 32, v5
	v_min_u32_e32 v0, v0, v5
	v_lshlrev_b64 v[5:6], v0, v[1:2]
	v_sub_u32_e32 v0, 32, v0
	v_min_u32_e32 v5, 1, v5
	v_or_b32_e32 v5, v6, v5
	v_cvt_f32_i32_e32 v5, v5
	v_ldexp_f32 v0, v5, v0
	v_cvt_f16_f32_e32 v0, v0
	global_store_short v[3:4], v0, off
.LBB87_1052:
	s_mov_b64 s[8:9], 0
.LBB87_1053:
	s_andn2_b64 vcc, exec, s[8:9]
	s_cbranch_vccnz .LBB87_1069
; %bb.1054:
	s_sext_i32_i16 s10, s18
	s_cmp_lt_i32 s10, 2
	s_mov_b64 s[8:9], -1
	s_cbranch_scc1 .LBB87_1064
; %bb.1055:
	s_cmp_lt_i32 s10, 3
	s_cbranch_scc1 .LBB87_1061
; %bb.1056:
	s_cmp_gt_i32 s10, 3
	s_cbranch_scc0 .LBB87_1058
; %bb.1057:
	s_mov_b64 s[8:9], 0
	s_waitcnt vmcnt(0)
	global_store_dwordx2 v[3:4], v[1:2], off
.LBB87_1058:
	s_andn2_b64 vcc, exec, s[8:9]
	s_cbranch_vccnz .LBB87_1060
; %bb.1059:
	s_waitcnt vmcnt(0)
	global_store_dword v[3:4], v1, off
.LBB87_1060:
	s_mov_b64 s[8:9], 0
.LBB87_1061:
	s_andn2_b64 vcc, exec, s[8:9]
	s_cbranch_vccnz .LBB87_1063
; %bb.1062:
	s_waitcnt vmcnt(0)
	global_store_short v[3:4], v1, off
.LBB87_1063:
	s_mov_b64 s[8:9], 0
.LBB87_1064:
	s_andn2_b64 vcc, exec, s[8:9]
	s_cbranch_vccnz .LBB87_1069
; %bb.1065:
	s_sext_i32_i16 s8, s18
	s_cmp_gt_i32 s8, 0
	s_mov_b64 s[8:9], -1
	s_cbranch_scc0 .LBB87_1067
; %bb.1066:
	s_mov_b64 s[8:9], 0
	s_waitcnt vmcnt(0)
	global_store_byte v[3:4], v1, off
.LBB87_1067:
	s_andn2_b64 vcc, exec, s[8:9]
	s_cbranch_vccnz .LBB87_1069
; %bb.1068:
	s_waitcnt vmcnt(0)
	global_store_byte v[3:4], v1, off
.LBB87_1069:
	s_or_b64 exec, exec, s[0:1]
	s_and_b64 s[28:29], s[2:3], exec
                                        ; implicit-def: $vgpr15
                                        ; implicit-def: $vgpr11
.LBB87_1070:
	s_or_saveexec_b64 s[30:31], s[42:43]
	s_mov_b64 s[0:1], 0
                                        ; implicit-def: $vgpr0_vgpr1
                                        ; implicit-def: $sgpr18
                                        ; implicit-def: $vgpr2_vgpr3
	s_xor_b64 exec, exec, s[30:31]
	s_cbranch_execz .LBB87_2057
; %bb.1071:
	v_cndmask_b32_e64 v0, 0, 1, s[40:41]
	v_cmp_ne_u32_e64 s[0:1], 1, v0
	s_andn2_b64 vcc, exec, s[40:41]
	s_cbranch_vccnz .LBB87_1077
; %bb.1072:
	s_cmp_lg_u32 s33, 0
	s_mov_b32 s36, 0
	s_cbranch_scc0 .LBB87_1078
; %bb.1073:
	s_min_u32 s37, s76, 15
	s_add_i32 s37, s37, 1
	s_cmp_eq_u32 s76, 2
	s_cbranch_scc1 .LBB87_1079
; %bb.1074:
	s_and_b32 s36, s37, 28
	s_add_u32 s2, s34, 0xc4
	s_addc_u32 s3, s35, 0
	v_mov_b32_e32 v8, 0
	s_mov_b32 s38, 0
	s_mov_b64 s[6:7], s[34:35]
	s_waitcnt vmcnt(0)
	v_mov_b32_e32 v6, 0
	v_mov_b32_e32 v0, v11
.LBB87_1075:                            ; =>This Inner Loop Header: Depth=1
	s_load_dwordx8 s[16:23], s[6:7], 0x4
	s_load_dwordx4 s[24:27], s[6:7], 0x24
	s_load_dwordx8 s[8:15], s[2:3], 0x0
	s_add_u32 s6, s6, 48
	s_addc_u32 s7, s7, 0
	s_waitcnt lgkmcnt(0)
	v_mul_hi_u32 v1, s17, v0
	s_add_i32 s38, s38, 4
	s_add_u32 s2, s2, 32
	s_addc_u32 s3, s3, 0
	v_add_u32_e32 v1, v0, v1
	v_lshrrev_b32_e32 v1, s18, v1
	v_mul_lo_u32 v2, v1, s16
	v_mul_hi_u32 v3, s20, v1
	s_cmp_lg_u32 s36, s38
	v_sub_u32_e32 v0, v0, v2
	v_add_u32_e32 v2, v1, v3
	v_mul_lo_u32 v3, v0, s8
	v_mul_lo_u32 v4, v0, s9
	v_lshrrev_b32_e32 v0, s21, v2
	v_mul_lo_u32 v2, v0, s19
	v_mul_hi_u32 v5, s23, v0
	v_sub_u32_e32 v1, v1, v2
	v_add_u32_e32 v2, v0, v5
	v_lshrrev_b32_e32 v2, s24, v2
	v_mul_hi_u32 v7, s26, v2
	v_mul_lo_u32 v9, v2, s22
	v_mul_lo_u32 v5, v1, s10
	;; [unrolled: 1-line block ×3, first 2 shown]
	v_sub_u32_e32 v9, v0, v9
	v_add_u32_e32 v0, v2, v7
	v_lshrrev_b32_e32 v0, s27, v0
	v_mul_lo_u32 v7, v0, s25
	v_mul_lo_u32 v10, v9, s12
	;; [unrolled: 1-line block ×3, first 2 shown]
	v_add3_u32 v3, v3, v6, v5
	v_sub_u32_e32 v2, v2, v7
	v_mul_lo_u32 v7, v2, s14
	v_mul_lo_u32 v2, v2, s15
	v_add3_u32 v1, v4, v8, v1
	v_add3_u32 v6, v10, v3, v7
	v_add3_u32 v8, v9, v1, v2
	s_cbranch_scc1 .LBB87_1075
; %bb.1076:
	s_and_b32 s8, s37, 3
	s_cmp_eq_u32 s8, 0
	s_cbranch_scc0 .LBB87_1080
	s_branch .LBB87_1082
.LBB87_1077:
                                        ; implicit-def: $vgpr6
                                        ; implicit-def: $vgpr8
	s_branch .LBB87_1083
.LBB87_1078:
	s_waitcnt vmcnt(0)
	v_mov_b32_e32 v6, 0
	v_mov_b32_e32 v8, 0
	s_branch .LBB87_1082
.LBB87_1079:
	s_waitcnt vmcnt(0)
	v_mov_b32_e32 v6, 0
	v_mov_b32_e32 v8, 0
	;; [unrolled: 1-line block ×3, first 2 shown]
	s_and_b32 s8, s37, 3
	s_cmp_eq_u32 s8, 0
	s_cbranch_scc1 .LBB87_1082
.LBB87_1080:
	s_lshl_b32 s2, s36, 3
	s_add_u32 s2, s34, s2
	s_addc_u32 s3, s35, 0
	s_add_u32 s2, s2, 0xc4
	s_addc_u32 s3, s3, 0
	s_mul_i32 s6, s36, 12
	s_add_u32 s6, s34, s6
	s_addc_u32 s7, s35, 0
.LBB87_1081:                            ; =>This Inner Loop Header: Depth=1
	s_load_dwordx2 s[10:11], s[6:7], 0x4
	s_load_dword s9, s[6:7], 0xc
	s_load_dwordx2 s[12:13], s[2:3], 0x0
	s_add_u32 s6, s6, 12
	s_addc_u32 s7, s7, 0
	s_waitcnt lgkmcnt(0)
	v_mul_hi_u32 v1, s11, v0
	s_add_u32 s2, s2, 8
	s_addc_u32 s3, s3, 0
	s_add_i32 s8, s8, -1
	v_add_u32_e32 v1, v0, v1
	v_lshrrev_b32_e32 v1, s9, v1
	v_mul_lo_u32 v2, v1, s10
	s_cmp_lg_u32 s8, 0
	v_sub_u32_e32 v0, v0, v2
	v_mad_u64_u32 v[6:7], s[10:11], v0, s12, v[6:7]
	v_mad_u64_u32 v[8:9], s[10:11], v0, s13, v[8:9]
	v_mov_b32_e32 v0, v1
	s_cbranch_scc1 .LBB87_1081
.LBB87_1082:
	s_cbranch_execnz .LBB87_1085
.LBB87_1083:
	s_load_dwordx4 s[8:11], s[34:35], 0x4
	s_load_dwordx2 s[2:3], s[34:35], 0xc4
	s_cmp_lt_u32 s33, 2
	s_waitcnt lgkmcnt(0)
	v_mul_hi_u32 v0, s9, v11
	v_add_u32_e32 v0, v11, v0
	v_lshrrev_b32_e32 v0, s10, v0
	v_mul_lo_u32 v1, v0, s8
	v_sub_u32_e32 v1, v11, v1
	s_waitcnt vmcnt(0)
	v_mul_lo_u32 v6, v1, s2
	v_mul_lo_u32 v8, v1, s3
	s_cbranch_scc1 .LBB87_1085
; %bb.1084:
	s_load_dwordx4 s[8:11], s[34:35], 0x10
	s_load_dwordx2 s[2:3], s[34:35], 0xcc
	s_waitcnt lgkmcnt(0)
	v_mul_hi_u32 v1, s9, v0
	v_add_u32_e32 v1, v0, v1
	v_lshrrev_b32_e32 v1, s10, v1
	v_mul_lo_u32 v1, v1, s8
	v_sub_u32_e32 v0, v0, v1
	v_mad_u64_u32 v[6:7], s[6:7], v0, s2, v[6:7]
	v_mad_u64_u32 v[8:9], s[2:3], v0, s3, v[8:9]
.LBB87_1085:
	s_and_b64 vcc, exec, s[0:1]
	v_add_u32_e32 v0, 0x80, v11
	s_cbranch_vccnz .LBB87_1091
; %bb.1086:
	s_cmp_lg_u32 s33, 0
	s_mov_b32 s36, 0
	s_cbranch_scc0 .LBB87_1092
; %bb.1087:
	s_min_u32 s37, s76, 15
	s_add_i32 s37, s37, 1
	s_cmp_eq_u32 s76, 2
	s_cbranch_scc1 .LBB87_1093
; %bb.1088:
	s_and_b32 s36, s37, 28
	s_add_u32 s2, s34, 0xc4
	s_addc_u32 s3, s35, 0
	v_mov_b32_e32 v9, 0
	s_mov_b32 s38, 0
	s_mov_b64 s[6:7], s[34:35]
	s_waitcnt vmcnt(0)
	v_mov_b32_e32 v4, 0
	v_mov_b32_e32 v1, v0
.LBB87_1089:                            ; =>This Inner Loop Header: Depth=1
	s_load_dwordx8 s[16:23], s[6:7], 0x4
	s_load_dwordx4 s[24:27], s[6:7], 0x24
	s_load_dwordx8 s[8:15], s[2:3], 0x0
	s_add_u32 s6, s6, 48
	s_addc_u32 s7, s7, 0
	s_waitcnt lgkmcnt(0)
	v_mul_hi_u32 v2, s17, v1
	s_add_i32 s38, s38, 4
	s_add_u32 s2, s2, 32
	s_addc_u32 s3, s3, 0
	v_add_u32_e32 v2, v1, v2
	v_lshrrev_b32_e32 v2, s18, v2
	v_mul_lo_u32 v3, v2, s16
	v_mul_hi_u32 v5, s20, v2
	s_cmp_lg_u32 s36, s38
	v_sub_u32_e32 v1, v1, v3
	v_add_u32_e32 v3, v2, v5
	v_mul_lo_u32 v5, v1, s8
	v_mul_lo_u32 v7, v1, s9
	v_lshrrev_b32_e32 v1, s21, v3
	v_mul_lo_u32 v3, v1, s19
	v_mul_hi_u32 v10, s23, v1
	v_sub_u32_e32 v2, v2, v3
	v_add_u32_e32 v3, v1, v10
	v_lshrrev_b32_e32 v3, s24, v3
	v_mul_hi_u32 v12, s26, v3
	v_mul_lo_u32 v13, v3, s22
	v_mul_lo_u32 v10, v2, s10
	;; [unrolled: 1-line block ×3, first 2 shown]
	v_sub_u32_e32 v13, v1, v13
	v_add_u32_e32 v1, v3, v12
	v_lshrrev_b32_e32 v1, s27, v1
	v_mul_lo_u32 v12, v1, s25
	v_mul_lo_u32 v14, v13, s12
	;; [unrolled: 1-line block ×3, first 2 shown]
	v_add3_u32 v4, v5, v4, v10
	v_sub_u32_e32 v3, v3, v12
	v_mul_lo_u32 v12, v3, s14
	v_mul_lo_u32 v3, v3, s15
	v_add3_u32 v2, v7, v9, v2
	v_add3_u32 v4, v14, v4, v12
	;; [unrolled: 1-line block ×3, first 2 shown]
	s_cbranch_scc1 .LBB87_1089
; %bb.1090:
	s_and_b32 s8, s37, 3
	s_cmp_eq_u32 s8, 0
	s_cbranch_scc0 .LBB87_1094
	s_branch .LBB87_1096
.LBB87_1091:
                                        ; implicit-def: $vgpr4
                                        ; implicit-def: $vgpr9
	s_branch .LBB87_1097
.LBB87_1092:
	s_waitcnt vmcnt(0)
	v_mov_b32_e32 v4, 0
	v_mov_b32_e32 v9, 0
	s_branch .LBB87_1096
.LBB87_1093:
	s_waitcnt vmcnt(0)
	v_mov_b32_e32 v4, 0
	v_mov_b32_e32 v9, 0
	;; [unrolled: 1-line block ×3, first 2 shown]
	s_and_b32 s8, s37, 3
	s_cmp_eq_u32 s8, 0
	s_cbranch_scc1 .LBB87_1096
.LBB87_1094:
	s_lshl_b32 s2, s36, 3
	s_add_u32 s2, s34, s2
	s_addc_u32 s3, s35, 0
	s_add_u32 s2, s2, 0xc4
	s_addc_u32 s3, s3, 0
	s_mul_i32 s6, s36, 12
	s_add_u32 s6, s34, s6
	s_addc_u32 s7, s35, 0
.LBB87_1095:                            ; =>This Inner Loop Header: Depth=1
	s_load_dwordx2 s[10:11], s[6:7], 0x4
	s_load_dword s9, s[6:7], 0xc
	s_load_dwordx2 s[12:13], s[2:3], 0x0
	s_add_u32 s6, s6, 12
	s_addc_u32 s7, s7, 0
	s_waitcnt lgkmcnt(0)
	v_mul_hi_u32 v2, s11, v1
	s_add_u32 s2, s2, 8
	s_addc_u32 s3, s3, 0
	s_add_i32 s8, s8, -1
	v_add_u32_e32 v2, v1, v2
	v_lshrrev_b32_e32 v2, s9, v2
	v_mul_lo_u32 v3, v2, s10
	s_cmp_lg_u32 s8, 0
	v_sub_u32_e32 v1, v1, v3
	v_mad_u64_u32 v[4:5], s[10:11], v1, s12, v[4:5]
	v_mad_u64_u32 v[9:10], s[10:11], v1, s13, v[9:10]
	v_mov_b32_e32 v1, v2
	s_cbranch_scc1 .LBB87_1095
.LBB87_1096:
	s_cbranch_execnz .LBB87_1099
.LBB87_1097:
	s_load_dwordx4 s[8:11], s[34:35], 0x4
	s_load_dwordx2 s[2:3], s[34:35], 0xc4
	s_cmp_lt_u32 s33, 2
	s_waitcnt lgkmcnt(0)
	v_mul_hi_u32 v1, s9, v0
	v_add_u32_e32 v1, v0, v1
	v_lshrrev_b32_e32 v1, s10, v1
	v_mul_lo_u32 v2, v1, s8
	v_sub_u32_e32 v0, v0, v2
	s_waitcnt vmcnt(0)
	v_mul_lo_u32 v4, v0, s2
	v_mul_lo_u32 v9, v0, s3
	s_cbranch_scc1 .LBB87_1099
; %bb.1098:
	s_load_dwordx4 s[8:11], s[34:35], 0x10
	s_load_dwordx2 s[2:3], s[34:35], 0xcc
	s_waitcnt lgkmcnt(0)
	v_mul_hi_u32 v0, s9, v1
	v_add_u32_e32 v0, v1, v0
	v_lshrrev_b32_e32 v0, s10, v0
	v_mul_lo_u32 v0, v0, s8
	v_sub_u32_e32 v0, v1, v0
	v_mad_u64_u32 v[4:5], s[6:7], v0, s2, v[4:5]
	v_mad_u64_u32 v[9:10], s[2:3], v0, s3, v[9:10]
.LBB87_1099:
	s_and_b64 vcc, exec, s[0:1]
	v_add_u32_e32 v0, 0x100, v11
	s_cbranch_vccnz .LBB87_1105
; %bb.1100:
	s_cmp_lg_u32 s33, 0
	s_mov_b32 s36, 0
	s_cbranch_scc0 .LBB87_1106
; %bb.1101:
	s_min_u32 s37, s76, 15
	s_add_i32 s37, s37, 1
	s_cmp_eq_u32 s76, 2
	s_cbranch_scc1 .LBB87_1107
; %bb.1102:
	s_and_b32 s36, s37, 28
	s_add_u32 s2, s34, 0xc4
	s_addc_u32 s3, s35, 0
	v_mov_b32_e32 v11, 0
	s_mov_b32 s38, 0
	s_mov_b64 s[6:7], s[34:35]
	v_mov_b32_e32 v2, 0
	v_mov_b32_e32 v1, v0
.LBB87_1103:                            ; =>This Inner Loop Header: Depth=1
	s_load_dwordx8 s[16:23], s[6:7], 0x4
	s_load_dwordx4 s[24:27], s[6:7], 0x24
	s_load_dwordx8 s[8:15], s[2:3], 0x0
	s_add_u32 s6, s6, 48
	s_addc_u32 s7, s7, 0
	s_waitcnt vmcnt(0) lgkmcnt(0)
	v_mul_hi_u32 v3, s17, v1
	s_add_i32 s38, s38, 4
	s_add_u32 s2, s2, 32
	s_addc_u32 s3, s3, 0
	v_add_u32_e32 v3, v1, v3
	v_lshrrev_b32_e32 v3, s18, v3
	v_mul_lo_u32 v5, v3, s16
	v_mul_hi_u32 v7, s20, v3
	s_cmp_lg_u32 s36, s38
	v_sub_u32_e32 v1, v1, v5
	v_add_u32_e32 v5, v3, v7
	v_mul_lo_u32 v7, v1, s8
	v_mul_lo_u32 v10, v1, s9
	v_lshrrev_b32_e32 v1, s21, v5
	v_mul_lo_u32 v5, v1, s19
	v_mul_hi_u32 v12, s23, v1
	v_sub_u32_e32 v3, v3, v5
	v_add_u32_e32 v5, v1, v12
	v_lshrrev_b32_e32 v5, s24, v5
	v_mul_hi_u32 v13, s26, v5
	v_mul_lo_u32 v14, v5, s22
	v_mul_lo_u32 v12, v3, s10
	;; [unrolled: 1-line block ×3, first 2 shown]
	v_sub_u32_e32 v14, v1, v14
	v_add_u32_e32 v1, v5, v13
	v_lshrrev_b32_e32 v1, s27, v1
	v_mul_lo_u32 v13, v1, s25
	v_mul_lo_u32 v16, v14, s12
	;; [unrolled: 1-line block ×3, first 2 shown]
	v_add3_u32 v2, v7, v2, v12
	v_sub_u32_e32 v5, v5, v13
	v_mul_lo_u32 v13, v5, s14
	v_mul_lo_u32 v5, v5, s15
	v_add3_u32 v3, v10, v11, v3
	v_add3_u32 v2, v16, v2, v13
	;; [unrolled: 1-line block ×3, first 2 shown]
	s_cbranch_scc1 .LBB87_1103
; %bb.1104:
	s_and_b32 s8, s37, 3
	s_cmp_eq_u32 s8, 0
	s_cbranch_scc0 .LBB87_1108
	s_branch .LBB87_1110
.LBB87_1105:
                                        ; implicit-def: $vgpr2
                                        ; implicit-def: $vgpr11
	s_branch .LBB87_1111
.LBB87_1106:
	v_mov_b32_e32 v2, 0
	v_mov_b32_e32 v11, 0
	s_branch .LBB87_1110
.LBB87_1107:
	v_mov_b32_e32 v2, 0
	v_mov_b32_e32 v11, 0
	;; [unrolled: 1-line block ×3, first 2 shown]
	s_and_b32 s8, s37, 3
	s_cmp_eq_u32 s8, 0
	s_cbranch_scc1 .LBB87_1110
.LBB87_1108:
	s_lshl_b32 s2, s36, 3
	s_add_u32 s2, s34, s2
	s_addc_u32 s3, s35, 0
	s_add_u32 s2, s2, 0xc4
	s_addc_u32 s3, s3, 0
	s_mul_i32 s6, s36, 12
	s_add_u32 s6, s34, s6
	s_addc_u32 s7, s35, 0
.LBB87_1109:                            ; =>This Inner Loop Header: Depth=1
	s_load_dwordx2 s[10:11], s[6:7], 0x4
	s_load_dword s9, s[6:7], 0xc
	s_load_dwordx2 s[12:13], s[2:3], 0x0
	s_add_u32 s6, s6, 12
	s_addc_u32 s7, s7, 0
	s_waitcnt vmcnt(0) lgkmcnt(0)
	v_mul_hi_u32 v3, s11, v1
	s_add_u32 s2, s2, 8
	s_addc_u32 s3, s3, 0
	s_add_i32 s8, s8, -1
	v_add_u32_e32 v3, v1, v3
	v_lshrrev_b32_e32 v5, s9, v3
	v_mul_lo_u32 v3, v5, s10
	s_cmp_lg_u32 s8, 0
	v_sub_u32_e32 v1, v1, v3
	v_mad_u64_u32 v[2:3], s[10:11], v1, s12, v[2:3]
	v_mad_u64_u32 v[11:12], s[10:11], v1, s13, v[11:12]
	v_mov_b32_e32 v1, v5
	s_cbranch_scc1 .LBB87_1109
.LBB87_1110:
	s_cbranch_execnz .LBB87_1113
.LBB87_1111:
	s_load_dwordx4 s[8:11], s[34:35], 0x4
	s_load_dwordx2 s[2:3], s[34:35], 0xc4
	s_cmp_lt_u32 s33, 2
	s_waitcnt lgkmcnt(0)
	v_mul_hi_u32 v1, s9, v0
	v_add_u32_e32 v1, v0, v1
	v_lshrrev_b32_e32 v1, s10, v1
	v_mul_lo_u32 v2, v1, s8
	v_sub_u32_e32 v0, v0, v2
	v_mul_lo_u32 v2, v0, s2
	v_mul_lo_u32 v11, v0, s3
	s_cbranch_scc1 .LBB87_1113
; %bb.1112:
	s_load_dwordx4 s[8:11], s[34:35], 0x10
	s_load_dwordx2 s[2:3], s[34:35], 0xcc
	s_waitcnt lgkmcnt(0)
	v_mul_hi_u32 v0, s9, v1
	v_add_u32_e32 v0, v1, v0
	v_lshrrev_b32_e32 v0, s10, v0
	v_mul_lo_u32 v0, v0, s8
	v_sub_u32_e32 v0, v1, v0
	s_waitcnt vmcnt(0)
	v_mad_u64_u32 v[2:3], s[6:7], v0, s2, v[2:3]
	v_mad_u64_u32 v[11:12], s[2:3], v0, s3, v[11:12]
.LBB87_1113:
	s_and_b64 vcc, exec, s[0:1]
	s_cbranch_vccnz .LBB87_1119
; %bb.1114:
	s_cmp_lg_u32 s33, 0
	s_mov_b32 s26, 0
	s_cbranch_scc0 .LBB87_1120
; %bb.1115:
	s_min_u32 s27, s76, 15
	s_add_i32 s27, s27, 1
	s_cmp_eq_u32 s76, 2
	s_cbranch_scc1 .LBB87_1121
; %bb.1116:
	s_and_b32 s26, s27, 28
	s_add_u32 s6, s34, 0xc4
	s_addc_u32 s7, s35, 0
	v_mov_b32_e32 v13, 0
	s_mov_b32 s36, 0
	s_mov_b64 s[24:25], s[34:35]
	v_mov_b32_e32 v0, 0
	v_mov_b32_e32 v1, v15
.LBB87_1117:                            ; =>This Inner Loop Header: Depth=1
	s_load_dwordx8 s[16:23], s[24:25], 0x4
	s_load_dwordx4 s[0:3], s[24:25], 0x24
	s_load_dwordx8 s[8:15], s[6:7], 0x0
	s_add_u32 s24, s24, 48
	s_addc_u32 s25, s25, 0
	s_waitcnt vmcnt(0) lgkmcnt(0)
	v_mul_hi_u32 v3, s17, v1
	s_add_i32 s36, s36, 4
	s_add_u32 s6, s6, 32
	s_addc_u32 s7, s7, 0
	v_add_u32_e32 v3, v1, v3
	v_lshrrev_b32_e32 v3, s18, v3
	v_mul_lo_u32 v5, v3, s16
	v_mul_hi_u32 v7, s20, v3
	s_cmp_lg_u32 s26, s36
	v_sub_u32_e32 v1, v1, v5
	v_add_u32_e32 v5, v3, v7
	v_mul_lo_u32 v7, v1, s8
	v_mul_lo_u32 v10, v1, s9
	v_lshrrev_b32_e32 v1, s21, v5
	v_mul_lo_u32 v5, v1, s19
	v_mul_hi_u32 v12, s23, v1
	v_sub_u32_e32 v3, v3, v5
	v_add_u32_e32 v5, v1, v12
	v_lshrrev_b32_e32 v5, s0, v5
	v_mul_hi_u32 v14, s2, v5
	v_mul_lo_u32 v16, v5, s22
	v_mul_lo_u32 v12, v3, s10
	;; [unrolled: 1-line block ×3, first 2 shown]
	v_sub_u32_e32 v16, v1, v16
	v_add_u32_e32 v1, v5, v14
	v_lshrrev_b32_e32 v1, s3, v1
	v_mul_lo_u32 v14, v1, s1
	v_mul_lo_u32 v17, v16, s12
	;; [unrolled: 1-line block ×3, first 2 shown]
	v_add3_u32 v0, v7, v0, v12
	v_sub_u32_e32 v5, v5, v14
	v_mul_lo_u32 v14, v5, s14
	v_mul_lo_u32 v5, v5, s15
	v_add3_u32 v3, v10, v13, v3
	v_add3_u32 v0, v17, v0, v14
	;; [unrolled: 1-line block ×3, first 2 shown]
	s_cbranch_scc1 .LBB87_1117
; %bb.1118:
	s_and_b32 s6, s27, 3
	s_cmp_eq_u32 s6, 0
	s_cbranch_scc0 .LBB87_1122
	s_branch .LBB87_1124
.LBB87_1119:
                                        ; implicit-def: $vgpr0
                                        ; implicit-def: $vgpr13
	s_branch .LBB87_1125
.LBB87_1120:
	v_mov_b32_e32 v0, 0
	v_mov_b32_e32 v13, 0
	s_branch .LBB87_1124
.LBB87_1121:
	v_mov_b32_e32 v0, 0
	v_mov_b32_e32 v13, 0
	;; [unrolled: 1-line block ×3, first 2 shown]
	s_and_b32 s6, s27, 3
	s_cmp_eq_u32 s6, 0
	s_cbranch_scc1 .LBB87_1124
.LBB87_1122:
	s_lshl_b32 s0, s26, 3
	s_add_u32 s0, s34, s0
	s_addc_u32 s1, s35, 0
	s_add_u32 s0, s0, 0xc4
	s_addc_u32 s1, s1, 0
	s_mul_i32 s2, s26, 12
	s_add_u32 s2, s34, s2
	s_addc_u32 s3, s35, 0
.LBB87_1123:                            ; =>This Inner Loop Header: Depth=1
	s_load_dwordx2 s[8:9], s[2:3], 0x4
	s_load_dword s7, s[2:3], 0xc
	s_load_dwordx2 s[10:11], s[0:1], 0x0
	s_add_u32 s2, s2, 12
	s_addc_u32 s3, s3, 0
	s_waitcnt vmcnt(0) lgkmcnt(0)
	v_mul_hi_u32 v3, s9, v1
	s_add_u32 s0, s0, 8
	s_addc_u32 s1, s1, 0
	s_add_i32 s6, s6, -1
	v_add_u32_e32 v3, v1, v3
	v_lshrrev_b32_e32 v3, s7, v3
	v_mul_lo_u32 v5, v3, s8
	s_cmp_lg_u32 s6, 0
	v_sub_u32_e32 v5, v1, v5
	v_mad_u64_u32 v[0:1], s[8:9], v5, s10, v[0:1]
	v_mad_u64_u32 v[13:14], s[8:9], v5, s11, v[13:14]
	v_mov_b32_e32 v1, v3
	s_cbranch_scc1 .LBB87_1123
.LBB87_1124:
	s_cbranch_execnz .LBB87_1127
.LBB87_1125:
	s_load_dwordx4 s[0:3], s[34:35], 0x4
	s_load_dwordx2 s[6:7], s[34:35], 0xc4
	s_cmp_lt_u32 s33, 2
	s_waitcnt lgkmcnt(0)
	v_mul_hi_u32 v0, s1, v15
	v_add_u32_e32 v0, v15, v0
	v_lshrrev_b32_e32 v1, s2, v0
	v_mul_lo_u32 v0, v1, s0
	s_waitcnt vmcnt(0)
	v_sub_u32_e32 v3, v15, v0
	v_mul_lo_u32 v0, v3, s6
	v_mul_lo_u32 v13, v3, s7
	s_cbranch_scc1 .LBB87_1127
; %bb.1126:
	s_load_dwordx4 s[0:3], s[34:35], 0x10
	s_load_dwordx2 s[6:7], s[34:35], 0xcc
	s_waitcnt lgkmcnt(0)
	v_mul_hi_u32 v3, s1, v1
	v_add_u32_e32 v3, v1, v3
	v_lshrrev_b32_e32 v3, s2, v3
	v_mul_lo_u32 v3, v3, s0
	v_sub_u32_e32 v3, v1, v3
	v_mad_u64_u32 v[0:1], s[0:1], v3, s6, v[0:1]
	v_mad_u64_u32 v[13:14], s[0:1], v3, s7, v[13:14]
.LBB87_1127:
	s_load_dwordx4 s[8:11], s[34:35], 0x148
	s_load_dword s12, s[4:5], 0x170
	s_waitcnt lgkmcnt(0)
	v_mov_b32_e32 v1, s11
	s_bfe_u32 s13, s12, 0x80008
	v_add_co_u32_e32 v14, vcc, s10, v8
	s_cmp_lt_i32 s13, 11
	v_addc_co_u32_e32 v15, vcc, 0, v1, vcc
	s_cbranch_scc1 .LBB87_1134
; %bb.1128:
	s_and_b32 s14, 0xffff, s13
	s_cmp_gt_i32 s14, 25
	s_mov_b64 s[4:5], 0
	s_cbranch_scc0 .LBB87_1136
; %bb.1129:
	s_cmp_gt_i32 s14, 28
	s_cbranch_scc0 .LBB87_1137
; %bb.1130:
	s_cmp_gt_i32 s14, 43
	;; [unrolled: 3-line block ×3, first 2 shown]
	s_cbranch_scc0 .LBB87_1139
; %bb.1132:
	s_cmp_eq_u32 s14, 46
	s_mov_b64 s[2:3], 0
	s_cbranch_scc0 .LBB87_1142
; %bb.1133:
	global_load_dword v1, v[14:15], off
	s_mov_b32 s0, 0x2f800000
	s_mov_b32 s1, 0xcf800000
	s_mov_b64 s[6:7], -1
	s_waitcnt vmcnt(0)
	v_lshlrev_b32_e32 v1, 16, v1
	v_trunc_f32_e32 v1, v1
	v_mul_f32_e64 v3, |v1|, s0
	v_floor_f32_e32 v3, v3
	v_fma_f32 v5, v3, s1, |v1|
	v_cvt_u32_f32_e32 v5, v5
	v_cvt_u32_f32_e32 v3, v3
	v_ashrrev_i32_e32 v1, 31, v1
	s_mov_b64 s[0:1], 0
	v_xor_b32_e32 v5, v5, v1
	v_xor_b32_e32 v3, v3, v1
	v_sub_co_u32_e32 v7, vcc, v5, v1
	v_subb_co_u32_e32 v8, vcc, v3, v1, vcc
	s_branch .LBB87_1143
.LBB87_1134:
	s_mov_b64 s[6:7], 0
                                        ; implicit-def: $vgpr7_vgpr8
	s_mov_b64 s[2:3], s[28:29]
	s_cbranch_execnz .LBB87_1201
.LBB87_1135:
	s_andn2_b64 vcc, exec, s[6:7]
	s_cbranch_vccz .LBB87_1246
	s_branch .LBB87_2055
.LBB87_1136:
	s_mov_b64 s[6:7], 0
	s_mov_b64 s[0:1], 0
                                        ; implicit-def: $vgpr7_vgpr8
	s_cbranch_execnz .LBB87_1170
	s_branch .LBB87_1197
.LBB87_1137:
	s_mov_b64 s[6:7], 0
	s_mov_b64 s[0:1], 0
                                        ; implicit-def: $vgpr7_vgpr8
	s_cbranch_execz .LBB87_1169
	s_branch .LBB87_1152
.LBB87_1138:
	s_mov_b64 s[6:7], 0
	s_mov_b64 s[0:1], 0
                                        ; implicit-def: $vgpr7_vgpr8
	s_cbranch_execnz .LBB87_1148
	s_branch .LBB87_1151
.LBB87_1139:
	s_mov_b64 s[2:3], -1
	s_mov_b64 s[6:7], 0
	s_mov_b64 s[0:1], 0
                                        ; implicit-def: $vgpr7_vgpr8
	s_branch .LBB87_1143
.LBB87_1140:
	s_andn2_saveexec_b64 s[14:15], s[14:15]
	s_cbranch_execz .LBB87_983
.LBB87_1141:
	s_mov_b32 s16, 0x46000000
	v_add_f32_e64 v5, |v0|, s16
	v_and_b32_e32 v5, 0xff, v5
	v_cmp_ne_u32_e32 vcc, 0, v5
	s_andn2_b64 s[12:13], s[12:13], exec
	s_and_b64 s[16:17], vcc, exec
	s_or_b64 s[12:13], s[12:13], s[16:17]
	s_or_b64 exec, exec, s[14:15]
	v_mov_b32_e32 v6, 0
	s_and_saveexec_b64 s[14:15], s[12:13]
	s_cbranch_execnz .LBB87_984
	s_branch .LBB87_985
.LBB87_1142:
	s_mov_b64 s[0:1], -1
                                        ; implicit-def: $vgpr7_vgpr8
	s_mov_b64 s[6:7], 0
.LBB87_1143:
	s_and_b64 vcc, exec, s[2:3]
	s_cbranch_vccz .LBB87_1146
; %bb.1144:
	s_cmp_eq_u32 s14, 44
	s_cbranch_scc0 .LBB87_1147
; %bb.1145:
	global_load_ubyte v1, v[14:15], off
	s_mov_b32 s0, 0x2f800000
	s_mov_b32 s1, 0xcf800000
	s_mov_b64 s[6:7], -1
	s_waitcnt vmcnt(0)
	v_lshlrev_b32_e32 v3, 23, v1
	v_trunc_f32_e32 v3, v3
	v_mul_f32_e64 v5, |v3|, s0
	v_floor_f32_e32 v5, v5
	v_fma_f32 v7, v5, s1, |v3|
	v_cvt_u32_f32_e32 v7, v7
	v_cvt_u32_f32_e32 v5, v5
	v_ashrrev_i32_e32 v3, 31, v3
	s_mov_b64 s[0:1], 0
	v_xor_b32_e32 v7, v7, v3
	v_xor_b32_e32 v5, v5, v3
	v_sub_co_u32_e32 v7, vcc, v7, v3
	v_subb_co_u32_e32 v3, vcc, v5, v3, vcc
	v_cmp_ne_u32_e32 vcc, 0, v1
	v_cndmask_b32_e32 v8, 0, v3, vcc
	v_cndmask_b32_e32 v7, 0, v7, vcc
.LBB87_1146:
	s_branch .LBB87_1151
.LBB87_1147:
	s_mov_b64 s[0:1], -1
                                        ; implicit-def: $vgpr7_vgpr8
	s_branch .LBB87_1151
.LBB87_1148:
	s_cmp_eq_u32 s14, 29
	s_cbranch_scc0 .LBB87_1150
; %bb.1149:
	global_load_dwordx2 v[7:8], v[14:15], off
	s_mov_b64 s[0:1], 0
	s_mov_b64 s[6:7], -1
	s_branch .LBB87_1151
.LBB87_1150:
	s_mov_b64 s[0:1], -1
                                        ; implicit-def: $vgpr7_vgpr8
.LBB87_1151:
	s_branch .LBB87_1169
.LBB87_1152:
	s_cmp_lt_i32 s14, 27
	s_cbranch_scc1 .LBB87_1155
; %bb.1153:
	s_cmp_gt_i32 s14, 27
	s_cbranch_scc0 .LBB87_1156
; %bb.1154:
	global_load_dword v7, v[14:15], off
	s_waitcnt vmcnt(1)
	v_mov_b32_e32 v8, 0
	s_mov_b64 s[2:3], 0
	s_branch .LBB87_1157
.LBB87_1155:
	s_mov_b64 s[2:3], -1
                                        ; implicit-def: $vgpr7_vgpr8
	s_branch .LBB87_1160
.LBB87_1156:
	s_mov_b64 s[2:3], -1
                                        ; implicit-def: $vgpr7_vgpr8
.LBB87_1157:
	s_andn2_b64 vcc, exec, s[2:3]
	s_cbranch_vccnz .LBB87_1159
; %bb.1158:
	global_load_ushort v1, v[14:15], off
	s_mov_b32 s2, 0
	s_waitcnt vmcnt(1)
	v_mov_b32_e32 v8, s2
	s_waitcnt vmcnt(0)
	v_and_b32_e32 v7, 0xffff, v1
.LBB87_1159:
	s_mov_b64 s[2:3], 0
.LBB87_1160:
	s_andn2_b64 vcc, exec, s[2:3]
	s_cbranch_vccnz .LBB87_1168
; %bb.1161:
	global_load_ubyte v1, v[14:15], off
	s_movk_i32 s2, 0x7f
	s_mov_b64 s[6:7], 0
	s_waitcnt vmcnt(0)
	v_cmp_lt_i16_e32 vcc, s2, v1
	s_and_saveexec_b64 s[2:3], vcc
	s_xor_b64 s[2:3], exec, s[2:3]
; %bb.1162:
	s_movk_i32 s6, 0x80
	v_cmp_ne_u16_e32 vcc, s6, v1
	s_and_b64 s[6:7], vcc, exec
; %bb.1163:
	s_andn2_saveexec_b64 s[2:3], s[2:3]
; %bb.1164:
	v_cmp_ne_u16_e32 vcc, 0, v1
	s_andn2_b64 s[6:7], s[6:7], exec
	s_and_b64 s[16:17], vcc, exec
	s_or_b64 s[6:7], s[6:7], s[16:17]
; %bb.1165:
	s_or_b64 exec, exec, s[2:3]
	v_mov_b32_e32 v7, 0
	v_mov_b32_e32 v8, 0
	s_and_saveexec_b64 s[2:3], s[6:7]
	s_cbranch_execz .LBB87_1167
; %bb.1166:
	v_lshlrev_b32_e32 v3, 24, v1
	v_and_b32_e32 v1, 0xffff, v1
	v_and_b32_e32 v5, 7, v1
	v_ffbh_u32_e32 v8, v5
	v_min_u32_e32 v8, 32, v8
	v_subrev_u32_e32 v10, 28, v8
	v_bfe_u32 v7, v1, 3, 4
	v_lshlrev_b32_e32 v1, v10, v1
	v_sub_u32_e32 v8, 29, v8
	v_and_b32_e32 v1, 7, v1
	v_cmp_eq_u32_e32 vcc, 0, v7
	v_cndmask_b32_e32 v7, v7, v8, vcc
	v_cndmask_b32_e32 v1, v5, v1, vcc
	v_mov_b32_e32 v5, 0x3b800000
	v_lshlrev_b32_e32 v1, 20, v1
	v_and_b32_e32 v3, 0x80000000, v3
	v_lshl_add_u32 v5, v7, 23, v5
	v_or3_b32 v1, v3, v5, v1
	v_trunc_f32_e32 v1, v1
	s_mov_b32 s6, 0x2f800000
	v_mul_f32_e64 v3, |v1|, s6
	v_floor_f32_e32 v3, v3
	s_mov_b32 s6, 0xcf800000
	v_fma_f32 v5, v3, s6, |v1|
	v_cvt_u32_f32_e32 v5, v5
	v_cvt_u32_f32_e32 v3, v3
	v_ashrrev_i32_e32 v1, 31, v1
	v_xor_b32_e32 v5, v5, v1
	v_xor_b32_e32 v3, v3, v1
	v_sub_co_u32_e32 v7, vcc, v5, v1
	v_subb_co_u32_e32 v8, vcc, v3, v1, vcc
.LBB87_1167:
	s_or_b64 exec, exec, s[2:3]
.LBB87_1168:
	s_mov_b64 s[6:7], -1
.LBB87_1169:
	s_branch .LBB87_1197
.LBB87_1170:
	s_cmp_gt_i32 s14, 22
	s_cbranch_scc0 .LBB87_1180
; %bb.1171:
	s_cmp_lt_i32 s14, 24
	s_cbranch_scc1 .LBB87_1181
; %bb.1172:
	s_cmp_gt_i32 s14, 24
	s_cbranch_scc0 .LBB87_1182
; %bb.1173:
	global_load_ubyte v1, v[14:15], off
	s_movk_i32 s2, 0x7f
	s_waitcnt vmcnt(0)
	v_cmp_lt_i16_e32 vcc, s2, v1
	s_and_saveexec_b64 s[2:3], vcc
	s_xor_b64 s[2:3], exec, s[2:3]
; %bb.1174:
	s_movk_i32 s4, 0x80
	v_cmp_ne_u16_e32 vcc, s4, v1
	s_and_b64 s[4:5], vcc, exec
; %bb.1175:
	s_andn2_saveexec_b64 s[2:3], s[2:3]
; %bb.1176:
	v_cmp_ne_u16_e32 vcc, 0, v1
	s_andn2_b64 s[4:5], s[4:5], exec
	s_and_b64 s[6:7], vcc, exec
	s_or_b64 s[4:5], s[4:5], s[6:7]
; %bb.1177:
	s_or_b64 exec, exec, s[2:3]
	v_mov_b32_e32 v7, 0
	v_mov_b32_e32 v8, 0
	s_and_saveexec_b64 s[2:3], s[4:5]
	s_cbranch_execz .LBB87_1179
; %bb.1178:
	v_lshlrev_b32_e32 v3, 24, v1
	v_and_b32_e32 v1, 0xffff, v1
	v_and_b32_e32 v5, 3, v1
	v_ffbh_u32_e32 v8, v5
	v_min_u32_e32 v8, 32, v8
	v_subrev_u32_e32 v10, 29, v8
	v_bfe_u32 v7, v1, 2, 5
	v_lshlrev_b32_e32 v1, v10, v1
	v_sub_u32_e32 v8, 30, v8
	v_and_b32_e32 v1, 3, v1
	v_cmp_eq_u32_e32 vcc, 0, v7
	v_cndmask_b32_e32 v7, v7, v8, vcc
	v_cndmask_b32_e32 v1, v5, v1, vcc
	v_mov_b32_e32 v5, 0x37800000
	v_lshlrev_b32_e32 v1, 21, v1
	v_and_b32_e32 v3, 0x80000000, v3
	v_lshl_add_u32 v5, v7, 23, v5
	v_or3_b32 v1, v3, v5, v1
	v_trunc_f32_e32 v1, v1
	s_mov_b32 s4, 0x2f800000
	v_mul_f32_e64 v3, |v1|, s4
	v_floor_f32_e32 v3, v3
	s_mov_b32 s4, 0xcf800000
	v_fma_f32 v5, v3, s4, |v1|
	v_cvt_u32_f32_e32 v5, v5
	v_cvt_u32_f32_e32 v3, v3
	v_ashrrev_i32_e32 v1, 31, v1
	v_xor_b32_e32 v5, v5, v1
	v_xor_b32_e32 v3, v3, v1
	v_sub_co_u32_e32 v7, vcc, v5, v1
	v_subb_co_u32_e32 v8, vcc, v3, v1, vcc
.LBB87_1179:
	s_or_b64 exec, exec, s[2:3]
	s_mov_b64 s[2:3], 0
	s_branch .LBB87_1183
.LBB87_1180:
                                        ; implicit-def: $vgpr7_vgpr8
	s_mov_b64 s[4:5], 0
	s_branch .LBB87_1189
.LBB87_1181:
	s_mov_b64 s[2:3], -1
                                        ; implicit-def: $vgpr7_vgpr8
	s_branch .LBB87_1186
.LBB87_1182:
	s_mov_b64 s[2:3], -1
                                        ; implicit-def: $vgpr7_vgpr8
.LBB87_1183:
	s_and_b64 vcc, exec, s[2:3]
	s_cbranch_vccz .LBB87_1185
; %bb.1184:
	global_load_ubyte v1, v[14:15], off
	s_mov_b32 s2, 0x7f800000
	s_brev_b32 s3, 1
	s_mov_b32 s4, 0x2f800000
	s_mov_b32 s5, 0xcf800000
	s_waitcnt vmcnt(0)
	v_lshlrev_b32_e32 v1, 24, v1
	v_and_b32_e32 v3, 0x7f000000, v1
	v_ffbh_u32_e32 v5, v3
	v_min_u32_e32 v5, 32, v5
	v_sub_u32_e64 v5, v5, 4 clamp
	v_lshlrev_b32_e32 v8, v5, v3
	v_lshlrev_b32_e32 v5, 23, v5
	v_lshrrev_b32_e32 v8, 4, v8
	v_add_u32_e32 v7, 0x1000000, v3
	v_sub_u32_e32 v5, v8, v5
	v_ashrrev_i32_e32 v7, 8, v7
	v_add_u32_e32 v5, 0x3c000000, v5
	v_and_or_b32 v5, v7, s2, v5
	v_cmp_ne_u32_e32 vcc, 0, v3
	v_cndmask_b32_e32 v3, 0, v5, vcc
	v_and_or_b32 v1, v1, s3, v3
	v_trunc_f32_e32 v1, v1
	v_mul_f32_e64 v3, |v1|, s4
	v_floor_f32_e32 v3, v3
	v_fma_f32 v5, v3, s5, |v1|
	v_cvt_u32_f32_e32 v5, v5
	v_cvt_u32_f32_e32 v3, v3
	v_ashrrev_i32_e32 v1, 31, v1
	v_xor_b32_e32 v5, v5, v1
	v_xor_b32_e32 v3, v3, v1
	v_sub_co_u32_e32 v7, vcc, v5, v1
	v_subb_co_u32_e32 v8, vcc, v3, v1, vcc
.LBB87_1185:
	s_mov_b64 s[2:3], 0
.LBB87_1186:
	s_andn2_b64 vcc, exec, s[2:3]
	s_cbranch_vccnz .LBB87_1188
; %bb.1187:
	global_load_ubyte v1, v[14:15], off
	s_movk_i32 s2, 0x7f00
	s_brev_b32 s3, 16
	s_brev_b32 s4, 1
	s_mov_b32 s5, 0x2f800000
	s_mov_b32 s6, 0xcf800000
	s_waitcnt vmcnt(0)
	v_lshlrev_b16_e32 v3, 8, v1
	v_lshlrev_b32_e32 v1, 25, v1
	v_lshrrev_b32_e32 v5, 4, v1
	v_and_or_b32 v7, v3, s2, 0.5
	v_or_b32_e32 v5, 0x70000000, v5
	v_add_f32_e32 v7, -0.5, v7
	v_mul_f32_e32 v5, 0x7800000, v5
	v_cmp_gt_u32_e32 vcc, s3, v1
	v_bfe_i32 v3, v3, 0, 16
	v_cndmask_b32_e32 v1, v5, v7, vcc
	v_and_or_b32 v1, v3, s4, v1
	v_trunc_f32_e32 v1, v1
	v_mul_f32_e64 v3, |v1|, s5
	v_floor_f32_e32 v3, v3
	v_fma_f32 v5, v3, s6, |v1|
	v_cvt_u32_f32_e32 v5, v5
	v_cvt_u32_f32_e32 v3, v3
	v_ashrrev_i32_e32 v1, 31, v1
	v_xor_b32_e32 v5, v5, v1
	v_xor_b32_e32 v3, v3, v1
	v_sub_co_u32_e32 v7, vcc, v5, v1
	v_subb_co_u32_e32 v8, vcc, v3, v1, vcc
.LBB87_1188:
	s_mov_b64 s[6:7], -1
	s_mov_b64 s[4:5], 0
	s_cbranch_execnz .LBB87_1197
.LBB87_1189:
	s_cmp_gt_i32 s14, 14
	s_cbranch_scc0 .LBB87_1192
; %bb.1190:
	s_cmp_eq_u32 s14, 15
	s_cbranch_scc0 .LBB87_1193
; %bb.1191:
	global_load_ushort v1, v[14:15], off
	s_mov_b32 s0, 0x2f800000
	s_mov_b32 s1, 0xcf800000
	s_mov_b64 s[6:7], -1
	s_waitcnt vmcnt(0)
	v_lshlrev_b32_e32 v1, 16, v1
	v_trunc_f32_e32 v1, v1
	v_mul_f32_e64 v3, |v1|, s0
	v_floor_f32_e32 v3, v3
	v_fma_f32 v5, v3, s1, |v1|
	v_cvt_u32_f32_e32 v5, v5
	v_cvt_u32_f32_e32 v3, v3
	v_ashrrev_i32_e32 v1, 31, v1
	s_mov_b64 s[0:1], 0
	v_xor_b32_e32 v5, v5, v1
	v_xor_b32_e32 v3, v3, v1
	v_sub_co_u32_e32 v7, vcc, v5, v1
	v_subb_co_u32_e32 v8, vcc, v3, v1, vcc
	s_branch .LBB87_1194
.LBB87_1192:
	s_mov_b64 s[2:3], -1
                                        ; implicit-def: $vgpr7_vgpr8
	s_branch .LBB87_1195
.LBB87_1193:
	s_mov_b64 s[0:1], -1
                                        ; implicit-def: $vgpr7_vgpr8
.LBB87_1194:
	s_mov_b64 s[2:3], 0
.LBB87_1195:
	s_and_b64 vcc, exec, s[2:3]
	s_cbranch_vccz .LBB87_1197
; %bb.1196:
	s_cmp_lg_u32 s14, 11
	s_mov_b64 s[4:5], -1
	s_cselect_b64 s[0:1], -1, 0
.LBB87_1197:
	s_and_b64 vcc, exec, s[0:1]
	s_mov_b64 s[2:3], s[28:29]
	s_cbranch_vccnz .LBB87_1258
; %bb.1198:
	s_andn2_b64 vcc, exec, s[4:5]
	s_cbranch_vccnz .LBB87_1200
.LBB87_1199:
	global_load_ubyte v1, v[14:15], off
	s_mov_b32 s0, 0
	s_waitcnt vmcnt(1)
	v_mov_b32_e32 v8, s0
	s_mov_b64 s[6:7], -1
	s_waitcnt vmcnt(0)
	v_cmp_ne_u16_e32 vcc, 0, v1
	v_cndmask_b32_e64 v7, 0, 1, vcc
.LBB87_1200:
	s_branch .LBB87_1135
.LBB87_1201:
	s_and_b32 s4, 0xffff, s13
	s_cmp_lt_i32 s4, 5
	s_cbranch_scc1 .LBB87_1206
; %bb.1202:
	s_cmp_lt_i32 s4, 8
	s_cbranch_scc1 .LBB87_1207
; %bb.1203:
	;; [unrolled: 3-line block ×3, first 2 shown]
	s_cmp_gt_i32 s4, 9
	s_cbranch_scc0 .LBB87_1209
; %bb.1205:
	global_load_dwordx2 v[7:8], v[14:15], off
	s_movk_i32 s0, 0xffe0
	s_waitcnt vmcnt(0)
	v_trunc_f64_e32 v[7:8], v[7:8]
	v_ldexp_f64 v[16:17], v[7:8], s0
	s_mov_b32 s0, 0
	s_mov_b32 s1, 0xc1f00000
	v_floor_f64_e32 v[16:17], v[16:17]
	v_fma_f64 v[18:19], v[16:17], s[0:1], v[7:8]
	v_cvt_i32_f64_e32 v8, v[16:17]
	s_mov_b64 s[0:1], 0
	v_cvt_u32_f64_e32 v7, v[18:19]
	s_branch .LBB87_1210
.LBB87_1206:
                                        ; implicit-def: $vgpr7_vgpr8
	s_branch .LBB87_1227
.LBB87_1207:
                                        ; implicit-def: $vgpr7_vgpr8
	s_branch .LBB87_1216
.LBB87_1208:
	s_mov_b64 s[0:1], -1
                                        ; implicit-def: $vgpr7_vgpr8
	s_branch .LBB87_1213
.LBB87_1209:
	s_mov_b64 s[0:1], -1
                                        ; implicit-def: $vgpr7_vgpr8
.LBB87_1210:
	s_andn2_b64 vcc, exec, s[0:1]
	s_cbranch_vccnz .LBB87_1212
; %bb.1211:
	global_load_dword v1, v[14:15], off
	s_mov_b32 s0, 0x2f800000
	s_mov_b32 s1, 0xcf800000
	s_waitcnt vmcnt(0)
	v_trunc_f32_e32 v1, v1
	v_mul_f32_e64 v3, |v1|, s0
	v_floor_f32_e32 v3, v3
	v_cvt_u32_f32_e32 v5, v3
	v_fma_f32 v3, v3, s1, |v1|
	v_cvt_u32_f32_e32 v3, v3
	v_ashrrev_i32_e32 v1, 31, v1
	v_xor_b32_e32 v5, v5, v1
	v_xor_b32_e32 v3, v3, v1
	v_sub_co_u32_e32 v7, vcc, v3, v1
	v_subb_co_u32_e32 v8, vcc, v5, v1, vcc
.LBB87_1212:
	s_mov_b64 s[0:1], 0
.LBB87_1213:
	s_andn2_b64 vcc, exec, s[0:1]
	s_cbranch_vccnz .LBB87_1215
; %bb.1214:
	global_load_dword v1, v[14:15], off
	s_waitcnt vmcnt(0)
	v_cvt_f32_f16_e32 v1, v1
	v_cvt_i32_f32_e32 v7, v1
	v_ashrrev_i32_e32 v8, 31, v7
.LBB87_1215:
	s_cbranch_execnz .LBB87_1226
.LBB87_1216:
	s_cmp_lt_i32 s4, 6
	s_cbranch_scc1 .LBB87_1219
; %bb.1217:
	s_cmp_gt_i32 s4, 6
	s_cbranch_scc0 .LBB87_1220
; %bb.1218:
	global_load_dwordx2 v[7:8], v[14:15], off
	s_movk_i32 s0, 0xffe0
	s_waitcnt vmcnt(0)
	v_trunc_f64_e32 v[7:8], v[7:8]
	v_ldexp_f64 v[16:17], v[7:8], s0
	s_mov_b32 s0, 0
	s_mov_b32 s1, 0xc1f00000
	v_floor_f64_e32 v[16:17], v[16:17]
	v_fma_f64 v[18:19], v[16:17], s[0:1], v[7:8]
	v_cvt_i32_f64_e32 v8, v[16:17]
	s_mov_b64 s[0:1], 0
	v_cvt_u32_f64_e32 v7, v[18:19]
	s_branch .LBB87_1221
.LBB87_1219:
	s_mov_b64 s[0:1], -1
                                        ; implicit-def: $vgpr7_vgpr8
	s_branch .LBB87_1224
.LBB87_1220:
	s_mov_b64 s[0:1], -1
                                        ; implicit-def: $vgpr7_vgpr8
.LBB87_1221:
	s_andn2_b64 vcc, exec, s[0:1]
	s_cbranch_vccnz .LBB87_1223
; %bb.1222:
	global_load_dword v1, v[14:15], off
	s_mov_b32 s0, 0x2f800000
	s_mov_b32 s1, 0xcf800000
	s_waitcnt vmcnt(0)
	v_trunc_f32_e32 v1, v1
	v_mul_f32_e64 v3, |v1|, s0
	v_floor_f32_e32 v3, v3
	v_cvt_u32_f32_e32 v5, v3
	v_fma_f32 v3, v3, s1, |v1|
	v_cvt_u32_f32_e32 v3, v3
	v_ashrrev_i32_e32 v1, 31, v1
	v_xor_b32_e32 v5, v5, v1
	v_xor_b32_e32 v3, v3, v1
	v_sub_co_u32_e32 v7, vcc, v3, v1
	v_subb_co_u32_e32 v8, vcc, v5, v1, vcc
.LBB87_1223:
	s_mov_b64 s[0:1], 0
.LBB87_1224:
	s_andn2_b64 vcc, exec, s[0:1]
	s_cbranch_vccnz .LBB87_1226
; %bb.1225:
	global_load_ushort v1, v[14:15], off
	s_waitcnt vmcnt(0)
	v_cvt_f32_f16_e32 v1, v1
	v_cvt_i32_f32_e32 v7, v1
	v_ashrrev_i32_e32 v8, 31, v7
.LBB87_1226:
	s_cbranch_execnz .LBB87_1245
.LBB87_1227:
	s_cmp_lt_i32 s4, 2
	s_cbranch_scc1 .LBB87_1231
; %bb.1228:
	s_cmp_lt_i32 s4, 3
	s_cbranch_scc1 .LBB87_1232
; %bb.1229:
	s_cmp_gt_i32 s4, 3
	s_cbranch_scc0 .LBB87_1233
; %bb.1230:
	global_load_dwordx2 v[7:8], v[14:15], off
	s_mov_b64 s[0:1], 0
	s_branch .LBB87_1234
.LBB87_1231:
                                        ; implicit-def: $vgpr7_vgpr8
	s_branch .LBB87_1240
.LBB87_1232:
	s_mov_b64 s[0:1], -1
                                        ; implicit-def: $vgpr7_vgpr8
	s_branch .LBB87_1237
.LBB87_1233:
	s_mov_b64 s[0:1], -1
                                        ; implicit-def: $vgpr7_vgpr8
.LBB87_1234:
	s_andn2_b64 vcc, exec, s[0:1]
	s_cbranch_vccnz .LBB87_1236
; %bb.1235:
	global_load_dword v7, v[14:15], off
	s_waitcnt vmcnt(0)
	v_ashrrev_i32_e32 v8, 31, v7
.LBB87_1236:
	s_mov_b64 s[0:1], 0
.LBB87_1237:
	s_andn2_b64 vcc, exec, s[0:1]
	s_cbranch_vccnz .LBB87_1239
; %bb.1238:
	global_load_ushort v1, v[14:15], off
	s_waitcnt vmcnt(0)
	v_bfe_i32 v7, v1, 0, 16
	v_ashrrev_i32_e32 v8, 31, v7
.LBB87_1239:
	s_cbranch_execnz .LBB87_1245
.LBB87_1240:
	s_cmp_gt_i32 s4, 0
	s_cbranch_scc0 .LBB87_1242
; %bb.1241:
	global_load_sbyte v1, v[14:15], off
	s_mov_b64 s[0:1], 0
	s_waitcnt vmcnt(0)
	v_bfe_i32 v7, v1, 0, 16
	v_ashrrev_i32_e32 v8, 31, v7
	s_branch .LBB87_1243
.LBB87_1242:
	s_mov_b64 s[0:1], -1
                                        ; implicit-def: $vgpr7_vgpr8
.LBB87_1243:
	s_andn2_b64 vcc, exec, s[0:1]
	s_cbranch_vccnz .LBB87_1245
; %bb.1244:
	global_load_ubyte v1, v[14:15], off
	s_mov_b32 s0, 0
	s_waitcnt vmcnt(1)
	v_mov_b32_e32 v8, s0
	s_waitcnt vmcnt(0)
	v_and_b32_e32 v7, 0xffff, v1
.LBB87_1245:
.LBB87_1246:
	s_lshr_b32 s0, s12, 8
	v_mov_b32_e32 v1, s11
	s_and_b32 s14, s0, 0xff
	v_add_co_u32_e32 v14, vcc, s10, v9
	s_cmp_lt_i32 s14, 11
	v_addc_co_u32_e32 v15, vcc, 0, v1, vcc
	s_cbranch_scc1 .LBB87_1253
; %bb.1247:
	s_and_b32 s15, 0xffff, s14
	s_cmp_gt_i32 s15, 25
	s_mov_b64 s[4:5], 0
	s_cbranch_scc0 .LBB87_1255
; %bb.1248:
	s_cmp_gt_i32 s15, 28
	s_cbranch_scc0 .LBB87_1256
; %bb.1249:
	s_cmp_gt_i32 s15, 43
	s_cbranch_scc0 .LBB87_1257
; %bb.1250:
	s_cmp_gt_i32 s15, 45
	s_cbranch_scc0 .LBB87_1259
; %bb.1251:
	s_cmp_eq_u32 s15, 46
	s_mov_b64 s[12:13], 0
	s_cbranch_scc0 .LBB87_1262
; %bb.1252:
	global_load_dword v1, v[14:15], off
	s_mov_b32 s0, 0x2f800000
	s_mov_b32 s1, 0xcf800000
	s_mov_b64 s[6:7], -1
	s_waitcnt vmcnt(0)
	v_lshlrev_b32_e32 v1, 16, v1
	v_trunc_f32_e32 v1, v1
	v_mul_f32_e64 v3, |v1|, s0
	v_floor_f32_e32 v3, v3
	v_fma_f32 v5, v3, s1, |v1|
	v_cvt_u32_f32_e32 v5, v5
	v_cvt_u32_f32_e32 v3, v3
	v_ashrrev_i32_e32 v1, 31, v1
	s_mov_b64 s[0:1], 0
	v_xor_b32_e32 v5, v5, v1
	v_xor_b32_e32 v3, v3, v1
	v_sub_co_u32_e32 v9, vcc, v5, v1
	v_subb_co_u32_e32 v10, vcc, v3, v1, vcc
	s_branch .LBB87_1263
.LBB87_1253:
	s_mov_b64 s[6:7], 0
                                        ; implicit-def: $vgpr9_vgpr10
	s_cbranch_execnz .LBB87_1324
.LBB87_1254:
	s_andn2_b64 vcc, exec, s[6:7]
	s_cbranch_vccnz .LBB87_2055
	s_branch .LBB87_1371
.LBB87_1255:
	s_mov_b64 s[6:7], 0
	s_mov_b64 s[0:1], 0
                                        ; implicit-def: $vgpr9_vgpr10
	s_cbranch_execnz .LBB87_1292
	s_branch .LBB87_1320
.LBB87_1256:
	s_mov_b64 s[12:13], -1
	s_mov_b64 s[6:7], 0
	s_mov_b64 s[0:1], 0
                                        ; implicit-def: $vgpr9_vgpr10
	s_branch .LBB87_1273
.LBB87_1257:
	s_mov_b64 s[12:13], -1
	s_mov_b64 s[6:7], 0
	s_mov_b64 s[0:1], 0
                                        ; implicit-def: $vgpr9_vgpr10
	s_branch .LBB87_1268
.LBB87_1258:
	s_or_b64 s[2:3], s[28:29], exec
	s_trap 2
	s_cbranch_execz .LBB87_1199
	s_branch .LBB87_1200
.LBB87_1259:
	s_mov_b64 s[12:13], -1
	s_mov_b64 s[6:7], 0
	s_mov_b64 s[0:1], 0
                                        ; implicit-def: $vgpr9_vgpr10
	s_branch .LBB87_1263
.LBB87_1260:
	s_andn2_saveexec_b64 s[16:17], s[16:17]
	s_cbranch_execz .LBB87_995
.LBB87_1261:
	s_mov_b32 s20, 0x42800000
	v_add_f32_e64 v5, |v0|, s20
	v_and_b32_e32 v5, 0xff, v5
	v_cmp_ne_u32_e32 vcc, 0, v5
	s_andn2_b64 s[14:15], s[14:15], exec
	s_and_b64 s[20:21], vcc, exec
	s_or_b64 s[14:15], s[14:15], s[20:21]
	s_or_b64 exec, exec, s[16:17]
	v_mov_b32_e32 v6, 0
	s_and_saveexec_b64 s[16:17], s[14:15]
	s_cbranch_execnz .LBB87_996
	s_branch .LBB87_997
.LBB87_1262:
	s_mov_b64 s[0:1], -1
                                        ; implicit-def: $vgpr9_vgpr10
	s_mov_b64 s[6:7], 0
.LBB87_1263:
	s_and_b64 vcc, exec, s[12:13]
	s_cbranch_vccz .LBB87_1267
; %bb.1264:
	s_cmp_eq_u32 s15, 44
	s_cbranch_scc0 .LBB87_1266
; %bb.1265:
	global_load_ubyte v1, v[14:15], off
	s_mov_b32 s0, 0x2f800000
	s_mov_b32 s1, 0xcf800000
	s_mov_b64 s[6:7], -1
	s_waitcnt vmcnt(0)
	v_lshlrev_b32_e32 v3, 23, v1
	v_trunc_f32_e32 v3, v3
	v_mul_f32_e64 v5, |v3|, s0
	v_floor_f32_e32 v5, v5
	v_fma_f32 v9, v5, s1, |v3|
	v_cvt_u32_f32_e32 v9, v9
	v_cvt_u32_f32_e32 v5, v5
	v_ashrrev_i32_e32 v3, 31, v3
	s_mov_b64 s[0:1], 0
	v_xor_b32_e32 v9, v9, v3
	v_xor_b32_e32 v5, v5, v3
	v_sub_co_u32_e32 v9, vcc, v9, v3
	v_subb_co_u32_e32 v3, vcc, v5, v3, vcc
	v_cmp_ne_u32_e32 vcc, 0, v1
	v_cndmask_b32_e32 v10, 0, v3, vcc
	v_cndmask_b32_e32 v9, 0, v9, vcc
	s_branch .LBB87_1267
.LBB87_1266:
	s_mov_b64 s[0:1], -1
                                        ; implicit-def: $vgpr9_vgpr10
.LBB87_1267:
	s_mov_b64 s[12:13], 0
.LBB87_1268:
	s_and_b64 vcc, exec, s[12:13]
	s_cbranch_vccz .LBB87_1272
; %bb.1269:
	s_cmp_eq_u32 s15, 29
	s_cbranch_scc0 .LBB87_1271
; %bb.1270:
	global_load_dwordx2 v[9:10], v[14:15], off
	s_mov_b64 s[0:1], 0
	s_mov_b64 s[6:7], -1
	s_branch .LBB87_1272
.LBB87_1271:
	s_mov_b64 s[0:1], -1
                                        ; implicit-def: $vgpr9_vgpr10
.LBB87_1272:
	s_mov_b64 s[12:13], 0
.LBB87_1273:
	s_and_b64 vcc, exec, s[12:13]
	s_cbranch_vccz .LBB87_1291
; %bb.1274:
	s_cmp_lt_i32 s15, 27
	s_cbranch_scc1 .LBB87_1277
; %bb.1275:
	s_cmp_gt_i32 s15, 27
	s_cbranch_scc0 .LBB87_1278
; %bb.1276:
	global_load_dword v9, v[14:15], off
	s_waitcnt vmcnt(1)
	v_mov_b32_e32 v10, 0
	s_mov_b64 s[6:7], 0
	s_branch .LBB87_1279
.LBB87_1277:
	s_mov_b64 s[6:7], -1
                                        ; implicit-def: $vgpr9_vgpr10
	s_branch .LBB87_1282
.LBB87_1278:
	s_mov_b64 s[6:7], -1
                                        ; implicit-def: $vgpr9_vgpr10
.LBB87_1279:
	s_andn2_b64 vcc, exec, s[6:7]
	s_cbranch_vccnz .LBB87_1281
; %bb.1280:
	global_load_ushort v1, v[14:15], off
	s_mov_b32 s6, 0
	s_waitcnt vmcnt(1)
	v_mov_b32_e32 v10, s6
	s_waitcnt vmcnt(0)
	v_and_b32_e32 v9, 0xffff, v1
.LBB87_1281:
	s_mov_b64 s[6:7], 0
.LBB87_1282:
	s_andn2_b64 vcc, exec, s[6:7]
	s_cbranch_vccnz .LBB87_1290
; %bb.1283:
	global_load_ubyte v1, v[14:15], off
	s_movk_i32 s6, 0x7f
	s_mov_b64 s[12:13], 0
	s_waitcnt vmcnt(0)
	v_cmp_lt_i16_e32 vcc, s6, v1
	s_and_saveexec_b64 s[6:7], vcc
	s_xor_b64 s[6:7], exec, s[6:7]
; %bb.1284:
	s_movk_i32 s12, 0x80
	v_cmp_ne_u16_e32 vcc, s12, v1
	s_and_b64 s[12:13], vcc, exec
; %bb.1285:
	s_andn2_saveexec_b64 s[6:7], s[6:7]
; %bb.1286:
	v_cmp_ne_u16_e32 vcc, 0, v1
	s_andn2_b64 s[12:13], s[12:13], exec
	s_and_b64 s[16:17], vcc, exec
	s_or_b64 s[12:13], s[12:13], s[16:17]
; %bb.1287:
	s_or_b64 exec, exec, s[6:7]
	v_mov_b32_e32 v9, 0
	v_mov_b32_e32 v10, 0
	s_and_saveexec_b64 s[6:7], s[12:13]
	s_cbranch_execz .LBB87_1289
; %bb.1288:
	v_lshlrev_b32_e32 v3, 24, v1
	v_and_b32_e32 v1, 0xffff, v1
	v_and_b32_e32 v5, 7, v1
	v_ffbh_u32_e32 v10, v5
	v_min_u32_e32 v10, 32, v10
	v_subrev_u32_e32 v12, 28, v10
	v_bfe_u32 v9, v1, 3, 4
	v_lshlrev_b32_e32 v1, v12, v1
	v_sub_u32_e32 v10, 29, v10
	v_and_b32_e32 v1, 7, v1
	v_cmp_eq_u32_e32 vcc, 0, v9
	v_cndmask_b32_e32 v9, v9, v10, vcc
	v_cndmask_b32_e32 v1, v5, v1, vcc
	v_mov_b32_e32 v5, 0x3b800000
	v_lshlrev_b32_e32 v1, 20, v1
	v_and_b32_e32 v3, 0x80000000, v3
	v_lshl_add_u32 v5, v9, 23, v5
	v_or3_b32 v1, v3, v5, v1
	v_trunc_f32_e32 v1, v1
	s_mov_b32 s12, 0x2f800000
	v_mul_f32_e64 v3, |v1|, s12
	v_floor_f32_e32 v3, v3
	s_mov_b32 s12, 0xcf800000
	v_fma_f32 v5, v3, s12, |v1|
	v_cvt_u32_f32_e32 v5, v5
	v_cvt_u32_f32_e32 v3, v3
	v_ashrrev_i32_e32 v1, 31, v1
	v_xor_b32_e32 v5, v5, v1
	v_xor_b32_e32 v3, v3, v1
	v_sub_co_u32_e32 v9, vcc, v5, v1
	v_subb_co_u32_e32 v10, vcc, v3, v1, vcc
.LBB87_1289:
	s_or_b64 exec, exec, s[6:7]
.LBB87_1290:
	s_mov_b64 s[6:7], -1
.LBB87_1291:
	s_branch .LBB87_1320
.LBB87_1292:
	s_cmp_gt_i32 s15, 22
	s_cbranch_scc0 .LBB87_1302
; %bb.1293:
	s_cmp_lt_i32 s15, 24
	s_cbranch_scc1 .LBB87_1303
; %bb.1294:
	s_cmp_gt_i32 s15, 24
	s_cbranch_scc0 .LBB87_1304
; %bb.1295:
	global_load_ubyte v1, v[14:15], off
	s_movk_i32 s4, 0x7f
	s_mov_b64 s[6:7], 0
	s_waitcnt vmcnt(0)
	v_cmp_lt_i16_e32 vcc, s4, v1
	s_and_saveexec_b64 s[4:5], vcc
	s_xor_b64 s[4:5], exec, s[4:5]
; %bb.1296:
	s_movk_i32 s6, 0x80
	v_cmp_ne_u16_e32 vcc, s6, v1
	s_and_b64 s[6:7], vcc, exec
; %bb.1297:
	s_andn2_saveexec_b64 s[4:5], s[4:5]
; %bb.1298:
	v_cmp_ne_u16_e32 vcc, 0, v1
	s_andn2_b64 s[6:7], s[6:7], exec
	s_and_b64 s[12:13], vcc, exec
	s_or_b64 s[6:7], s[6:7], s[12:13]
; %bb.1299:
	s_or_b64 exec, exec, s[4:5]
	v_mov_b32_e32 v9, 0
	v_mov_b32_e32 v10, 0
	s_and_saveexec_b64 s[4:5], s[6:7]
	s_cbranch_execz .LBB87_1301
; %bb.1300:
	v_lshlrev_b32_e32 v3, 24, v1
	v_and_b32_e32 v1, 0xffff, v1
	v_and_b32_e32 v5, 3, v1
	v_ffbh_u32_e32 v10, v5
	v_min_u32_e32 v10, 32, v10
	v_subrev_u32_e32 v12, 29, v10
	v_bfe_u32 v9, v1, 2, 5
	v_lshlrev_b32_e32 v1, v12, v1
	v_sub_u32_e32 v10, 30, v10
	v_and_b32_e32 v1, 3, v1
	v_cmp_eq_u32_e32 vcc, 0, v9
	v_cndmask_b32_e32 v9, v9, v10, vcc
	v_cndmask_b32_e32 v1, v5, v1, vcc
	v_mov_b32_e32 v5, 0x37800000
	v_lshlrev_b32_e32 v1, 21, v1
	v_and_b32_e32 v3, 0x80000000, v3
	v_lshl_add_u32 v5, v9, 23, v5
	v_or3_b32 v1, v3, v5, v1
	v_trunc_f32_e32 v1, v1
	s_mov_b32 s6, 0x2f800000
	v_mul_f32_e64 v3, |v1|, s6
	v_floor_f32_e32 v3, v3
	s_mov_b32 s6, 0xcf800000
	v_fma_f32 v5, v3, s6, |v1|
	v_cvt_u32_f32_e32 v5, v5
	v_cvt_u32_f32_e32 v3, v3
	v_ashrrev_i32_e32 v1, 31, v1
	v_xor_b32_e32 v5, v5, v1
	v_xor_b32_e32 v3, v3, v1
	v_sub_co_u32_e32 v9, vcc, v5, v1
	v_subb_co_u32_e32 v10, vcc, v3, v1, vcc
.LBB87_1301:
	s_or_b64 exec, exec, s[4:5]
	s_mov_b64 s[4:5], 0
	s_branch .LBB87_1305
.LBB87_1302:
	s_mov_b64 s[4:5], -1
                                        ; implicit-def: $vgpr9_vgpr10
	s_branch .LBB87_1311
.LBB87_1303:
	s_mov_b64 s[4:5], -1
                                        ; implicit-def: $vgpr9_vgpr10
	s_branch .LBB87_1308
.LBB87_1304:
	s_mov_b64 s[4:5], -1
                                        ; implicit-def: $vgpr9_vgpr10
.LBB87_1305:
	s_and_b64 vcc, exec, s[4:5]
	s_cbranch_vccz .LBB87_1307
; %bb.1306:
	global_load_ubyte v1, v[14:15], off
	s_mov_b32 s4, 0x7f800000
	s_brev_b32 s5, 1
	s_mov_b32 s6, 0x2f800000
	s_mov_b32 s7, 0xcf800000
	s_waitcnt vmcnt(0)
	v_lshlrev_b32_e32 v1, 24, v1
	v_and_b32_e32 v3, 0x7f000000, v1
	v_ffbh_u32_e32 v5, v3
	v_min_u32_e32 v5, 32, v5
	v_sub_u32_e64 v5, v5, 4 clamp
	v_lshlrev_b32_e32 v10, v5, v3
	v_lshlrev_b32_e32 v5, 23, v5
	v_lshrrev_b32_e32 v10, 4, v10
	v_add_u32_e32 v9, 0x1000000, v3
	v_sub_u32_e32 v5, v10, v5
	v_ashrrev_i32_e32 v9, 8, v9
	v_add_u32_e32 v5, 0x3c000000, v5
	v_and_or_b32 v5, v9, s4, v5
	v_cmp_ne_u32_e32 vcc, 0, v3
	v_cndmask_b32_e32 v3, 0, v5, vcc
	v_and_or_b32 v1, v1, s5, v3
	v_trunc_f32_e32 v1, v1
	v_mul_f32_e64 v3, |v1|, s6
	v_floor_f32_e32 v3, v3
	v_fma_f32 v5, v3, s7, |v1|
	v_cvt_u32_f32_e32 v5, v5
	v_cvt_u32_f32_e32 v3, v3
	v_ashrrev_i32_e32 v1, 31, v1
	v_xor_b32_e32 v5, v5, v1
	v_xor_b32_e32 v3, v3, v1
	v_sub_co_u32_e32 v9, vcc, v5, v1
	v_subb_co_u32_e32 v10, vcc, v3, v1, vcc
.LBB87_1307:
	s_mov_b64 s[4:5], 0
.LBB87_1308:
	s_andn2_b64 vcc, exec, s[4:5]
	s_cbranch_vccnz .LBB87_1310
; %bb.1309:
	global_load_ubyte v1, v[14:15], off
	s_movk_i32 s4, 0x7f00
	s_brev_b32 s5, 16
	s_brev_b32 s6, 1
	s_mov_b32 s7, 0x2f800000
	s_mov_b32 s12, 0xcf800000
	s_waitcnt vmcnt(0)
	v_lshlrev_b16_e32 v3, 8, v1
	v_lshlrev_b32_e32 v1, 25, v1
	v_lshrrev_b32_e32 v5, 4, v1
	v_and_or_b32 v9, v3, s4, 0.5
	v_or_b32_e32 v5, 0x70000000, v5
	v_add_f32_e32 v9, -0.5, v9
	v_mul_f32_e32 v5, 0x7800000, v5
	v_cmp_gt_u32_e32 vcc, s5, v1
	v_bfe_i32 v3, v3, 0, 16
	v_cndmask_b32_e32 v1, v5, v9, vcc
	v_and_or_b32 v1, v3, s6, v1
	v_trunc_f32_e32 v1, v1
	v_mul_f32_e64 v3, |v1|, s7
	v_floor_f32_e32 v3, v3
	v_fma_f32 v5, v3, s12, |v1|
	v_cvt_u32_f32_e32 v5, v5
	v_cvt_u32_f32_e32 v3, v3
	v_ashrrev_i32_e32 v1, 31, v1
	v_xor_b32_e32 v5, v5, v1
	v_xor_b32_e32 v3, v3, v1
	v_sub_co_u32_e32 v9, vcc, v5, v1
	v_subb_co_u32_e32 v10, vcc, v3, v1, vcc
.LBB87_1310:
	s_mov_b64 s[4:5], 0
	s_mov_b64 s[6:7], -1
.LBB87_1311:
	s_andn2_b64 vcc, exec, s[4:5]
	s_mov_b64 s[4:5], 0
	s_cbranch_vccnz .LBB87_1320
; %bb.1312:
	s_cmp_gt_i32 s15, 14
	s_cbranch_scc0 .LBB87_1315
; %bb.1313:
	s_cmp_eq_u32 s15, 15
	s_cbranch_scc0 .LBB87_1316
; %bb.1314:
	global_load_ushort v1, v[14:15], off
	s_mov_b32 s0, 0x2f800000
	s_mov_b32 s1, 0xcf800000
	s_mov_b64 s[6:7], -1
	s_waitcnt vmcnt(0)
	v_lshlrev_b32_e32 v1, 16, v1
	v_trunc_f32_e32 v1, v1
	v_mul_f32_e64 v3, |v1|, s0
	v_floor_f32_e32 v3, v3
	v_fma_f32 v5, v3, s1, |v1|
	v_cvt_u32_f32_e32 v5, v5
	v_cvt_u32_f32_e32 v3, v3
	v_ashrrev_i32_e32 v1, 31, v1
	s_mov_b64 s[0:1], 0
	v_xor_b32_e32 v5, v5, v1
	v_xor_b32_e32 v3, v3, v1
	v_sub_co_u32_e32 v9, vcc, v5, v1
	v_subb_co_u32_e32 v10, vcc, v3, v1, vcc
	s_branch .LBB87_1317
.LBB87_1315:
	s_mov_b64 s[12:13], -1
                                        ; implicit-def: $vgpr9_vgpr10
	s_branch .LBB87_1318
.LBB87_1316:
	s_mov_b64 s[0:1], -1
                                        ; implicit-def: $vgpr9_vgpr10
.LBB87_1317:
	s_mov_b64 s[12:13], 0
.LBB87_1318:
	s_and_b64 vcc, exec, s[12:13]
	s_cbranch_vccz .LBB87_1320
; %bb.1319:
	s_cmp_lg_u32 s15, 11
	s_mov_b64 s[4:5], -1
	s_cselect_b64 s[0:1], -1, 0
.LBB87_1320:
	s_and_b64 vcc, exec, s[0:1]
	s_cbranch_vccnz .LBB87_1383
; %bb.1321:
	s_andn2_b64 vcc, exec, s[4:5]
	s_cbranch_vccnz .LBB87_1323
.LBB87_1322:
	global_load_ubyte v1, v[14:15], off
	s_mov_b32 s0, 0
	s_waitcnt vmcnt(1)
	v_mov_b32_e32 v10, s0
	s_mov_b64 s[6:7], -1
	s_waitcnt vmcnt(0)
	v_cmp_ne_u16_e32 vcc, 0, v1
	v_cndmask_b32_e64 v9, 0, 1, vcc
.LBB87_1323:
	s_branch .LBB87_1254
.LBB87_1324:
	s_and_b32 s4, 0xffff, s14
	s_cmp_lt_i32 s4, 5
	s_cbranch_scc1 .LBB87_1329
; %bb.1325:
	s_cmp_lt_i32 s4, 8
	s_cbranch_scc1 .LBB87_1330
; %bb.1326:
	;; [unrolled: 3-line block ×3, first 2 shown]
	s_cmp_gt_i32 s4, 9
	s_cbranch_scc0 .LBB87_1332
; %bb.1328:
	global_load_dwordx2 v[9:10], v[14:15], off
	s_movk_i32 s0, 0xffe0
	s_waitcnt vmcnt(0)
	v_trunc_f64_e32 v[9:10], v[9:10]
	v_ldexp_f64 v[16:17], v[9:10], s0
	s_mov_b32 s0, 0
	s_mov_b32 s1, 0xc1f00000
	v_floor_f64_e32 v[16:17], v[16:17]
	v_fma_f64 v[18:19], v[16:17], s[0:1], v[9:10]
	v_cvt_i32_f64_e32 v10, v[16:17]
	s_mov_b64 s[0:1], 0
	v_cvt_u32_f64_e32 v9, v[18:19]
	s_branch .LBB87_1333
.LBB87_1329:
                                        ; implicit-def: $vgpr9_vgpr10
	s_branch .LBB87_1351
.LBB87_1330:
	s_mov_b64 s[0:1], -1
                                        ; implicit-def: $vgpr9_vgpr10
	s_branch .LBB87_1339
.LBB87_1331:
	s_mov_b64 s[0:1], -1
                                        ; implicit-def: $vgpr9_vgpr10
	s_branch .LBB87_1336
.LBB87_1332:
	s_mov_b64 s[0:1], -1
                                        ; implicit-def: $vgpr9_vgpr10
.LBB87_1333:
	s_andn2_b64 vcc, exec, s[0:1]
	s_cbranch_vccnz .LBB87_1335
; %bb.1334:
	global_load_dword v1, v[14:15], off
	s_mov_b32 s0, 0x2f800000
	s_mov_b32 s1, 0xcf800000
	s_waitcnt vmcnt(0)
	v_trunc_f32_e32 v1, v1
	v_mul_f32_e64 v3, |v1|, s0
	v_floor_f32_e32 v3, v3
	v_cvt_u32_f32_e32 v5, v3
	v_fma_f32 v3, v3, s1, |v1|
	v_cvt_u32_f32_e32 v3, v3
	v_ashrrev_i32_e32 v1, 31, v1
	v_xor_b32_e32 v5, v5, v1
	v_xor_b32_e32 v3, v3, v1
	v_sub_co_u32_e32 v9, vcc, v3, v1
	v_subb_co_u32_e32 v10, vcc, v5, v1, vcc
.LBB87_1335:
	s_mov_b64 s[0:1], 0
.LBB87_1336:
	s_andn2_b64 vcc, exec, s[0:1]
	s_cbranch_vccnz .LBB87_1338
; %bb.1337:
	global_load_dword v1, v[14:15], off
	s_waitcnt vmcnt(0)
	v_cvt_f32_f16_e32 v1, v1
	v_cvt_i32_f32_e32 v9, v1
	v_ashrrev_i32_e32 v10, 31, v9
.LBB87_1338:
	s_mov_b64 s[0:1], 0
.LBB87_1339:
	s_andn2_b64 vcc, exec, s[0:1]
	s_cbranch_vccnz .LBB87_1350
; %bb.1340:
	s_cmp_lt_i32 s4, 6
	s_cbranch_scc1 .LBB87_1343
; %bb.1341:
	s_cmp_gt_i32 s4, 6
	s_cbranch_scc0 .LBB87_1344
; %bb.1342:
	global_load_dwordx2 v[9:10], v[14:15], off
	s_movk_i32 s0, 0xffe0
	s_waitcnt vmcnt(0)
	v_trunc_f64_e32 v[9:10], v[9:10]
	v_ldexp_f64 v[16:17], v[9:10], s0
	s_mov_b32 s0, 0
	s_mov_b32 s1, 0xc1f00000
	v_floor_f64_e32 v[16:17], v[16:17]
	v_fma_f64 v[18:19], v[16:17], s[0:1], v[9:10]
	v_cvt_i32_f64_e32 v10, v[16:17]
	s_mov_b64 s[0:1], 0
	v_cvt_u32_f64_e32 v9, v[18:19]
	s_branch .LBB87_1345
.LBB87_1343:
	s_mov_b64 s[0:1], -1
                                        ; implicit-def: $vgpr9_vgpr10
	s_branch .LBB87_1348
.LBB87_1344:
	s_mov_b64 s[0:1], -1
                                        ; implicit-def: $vgpr9_vgpr10
.LBB87_1345:
	s_andn2_b64 vcc, exec, s[0:1]
	s_cbranch_vccnz .LBB87_1347
; %bb.1346:
	global_load_dword v1, v[14:15], off
	s_mov_b32 s0, 0x2f800000
	s_mov_b32 s1, 0xcf800000
	s_waitcnt vmcnt(0)
	v_trunc_f32_e32 v1, v1
	v_mul_f32_e64 v3, |v1|, s0
	v_floor_f32_e32 v3, v3
	v_cvt_u32_f32_e32 v5, v3
	v_fma_f32 v3, v3, s1, |v1|
	v_cvt_u32_f32_e32 v3, v3
	v_ashrrev_i32_e32 v1, 31, v1
	v_xor_b32_e32 v5, v5, v1
	v_xor_b32_e32 v3, v3, v1
	v_sub_co_u32_e32 v9, vcc, v3, v1
	v_subb_co_u32_e32 v10, vcc, v5, v1, vcc
.LBB87_1347:
	s_mov_b64 s[0:1], 0
.LBB87_1348:
	s_andn2_b64 vcc, exec, s[0:1]
	s_cbranch_vccnz .LBB87_1350
; %bb.1349:
	global_load_ushort v1, v[14:15], off
	s_waitcnt vmcnt(0)
	v_cvt_f32_f16_e32 v1, v1
	v_cvt_i32_f32_e32 v9, v1
	v_ashrrev_i32_e32 v10, 31, v9
.LBB87_1350:
	s_cbranch_execnz .LBB87_1370
.LBB87_1351:
	s_cmp_lt_i32 s4, 2
	s_cbranch_scc1 .LBB87_1355
; %bb.1352:
	s_cmp_lt_i32 s4, 3
	s_cbranch_scc1 .LBB87_1356
; %bb.1353:
	s_cmp_gt_i32 s4, 3
	s_cbranch_scc0 .LBB87_1357
; %bb.1354:
	global_load_dwordx2 v[9:10], v[14:15], off
	s_mov_b64 s[0:1], 0
	s_branch .LBB87_1358
.LBB87_1355:
	s_mov_b64 s[0:1], -1
                                        ; implicit-def: $vgpr9_vgpr10
	s_branch .LBB87_1364
.LBB87_1356:
	s_mov_b64 s[0:1], -1
                                        ; implicit-def: $vgpr9_vgpr10
	s_branch .LBB87_1361
.LBB87_1357:
	s_mov_b64 s[0:1], -1
                                        ; implicit-def: $vgpr9_vgpr10
.LBB87_1358:
	s_andn2_b64 vcc, exec, s[0:1]
	s_cbranch_vccnz .LBB87_1360
; %bb.1359:
	global_load_dword v9, v[14:15], off
	s_waitcnt vmcnt(0)
	v_ashrrev_i32_e32 v10, 31, v9
.LBB87_1360:
	s_mov_b64 s[0:1], 0
.LBB87_1361:
	s_andn2_b64 vcc, exec, s[0:1]
	s_cbranch_vccnz .LBB87_1363
; %bb.1362:
	global_load_ushort v1, v[14:15], off
	s_waitcnt vmcnt(0)
	v_bfe_i32 v9, v1, 0, 16
	v_ashrrev_i32_e32 v10, 31, v9
.LBB87_1363:
	s_mov_b64 s[0:1], 0
.LBB87_1364:
	s_andn2_b64 vcc, exec, s[0:1]
	s_cbranch_vccnz .LBB87_1370
; %bb.1365:
	s_cmp_gt_i32 s4, 0
	s_cbranch_scc0 .LBB87_1367
; %bb.1366:
	global_load_sbyte v1, v[14:15], off
	s_mov_b64 s[0:1], 0
	s_waitcnt vmcnt(0)
	v_bfe_i32 v9, v1, 0, 16
	v_ashrrev_i32_e32 v10, 31, v9
	s_branch .LBB87_1368
.LBB87_1367:
	s_mov_b64 s[0:1], -1
                                        ; implicit-def: $vgpr9_vgpr10
.LBB87_1368:
	s_andn2_b64 vcc, exec, s[0:1]
	s_cbranch_vccnz .LBB87_1370
; %bb.1369:
	global_load_ubyte v1, v[14:15], off
	s_mov_b32 s0, 0
	s_waitcnt vmcnt(1)
	v_mov_b32_e32 v10, s0
	s_waitcnt vmcnt(0)
	v_and_b32_e32 v9, 0xffff, v1
.LBB87_1370:
.LBB87_1371:
	v_mov_b32_e32 v1, s11
	v_add_co_u32_e32 v14, vcc, s10, v11
	s_cmp_lt_i32 s14, 11
	v_addc_co_u32_e32 v15, vcc, 0, v1, vcc
	s_cbranch_scc1 .LBB87_1378
; %bb.1372:
	s_and_b32 s15, 0xffff, s14
	s_cmp_gt_i32 s15, 25
	s_mov_b64 s[4:5], 0
	s_cbranch_scc0 .LBB87_1380
; %bb.1373:
	s_cmp_gt_i32 s15, 28
	s_cbranch_scc0 .LBB87_1381
; %bb.1374:
	s_cmp_gt_i32 s15, 43
	;; [unrolled: 3-line block ×3, first 2 shown]
	s_cbranch_scc0 .LBB87_1384
; %bb.1376:
	s_cmp_eq_u32 s15, 46
	s_mov_b64 s[12:13], 0
	s_cbranch_scc0 .LBB87_1385
; %bb.1377:
	global_load_dword v1, v[14:15], off
	s_mov_b32 s0, 0x2f800000
	s_mov_b32 s1, 0xcf800000
	s_mov_b64 s[6:7], -1
	s_waitcnt vmcnt(0)
	v_lshlrev_b32_e32 v1, 16, v1
	v_trunc_f32_e32 v1, v1
	v_mul_f32_e64 v3, |v1|, s0
	v_floor_f32_e32 v3, v3
	v_fma_f32 v5, v3, s1, |v1|
	v_cvt_u32_f32_e32 v5, v5
	v_cvt_u32_f32_e32 v3, v3
	v_ashrrev_i32_e32 v1, 31, v1
	s_mov_b64 s[0:1], 0
	v_xor_b32_e32 v5, v5, v1
	v_xor_b32_e32 v3, v3, v1
	v_sub_co_u32_e32 v11, vcc, v5, v1
	v_subb_co_u32_e32 v12, vcc, v3, v1, vcc
	s_branch .LBB87_1386
.LBB87_1378:
	s_mov_b64 s[6:7], 0
                                        ; implicit-def: $vgpr11_vgpr12
	s_cbranch_execnz .LBB87_1448
.LBB87_1379:
	s_andn2_b64 vcc, exec, s[6:7]
	s_cbranch_vccnz .LBB87_2055
	s_branch .LBB87_1496
.LBB87_1380:
	s_mov_b64 s[12:13], -1
	s_mov_b64 s[6:7], 0
	s_mov_b64 s[0:1], 0
                                        ; implicit-def: $vgpr11_vgpr12
	s_branch .LBB87_1415
.LBB87_1381:
	s_mov_b64 s[12:13], -1
	s_mov_b64 s[6:7], 0
	s_mov_b64 s[0:1], 0
                                        ; implicit-def: $vgpr11_vgpr12
	s_branch .LBB87_1396
.LBB87_1382:
	s_mov_b64 s[12:13], -1
	s_mov_b64 s[6:7], 0
	s_mov_b64 s[0:1], 0
                                        ; implicit-def: $vgpr11_vgpr12
	s_branch .LBB87_1391
.LBB87_1383:
	s_trap 2
	s_or_b64 s[2:3], s[2:3], exec
	s_cbranch_execz .LBB87_1322
	s_branch .LBB87_1323
.LBB87_1384:
	s_mov_b64 s[12:13], -1
	s_mov_b64 s[6:7], 0
	s_mov_b64 s[0:1], 0
                                        ; implicit-def: $vgpr11_vgpr12
	s_branch .LBB87_1386
.LBB87_1385:
	s_mov_b64 s[0:1], -1
                                        ; implicit-def: $vgpr11_vgpr12
	s_mov_b64 s[6:7], 0
.LBB87_1386:
	s_and_b64 vcc, exec, s[12:13]
	s_cbranch_vccz .LBB87_1390
; %bb.1387:
	s_cmp_eq_u32 s15, 44
	s_cbranch_scc0 .LBB87_1389
; %bb.1388:
	global_load_ubyte v1, v[14:15], off
	s_mov_b32 s0, 0x2f800000
	s_mov_b32 s1, 0xcf800000
	s_mov_b64 s[6:7], -1
	s_waitcnt vmcnt(0)
	v_lshlrev_b32_e32 v3, 23, v1
	v_trunc_f32_e32 v3, v3
	v_mul_f32_e64 v5, |v3|, s0
	v_floor_f32_e32 v5, v5
	v_fma_f32 v11, v5, s1, |v3|
	v_cvt_u32_f32_e32 v11, v11
	v_cvt_u32_f32_e32 v5, v5
	v_ashrrev_i32_e32 v3, 31, v3
	s_mov_b64 s[0:1], 0
	v_xor_b32_e32 v11, v11, v3
	v_xor_b32_e32 v5, v5, v3
	v_sub_co_u32_e32 v11, vcc, v11, v3
	v_subb_co_u32_e32 v3, vcc, v5, v3, vcc
	v_cmp_ne_u32_e32 vcc, 0, v1
	v_cndmask_b32_e32 v12, 0, v3, vcc
	v_cndmask_b32_e32 v11, 0, v11, vcc
	s_branch .LBB87_1390
.LBB87_1389:
	s_mov_b64 s[0:1], -1
                                        ; implicit-def: $vgpr11_vgpr12
.LBB87_1390:
	s_mov_b64 s[12:13], 0
.LBB87_1391:
	s_and_b64 vcc, exec, s[12:13]
	s_cbranch_vccz .LBB87_1395
; %bb.1392:
	s_cmp_eq_u32 s15, 29
	s_cbranch_scc0 .LBB87_1394
; %bb.1393:
	global_load_dwordx2 v[11:12], v[14:15], off
	s_mov_b64 s[0:1], 0
	s_mov_b64 s[6:7], -1
	s_branch .LBB87_1395
.LBB87_1394:
	s_mov_b64 s[0:1], -1
                                        ; implicit-def: $vgpr11_vgpr12
.LBB87_1395:
	s_mov_b64 s[12:13], 0
.LBB87_1396:
	s_and_b64 vcc, exec, s[12:13]
	s_cbranch_vccz .LBB87_1414
; %bb.1397:
	s_cmp_lt_i32 s15, 27
	s_cbranch_scc1 .LBB87_1400
; %bb.1398:
	s_cmp_gt_i32 s15, 27
	s_cbranch_scc0 .LBB87_1401
; %bb.1399:
	global_load_dword v11, v[14:15], off
	s_waitcnt vmcnt(1)
	v_mov_b32_e32 v12, 0
	s_mov_b64 s[6:7], 0
	s_branch .LBB87_1402
.LBB87_1400:
	s_mov_b64 s[6:7], -1
                                        ; implicit-def: $vgpr11_vgpr12
	s_branch .LBB87_1405
.LBB87_1401:
	s_mov_b64 s[6:7], -1
                                        ; implicit-def: $vgpr11_vgpr12
.LBB87_1402:
	s_andn2_b64 vcc, exec, s[6:7]
	s_cbranch_vccnz .LBB87_1404
; %bb.1403:
	global_load_ushort v1, v[14:15], off
	s_mov_b32 s6, 0
	s_waitcnt vmcnt(1)
	v_mov_b32_e32 v12, s6
	s_waitcnt vmcnt(0)
	v_and_b32_e32 v11, 0xffff, v1
.LBB87_1404:
	s_mov_b64 s[6:7], 0
.LBB87_1405:
	s_andn2_b64 vcc, exec, s[6:7]
	s_cbranch_vccnz .LBB87_1413
; %bb.1406:
	global_load_ubyte v1, v[14:15], off
	s_movk_i32 s6, 0x7f
	s_mov_b64 s[12:13], 0
	s_waitcnt vmcnt(0)
	v_cmp_lt_i16_e32 vcc, s6, v1
	s_and_saveexec_b64 s[6:7], vcc
	s_xor_b64 s[6:7], exec, s[6:7]
; %bb.1407:
	s_movk_i32 s12, 0x80
	v_cmp_ne_u16_e32 vcc, s12, v1
	s_and_b64 s[12:13], vcc, exec
; %bb.1408:
	s_andn2_saveexec_b64 s[6:7], s[6:7]
; %bb.1409:
	v_cmp_ne_u16_e32 vcc, 0, v1
	s_andn2_b64 s[12:13], s[12:13], exec
	s_and_b64 s[16:17], vcc, exec
	s_or_b64 s[12:13], s[12:13], s[16:17]
; %bb.1410:
	s_or_b64 exec, exec, s[6:7]
	v_mov_b32_e32 v11, 0
	v_mov_b32_e32 v12, 0
	s_and_saveexec_b64 s[6:7], s[12:13]
	s_cbranch_execz .LBB87_1412
; %bb.1411:
	v_lshlrev_b32_e32 v3, 24, v1
	v_and_b32_e32 v1, 0xffff, v1
	v_and_b32_e32 v5, 7, v1
	v_ffbh_u32_e32 v12, v5
	v_min_u32_e32 v12, 32, v12
	v_subrev_u32_e32 v16, 28, v12
	v_bfe_u32 v11, v1, 3, 4
	v_lshlrev_b32_e32 v1, v16, v1
	v_sub_u32_e32 v12, 29, v12
	v_and_b32_e32 v1, 7, v1
	v_cmp_eq_u32_e32 vcc, 0, v11
	v_cndmask_b32_e32 v11, v11, v12, vcc
	v_cndmask_b32_e32 v1, v5, v1, vcc
	v_mov_b32_e32 v5, 0x3b800000
	v_lshlrev_b32_e32 v1, 20, v1
	v_and_b32_e32 v3, 0x80000000, v3
	v_lshl_add_u32 v5, v11, 23, v5
	v_or3_b32 v1, v3, v5, v1
	v_trunc_f32_e32 v1, v1
	s_mov_b32 s12, 0x2f800000
	v_mul_f32_e64 v3, |v1|, s12
	v_floor_f32_e32 v3, v3
	s_mov_b32 s12, 0xcf800000
	v_fma_f32 v5, v3, s12, |v1|
	v_cvt_u32_f32_e32 v5, v5
	v_cvt_u32_f32_e32 v3, v3
	v_ashrrev_i32_e32 v1, 31, v1
	v_xor_b32_e32 v5, v5, v1
	v_xor_b32_e32 v3, v3, v1
	v_sub_co_u32_e32 v11, vcc, v5, v1
	v_subb_co_u32_e32 v12, vcc, v3, v1, vcc
.LBB87_1412:
	s_or_b64 exec, exec, s[6:7]
.LBB87_1413:
	s_mov_b64 s[6:7], -1
.LBB87_1414:
	s_mov_b64 s[12:13], 0
.LBB87_1415:
	s_and_b64 vcc, exec, s[12:13]
	s_cbranch_vccz .LBB87_1444
; %bb.1416:
	s_cmp_gt_i32 s15, 22
	s_cbranch_scc0 .LBB87_1426
; %bb.1417:
	s_cmp_lt_i32 s15, 24
	s_cbranch_scc1 .LBB87_1427
; %bb.1418:
	s_cmp_gt_i32 s15, 24
	s_cbranch_scc0 .LBB87_1428
; %bb.1419:
	global_load_ubyte v1, v[14:15], off
	s_movk_i32 s4, 0x7f
	s_mov_b64 s[6:7], 0
	s_waitcnt vmcnt(0)
	v_cmp_lt_i16_e32 vcc, s4, v1
	s_and_saveexec_b64 s[4:5], vcc
	s_xor_b64 s[4:5], exec, s[4:5]
; %bb.1420:
	s_movk_i32 s6, 0x80
	v_cmp_ne_u16_e32 vcc, s6, v1
	s_and_b64 s[6:7], vcc, exec
; %bb.1421:
	s_andn2_saveexec_b64 s[4:5], s[4:5]
; %bb.1422:
	v_cmp_ne_u16_e32 vcc, 0, v1
	s_andn2_b64 s[6:7], s[6:7], exec
	s_and_b64 s[12:13], vcc, exec
	s_or_b64 s[6:7], s[6:7], s[12:13]
; %bb.1423:
	s_or_b64 exec, exec, s[4:5]
	v_mov_b32_e32 v11, 0
	v_mov_b32_e32 v12, 0
	s_and_saveexec_b64 s[4:5], s[6:7]
	s_cbranch_execz .LBB87_1425
; %bb.1424:
	v_lshlrev_b32_e32 v3, 24, v1
	v_and_b32_e32 v1, 0xffff, v1
	v_and_b32_e32 v5, 3, v1
	v_ffbh_u32_e32 v12, v5
	v_min_u32_e32 v12, 32, v12
	v_subrev_u32_e32 v16, 29, v12
	v_bfe_u32 v11, v1, 2, 5
	v_lshlrev_b32_e32 v1, v16, v1
	v_sub_u32_e32 v12, 30, v12
	v_and_b32_e32 v1, 3, v1
	v_cmp_eq_u32_e32 vcc, 0, v11
	v_cndmask_b32_e32 v11, v11, v12, vcc
	v_cndmask_b32_e32 v1, v5, v1, vcc
	v_mov_b32_e32 v5, 0x37800000
	v_lshlrev_b32_e32 v1, 21, v1
	v_and_b32_e32 v3, 0x80000000, v3
	v_lshl_add_u32 v5, v11, 23, v5
	v_or3_b32 v1, v3, v5, v1
	v_trunc_f32_e32 v1, v1
	s_mov_b32 s6, 0x2f800000
	v_mul_f32_e64 v3, |v1|, s6
	v_floor_f32_e32 v3, v3
	s_mov_b32 s6, 0xcf800000
	v_fma_f32 v5, v3, s6, |v1|
	v_cvt_u32_f32_e32 v5, v5
	v_cvt_u32_f32_e32 v3, v3
	v_ashrrev_i32_e32 v1, 31, v1
	v_xor_b32_e32 v5, v5, v1
	v_xor_b32_e32 v3, v3, v1
	v_sub_co_u32_e32 v11, vcc, v5, v1
	v_subb_co_u32_e32 v12, vcc, v3, v1, vcc
.LBB87_1425:
	s_or_b64 exec, exec, s[4:5]
	s_mov_b64 s[4:5], 0
	s_branch .LBB87_1429
.LBB87_1426:
	s_mov_b64 s[4:5], -1
                                        ; implicit-def: $vgpr11_vgpr12
	s_branch .LBB87_1435
.LBB87_1427:
	s_mov_b64 s[4:5], -1
                                        ; implicit-def: $vgpr11_vgpr12
	s_branch .LBB87_1432
.LBB87_1428:
	s_mov_b64 s[4:5], -1
                                        ; implicit-def: $vgpr11_vgpr12
.LBB87_1429:
	s_and_b64 vcc, exec, s[4:5]
	s_cbranch_vccz .LBB87_1431
; %bb.1430:
	global_load_ubyte v1, v[14:15], off
	s_mov_b32 s4, 0x7f800000
	s_brev_b32 s5, 1
	s_mov_b32 s6, 0x2f800000
	s_mov_b32 s7, 0xcf800000
	s_waitcnt vmcnt(0)
	v_lshlrev_b32_e32 v1, 24, v1
	v_and_b32_e32 v3, 0x7f000000, v1
	v_ffbh_u32_e32 v5, v3
	v_min_u32_e32 v5, 32, v5
	v_sub_u32_e64 v5, v5, 4 clamp
	v_lshlrev_b32_e32 v12, v5, v3
	v_lshlrev_b32_e32 v5, 23, v5
	v_lshrrev_b32_e32 v12, 4, v12
	v_add_u32_e32 v11, 0x1000000, v3
	v_sub_u32_e32 v5, v12, v5
	v_ashrrev_i32_e32 v11, 8, v11
	v_add_u32_e32 v5, 0x3c000000, v5
	v_and_or_b32 v5, v11, s4, v5
	v_cmp_ne_u32_e32 vcc, 0, v3
	v_cndmask_b32_e32 v3, 0, v5, vcc
	v_and_or_b32 v1, v1, s5, v3
	v_trunc_f32_e32 v1, v1
	v_mul_f32_e64 v3, |v1|, s6
	v_floor_f32_e32 v3, v3
	v_fma_f32 v5, v3, s7, |v1|
	v_cvt_u32_f32_e32 v5, v5
	v_cvt_u32_f32_e32 v3, v3
	v_ashrrev_i32_e32 v1, 31, v1
	v_xor_b32_e32 v5, v5, v1
	v_xor_b32_e32 v3, v3, v1
	v_sub_co_u32_e32 v11, vcc, v5, v1
	v_subb_co_u32_e32 v12, vcc, v3, v1, vcc
.LBB87_1431:
	s_mov_b64 s[4:5], 0
.LBB87_1432:
	s_andn2_b64 vcc, exec, s[4:5]
	s_cbranch_vccnz .LBB87_1434
; %bb.1433:
	global_load_ubyte v1, v[14:15], off
	s_movk_i32 s4, 0x7f00
	s_brev_b32 s5, 16
	s_brev_b32 s6, 1
	s_mov_b32 s7, 0x2f800000
	s_mov_b32 s12, 0xcf800000
	s_waitcnt vmcnt(0)
	v_lshlrev_b16_e32 v3, 8, v1
	v_lshlrev_b32_e32 v1, 25, v1
	v_lshrrev_b32_e32 v5, 4, v1
	v_and_or_b32 v11, v3, s4, 0.5
	v_or_b32_e32 v5, 0x70000000, v5
	v_add_f32_e32 v11, -0.5, v11
	v_mul_f32_e32 v5, 0x7800000, v5
	v_cmp_gt_u32_e32 vcc, s5, v1
	v_bfe_i32 v3, v3, 0, 16
	v_cndmask_b32_e32 v1, v5, v11, vcc
	v_and_or_b32 v1, v3, s6, v1
	v_trunc_f32_e32 v1, v1
	v_mul_f32_e64 v3, |v1|, s7
	v_floor_f32_e32 v3, v3
	v_fma_f32 v5, v3, s12, |v1|
	v_cvt_u32_f32_e32 v5, v5
	v_cvt_u32_f32_e32 v3, v3
	v_ashrrev_i32_e32 v1, 31, v1
	v_xor_b32_e32 v5, v5, v1
	v_xor_b32_e32 v3, v3, v1
	v_sub_co_u32_e32 v11, vcc, v5, v1
	v_subb_co_u32_e32 v12, vcc, v3, v1, vcc
.LBB87_1434:
	s_mov_b64 s[4:5], 0
	s_mov_b64 s[6:7], -1
.LBB87_1435:
	s_andn2_b64 vcc, exec, s[4:5]
	s_mov_b64 s[4:5], 0
	s_cbranch_vccnz .LBB87_1444
; %bb.1436:
	s_cmp_gt_i32 s15, 14
	s_cbranch_scc0 .LBB87_1439
; %bb.1437:
	s_cmp_eq_u32 s15, 15
	s_cbranch_scc0 .LBB87_1440
; %bb.1438:
	global_load_ushort v1, v[14:15], off
	s_mov_b32 s0, 0x2f800000
	s_mov_b32 s1, 0xcf800000
	s_mov_b64 s[6:7], -1
	s_waitcnt vmcnt(0)
	v_lshlrev_b32_e32 v1, 16, v1
	v_trunc_f32_e32 v1, v1
	v_mul_f32_e64 v3, |v1|, s0
	v_floor_f32_e32 v3, v3
	v_fma_f32 v5, v3, s1, |v1|
	v_cvt_u32_f32_e32 v5, v5
	v_cvt_u32_f32_e32 v3, v3
	v_ashrrev_i32_e32 v1, 31, v1
	s_mov_b64 s[0:1], 0
	v_xor_b32_e32 v5, v5, v1
	v_xor_b32_e32 v3, v3, v1
	v_sub_co_u32_e32 v11, vcc, v5, v1
	v_subb_co_u32_e32 v12, vcc, v3, v1, vcc
	s_branch .LBB87_1441
.LBB87_1439:
	s_mov_b64 s[12:13], -1
                                        ; implicit-def: $vgpr11_vgpr12
	s_branch .LBB87_1442
.LBB87_1440:
	s_mov_b64 s[0:1], -1
                                        ; implicit-def: $vgpr11_vgpr12
.LBB87_1441:
	s_mov_b64 s[12:13], 0
.LBB87_1442:
	s_and_b64 vcc, exec, s[12:13]
	s_cbranch_vccz .LBB87_1444
; %bb.1443:
	s_cmp_lg_u32 s15, 11
	s_mov_b64 s[4:5], -1
	s_cselect_b64 s[0:1], -1, 0
.LBB87_1444:
	s_and_b64 vcc, exec, s[0:1]
	s_cbranch_vccnz .LBB87_1507
; %bb.1445:
	s_andn2_b64 vcc, exec, s[4:5]
	s_cbranch_vccnz .LBB87_1447
.LBB87_1446:
	global_load_ubyte v1, v[14:15], off
	s_mov_b32 s0, 0
	s_waitcnt vmcnt(1)
	v_mov_b32_e32 v12, s0
	s_mov_b64 s[6:7], -1
	s_waitcnt vmcnt(0)
	v_cmp_ne_u16_e32 vcc, 0, v1
	v_cndmask_b32_e64 v11, 0, 1, vcc
.LBB87_1447:
	s_branch .LBB87_1379
.LBB87_1448:
	s_and_b32 s4, 0xffff, s14
	s_cmp_lt_i32 s4, 5
	s_cbranch_scc1 .LBB87_1453
; %bb.1449:
	s_cmp_lt_i32 s4, 8
	s_cbranch_scc1 .LBB87_1454
; %bb.1450:
	;; [unrolled: 3-line block ×3, first 2 shown]
	s_cmp_gt_i32 s4, 9
	s_cbranch_scc0 .LBB87_1456
; %bb.1452:
	global_load_dwordx2 v[11:12], v[14:15], off
	s_movk_i32 s0, 0xffe0
	s_waitcnt vmcnt(0)
	v_trunc_f64_e32 v[11:12], v[11:12]
	v_ldexp_f64 v[16:17], v[11:12], s0
	s_mov_b32 s0, 0
	s_mov_b32 s1, 0xc1f00000
	v_floor_f64_e32 v[16:17], v[16:17]
	v_fma_f64 v[18:19], v[16:17], s[0:1], v[11:12]
	v_cvt_i32_f64_e32 v12, v[16:17]
	s_mov_b64 s[0:1], 0
	v_cvt_u32_f64_e32 v11, v[18:19]
	s_branch .LBB87_1457
.LBB87_1453:
	s_mov_b64 s[0:1], -1
                                        ; implicit-def: $vgpr11_vgpr12
	s_branch .LBB87_1475
.LBB87_1454:
	s_mov_b64 s[0:1], -1
                                        ; implicit-def: $vgpr11_vgpr12
	s_branch .LBB87_1463
.LBB87_1455:
	s_mov_b64 s[0:1], -1
                                        ; implicit-def: $vgpr11_vgpr12
	s_branch .LBB87_1460
.LBB87_1456:
	s_mov_b64 s[0:1], -1
                                        ; implicit-def: $vgpr11_vgpr12
.LBB87_1457:
	s_andn2_b64 vcc, exec, s[0:1]
	s_cbranch_vccnz .LBB87_1459
; %bb.1458:
	global_load_dword v1, v[14:15], off
	s_mov_b32 s0, 0x2f800000
	s_mov_b32 s1, 0xcf800000
	s_waitcnt vmcnt(0)
	v_trunc_f32_e32 v1, v1
	v_mul_f32_e64 v3, |v1|, s0
	v_floor_f32_e32 v3, v3
	v_cvt_u32_f32_e32 v5, v3
	v_fma_f32 v3, v3, s1, |v1|
	v_cvt_u32_f32_e32 v3, v3
	v_ashrrev_i32_e32 v1, 31, v1
	v_xor_b32_e32 v5, v5, v1
	v_xor_b32_e32 v3, v3, v1
	v_sub_co_u32_e32 v11, vcc, v3, v1
	v_subb_co_u32_e32 v12, vcc, v5, v1, vcc
.LBB87_1459:
	s_mov_b64 s[0:1], 0
.LBB87_1460:
	s_andn2_b64 vcc, exec, s[0:1]
	s_cbranch_vccnz .LBB87_1462
; %bb.1461:
	global_load_dword v1, v[14:15], off
	s_waitcnt vmcnt(0)
	v_cvt_f32_f16_e32 v1, v1
	v_cvt_i32_f32_e32 v11, v1
	v_ashrrev_i32_e32 v12, 31, v11
.LBB87_1462:
	s_mov_b64 s[0:1], 0
.LBB87_1463:
	s_andn2_b64 vcc, exec, s[0:1]
	s_cbranch_vccnz .LBB87_1474
; %bb.1464:
	s_cmp_lt_i32 s4, 6
	s_cbranch_scc1 .LBB87_1467
; %bb.1465:
	s_cmp_gt_i32 s4, 6
	s_cbranch_scc0 .LBB87_1468
; %bb.1466:
	global_load_dwordx2 v[11:12], v[14:15], off
	s_movk_i32 s0, 0xffe0
	s_waitcnt vmcnt(0)
	v_trunc_f64_e32 v[11:12], v[11:12]
	v_ldexp_f64 v[16:17], v[11:12], s0
	s_mov_b32 s0, 0
	s_mov_b32 s1, 0xc1f00000
	v_floor_f64_e32 v[16:17], v[16:17]
	v_fma_f64 v[18:19], v[16:17], s[0:1], v[11:12]
	v_cvt_i32_f64_e32 v12, v[16:17]
	s_mov_b64 s[0:1], 0
	v_cvt_u32_f64_e32 v11, v[18:19]
	s_branch .LBB87_1469
.LBB87_1467:
	s_mov_b64 s[0:1], -1
                                        ; implicit-def: $vgpr11_vgpr12
	s_branch .LBB87_1472
.LBB87_1468:
	s_mov_b64 s[0:1], -1
                                        ; implicit-def: $vgpr11_vgpr12
.LBB87_1469:
	s_andn2_b64 vcc, exec, s[0:1]
	s_cbranch_vccnz .LBB87_1471
; %bb.1470:
	global_load_dword v1, v[14:15], off
	s_mov_b32 s0, 0x2f800000
	s_mov_b32 s1, 0xcf800000
	s_waitcnt vmcnt(0)
	v_trunc_f32_e32 v1, v1
	v_mul_f32_e64 v3, |v1|, s0
	v_floor_f32_e32 v3, v3
	v_cvt_u32_f32_e32 v5, v3
	v_fma_f32 v3, v3, s1, |v1|
	v_cvt_u32_f32_e32 v3, v3
	v_ashrrev_i32_e32 v1, 31, v1
	v_xor_b32_e32 v5, v5, v1
	v_xor_b32_e32 v3, v3, v1
	v_sub_co_u32_e32 v11, vcc, v3, v1
	v_subb_co_u32_e32 v12, vcc, v5, v1, vcc
.LBB87_1471:
	s_mov_b64 s[0:1], 0
.LBB87_1472:
	s_andn2_b64 vcc, exec, s[0:1]
	s_cbranch_vccnz .LBB87_1474
; %bb.1473:
	global_load_ushort v1, v[14:15], off
	s_waitcnt vmcnt(0)
	v_cvt_f32_f16_e32 v1, v1
	v_cvt_i32_f32_e32 v11, v1
	v_ashrrev_i32_e32 v12, 31, v11
.LBB87_1474:
	s_mov_b64 s[0:1], 0
.LBB87_1475:
	s_andn2_b64 vcc, exec, s[0:1]
	s_cbranch_vccnz .LBB87_1495
; %bb.1476:
	s_cmp_lt_i32 s4, 2
	s_cbranch_scc1 .LBB87_1480
; %bb.1477:
	s_cmp_lt_i32 s4, 3
	s_cbranch_scc1 .LBB87_1481
; %bb.1478:
	s_cmp_gt_i32 s4, 3
	s_cbranch_scc0 .LBB87_1482
; %bb.1479:
	global_load_dwordx2 v[11:12], v[14:15], off
	s_mov_b64 s[0:1], 0
	s_branch .LBB87_1483
.LBB87_1480:
	s_mov_b64 s[0:1], -1
                                        ; implicit-def: $vgpr11_vgpr12
	s_branch .LBB87_1489
.LBB87_1481:
	s_mov_b64 s[0:1], -1
                                        ; implicit-def: $vgpr11_vgpr12
	s_branch .LBB87_1486
.LBB87_1482:
	s_mov_b64 s[0:1], -1
                                        ; implicit-def: $vgpr11_vgpr12
.LBB87_1483:
	s_andn2_b64 vcc, exec, s[0:1]
	s_cbranch_vccnz .LBB87_1485
; %bb.1484:
	global_load_dword v11, v[14:15], off
	s_waitcnt vmcnt(0)
	v_ashrrev_i32_e32 v12, 31, v11
.LBB87_1485:
	s_mov_b64 s[0:1], 0
.LBB87_1486:
	s_andn2_b64 vcc, exec, s[0:1]
	s_cbranch_vccnz .LBB87_1488
; %bb.1487:
	global_load_ushort v1, v[14:15], off
	s_waitcnt vmcnt(0)
	v_bfe_i32 v11, v1, 0, 16
	v_ashrrev_i32_e32 v12, 31, v11
.LBB87_1488:
	s_mov_b64 s[0:1], 0
.LBB87_1489:
	s_andn2_b64 vcc, exec, s[0:1]
	s_cbranch_vccnz .LBB87_1495
; %bb.1490:
	s_cmp_gt_i32 s4, 0
	s_cbranch_scc0 .LBB87_1492
; %bb.1491:
	global_load_sbyte v1, v[14:15], off
	s_mov_b64 s[0:1], 0
	s_waitcnt vmcnt(0)
	v_bfe_i32 v11, v1, 0, 16
	v_ashrrev_i32_e32 v12, 31, v11
	s_branch .LBB87_1493
.LBB87_1492:
	s_mov_b64 s[0:1], -1
                                        ; implicit-def: $vgpr11_vgpr12
.LBB87_1493:
	s_andn2_b64 vcc, exec, s[0:1]
	s_cbranch_vccnz .LBB87_1495
; %bb.1494:
	global_load_ubyte v1, v[14:15], off
	s_mov_b32 s0, 0
	s_waitcnt vmcnt(1)
	v_mov_b32_e32 v12, s0
	s_waitcnt vmcnt(0)
	v_and_b32_e32 v11, 0xffff, v1
.LBB87_1495:
.LBB87_1496:
	v_mov_b32_e32 v1, s11
	v_add_co_u32_e32 v15, vcc, s10, v13
	s_cmp_lt_i32 s14, 11
	v_addc_co_u32_e32 v16, vcc, 0, v1, vcc
	s_cbranch_scc1 .LBB87_1503
; %bb.1497:
	s_and_b32 s12, 0xffff, s14
	s_cmp_gt_i32 s12, 25
	s_mov_b64 s[4:5], 0
	s_cbranch_scc0 .LBB87_1504
; %bb.1498:
	s_cmp_gt_i32 s12, 28
	s_cbranch_scc0 .LBB87_1505
; %bb.1499:
	s_cmp_gt_i32 s12, 43
	;; [unrolled: 3-line block ×3, first 2 shown]
	s_cbranch_scc0 .LBB87_1508
; %bb.1501:
	s_cmp_eq_u32 s12, 46
	s_mov_b64 s[10:11], 0
	s_cbranch_scc0 .LBB87_1509
; %bb.1502:
	global_load_dword v1, v[15:16], off
	s_mov_b32 s0, 0x2f800000
	s_mov_b32 s1, 0xcf800000
	s_mov_b64 s[6:7], -1
	s_waitcnt vmcnt(0)
	v_lshlrev_b32_e32 v1, 16, v1
	v_trunc_f32_e32 v1, v1
	v_mul_f32_e64 v3, |v1|, s0
	v_floor_f32_e32 v3, v3
	v_fma_f32 v5, v3, s1, |v1|
	v_cvt_u32_f32_e32 v5, v5
	v_cvt_u32_f32_e32 v3, v3
	v_ashrrev_i32_e32 v1, 31, v1
	s_mov_b64 s[0:1], 0
	v_xor_b32_e32 v5, v5, v1
	v_xor_b32_e32 v3, v3, v1
	v_sub_co_u32_e32 v13, vcc, v5, v1
	v_subb_co_u32_e32 v14, vcc, v3, v1, vcc
	s_branch .LBB87_1510
.LBB87_1503:
	s_mov_b64 s[0:1], -1
	s_mov_b64 s[6:7], 0
                                        ; implicit-def: $vgpr13_vgpr14
	s_branch .LBB87_1572
.LBB87_1504:
	s_mov_b64 s[10:11], -1
	s_mov_b64 s[6:7], 0
	s_mov_b64 s[0:1], 0
                                        ; implicit-def: $vgpr13_vgpr14
	s_branch .LBB87_1539
.LBB87_1505:
	s_mov_b64 s[10:11], -1
	s_mov_b64 s[6:7], 0
	s_mov_b64 s[0:1], 0
                                        ; implicit-def: $vgpr13_vgpr14
	s_branch .LBB87_1520
.LBB87_1506:
	s_mov_b64 s[10:11], -1
	s_mov_b64 s[6:7], 0
	s_mov_b64 s[0:1], 0
                                        ; implicit-def: $vgpr13_vgpr14
	s_branch .LBB87_1515
.LBB87_1507:
	s_trap 2
	s_or_b64 s[2:3], s[2:3], exec
	s_cbranch_execz .LBB87_1446
	s_branch .LBB87_1447
.LBB87_1508:
	s_mov_b64 s[10:11], -1
	s_mov_b64 s[6:7], 0
	s_mov_b64 s[0:1], 0
                                        ; implicit-def: $vgpr13_vgpr14
	s_branch .LBB87_1510
.LBB87_1509:
	s_mov_b64 s[0:1], -1
                                        ; implicit-def: $vgpr13_vgpr14
	s_mov_b64 s[6:7], 0
.LBB87_1510:
	s_and_b64 vcc, exec, s[10:11]
	s_cbranch_vccz .LBB87_1514
; %bb.1511:
	s_cmp_eq_u32 s12, 44
	s_cbranch_scc0 .LBB87_1513
; %bb.1512:
	global_load_ubyte v1, v[15:16], off
	s_mov_b32 s0, 0x2f800000
	s_mov_b32 s1, 0xcf800000
	s_mov_b64 s[6:7], -1
	s_waitcnt vmcnt(0)
	v_lshlrev_b32_e32 v3, 23, v1
	v_trunc_f32_e32 v3, v3
	v_mul_f32_e64 v5, |v3|, s0
	v_floor_f32_e32 v5, v5
	v_fma_f32 v13, v5, s1, |v3|
	v_cvt_u32_f32_e32 v13, v13
	v_cvt_u32_f32_e32 v5, v5
	v_ashrrev_i32_e32 v3, 31, v3
	s_mov_b64 s[0:1], 0
	v_xor_b32_e32 v13, v13, v3
	v_xor_b32_e32 v5, v5, v3
	v_sub_co_u32_e32 v13, vcc, v13, v3
	v_subb_co_u32_e32 v3, vcc, v5, v3, vcc
	v_cmp_ne_u32_e32 vcc, 0, v1
	v_cndmask_b32_e32 v14, 0, v3, vcc
	v_cndmask_b32_e32 v13, 0, v13, vcc
	s_branch .LBB87_1514
.LBB87_1513:
	s_mov_b64 s[0:1], -1
                                        ; implicit-def: $vgpr13_vgpr14
.LBB87_1514:
	s_mov_b64 s[10:11], 0
.LBB87_1515:
	s_and_b64 vcc, exec, s[10:11]
	s_cbranch_vccz .LBB87_1519
; %bb.1516:
	s_cmp_eq_u32 s12, 29
	s_cbranch_scc0 .LBB87_1518
; %bb.1517:
	global_load_dwordx2 v[13:14], v[15:16], off
	s_mov_b64 s[0:1], 0
	s_mov_b64 s[6:7], -1
	s_branch .LBB87_1519
.LBB87_1518:
	s_mov_b64 s[0:1], -1
                                        ; implicit-def: $vgpr13_vgpr14
.LBB87_1519:
	s_mov_b64 s[10:11], 0
.LBB87_1520:
	s_and_b64 vcc, exec, s[10:11]
	s_cbranch_vccz .LBB87_1538
; %bb.1521:
	s_cmp_lt_i32 s12, 27
	s_cbranch_scc1 .LBB87_1524
; %bb.1522:
	s_cmp_gt_i32 s12, 27
	s_cbranch_scc0 .LBB87_1525
; %bb.1523:
	global_load_dword v13, v[15:16], off
	s_waitcnt vmcnt(1)
	v_mov_b32_e32 v14, 0
	s_mov_b64 s[6:7], 0
	s_branch .LBB87_1526
.LBB87_1524:
	s_mov_b64 s[6:7], -1
                                        ; implicit-def: $vgpr13_vgpr14
	s_branch .LBB87_1529
.LBB87_1525:
	s_mov_b64 s[6:7], -1
                                        ; implicit-def: $vgpr13_vgpr14
.LBB87_1526:
	s_andn2_b64 vcc, exec, s[6:7]
	s_cbranch_vccnz .LBB87_1528
; %bb.1527:
	global_load_ushort v1, v[15:16], off
	s_mov_b32 s6, 0
	s_waitcnt vmcnt(1)
	v_mov_b32_e32 v14, s6
	s_waitcnt vmcnt(0)
	v_and_b32_e32 v13, 0xffff, v1
.LBB87_1528:
	s_mov_b64 s[6:7], 0
.LBB87_1529:
	s_andn2_b64 vcc, exec, s[6:7]
	s_cbranch_vccnz .LBB87_1537
; %bb.1530:
	global_load_ubyte v1, v[15:16], off
	s_movk_i32 s6, 0x7f
	s_mov_b64 s[10:11], 0
	s_waitcnt vmcnt(0)
	v_cmp_lt_i16_e32 vcc, s6, v1
	s_and_saveexec_b64 s[6:7], vcc
	s_xor_b64 s[6:7], exec, s[6:7]
; %bb.1531:
	s_movk_i32 s10, 0x80
	v_cmp_ne_u16_e32 vcc, s10, v1
	s_and_b64 s[10:11], vcc, exec
; %bb.1532:
	s_andn2_saveexec_b64 s[6:7], s[6:7]
; %bb.1533:
	v_cmp_ne_u16_e32 vcc, 0, v1
	s_andn2_b64 s[10:11], s[10:11], exec
	s_and_b64 s[16:17], vcc, exec
	s_or_b64 s[10:11], s[10:11], s[16:17]
; %bb.1534:
	s_or_b64 exec, exec, s[6:7]
	v_mov_b32_e32 v13, 0
	v_mov_b32_e32 v14, 0
	s_and_saveexec_b64 s[6:7], s[10:11]
	s_cbranch_execz .LBB87_1536
; %bb.1535:
	v_lshlrev_b32_e32 v3, 24, v1
	v_and_b32_e32 v1, 0xffff, v1
	v_and_b32_e32 v5, 7, v1
	v_ffbh_u32_e32 v14, v5
	v_min_u32_e32 v14, 32, v14
	v_subrev_u32_e32 v17, 28, v14
	v_bfe_u32 v13, v1, 3, 4
	v_lshlrev_b32_e32 v1, v17, v1
	v_sub_u32_e32 v14, 29, v14
	v_and_b32_e32 v1, 7, v1
	v_cmp_eq_u32_e32 vcc, 0, v13
	v_cndmask_b32_e32 v13, v13, v14, vcc
	v_cndmask_b32_e32 v1, v5, v1, vcc
	v_mov_b32_e32 v5, 0x3b800000
	v_lshlrev_b32_e32 v1, 20, v1
	v_and_b32_e32 v3, 0x80000000, v3
	v_lshl_add_u32 v5, v13, 23, v5
	v_or3_b32 v1, v3, v5, v1
	v_trunc_f32_e32 v1, v1
	s_mov_b32 s10, 0x2f800000
	v_mul_f32_e64 v3, |v1|, s10
	v_floor_f32_e32 v3, v3
	s_mov_b32 s10, 0xcf800000
	v_fma_f32 v5, v3, s10, |v1|
	v_cvt_u32_f32_e32 v5, v5
	v_cvt_u32_f32_e32 v3, v3
	v_ashrrev_i32_e32 v1, 31, v1
	v_xor_b32_e32 v5, v5, v1
	v_xor_b32_e32 v3, v3, v1
	v_sub_co_u32_e32 v13, vcc, v5, v1
	v_subb_co_u32_e32 v14, vcc, v3, v1, vcc
.LBB87_1536:
	s_or_b64 exec, exec, s[6:7]
.LBB87_1537:
	s_mov_b64 s[6:7], -1
.LBB87_1538:
	s_mov_b64 s[10:11], 0
.LBB87_1539:
	s_and_b64 vcc, exec, s[10:11]
	s_cbranch_vccz .LBB87_1568
; %bb.1540:
	s_cmp_gt_i32 s12, 22
	s_cbranch_scc0 .LBB87_1550
; %bb.1541:
	s_cmp_lt_i32 s12, 24
	s_cbranch_scc1 .LBB87_1551
; %bb.1542:
	s_cmp_gt_i32 s12, 24
	s_cbranch_scc0 .LBB87_1552
; %bb.1543:
	global_load_ubyte v1, v[15:16], off
	s_movk_i32 s4, 0x7f
	s_mov_b64 s[6:7], 0
	s_waitcnt vmcnt(0)
	v_cmp_lt_i16_e32 vcc, s4, v1
	s_and_saveexec_b64 s[4:5], vcc
	s_xor_b64 s[4:5], exec, s[4:5]
; %bb.1544:
	s_movk_i32 s6, 0x80
	v_cmp_ne_u16_e32 vcc, s6, v1
	s_and_b64 s[6:7], vcc, exec
; %bb.1545:
	s_andn2_saveexec_b64 s[4:5], s[4:5]
; %bb.1546:
	v_cmp_ne_u16_e32 vcc, 0, v1
	s_andn2_b64 s[6:7], s[6:7], exec
	s_and_b64 s[10:11], vcc, exec
	s_or_b64 s[6:7], s[6:7], s[10:11]
; %bb.1547:
	s_or_b64 exec, exec, s[4:5]
	v_mov_b32_e32 v13, 0
	v_mov_b32_e32 v14, 0
	s_and_saveexec_b64 s[4:5], s[6:7]
	s_cbranch_execz .LBB87_1549
; %bb.1548:
	v_lshlrev_b32_e32 v3, 24, v1
	v_and_b32_e32 v1, 0xffff, v1
	v_and_b32_e32 v5, 3, v1
	v_ffbh_u32_e32 v14, v5
	v_min_u32_e32 v14, 32, v14
	v_subrev_u32_e32 v17, 29, v14
	v_bfe_u32 v13, v1, 2, 5
	v_lshlrev_b32_e32 v1, v17, v1
	v_sub_u32_e32 v14, 30, v14
	v_and_b32_e32 v1, 3, v1
	v_cmp_eq_u32_e32 vcc, 0, v13
	v_cndmask_b32_e32 v13, v13, v14, vcc
	v_cndmask_b32_e32 v1, v5, v1, vcc
	v_mov_b32_e32 v5, 0x37800000
	v_lshlrev_b32_e32 v1, 21, v1
	v_and_b32_e32 v3, 0x80000000, v3
	v_lshl_add_u32 v5, v13, 23, v5
	v_or3_b32 v1, v3, v5, v1
	v_trunc_f32_e32 v1, v1
	s_mov_b32 s6, 0x2f800000
	v_mul_f32_e64 v3, |v1|, s6
	v_floor_f32_e32 v3, v3
	s_mov_b32 s6, 0xcf800000
	v_fma_f32 v5, v3, s6, |v1|
	v_cvt_u32_f32_e32 v5, v5
	v_cvt_u32_f32_e32 v3, v3
	v_ashrrev_i32_e32 v1, 31, v1
	v_xor_b32_e32 v5, v5, v1
	v_xor_b32_e32 v3, v3, v1
	v_sub_co_u32_e32 v13, vcc, v5, v1
	v_subb_co_u32_e32 v14, vcc, v3, v1, vcc
.LBB87_1549:
	s_or_b64 exec, exec, s[4:5]
	s_mov_b64 s[4:5], 0
	s_branch .LBB87_1553
.LBB87_1550:
	s_mov_b64 s[4:5], -1
                                        ; implicit-def: $vgpr13_vgpr14
	s_branch .LBB87_1559
.LBB87_1551:
	s_mov_b64 s[4:5], -1
                                        ; implicit-def: $vgpr13_vgpr14
	s_branch .LBB87_1556
.LBB87_1552:
	s_mov_b64 s[4:5], -1
                                        ; implicit-def: $vgpr13_vgpr14
.LBB87_1553:
	s_and_b64 vcc, exec, s[4:5]
	s_cbranch_vccz .LBB87_1555
; %bb.1554:
	global_load_ubyte v1, v[15:16], off
	s_mov_b32 s4, 0x7f800000
	s_brev_b32 s5, 1
	s_mov_b32 s6, 0x2f800000
	s_mov_b32 s7, 0xcf800000
	s_waitcnt vmcnt(0)
	v_lshlrev_b32_e32 v1, 24, v1
	v_and_b32_e32 v3, 0x7f000000, v1
	v_ffbh_u32_e32 v5, v3
	v_min_u32_e32 v5, 32, v5
	v_sub_u32_e64 v5, v5, 4 clamp
	v_lshlrev_b32_e32 v14, v5, v3
	v_lshlrev_b32_e32 v5, 23, v5
	v_lshrrev_b32_e32 v14, 4, v14
	v_add_u32_e32 v13, 0x1000000, v3
	v_sub_u32_e32 v5, v14, v5
	v_ashrrev_i32_e32 v13, 8, v13
	v_add_u32_e32 v5, 0x3c000000, v5
	v_and_or_b32 v5, v13, s4, v5
	v_cmp_ne_u32_e32 vcc, 0, v3
	v_cndmask_b32_e32 v3, 0, v5, vcc
	v_and_or_b32 v1, v1, s5, v3
	v_trunc_f32_e32 v1, v1
	v_mul_f32_e64 v3, |v1|, s6
	v_floor_f32_e32 v3, v3
	v_fma_f32 v5, v3, s7, |v1|
	v_cvt_u32_f32_e32 v5, v5
	v_cvt_u32_f32_e32 v3, v3
	v_ashrrev_i32_e32 v1, 31, v1
	v_xor_b32_e32 v5, v5, v1
	v_xor_b32_e32 v3, v3, v1
	v_sub_co_u32_e32 v13, vcc, v5, v1
	v_subb_co_u32_e32 v14, vcc, v3, v1, vcc
.LBB87_1555:
	s_mov_b64 s[4:5], 0
.LBB87_1556:
	s_andn2_b64 vcc, exec, s[4:5]
	s_cbranch_vccnz .LBB87_1558
; %bb.1557:
	global_load_ubyte v1, v[15:16], off
	s_movk_i32 s4, 0x7f00
	s_brev_b32 s5, 16
	s_brev_b32 s6, 1
	s_mov_b32 s7, 0x2f800000
	s_mov_b32 s10, 0xcf800000
	s_waitcnt vmcnt(0)
	v_lshlrev_b16_e32 v3, 8, v1
	v_lshlrev_b32_e32 v1, 25, v1
	v_lshrrev_b32_e32 v5, 4, v1
	v_and_or_b32 v13, v3, s4, 0.5
	v_or_b32_e32 v5, 0x70000000, v5
	v_add_f32_e32 v13, -0.5, v13
	v_mul_f32_e32 v5, 0x7800000, v5
	v_cmp_gt_u32_e32 vcc, s5, v1
	v_bfe_i32 v3, v3, 0, 16
	v_cndmask_b32_e32 v1, v5, v13, vcc
	v_and_or_b32 v1, v3, s6, v1
	v_trunc_f32_e32 v1, v1
	v_mul_f32_e64 v3, |v1|, s7
	v_floor_f32_e32 v3, v3
	v_fma_f32 v5, v3, s10, |v1|
	v_cvt_u32_f32_e32 v5, v5
	v_cvt_u32_f32_e32 v3, v3
	v_ashrrev_i32_e32 v1, 31, v1
	v_xor_b32_e32 v5, v5, v1
	v_xor_b32_e32 v3, v3, v1
	v_sub_co_u32_e32 v13, vcc, v5, v1
	v_subb_co_u32_e32 v14, vcc, v3, v1, vcc
.LBB87_1558:
	s_mov_b64 s[4:5], 0
	s_mov_b64 s[6:7], -1
.LBB87_1559:
	s_andn2_b64 vcc, exec, s[4:5]
	s_mov_b64 s[4:5], 0
	s_cbranch_vccnz .LBB87_1568
; %bb.1560:
	s_cmp_gt_i32 s12, 14
	s_cbranch_scc0 .LBB87_1563
; %bb.1561:
	s_cmp_eq_u32 s12, 15
	s_cbranch_scc0 .LBB87_1564
; %bb.1562:
	global_load_ushort v1, v[15:16], off
	s_mov_b32 s0, 0x2f800000
	s_mov_b32 s1, 0xcf800000
	s_mov_b64 s[6:7], -1
	s_waitcnt vmcnt(0)
	v_lshlrev_b32_e32 v1, 16, v1
	v_trunc_f32_e32 v1, v1
	v_mul_f32_e64 v3, |v1|, s0
	v_floor_f32_e32 v3, v3
	v_fma_f32 v5, v3, s1, |v1|
	v_cvt_u32_f32_e32 v5, v5
	v_cvt_u32_f32_e32 v3, v3
	v_ashrrev_i32_e32 v1, 31, v1
	s_mov_b64 s[0:1], 0
	v_xor_b32_e32 v5, v5, v1
	v_xor_b32_e32 v3, v3, v1
	v_sub_co_u32_e32 v13, vcc, v5, v1
	v_subb_co_u32_e32 v14, vcc, v3, v1, vcc
	s_branch .LBB87_1565
.LBB87_1563:
	s_mov_b64 s[10:11], -1
                                        ; implicit-def: $vgpr13_vgpr14
	s_branch .LBB87_1566
.LBB87_1564:
	s_mov_b64 s[0:1], -1
                                        ; implicit-def: $vgpr13_vgpr14
.LBB87_1565:
	s_mov_b64 s[10:11], 0
.LBB87_1566:
	s_and_b64 vcc, exec, s[10:11]
	s_cbranch_vccz .LBB87_1568
; %bb.1567:
	s_cmp_lg_u32 s12, 11
	s_mov_b64 s[4:5], -1
	s_cselect_b64 s[0:1], -1, 0
.LBB87_1568:
	s_and_b64 vcc, exec, s[0:1]
	s_cbranch_vccnz .LBB87_2101
; %bb.1569:
	s_andn2_b64 vcc, exec, s[4:5]
	s_cbranch_vccnz .LBB87_1571
.LBB87_1570:
	global_load_ubyte v1, v[15:16], off
	s_mov_b32 s0, 0
	s_waitcnt vmcnt(1)
	v_mov_b32_e32 v14, s0
	s_mov_b64 s[6:7], -1
	s_waitcnt vmcnt(0)
	v_cmp_ne_u16_e32 vcc, 0, v1
	v_cndmask_b32_e64 v13, 0, 1, vcc
.LBB87_1571:
	s_mov_b64 s[0:1], 0
.LBB87_1572:
	s_and_b64 vcc, exec, s[0:1]
	s_cbranch_vccz .LBB87_1621
; %bb.1573:
	s_and_b32 s4, 0xffff, s14
	s_cmp_lt_i32 s4, 5
	s_cbranch_scc1 .LBB87_1578
; %bb.1574:
	s_cmp_lt_i32 s4, 8
	s_cbranch_scc1 .LBB87_1579
; %bb.1575:
	;; [unrolled: 3-line block ×3, first 2 shown]
	s_cmp_gt_i32 s4, 9
	s_cbranch_scc0 .LBB87_1581
; %bb.1577:
	global_load_dwordx2 v[13:14], v[15:16], off
	s_movk_i32 s0, 0xffe0
	s_waitcnt vmcnt(0)
	v_trunc_f64_e32 v[13:14], v[13:14]
	v_ldexp_f64 v[17:18], v[13:14], s0
	s_mov_b32 s0, 0
	s_mov_b32 s1, 0xc1f00000
	v_floor_f64_e32 v[17:18], v[17:18]
	v_fma_f64 v[19:20], v[17:18], s[0:1], v[13:14]
	v_cvt_i32_f64_e32 v14, v[17:18]
	s_mov_b64 s[0:1], 0
	v_cvt_u32_f64_e32 v13, v[19:20]
	s_branch .LBB87_1582
.LBB87_1578:
	s_mov_b64 s[0:1], -1
                                        ; implicit-def: $vgpr13_vgpr14
	s_branch .LBB87_1600
.LBB87_1579:
	s_mov_b64 s[0:1], -1
                                        ; implicit-def: $vgpr13_vgpr14
	s_branch .LBB87_1588
.LBB87_1580:
	s_mov_b64 s[0:1], -1
                                        ; implicit-def: $vgpr13_vgpr14
	s_branch .LBB87_1585
.LBB87_1581:
	s_mov_b64 s[0:1], -1
                                        ; implicit-def: $vgpr13_vgpr14
.LBB87_1582:
	s_andn2_b64 vcc, exec, s[0:1]
	s_cbranch_vccnz .LBB87_1584
; %bb.1583:
	global_load_dword v1, v[15:16], off
	s_mov_b32 s0, 0x2f800000
	s_mov_b32 s1, 0xcf800000
	s_waitcnt vmcnt(0)
	v_trunc_f32_e32 v1, v1
	v_mul_f32_e64 v3, |v1|, s0
	v_floor_f32_e32 v3, v3
	v_cvt_u32_f32_e32 v5, v3
	v_fma_f32 v3, v3, s1, |v1|
	v_cvt_u32_f32_e32 v3, v3
	v_ashrrev_i32_e32 v1, 31, v1
	v_xor_b32_e32 v5, v5, v1
	v_xor_b32_e32 v3, v3, v1
	v_sub_co_u32_e32 v13, vcc, v3, v1
	v_subb_co_u32_e32 v14, vcc, v5, v1, vcc
.LBB87_1584:
	s_mov_b64 s[0:1], 0
.LBB87_1585:
	s_andn2_b64 vcc, exec, s[0:1]
	s_cbranch_vccnz .LBB87_1587
; %bb.1586:
	global_load_dword v1, v[15:16], off
	s_waitcnt vmcnt(0)
	v_cvt_f32_f16_e32 v1, v1
	v_cvt_i32_f32_e32 v13, v1
	v_ashrrev_i32_e32 v14, 31, v13
.LBB87_1587:
	s_mov_b64 s[0:1], 0
.LBB87_1588:
	s_andn2_b64 vcc, exec, s[0:1]
	s_cbranch_vccnz .LBB87_1599
; %bb.1589:
	s_cmp_lt_i32 s4, 6
	s_cbranch_scc1 .LBB87_1592
; %bb.1590:
	s_cmp_gt_i32 s4, 6
	s_cbranch_scc0 .LBB87_1593
; %bb.1591:
	global_load_dwordx2 v[13:14], v[15:16], off
	s_movk_i32 s0, 0xffe0
	s_waitcnt vmcnt(0)
	v_trunc_f64_e32 v[13:14], v[13:14]
	v_ldexp_f64 v[17:18], v[13:14], s0
	s_mov_b32 s0, 0
	s_mov_b32 s1, 0xc1f00000
	v_floor_f64_e32 v[17:18], v[17:18]
	v_fma_f64 v[19:20], v[17:18], s[0:1], v[13:14]
	v_cvt_i32_f64_e32 v14, v[17:18]
	s_mov_b64 s[0:1], 0
	v_cvt_u32_f64_e32 v13, v[19:20]
	s_branch .LBB87_1594
.LBB87_1592:
	s_mov_b64 s[0:1], -1
                                        ; implicit-def: $vgpr13_vgpr14
	s_branch .LBB87_1597
.LBB87_1593:
	s_mov_b64 s[0:1], -1
                                        ; implicit-def: $vgpr13_vgpr14
.LBB87_1594:
	s_andn2_b64 vcc, exec, s[0:1]
	s_cbranch_vccnz .LBB87_1596
; %bb.1595:
	global_load_dword v1, v[15:16], off
	s_mov_b32 s0, 0x2f800000
	s_mov_b32 s1, 0xcf800000
	s_waitcnt vmcnt(0)
	v_trunc_f32_e32 v1, v1
	v_mul_f32_e64 v3, |v1|, s0
	v_floor_f32_e32 v3, v3
	v_cvt_u32_f32_e32 v5, v3
	v_fma_f32 v3, v3, s1, |v1|
	v_cvt_u32_f32_e32 v3, v3
	v_ashrrev_i32_e32 v1, 31, v1
	v_xor_b32_e32 v5, v5, v1
	v_xor_b32_e32 v3, v3, v1
	v_sub_co_u32_e32 v13, vcc, v3, v1
	v_subb_co_u32_e32 v14, vcc, v5, v1, vcc
.LBB87_1596:
	s_mov_b64 s[0:1], 0
.LBB87_1597:
	s_andn2_b64 vcc, exec, s[0:1]
	s_cbranch_vccnz .LBB87_1599
; %bb.1598:
	global_load_ushort v1, v[15:16], off
	s_waitcnt vmcnt(0)
	v_cvt_f32_f16_e32 v1, v1
	v_cvt_i32_f32_e32 v13, v1
	v_ashrrev_i32_e32 v14, 31, v13
.LBB87_1599:
	s_mov_b64 s[0:1], 0
.LBB87_1600:
	s_andn2_b64 vcc, exec, s[0:1]
	s_cbranch_vccnz .LBB87_1620
; %bb.1601:
	s_cmp_lt_i32 s4, 2
	s_cbranch_scc1 .LBB87_1605
; %bb.1602:
	s_cmp_lt_i32 s4, 3
	s_cbranch_scc1 .LBB87_1606
; %bb.1603:
	s_cmp_gt_i32 s4, 3
	s_cbranch_scc0 .LBB87_1607
; %bb.1604:
	global_load_dwordx2 v[13:14], v[15:16], off
	s_mov_b64 s[0:1], 0
	s_branch .LBB87_1608
.LBB87_1605:
	s_mov_b64 s[0:1], -1
                                        ; implicit-def: $vgpr13_vgpr14
	s_branch .LBB87_1614
.LBB87_1606:
	s_mov_b64 s[0:1], -1
                                        ; implicit-def: $vgpr13_vgpr14
	s_branch .LBB87_1611
.LBB87_1607:
	s_mov_b64 s[0:1], -1
                                        ; implicit-def: $vgpr13_vgpr14
.LBB87_1608:
	s_andn2_b64 vcc, exec, s[0:1]
	s_cbranch_vccnz .LBB87_1610
; %bb.1609:
	global_load_dword v13, v[15:16], off
	s_waitcnt vmcnt(0)
	v_ashrrev_i32_e32 v14, 31, v13
.LBB87_1610:
	s_mov_b64 s[0:1], 0
.LBB87_1611:
	s_andn2_b64 vcc, exec, s[0:1]
	s_cbranch_vccnz .LBB87_1613
; %bb.1612:
	global_load_ushort v1, v[15:16], off
	s_waitcnt vmcnt(0)
	v_bfe_i32 v13, v1, 0, 16
	v_ashrrev_i32_e32 v14, 31, v13
.LBB87_1613:
	s_mov_b64 s[0:1], 0
.LBB87_1614:
	s_andn2_b64 vcc, exec, s[0:1]
	s_cbranch_vccnz .LBB87_1620
; %bb.1615:
	s_cmp_gt_i32 s4, 0
	s_cbranch_scc0 .LBB87_1617
; %bb.1616:
	global_load_sbyte v1, v[15:16], off
	s_mov_b64 s[0:1], 0
	s_waitcnt vmcnt(0)
	v_bfe_i32 v13, v1, 0, 16
	v_ashrrev_i32_e32 v14, 31, v13
	s_branch .LBB87_1618
.LBB87_1617:
	s_mov_b64 s[0:1], -1
                                        ; implicit-def: $vgpr13_vgpr14
.LBB87_1618:
	s_andn2_b64 vcc, exec, s[0:1]
	s_cbranch_vccnz .LBB87_1620
; %bb.1619:
	global_load_ubyte v1, v[15:16], off
	s_mov_b32 s0, 0
	s_waitcnt vmcnt(1)
	v_mov_b32_e32 v14, s0
	s_waitcnt vmcnt(0)
	v_and_b32_e32 v13, 0xffff, v1
.LBB87_1620:
	s_mov_b64 s[6:7], -1
.LBB87_1621:
	s_andn2_b64 vcc, exec, s[6:7]
	s_cbranch_vccnz .LBB87_2055
; %bb.1622:
	s_load_dword s0, s[34:35], 0x168
	s_load_dwordx2 s[4:5], s[34:35], 0x160
	v_mov_b32_e32 v1, s9
	s_waitcnt vmcnt(0)
	v_add_co_u32_e32 v5, vcc, s8, v6
	s_waitcnt lgkmcnt(0)
	s_and_b32 s18, s0, 0xff
	v_lshlrev_b64 v[7:8], s4, v[7:8]
	v_cmp_gt_u64_e64 s[6:7], s[4:5], 63
	s_cmp_lt_i32 s18, 11
	v_cndmask_b32_e64 v8, v8, 0, s[6:7]
	v_cndmask_b32_e64 v7, v7, 0, s[6:7]
	v_addc_co_u32_e32 v6, vcc, 0, v1, vcc
	s_cbranch_scc1 .LBB87_1700
; %bb.1623:
	s_and_b32 s5, 0xffff, s18
	s_mov_b64 s[14:15], -1
	s_mov_b64 s[10:11], 0
	s_cmp_gt_i32 s5, 25
	s_mov_b64 s[12:13], 0
	s_mov_b64 s[0:1], 0
	s_cbranch_scc0 .LBB87_1656
; %bb.1624:
	s_cmp_gt_i32 s5, 28
	s_cbranch_scc0 .LBB87_1639
; %bb.1625:
	s_cmp_gt_i32 s5, 43
	;; [unrolled: 3-line block ×3, first 2 shown]
	s_cbranch_scc0 .LBB87_1629
; %bb.1627:
	s_mov_b64 s[0:1], -1
	s_mov_b64 s[14:15], 0
	s_cmp_eq_u32 s5, 46
	s_cbranch_scc0 .LBB87_1629
; %bb.1628:
	v_xor_b32_e32 v3, v7, v8
	v_ffbh_i32_e32 v1, v8
	v_ashrrev_i32_e32 v3, 31, v3
	v_add_u32_e32 v1, -1, v1
	v_add_u32_e32 v3, 32, v3
	v_min_u32_e32 v1, v1, v3
	v_lshlrev_b64 v[15:16], v1, v[7:8]
	v_sub_u32_e32 v1, 32, v1
	v_min_u32_e32 v3, 1, v15
	v_or_b32_e32 v3, v16, v3
	v_cvt_f32_i32_e32 v3, v3
	s_movk_i32 s0, 0x7fff
	s_mov_b64 s[12:13], -1
	v_ldexp_f32 v1, v3, v1
	v_bfe_u32 v3, v1, 16, 1
	v_add3_u32 v1, v1, v3, s0
	v_lshrrev_b32_e32 v1, 16, v1
	global_store_dword v[5:6], v1, off
	s_mov_b64 s[0:1], 0
.LBB87_1629:
	s_and_b64 vcc, exec, s[14:15]
	s_cbranch_vccz .LBB87_1634
; %bb.1630:
	s_cmp_eq_u32 s5, 44
	s_mov_b64 s[0:1], -1
	s_cbranch_scc0 .LBB87_1634
; %bb.1631:
	v_xor_b32_e32 v3, v7, v8
	v_ffbh_i32_e32 v1, v8
	v_ashrrev_i32_e32 v3, 31, v3
	v_add_u32_e32 v1, -1, v1
	v_add_u32_e32 v3, 32, v3
	v_min_u32_e32 v1, v1, v3
	v_lshlrev_b64 v[15:16], v1, v[7:8]
	v_sub_u32_e32 v1, 32, v1
	v_min_u32_e32 v3, 1, v15
	v_or_b32_e32 v3, v16, v3
	v_cvt_f32_i32_e32 v3, v3
	s_movk_i32 s0, 0xff
	v_mov_b32_e32 v15, 0xff
	v_ldexp_f32 v1, v3, v1
	v_bfe_u32 v3, v1, 23, 8
	v_cmp_ne_u32_e32 vcc, s0, v3
	s_and_saveexec_b64 s[12:13], vcc
; %bb.1632:
	s_mov_b32 s0, 0x3fffff
	v_lshrrev_b32_e32 v15, 23, v1
	v_and_b32_e32 v16, 0x400000, v1
	v_and_or_b32 v1, v1, s0, v3
	v_cmp_ne_u32_e32 vcc, 0, v16
	v_cmp_ne_u32_e64 s[0:1], 0, v1
	s_and_b64 s[0:1], vcc, s[0:1]
	v_cndmask_b32_e64 v1, 0, 1, s[0:1]
	v_add_u32_e32 v15, v15, v1
; %bb.1633:
	s_or_b64 exec, exec, s[12:13]
	s_mov_b64 s[0:1], 0
	s_mov_b64 s[12:13], -1
	global_store_byte v[5:6], v15, off
.LBB87_1634:
	s_mov_b64 s[14:15], 0
.LBB87_1635:
	s_and_b64 vcc, exec, s[14:15]
	s_cbranch_vccz .LBB87_1638
; %bb.1636:
	s_cmp_eq_u32 s5, 29
	s_mov_b64 s[0:1], -1
	s_cbranch_scc0 .LBB87_1638
; %bb.1637:
	global_store_dwordx2 v[5:6], v[7:8], off
	s_mov_b64 s[0:1], 0
	s_mov_b64 s[12:13], -1
.LBB87_1638:
	s_mov_b64 s[14:15], 0
.LBB87_1639:
	s_and_b64 vcc, exec, s[14:15]
	s_cbranch_vccz .LBB87_1655
; %bb.1640:
	s_cmp_lt_i32 s5, 27
	s_mov_b64 s[12:13], -1
	s_cbranch_scc1 .LBB87_1646
; %bb.1641:
	s_cmp_gt_i32 s5, 27
	s_cbranch_scc0 .LBB87_1643
; %bb.1642:
	s_mov_b64 s[12:13], 0
	global_store_dword v[5:6], v7, off
.LBB87_1643:
	s_andn2_b64 vcc, exec, s[12:13]
	s_cbranch_vccnz .LBB87_1645
; %bb.1644:
	global_store_short v[5:6], v7, off
.LBB87_1645:
	s_mov_b64 s[12:13], 0
.LBB87_1646:
	s_andn2_b64 vcc, exec, s[12:13]
	s_cbranch_vccnz .LBB87_1654
; %bb.1647:
	v_xor_b32_e32 v3, v7, v8
	v_ffbh_i32_e32 v1, v8
	v_ashrrev_i32_e32 v3, 31, v3
	v_add_u32_e32 v1, -1, v1
	v_add_u32_e32 v3, 32, v3
	v_min_u32_e32 v1, v1, v3
	v_lshlrev_b64 v[15:16], v1, v[7:8]
	v_sub_u32_e32 v1, 32, v1
	v_min_u32_e32 v3, 1, v15
	v_or_b32_e32 v3, v16, v3
	v_cvt_f32_i32_e32 v3, v3
	s_mov_b32 s12, 0x43800000
	v_mov_b32_e32 v15, 0x80
	v_ldexp_f32 v1, v3, v1
	v_and_b32_e32 v3, 0x7fffffff, v1
	v_cmp_gt_u32_e32 vcc, s12, v3
	s_and_saveexec_b64 s[12:13], vcc
	s_cbranch_execz .LBB87_1653
; %bb.1648:
	s_mov_b32 s14, 0x3bffffff
	v_cmp_lt_u32_e32 vcc, s14, v3
	s_mov_b64 s[14:15], 0
                                        ; implicit-def: $vgpr3
	s_and_saveexec_b64 s[16:17], vcc
	s_xor_b64 s[16:17], exec, s[16:17]
	s_cbranch_execz .LBB87_2102
; %bb.1649:
	v_bfe_u32 v3, v1, 20, 1
	s_mov_b32 s19, 0x487ffff
	v_add3_u32 v3, v1, v3, s19
	s_mov_b64 s[14:15], exec
	v_lshrrev_b32_e32 v3, 20, v3
	s_andn2_saveexec_b64 s[16:17], s[16:17]
	s_cbranch_execnz .LBB87_2103
.LBB87_1650:
	s_or_b64 exec, exec, s[16:17]
	v_mov_b32_e32 v15, 0
	s_and_saveexec_b64 s[16:17], s[14:15]
.LBB87_1651:
	v_lshrrev_b32_e32 v1, 24, v1
	s_movk_i32 s14, 0x80
	v_and_or_b32 v15, v1, s14, v3
.LBB87_1652:
	s_or_b64 exec, exec, s[16:17]
.LBB87_1653:
	s_or_b64 exec, exec, s[12:13]
	global_store_byte v[5:6], v15, off
.LBB87_1654:
	s_mov_b64 s[12:13], -1
.LBB87_1655:
	s_mov_b64 s[14:15], 0
.LBB87_1656:
	s_and_b64 vcc, exec, s[14:15]
	s_cbranch_vccz .LBB87_1696
; %bb.1657:
	s_cmp_gt_i32 s5, 22
	s_mov_b64 s[10:11], -1
	s_cbranch_scc0 .LBB87_1689
; %bb.1658:
	s_cmp_lt_i32 s5, 24
	s_cbranch_scc1 .LBB87_1678
; %bb.1659:
	s_cmp_gt_i32 s5, 24
	s_cbranch_scc0 .LBB87_1667
; %bb.1660:
	v_xor_b32_e32 v3, v7, v8
	v_ffbh_i32_e32 v1, v8
	v_ashrrev_i32_e32 v3, 31, v3
	v_add_u32_e32 v1, -1, v1
	v_add_u32_e32 v3, 32, v3
	v_min_u32_e32 v1, v1, v3
	v_lshlrev_b64 v[15:16], v1, v[7:8]
	v_sub_u32_e32 v1, 32, v1
	v_min_u32_e32 v3, 1, v15
	v_or_b32_e32 v3, v16, v3
	v_cvt_f32_i32_e32 v3, v3
	s_mov_b32 s10, 0x47800000
	v_mov_b32_e32 v15, 0x80
	v_ldexp_f32 v1, v3, v1
	v_and_b32_e32 v3, 0x7fffffff, v1
	v_cmp_gt_u32_e32 vcc, s10, v3
	s_and_saveexec_b64 s[10:11], vcc
	s_cbranch_execz .LBB87_1666
; %bb.1661:
	s_mov_b32 s12, 0x37ffffff
	v_cmp_lt_u32_e32 vcc, s12, v3
	s_mov_b64 s[12:13], 0
                                        ; implicit-def: $vgpr3
	s_and_saveexec_b64 s[14:15], vcc
	s_xor_b64 s[14:15], exec, s[14:15]
	s_cbranch_execz .LBB87_2105
; %bb.1662:
	v_bfe_u32 v3, v1, 21, 1
	s_mov_b32 s16, 0x88fffff
	v_add3_u32 v3, v1, v3, s16
	s_mov_b64 s[12:13], exec
	v_lshrrev_b32_e32 v3, 21, v3
	s_andn2_saveexec_b64 s[14:15], s[14:15]
	s_cbranch_execnz .LBB87_2106
.LBB87_1663:
	s_or_b64 exec, exec, s[14:15]
	v_mov_b32_e32 v15, 0
	s_and_saveexec_b64 s[14:15], s[12:13]
.LBB87_1664:
	v_lshrrev_b32_e32 v1, 24, v1
	s_movk_i32 s12, 0x80
	v_and_or_b32 v15, v1, s12, v3
.LBB87_1665:
	s_or_b64 exec, exec, s[14:15]
.LBB87_1666:
	s_or_b64 exec, exec, s[10:11]
	s_mov_b64 s[10:11], 0
	global_store_byte v[5:6], v15, off
.LBB87_1667:
	s_and_b64 vcc, exec, s[10:11]
	s_cbranch_vccz .LBB87_1677
; %bb.1668:
	v_xor_b32_e32 v3, v7, v8
	v_ffbh_i32_e32 v1, v8
	v_ashrrev_i32_e32 v3, 31, v3
	v_add_u32_e32 v1, -1, v1
	v_add_u32_e32 v3, 32, v3
	v_min_u32_e32 v1, v1, v3
	v_lshlrev_b64 v[15:16], v1, v[7:8]
	v_sub_u32_e32 v1, 32, v1
	v_min_u32_e32 v3, 1, v15
	v_or_b32_e32 v3, v16, v3
	v_cvt_f32_i32_e32 v3, v3
	s_mov_b32 s10, 0x43f00000
	v_ldexp_f32 v1, v3, v1
	v_and_b32_e32 v15, 0x7fffffff, v1
	v_cmp_gt_u32_e32 vcc, s10, v15
                                        ; implicit-def: $vgpr3
	s_and_saveexec_b64 s[10:11], vcc
	s_xor_b64 s[10:11], exec, s[10:11]
	s_cbranch_execz .LBB87_1674
; %bb.1669:
	s_mov_b32 s12, 0x3c7fffff
	v_cmp_lt_u32_e32 vcc, s12, v15
                                        ; implicit-def: $vgpr3
	s_and_saveexec_b64 s[12:13], vcc
	s_xor_b64 s[12:13], exec, s[12:13]
; %bb.1670:
	v_bfe_u32 v3, v1, 20, 1
	s_mov_b32 s14, 0x407ffff
	v_add3_u32 v3, v1, v3, s14
	v_lshrrev_b32_e32 v15, 20, v3
	v_and_b32_e32 v3, 0xff00000, v3
	s_mov_b32 s14, 0x7f00000
	v_mov_b32_e32 v16, 0x7e
	v_cmp_ne_u32_e32 vcc, s14, v3
	v_cndmask_b32_e32 v3, v16, v15, vcc
; %bb.1671:
	s_andn2_saveexec_b64 s[12:13], s[12:13]
; %bb.1672:
	s_mov_b32 s14, 0x46800000
	v_add_f32_e64 v3, |v1|, s14
; %bb.1673:
	s_or_b64 exec, exec, s[12:13]
                                        ; implicit-def: $vgpr15
.LBB87_1674:
	s_andn2_saveexec_b64 s[10:11], s[10:11]
; %bb.1675:
	s_mov_b32 s12, 0x7f800000
	v_mov_b32_e32 v3, 0x7e
	v_mov_b32_e32 v16, 0x7f
	v_cmp_lt_u32_e32 vcc, s12, v15
	v_cndmask_b32_e32 v3, v3, v16, vcc
; %bb.1676:
	s_or_b64 exec, exec, s[10:11]
	v_lshrrev_b32_e32 v1, 24, v1
	s_movk_i32 s10, 0x80
	v_and_or_b32 v1, v1, s10, v3
	global_store_byte v[5:6], v1, off
.LBB87_1677:
	s_mov_b64 s[10:11], 0
.LBB87_1678:
	s_andn2_b64 vcc, exec, s[10:11]
	s_cbranch_vccnz .LBB87_1688
; %bb.1679:
	v_xor_b32_e32 v3, v7, v8
	v_ffbh_i32_e32 v1, v8
	v_ashrrev_i32_e32 v3, 31, v3
	v_add_u32_e32 v1, -1, v1
	v_add_u32_e32 v3, 32, v3
	v_min_u32_e32 v1, v1, v3
	v_lshlrev_b64 v[15:16], v1, v[7:8]
	v_sub_u32_e32 v1, 32, v1
	v_min_u32_e32 v3, 1, v15
	v_or_b32_e32 v3, v16, v3
	v_cvt_f32_i32_e32 v3, v3
	s_mov_b32 s10, 0x47800000
	v_ldexp_f32 v1, v3, v1
	v_and_b32_e32 v15, 0x7fffffff, v1
	v_cmp_gt_u32_e32 vcc, s10, v15
                                        ; implicit-def: $vgpr3
	s_and_saveexec_b64 s[10:11], vcc
	s_xor_b64 s[10:11], exec, s[10:11]
	s_cbranch_execz .LBB87_1685
; %bb.1680:
	s_mov_b32 s12, 0x387fffff
	v_cmp_lt_u32_e32 vcc, s12, v15
                                        ; implicit-def: $vgpr3
	s_and_saveexec_b64 s[12:13], vcc
	s_xor_b64 s[12:13], exec, s[12:13]
; %bb.1681:
	v_bfe_u32 v3, v1, 21, 1
	s_mov_b32 s14, 0x80fffff
	v_add3_u32 v3, v1, v3, s14
	v_lshrrev_b32_e32 v3, 21, v3
; %bb.1682:
	s_andn2_saveexec_b64 s[12:13], s[12:13]
; %bb.1683:
	s_mov_b32 s14, 0x43000000
	v_add_f32_e64 v3, |v1|, s14
; %bb.1684:
	s_or_b64 exec, exec, s[12:13]
                                        ; implicit-def: $vgpr15
.LBB87_1685:
	s_andn2_saveexec_b64 s[10:11], s[10:11]
; %bb.1686:
	s_mov_b32 s12, 0x7f800000
	v_mov_b32_e32 v3, 0x7c
	v_mov_b32_e32 v16, 0x7f
	v_cmp_lt_u32_e32 vcc, s12, v15
	v_cndmask_b32_e32 v3, v3, v16, vcc
; %bb.1687:
	s_or_b64 exec, exec, s[10:11]
	v_lshrrev_b32_e32 v1, 24, v1
	s_movk_i32 s10, 0x80
	v_and_or_b32 v1, v1, s10, v3
	global_store_byte v[5:6], v1, off
.LBB87_1688:
	s_mov_b64 s[10:11], 0
	s_mov_b64 s[12:13], -1
.LBB87_1689:
	s_andn2_b64 vcc, exec, s[10:11]
	s_mov_b64 s[10:11], 0
	s_cbranch_vccnz .LBB87_1696
; %bb.1690:
	s_cmp_gt_i32 s5, 14
	s_mov_b64 s[14:15], -1
	s_cbranch_scc0 .LBB87_1694
; %bb.1691:
	s_cmp_eq_u32 s5, 15
	s_mov_b64 s[0:1], -1
	s_cbranch_scc0 .LBB87_1693
; %bb.1692:
	v_xor_b32_e32 v3, v7, v8
	v_ffbh_i32_e32 v1, v8
	v_ashrrev_i32_e32 v3, 31, v3
	v_add_u32_e32 v1, -1, v1
	v_add_u32_e32 v3, 32, v3
	v_min_u32_e32 v1, v1, v3
	v_lshlrev_b64 v[15:16], v1, v[7:8]
	v_sub_u32_e32 v1, 32, v1
	v_min_u32_e32 v3, 1, v15
	v_or_b32_e32 v3, v16, v3
	v_cvt_f32_i32_e32 v3, v3
	s_movk_i32 s0, 0x7fff
	s_mov_b64 s[12:13], -1
	v_ldexp_f32 v1, v3, v1
	v_bfe_u32 v3, v1, 16, 1
	v_add3_u32 v1, v1, v3, s0
	global_store_short_d16_hi v[5:6], v1, off
	s_mov_b64 s[0:1], 0
.LBB87_1693:
	s_mov_b64 s[14:15], 0
.LBB87_1694:
	s_and_b64 vcc, exec, s[14:15]
	s_cbranch_vccz .LBB87_1696
; %bb.1695:
	s_cmp_lg_u32 s5, 11
	s_mov_b64 s[10:11], -1
	s_cselect_b64 s[0:1], -1, 0
.LBB87_1696:
	s_and_b64 vcc, exec, s[0:1]
	s_cbranch_vccnz .LBB87_2104
; %bb.1697:
	s_andn2_b64 vcc, exec, s[10:11]
	s_cbranch_vccnz .LBB87_1699
.LBB87_1698:
	v_cmp_ne_u64_e32 vcc, 0, v[7:8]
	s_mov_b64 s[12:13], -1
	v_cndmask_b32_e64 v1, 0, 1, vcc
	global_store_byte v[5:6], v1, off
.LBB87_1699:
	s_mov_b64 s[0:1], 0
	s_branch .LBB87_1701
.LBB87_1700:
	s_mov_b64 s[0:1], -1
	s_mov_b64 s[12:13], 0
.LBB87_1701:
	s_and_b64 vcc, exec, s[0:1]
	s_cbranch_vccz .LBB87_1740
; %bb.1702:
	s_and_b32 s5, 0xffff, s18
	s_cmp_lt_i32 s5, 5
	s_mov_b64 s[0:1], -1
	s_cbranch_scc1 .LBB87_1723
; %bb.1703:
	s_cmp_lt_i32 s5, 8
	s_cbranch_scc1 .LBB87_1713
; %bb.1704:
	s_cmp_lt_i32 s5, 9
	s_cbranch_scc1 .LBB87_1710
; %bb.1705:
	s_cmp_gt_i32 s5, 9
	s_cbranch_scc0 .LBB87_1707
; %bb.1706:
	v_cvt_f64_i32_e32 v[15:16], v8
	v_cvt_f64_u32_e32 v[17:18], v7
	s_mov_b64 s[0:1], 0
	v_ldexp_f64 v[15:16], v[15:16], 32
	v_add_f64 v[15:16], v[15:16], v[17:18]
	v_mov_b32_e32 v17, 0
	v_mov_b32_e32 v18, v17
	global_store_dwordx4 v[5:6], v[15:18], off
.LBB87_1707:
	s_andn2_b64 vcc, exec, s[0:1]
	s_cbranch_vccnz .LBB87_1709
; %bb.1708:
	v_xor_b32_e32 v3, v7, v8
	v_ffbh_i32_e32 v1, v8
	v_ashrrev_i32_e32 v3, 31, v3
	v_add_u32_e32 v1, -1, v1
	v_add_u32_e32 v3, 32, v3
	v_min_u32_e32 v1, v1, v3
	v_lshlrev_b64 v[15:16], v1, v[7:8]
	v_sub_u32_e32 v1, 32, v1
	v_min_u32_e32 v3, 1, v15
	v_or_b32_e32 v3, v16, v3
	v_cvt_f32_i32_e32 v3, v3
	v_mov_b32_e32 v16, 0
	v_ldexp_f32 v15, v3, v1
	global_store_dwordx2 v[5:6], v[15:16], off
.LBB87_1709:
	s_mov_b64 s[0:1], 0
.LBB87_1710:
	s_andn2_b64 vcc, exec, s[0:1]
	s_cbranch_vccnz .LBB87_1712
; %bb.1711:
	v_xor_b32_e32 v3, v7, v8
	v_ffbh_i32_e32 v1, v8
	v_ashrrev_i32_e32 v3, 31, v3
	v_add_u32_e32 v1, -1, v1
	v_add_u32_e32 v3, 32, v3
	v_min_u32_e32 v1, v1, v3
	v_lshlrev_b64 v[15:16], v1, v[7:8]
	v_sub_u32_e32 v1, 32, v1
	v_min_u32_e32 v3, 1, v15
	v_or_b32_e32 v3, v16, v3
	v_cvt_f32_i32_e32 v3, v3
	v_ldexp_f32 v1, v3, v1
	v_cvt_f16_f32_e32 v1, v1
	global_store_dword v[5:6], v1, off
.LBB87_1712:
	s_mov_b64 s[0:1], 0
.LBB87_1713:
	s_andn2_b64 vcc, exec, s[0:1]
	s_cbranch_vccnz .LBB87_1722
; %bb.1714:
	s_cmp_lt_i32 s5, 6
	s_mov_b64 s[0:1], -1
	s_cbranch_scc1 .LBB87_1720
; %bb.1715:
	s_cmp_gt_i32 s5, 6
	s_cbranch_scc0 .LBB87_1717
; %bb.1716:
	v_cvt_f64_i32_e32 v[15:16], v8
	v_cvt_f64_u32_e32 v[17:18], v7
	s_mov_b64 s[0:1], 0
	v_ldexp_f64 v[15:16], v[15:16], 32
	v_add_f64 v[15:16], v[15:16], v[17:18]
	global_store_dwordx2 v[5:6], v[15:16], off
.LBB87_1717:
	s_andn2_b64 vcc, exec, s[0:1]
	s_cbranch_vccnz .LBB87_1719
; %bb.1718:
	v_xor_b32_e32 v3, v7, v8
	v_ffbh_i32_e32 v1, v8
	v_ashrrev_i32_e32 v3, 31, v3
	v_add_u32_e32 v1, -1, v1
	v_add_u32_e32 v3, 32, v3
	v_min_u32_e32 v1, v1, v3
	v_lshlrev_b64 v[15:16], v1, v[7:8]
	v_sub_u32_e32 v1, 32, v1
	v_min_u32_e32 v3, 1, v15
	v_or_b32_e32 v3, v16, v3
	v_cvt_f32_i32_e32 v3, v3
	v_ldexp_f32 v1, v3, v1
	global_store_dword v[5:6], v1, off
.LBB87_1719:
	s_mov_b64 s[0:1], 0
.LBB87_1720:
	s_andn2_b64 vcc, exec, s[0:1]
	s_cbranch_vccnz .LBB87_1722
; %bb.1721:
	v_xor_b32_e32 v3, v7, v8
	v_ffbh_i32_e32 v1, v8
	v_ashrrev_i32_e32 v3, 31, v3
	v_add_u32_e32 v1, -1, v1
	v_add_u32_e32 v3, 32, v3
	v_min_u32_e32 v1, v1, v3
	v_lshlrev_b64 v[15:16], v1, v[7:8]
	v_sub_u32_e32 v1, 32, v1
	v_min_u32_e32 v3, 1, v15
	v_or_b32_e32 v3, v16, v3
	v_cvt_f32_i32_e32 v3, v3
	v_ldexp_f32 v1, v3, v1
	v_cvt_f16_f32_e32 v1, v1
	global_store_short v[5:6], v1, off
.LBB87_1722:
	s_mov_b64 s[0:1], 0
.LBB87_1723:
	s_andn2_b64 vcc, exec, s[0:1]
	s_cbranch_vccnz .LBB87_1739
; %bb.1724:
	s_cmp_lt_i32 s5, 2
	s_mov_b64 s[0:1], -1
	s_cbranch_scc1 .LBB87_1734
; %bb.1725:
	s_cmp_lt_i32 s5, 3
	s_cbranch_scc1 .LBB87_1731
; %bb.1726:
	s_cmp_gt_i32 s5, 3
	s_cbranch_scc0 .LBB87_1728
; %bb.1727:
	global_store_dwordx2 v[5:6], v[7:8], off
	s_mov_b64 s[0:1], 0
.LBB87_1728:
	s_andn2_b64 vcc, exec, s[0:1]
	s_cbranch_vccnz .LBB87_1730
; %bb.1729:
	global_store_dword v[5:6], v7, off
.LBB87_1730:
	s_mov_b64 s[0:1], 0
.LBB87_1731:
	s_andn2_b64 vcc, exec, s[0:1]
	s_cbranch_vccnz .LBB87_1733
; %bb.1732:
	global_store_short v[5:6], v7, off
.LBB87_1733:
	s_mov_b64 s[0:1], 0
.LBB87_1734:
	s_andn2_b64 vcc, exec, s[0:1]
	s_cbranch_vccnz .LBB87_1739
; %bb.1735:
	s_cmp_gt_i32 s5, 0
	s_mov_b64 s[0:1], -1
	s_cbranch_scc0 .LBB87_1737
; %bb.1736:
	global_store_byte v[5:6], v7, off
	s_mov_b64 s[0:1], 0
.LBB87_1737:
	s_andn2_b64 vcc, exec, s[0:1]
	s_cbranch_vccnz .LBB87_1739
; %bb.1738:
	global_store_byte v[5:6], v7, off
.LBB87_1739:
	s_mov_b64 s[12:13], -1
.LBB87_1740:
	s_andn2_b64 vcc, exec, s[12:13]
	s_cbranch_vccnz .LBB87_2055
; %bb.1741:
	v_lshlrev_b64 v[5:6], s4, v[9:10]
	v_mov_b32_e32 v1, s9
	s_and_b32 s19, 0xffff, s18
	v_add_co_u32_e32 v3, vcc, s8, v4
	v_cndmask_b32_e64 v6, v6, 0, s[6:7]
	v_cndmask_b32_e64 v5, v5, 0, s[6:7]
	s_cmp_lt_i32 s19, 11
	v_addc_co_u32_e32 v4, vcc, 0, v1, vcc
	s_cbranch_scc1 .LBB87_1819
; %bb.1742:
	s_mov_b64 s[14:15], -1
	s_mov_b64 s[10:11], 0
	s_cmp_gt_i32 s19, 25
	s_mov_b64 s[12:13], 0
	s_mov_b64 s[0:1], 0
	s_cbranch_scc0 .LBB87_1775
; %bb.1743:
	s_cmp_gt_i32 s19, 28
	s_cbranch_scc0 .LBB87_1758
; %bb.1744:
	s_cmp_gt_i32 s19, 43
	;; [unrolled: 3-line block ×3, first 2 shown]
	s_cbranch_scc0 .LBB87_1748
; %bb.1746:
	s_mov_b64 s[0:1], -1
	s_mov_b64 s[14:15], 0
	s_cmp_eq_u32 s19, 46
	s_cbranch_scc0 .LBB87_1748
; %bb.1747:
	v_xor_b32_e32 v7, v5, v6
	v_ffbh_i32_e32 v1, v6
	v_ashrrev_i32_e32 v7, 31, v7
	v_add_u32_e32 v1, -1, v1
	v_add_u32_e32 v7, 32, v7
	v_min_u32_e32 v1, v1, v7
	v_lshlrev_b64 v[7:8], v1, v[5:6]
	v_sub_u32_e32 v1, 32, v1
	v_min_u32_e32 v7, 1, v7
	v_or_b32_e32 v7, v8, v7
	v_cvt_f32_i32_e32 v7, v7
	s_movk_i32 s0, 0x7fff
	s_mov_b64 s[12:13], -1
	v_ldexp_f32 v1, v7, v1
	v_bfe_u32 v7, v1, 16, 1
	v_add3_u32 v1, v1, v7, s0
	v_lshrrev_b32_e32 v1, 16, v1
	global_store_dword v[3:4], v1, off
	s_mov_b64 s[0:1], 0
.LBB87_1748:
	s_and_b64 vcc, exec, s[14:15]
	s_cbranch_vccz .LBB87_1753
; %bb.1749:
	s_cmp_eq_u32 s19, 44
	s_mov_b64 s[0:1], -1
	s_cbranch_scc0 .LBB87_1753
; %bb.1750:
	v_xor_b32_e32 v7, v5, v6
	v_ffbh_i32_e32 v1, v6
	v_ashrrev_i32_e32 v7, 31, v7
	v_add_u32_e32 v1, -1, v1
	v_add_u32_e32 v7, 32, v7
	v_min_u32_e32 v1, v1, v7
	v_lshlrev_b64 v[7:8], v1, v[5:6]
	v_sub_u32_e32 v1, 32, v1
	v_min_u32_e32 v7, 1, v7
	v_or_b32_e32 v7, v8, v7
	v_cvt_f32_i32_e32 v7, v7
	s_movk_i32 s0, 0xff
	v_mov_b32_e32 v8, 0xff
	v_ldexp_f32 v1, v7, v1
	v_bfe_u32 v7, v1, 23, 8
	v_cmp_ne_u32_e32 vcc, s0, v7
	s_and_saveexec_b64 s[12:13], vcc
; %bb.1751:
	s_mov_b32 s0, 0x3fffff
	v_lshrrev_b32_e32 v8, 23, v1
	v_and_b32_e32 v9, 0x400000, v1
	v_and_or_b32 v1, v1, s0, v7
	v_cmp_ne_u32_e32 vcc, 0, v9
	v_cmp_ne_u32_e64 s[0:1], 0, v1
	s_and_b64 s[0:1], vcc, s[0:1]
	v_cndmask_b32_e64 v1, 0, 1, s[0:1]
	v_add_u32_e32 v8, v8, v1
; %bb.1752:
	s_or_b64 exec, exec, s[12:13]
	s_mov_b64 s[0:1], 0
	s_mov_b64 s[12:13], -1
	global_store_byte v[3:4], v8, off
.LBB87_1753:
	s_mov_b64 s[14:15], 0
.LBB87_1754:
	s_and_b64 vcc, exec, s[14:15]
	s_cbranch_vccz .LBB87_1757
; %bb.1755:
	s_cmp_eq_u32 s19, 29
	s_mov_b64 s[0:1], -1
	s_cbranch_scc0 .LBB87_1757
; %bb.1756:
	global_store_dwordx2 v[3:4], v[5:6], off
	s_mov_b64 s[0:1], 0
	s_mov_b64 s[12:13], -1
.LBB87_1757:
	s_mov_b64 s[14:15], 0
.LBB87_1758:
	s_and_b64 vcc, exec, s[14:15]
	s_cbranch_vccz .LBB87_1774
; %bb.1759:
	s_cmp_lt_i32 s19, 27
	s_mov_b64 s[12:13], -1
	s_cbranch_scc1 .LBB87_1765
; %bb.1760:
	s_cmp_gt_i32 s19, 27
	s_cbranch_scc0 .LBB87_1762
; %bb.1761:
	s_mov_b64 s[12:13], 0
	global_store_dword v[3:4], v5, off
.LBB87_1762:
	s_andn2_b64 vcc, exec, s[12:13]
	s_cbranch_vccnz .LBB87_1764
; %bb.1763:
	global_store_short v[3:4], v5, off
.LBB87_1764:
	s_mov_b64 s[12:13], 0
.LBB87_1765:
	s_andn2_b64 vcc, exec, s[12:13]
	s_cbranch_vccnz .LBB87_1773
; %bb.1766:
	v_xor_b32_e32 v7, v5, v6
	v_ffbh_i32_e32 v1, v6
	v_ashrrev_i32_e32 v7, 31, v7
	v_add_u32_e32 v1, -1, v1
	v_add_u32_e32 v7, 32, v7
	v_min_u32_e32 v1, v1, v7
	v_lshlrev_b64 v[7:8], v1, v[5:6]
	v_sub_u32_e32 v1, 32, v1
	v_min_u32_e32 v7, 1, v7
	v_or_b32_e32 v7, v8, v7
	v_cvt_f32_i32_e32 v7, v7
	s_mov_b32 s5, 0x43800000
	v_mov_b32_e32 v8, 0x80
	v_ldexp_f32 v1, v7, v1
	v_and_b32_e32 v7, 0x7fffffff, v1
	v_cmp_gt_u32_e32 vcc, s5, v7
	s_and_saveexec_b64 s[12:13], vcc
	s_cbranch_execz .LBB87_1772
; %bb.1767:
	s_mov_b32 s5, 0x3bffffff
	v_cmp_lt_u32_e32 vcc, s5, v7
	s_mov_b64 s[14:15], 0
                                        ; implicit-def: $vgpr7
	s_and_saveexec_b64 s[16:17], vcc
	s_xor_b64 s[16:17], exec, s[16:17]
	s_cbranch_execz .LBB87_2107
; %bb.1768:
	v_bfe_u32 v7, v1, 20, 1
	s_mov_b32 s5, 0x487ffff
	v_add3_u32 v7, v1, v7, s5
	s_mov_b64 s[14:15], exec
	v_lshrrev_b32_e32 v7, 20, v7
	s_andn2_saveexec_b64 s[16:17], s[16:17]
	s_cbranch_execnz .LBB87_2108
.LBB87_1769:
	s_or_b64 exec, exec, s[16:17]
	v_mov_b32_e32 v8, 0
	s_and_saveexec_b64 s[16:17], s[14:15]
.LBB87_1770:
	v_lshrrev_b32_e32 v1, 24, v1
	s_movk_i32 s5, 0x80
	v_and_or_b32 v8, v1, s5, v7
.LBB87_1771:
	s_or_b64 exec, exec, s[16:17]
.LBB87_1772:
	s_or_b64 exec, exec, s[12:13]
	global_store_byte v[3:4], v8, off
.LBB87_1773:
	s_mov_b64 s[12:13], -1
.LBB87_1774:
	s_mov_b64 s[14:15], 0
.LBB87_1775:
	s_and_b64 vcc, exec, s[14:15]
	s_cbranch_vccz .LBB87_1815
; %bb.1776:
	s_cmp_gt_i32 s19, 22
	s_mov_b64 s[10:11], -1
	s_cbranch_scc0 .LBB87_1808
; %bb.1777:
	s_cmp_lt_i32 s19, 24
	s_cbranch_scc1 .LBB87_1797
; %bb.1778:
	s_cmp_gt_i32 s19, 24
	s_cbranch_scc0 .LBB87_1786
; %bb.1779:
	v_xor_b32_e32 v7, v5, v6
	v_ffbh_i32_e32 v1, v6
	v_ashrrev_i32_e32 v7, 31, v7
	v_add_u32_e32 v1, -1, v1
	v_add_u32_e32 v7, 32, v7
	v_min_u32_e32 v1, v1, v7
	v_lshlrev_b64 v[7:8], v1, v[5:6]
	v_sub_u32_e32 v1, 32, v1
	v_min_u32_e32 v7, 1, v7
	v_or_b32_e32 v7, v8, v7
	v_cvt_f32_i32_e32 v7, v7
	s_mov_b32 s5, 0x47800000
	v_mov_b32_e32 v8, 0x80
	v_ldexp_f32 v1, v7, v1
	v_and_b32_e32 v7, 0x7fffffff, v1
	v_cmp_gt_u32_e32 vcc, s5, v7
	s_and_saveexec_b64 s[10:11], vcc
	s_cbranch_execz .LBB87_1785
; %bb.1780:
	s_mov_b32 s5, 0x37ffffff
	v_cmp_lt_u32_e32 vcc, s5, v7
	s_mov_b64 s[12:13], 0
                                        ; implicit-def: $vgpr7
	s_and_saveexec_b64 s[14:15], vcc
	s_xor_b64 s[14:15], exec, s[14:15]
	s_cbranch_execz .LBB87_2110
; %bb.1781:
	v_bfe_u32 v7, v1, 21, 1
	s_mov_b32 s5, 0x88fffff
	v_add3_u32 v7, v1, v7, s5
	s_mov_b64 s[12:13], exec
	v_lshrrev_b32_e32 v7, 21, v7
	s_andn2_saveexec_b64 s[14:15], s[14:15]
	s_cbranch_execnz .LBB87_2111
.LBB87_1782:
	s_or_b64 exec, exec, s[14:15]
	v_mov_b32_e32 v8, 0
	s_and_saveexec_b64 s[14:15], s[12:13]
.LBB87_1783:
	v_lshrrev_b32_e32 v1, 24, v1
	s_movk_i32 s5, 0x80
	v_and_or_b32 v8, v1, s5, v7
.LBB87_1784:
	s_or_b64 exec, exec, s[14:15]
.LBB87_1785:
	s_or_b64 exec, exec, s[10:11]
	s_mov_b64 s[10:11], 0
	global_store_byte v[3:4], v8, off
.LBB87_1786:
	s_and_b64 vcc, exec, s[10:11]
	s_cbranch_vccz .LBB87_1796
; %bb.1787:
	v_xor_b32_e32 v7, v5, v6
	v_ffbh_i32_e32 v1, v6
	v_ashrrev_i32_e32 v7, 31, v7
	v_add_u32_e32 v1, -1, v1
	v_add_u32_e32 v7, 32, v7
	v_min_u32_e32 v1, v1, v7
	v_lshlrev_b64 v[7:8], v1, v[5:6]
	v_sub_u32_e32 v1, 32, v1
	v_min_u32_e32 v7, 1, v7
	v_or_b32_e32 v7, v8, v7
	v_cvt_f32_i32_e32 v7, v7
	s_mov_b32 s5, 0x43f00000
	v_ldexp_f32 v1, v7, v1
	v_and_b32_e32 v8, 0x7fffffff, v1
	v_cmp_gt_u32_e32 vcc, s5, v8
                                        ; implicit-def: $vgpr7
	s_and_saveexec_b64 s[10:11], vcc
	s_xor_b64 s[10:11], exec, s[10:11]
	s_cbranch_execz .LBB87_1793
; %bb.1788:
	s_mov_b32 s5, 0x3c7fffff
	v_cmp_lt_u32_e32 vcc, s5, v8
                                        ; implicit-def: $vgpr7
	s_and_saveexec_b64 s[12:13], vcc
	s_xor_b64 s[12:13], exec, s[12:13]
; %bb.1789:
	v_bfe_u32 v7, v1, 20, 1
	s_mov_b32 s5, 0x407ffff
	v_add3_u32 v7, v1, v7, s5
	v_lshrrev_b32_e32 v8, 20, v7
	v_and_b32_e32 v7, 0xff00000, v7
	s_mov_b32 s5, 0x7f00000
	v_mov_b32_e32 v9, 0x7e
	v_cmp_ne_u32_e32 vcc, s5, v7
	v_cndmask_b32_e32 v7, v9, v8, vcc
; %bb.1790:
	s_andn2_saveexec_b64 s[12:13], s[12:13]
; %bb.1791:
	s_mov_b32 s5, 0x46800000
	v_add_f32_e64 v7, |v1|, s5
; %bb.1792:
	s_or_b64 exec, exec, s[12:13]
                                        ; implicit-def: $vgpr8
.LBB87_1793:
	s_andn2_saveexec_b64 s[10:11], s[10:11]
; %bb.1794:
	s_mov_b32 s5, 0x7f800000
	v_mov_b32_e32 v7, 0x7e
	v_mov_b32_e32 v9, 0x7f
	v_cmp_lt_u32_e32 vcc, s5, v8
	v_cndmask_b32_e32 v7, v7, v9, vcc
; %bb.1795:
	s_or_b64 exec, exec, s[10:11]
	v_lshrrev_b32_e32 v1, 24, v1
	s_movk_i32 s5, 0x80
	v_and_or_b32 v1, v1, s5, v7
	global_store_byte v[3:4], v1, off
.LBB87_1796:
	s_mov_b64 s[10:11], 0
.LBB87_1797:
	s_andn2_b64 vcc, exec, s[10:11]
	s_cbranch_vccnz .LBB87_1807
; %bb.1798:
	v_xor_b32_e32 v7, v5, v6
	v_ffbh_i32_e32 v1, v6
	v_ashrrev_i32_e32 v7, 31, v7
	v_add_u32_e32 v1, -1, v1
	v_add_u32_e32 v7, 32, v7
	v_min_u32_e32 v1, v1, v7
	v_lshlrev_b64 v[7:8], v1, v[5:6]
	v_sub_u32_e32 v1, 32, v1
	v_min_u32_e32 v7, 1, v7
	v_or_b32_e32 v7, v8, v7
	v_cvt_f32_i32_e32 v7, v7
	s_mov_b32 s5, 0x47800000
	v_ldexp_f32 v1, v7, v1
	v_and_b32_e32 v8, 0x7fffffff, v1
	v_cmp_gt_u32_e32 vcc, s5, v8
                                        ; implicit-def: $vgpr7
	s_and_saveexec_b64 s[10:11], vcc
	s_xor_b64 s[10:11], exec, s[10:11]
	s_cbranch_execz .LBB87_1804
; %bb.1799:
	s_mov_b32 s5, 0x387fffff
	v_cmp_lt_u32_e32 vcc, s5, v8
                                        ; implicit-def: $vgpr7
	s_and_saveexec_b64 s[12:13], vcc
	s_xor_b64 s[12:13], exec, s[12:13]
; %bb.1800:
	v_bfe_u32 v7, v1, 21, 1
	s_mov_b32 s5, 0x80fffff
	v_add3_u32 v7, v1, v7, s5
	v_lshrrev_b32_e32 v7, 21, v7
; %bb.1801:
	s_andn2_saveexec_b64 s[12:13], s[12:13]
; %bb.1802:
	s_mov_b32 s5, 0x43000000
	v_add_f32_e64 v7, |v1|, s5
; %bb.1803:
	s_or_b64 exec, exec, s[12:13]
                                        ; implicit-def: $vgpr8
.LBB87_1804:
	s_andn2_saveexec_b64 s[10:11], s[10:11]
; %bb.1805:
	s_mov_b32 s5, 0x7f800000
	v_mov_b32_e32 v7, 0x7c
	v_mov_b32_e32 v9, 0x7f
	v_cmp_lt_u32_e32 vcc, s5, v8
	v_cndmask_b32_e32 v7, v7, v9, vcc
; %bb.1806:
	s_or_b64 exec, exec, s[10:11]
	v_lshrrev_b32_e32 v1, 24, v1
	s_movk_i32 s5, 0x80
	v_and_or_b32 v1, v1, s5, v7
	global_store_byte v[3:4], v1, off
.LBB87_1807:
	s_mov_b64 s[10:11], 0
	s_mov_b64 s[12:13], -1
.LBB87_1808:
	s_andn2_b64 vcc, exec, s[10:11]
	s_mov_b64 s[10:11], 0
	s_cbranch_vccnz .LBB87_1815
; %bb.1809:
	s_cmp_gt_i32 s19, 14
	s_mov_b64 s[14:15], -1
	s_cbranch_scc0 .LBB87_1813
; %bb.1810:
	s_cmp_eq_u32 s19, 15
	s_mov_b64 s[0:1], -1
	s_cbranch_scc0 .LBB87_1812
; %bb.1811:
	v_xor_b32_e32 v7, v5, v6
	v_ffbh_i32_e32 v1, v6
	v_ashrrev_i32_e32 v7, 31, v7
	v_add_u32_e32 v1, -1, v1
	v_add_u32_e32 v7, 32, v7
	v_min_u32_e32 v1, v1, v7
	v_lshlrev_b64 v[7:8], v1, v[5:6]
	v_sub_u32_e32 v1, 32, v1
	v_min_u32_e32 v7, 1, v7
	v_or_b32_e32 v7, v8, v7
	v_cvt_f32_i32_e32 v7, v7
	s_movk_i32 s0, 0x7fff
	s_mov_b64 s[12:13], -1
	v_ldexp_f32 v1, v7, v1
	v_bfe_u32 v7, v1, 16, 1
	v_add3_u32 v1, v1, v7, s0
	global_store_short_d16_hi v[3:4], v1, off
	s_mov_b64 s[0:1], 0
.LBB87_1812:
	s_mov_b64 s[14:15], 0
.LBB87_1813:
	s_and_b64 vcc, exec, s[14:15]
	s_cbranch_vccz .LBB87_1815
; %bb.1814:
	s_cmp_lg_u32 s19, 11
	s_mov_b64 s[10:11], -1
	s_cselect_b64 s[0:1], -1, 0
.LBB87_1815:
	s_and_b64 vcc, exec, s[0:1]
	s_cbranch_vccnz .LBB87_2109
; %bb.1816:
	s_andn2_b64 vcc, exec, s[10:11]
	s_cbranch_vccnz .LBB87_1818
.LBB87_1817:
	v_cmp_ne_u64_e32 vcc, 0, v[5:6]
	s_mov_b64 s[12:13], -1
	v_cndmask_b32_e64 v1, 0, 1, vcc
	global_store_byte v[3:4], v1, off
.LBB87_1818:
	s_mov_b64 s[0:1], 0
	s_branch .LBB87_1820
.LBB87_1819:
	s_mov_b64 s[0:1], -1
	s_mov_b64 s[12:13], 0
.LBB87_1820:
	s_and_b64 vcc, exec, s[0:1]
	s_cbranch_vccz .LBB87_1859
; %bb.1821:
	s_cmp_lt_i32 s19, 5
	s_mov_b64 s[0:1], -1
	s_cbranch_scc1 .LBB87_1842
; %bb.1822:
	s_cmp_lt_i32 s19, 8
	s_cbranch_scc1 .LBB87_1832
; %bb.1823:
	s_cmp_lt_i32 s19, 9
	s_cbranch_scc1 .LBB87_1829
; %bb.1824:
	s_cmp_gt_i32 s19, 9
	s_cbranch_scc0 .LBB87_1826
; %bb.1825:
	v_cvt_f64_i32_e32 v[7:8], v6
	v_cvt_f64_u32_e32 v[9:10], v5
	s_mov_b64 s[0:1], 0
	v_ldexp_f64 v[7:8], v[7:8], 32
	v_add_f64 v[7:8], v[7:8], v[9:10]
	v_mov_b32_e32 v9, 0
	v_mov_b32_e32 v10, v9
	global_store_dwordx4 v[3:4], v[7:10], off
.LBB87_1826:
	s_andn2_b64 vcc, exec, s[0:1]
	s_cbranch_vccnz .LBB87_1828
; %bb.1827:
	v_xor_b32_e32 v7, v5, v6
	v_ffbh_i32_e32 v1, v6
	v_ashrrev_i32_e32 v7, 31, v7
	v_add_u32_e32 v1, -1, v1
	v_add_u32_e32 v7, 32, v7
	v_min_u32_e32 v1, v1, v7
	v_lshlrev_b64 v[7:8], v1, v[5:6]
	v_sub_u32_e32 v1, 32, v1
	v_min_u32_e32 v7, 1, v7
	v_or_b32_e32 v7, v8, v7
	v_cvt_f32_i32_e32 v7, v7
	v_mov_b32_e32 v8, 0
	v_ldexp_f32 v7, v7, v1
	global_store_dwordx2 v[3:4], v[7:8], off
.LBB87_1828:
	s_mov_b64 s[0:1], 0
.LBB87_1829:
	s_andn2_b64 vcc, exec, s[0:1]
	s_cbranch_vccnz .LBB87_1831
; %bb.1830:
	v_xor_b32_e32 v7, v5, v6
	v_ffbh_i32_e32 v1, v6
	v_ashrrev_i32_e32 v7, 31, v7
	v_add_u32_e32 v1, -1, v1
	v_add_u32_e32 v7, 32, v7
	v_min_u32_e32 v1, v1, v7
	v_lshlrev_b64 v[7:8], v1, v[5:6]
	v_sub_u32_e32 v1, 32, v1
	v_min_u32_e32 v7, 1, v7
	v_or_b32_e32 v7, v8, v7
	v_cvt_f32_i32_e32 v7, v7
	v_ldexp_f32 v1, v7, v1
	v_cvt_f16_f32_e32 v1, v1
	global_store_dword v[3:4], v1, off
.LBB87_1831:
	s_mov_b64 s[0:1], 0
.LBB87_1832:
	s_andn2_b64 vcc, exec, s[0:1]
	s_cbranch_vccnz .LBB87_1841
; %bb.1833:
	s_cmp_lt_i32 s19, 6
	s_mov_b64 s[0:1], -1
	s_cbranch_scc1 .LBB87_1839
; %bb.1834:
	s_cmp_gt_i32 s19, 6
	s_cbranch_scc0 .LBB87_1836
; %bb.1835:
	v_cvt_f64_i32_e32 v[7:8], v6
	v_cvt_f64_u32_e32 v[9:10], v5
	s_mov_b64 s[0:1], 0
	v_ldexp_f64 v[7:8], v[7:8], 32
	v_add_f64 v[7:8], v[7:8], v[9:10]
	global_store_dwordx2 v[3:4], v[7:8], off
.LBB87_1836:
	s_andn2_b64 vcc, exec, s[0:1]
	s_cbranch_vccnz .LBB87_1838
; %bb.1837:
	v_xor_b32_e32 v7, v5, v6
	v_ffbh_i32_e32 v1, v6
	v_ashrrev_i32_e32 v7, 31, v7
	v_add_u32_e32 v1, -1, v1
	v_add_u32_e32 v7, 32, v7
	v_min_u32_e32 v1, v1, v7
	v_lshlrev_b64 v[7:8], v1, v[5:6]
	v_sub_u32_e32 v1, 32, v1
	v_min_u32_e32 v7, 1, v7
	v_or_b32_e32 v7, v8, v7
	v_cvt_f32_i32_e32 v7, v7
	v_ldexp_f32 v1, v7, v1
	global_store_dword v[3:4], v1, off
.LBB87_1838:
	s_mov_b64 s[0:1], 0
.LBB87_1839:
	s_andn2_b64 vcc, exec, s[0:1]
	s_cbranch_vccnz .LBB87_1841
; %bb.1840:
	v_xor_b32_e32 v7, v5, v6
	v_ffbh_i32_e32 v1, v6
	v_ashrrev_i32_e32 v7, 31, v7
	v_add_u32_e32 v1, -1, v1
	v_add_u32_e32 v7, 32, v7
	v_min_u32_e32 v1, v1, v7
	v_lshlrev_b64 v[7:8], v1, v[5:6]
	v_sub_u32_e32 v1, 32, v1
	v_min_u32_e32 v7, 1, v7
	v_or_b32_e32 v7, v8, v7
	v_cvt_f32_i32_e32 v7, v7
	v_ldexp_f32 v1, v7, v1
	v_cvt_f16_f32_e32 v1, v1
	global_store_short v[3:4], v1, off
.LBB87_1841:
	s_mov_b64 s[0:1], 0
.LBB87_1842:
	s_andn2_b64 vcc, exec, s[0:1]
	s_cbranch_vccnz .LBB87_1858
; %bb.1843:
	s_cmp_lt_i32 s19, 2
	s_mov_b64 s[0:1], -1
	s_cbranch_scc1 .LBB87_1853
; %bb.1844:
	s_cmp_lt_i32 s19, 3
	s_cbranch_scc1 .LBB87_1850
; %bb.1845:
	s_cmp_gt_i32 s19, 3
	s_cbranch_scc0 .LBB87_1847
; %bb.1846:
	global_store_dwordx2 v[3:4], v[5:6], off
	s_mov_b64 s[0:1], 0
.LBB87_1847:
	s_andn2_b64 vcc, exec, s[0:1]
	s_cbranch_vccnz .LBB87_1849
; %bb.1848:
	global_store_dword v[3:4], v5, off
.LBB87_1849:
	s_mov_b64 s[0:1], 0
.LBB87_1850:
	s_andn2_b64 vcc, exec, s[0:1]
	s_cbranch_vccnz .LBB87_1852
; %bb.1851:
	global_store_short v[3:4], v5, off
.LBB87_1852:
	s_mov_b64 s[0:1], 0
.LBB87_1853:
	s_andn2_b64 vcc, exec, s[0:1]
	s_cbranch_vccnz .LBB87_1858
; %bb.1854:
	s_cmp_gt_i32 s19, 0
	s_mov_b64 s[0:1], -1
	s_cbranch_scc0 .LBB87_1856
; %bb.1855:
	global_store_byte v[3:4], v5, off
	s_mov_b64 s[0:1], 0
.LBB87_1856:
	s_andn2_b64 vcc, exec, s[0:1]
	s_cbranch_vccnz .LBB87_1858
; %bb.1857:
	global_store_byte v[3:4], v5, off
.LBB87_1858:
	s_mov_b64 s[12:13], -1
.LBB87_1859:
	s_andn2_b64 vcc, exec, s[12:13]
	s_cbranch_vccnz .LBB87_2055
; %bb.1860:
	v_lshlrev_b64 v[3:4], s4, v[11:12]
	v_mov_b32_e32 v5, s9
	v_add_co_u32_e32 v1, vcc, s8, v2
	v_cndmask_b32_e64 v4, v4, 0, s[6:7]
	v_cndmask_b32_e64 v3, v3, 0, s[6:7]
	s_cmp_lt_i32 s19, 11
	v_addc_co_u32_e32 v2, vcc, 0, v5, vcc
	s_cbranch_scc1 .LBB87_1938
; %bb.1861:
	s_mov_b64 s[14:15], -1
	s_mov_b64 s[10:11], 0
	s_cmp_gt_i32 s19, 25
	s_mov_b64 s[12:13], 0
	s_mov_b64 s[0:1], 0
	s_cbranch_scc0 .LBB87_1894
; %bb.1862:
	s_cmp_gt_i32 s19, 28
	s_cbranch_scc0 .LBB87_1877
; %bb.1863:
	s_cmp_gt_i32 s19, 43
	;; [unrolled: 3-line block ×3, first 2 shown]
	s_cbranch_scc0 .LBB87_1867
; %bb.1865:
	s_mov_b64 s[0:1], -1
	s_mov_b64 s[14:15], 0
	s_cmp_eq_u32 s19, 46
	s_cbranch_scc0 .LBB87_1867
; %bb.1866:
	v_xor_b32_e32 v6, v3, v4
	v_ffbh_i32_e32 v5, v4
	v_ashrrev_i32_e32 v6, 31, v6
	v_add_u32_e32 v5, -1, v5
	v_add_u32_e32 v6, 32, v6
	v_min_u32_e32 v7, v5, v6
	v_lshlrev_b64 v[5:6], v7, v[3:4]
	s_movk_i32 s0, 0x7fff
	v_min_u32_e32 v5, 1, v5
	v_or_b32_e32 v5, v6, v5
	v_cvt_f32_i32_e32 v5, v5
	v_sub_u32_e32 v6, 32, v7
	s_mov_b64 s[12:13], -1
	v_ldexp_f32 v5, v5, v6
	v_bfe_u32 v6, v5, 16, 1
	v_add3_u32 v5, v5, v6, s0
	v_lshrrev_b32_e32 v5, 16, v5
	global_store_dword v[1:2], v5, off
	s_mov_b64 s[0:1], 0
.LBB87_1867:
	s_and_b64 vcc, exec, s[14:15]
	s_cbranch_vccz .LBB87_1872
; %bb.1868:
	s_cmp_eq_u32 s19, 44
	s_mov_b64 s[0:1], -1
	s_cbranch_scc0 .LBB87_1872
; %bb.1869:
	v_xor_b32_e32 v6, v3, v4
	v_ffbh_i32_e32 v5, v4
	v_ashrrev_i32_e32 v6, 31, v6
	v_add_u32_e32 v5, -1, v5
	v_add_u32_e32 v6, 32, v6
	v_min_u32_e32 v7, v5, v6
	v_lshlrev_b64 v[5:6], v7, v[3:4]
	s_movk_i32 s0, 0xff
	v_min_u32_e32 v5, 1, v5
	v_or_b32_e32 v5, v6, v5
	v_cvt_f32_i32_e32 v5, v5
	v_sub_u32_e32 v6, 32, v7
	v_mov_b32_e32 v7, 0xff
	v_ldexp_f32 v5, v5, v6
	v_bfe_u32 v6, v5, 23, 8
	v_cmp_ne_u32_e32 vcc, s0, v6
	s_and_saveexec_b64 s[12:13], vcc
; %bb.1870:
	s_mov_b32 s0, 0x3fffff
	v_lshrrev_b32_e32 v7, 23, v5
	v_and_b32_e32 v8, 0x400000, v5
	v_and_or_b32 v5, v5, s0, v6
	v_cmp_ne_u32_e32 vcc, 0, v8
	v_cmp_ne_u32_e64 s[0:1], 0, v5
	s_and_b64 s[0:1], vcc, s[0:1]
	v_cndmask_b32_e64 v5, 0, 1, s[0:1]
	v_add_u32_e32 v7, v7, v5
; %bb.1871:
	s_or_b64 exec, exec, s[12:13]
	s_mov_b64 s[0:1], 0
	s_mov_b64 s[12:13], -1
	global_store_byte v[1:2], v7, off
.LBB87_1872:
	s_mov_b64 s[14:15], 0
.LBB87_1873:
	s_and_b64 vcc, exec, s[14:15]
	s_cbranch_vccz .LBB87_1876
; %bb.1874:
	s_cmp_eq_u32 s19, 29
	s_mov_b64 s[0:1], -1
	s_cbranch_scc0 .LBB87_1876
; %bb.1875:
	global_store_dwordx2 v[1:2], v[3:4], off
	s_mov_b64 s[0:1], 0
	s_mov_b64 s[12:13], -1
.LBB87_1876:
	s_mov_b64 s[14:15], 0
.LBB87_1877:
	s_and_b64 vcc, exec, s[14:15]
	s_cbranch_vccz .LBB87_1893
; %bb.1878:
	s_cmp_lt_i32 s19, 27
	s_mov_b64 s[12:13], -1
	s_cbranch_scc1 .LBB87_1884
; %bb.1879:
	s_cmp_gt_i32 s19, 27
	s_cbranch_scc0 .LBB87_1881
; %bb.1880:
	s_mov_b64 s[12:13], 0
	global_store_dword v[1:2], v3, off
.LBB87_1881:
	s_andn2_b64 vcc, exec, s[12:13]
	s_cbranch_vccnz .LBB87_1883
; %bb.1882:
	global_store_short v[1:2], v3, off
.LBB87_1883:
	s_mov_b64 s[12:13], 0
.LBB87_1884:
	s_andn2_b64 vcc, exec, s[12:13]
	s_cbranch_vccnz .LBB87_1892
; %bb.1885:
	v_xor_b32_e32 v6, v3, v4
	v_ffbh_i32_e32 v5, v4
	v_ashrrev_i32_e32 v6, 31, v6
	v_add_u32_e32 v5, -1, v5
	v_add_u32_e32 v6, 32, v6
	v_min_u32_e32 v7, v5, v6
	v_lshlrev_b64 v[5:6], v7, v[3:4]
	s_mov_b32 s5, 0x43800000
	v_min_u32_e32 v5, 1, v5
	v_or_b32_e32 v5, v6, v5
	v_cvt_f32_i32_e32 v5, v5
	v_sub_u32_e32 v6, 32, v7
	v_mov_b32_e32 v7, 0x80
	v_ldexp_f32 v5, v5, v6
	v_and_b32_e32 v6, 0x7fffffff, v5
	v_cmp_gt_u32_e32 vcc, s5, v6
	s_and_saveexec_b64 s[12:13], vcc
	s_cbranch_execz .LBB87_1891
; %bb.1886:
	s_mov_b32 s5, 0x3bffffff
	v_cmp_lt_u32_e32 vcc, s5, v6
	s_mov_b64 s[14:15], 0
                                        ; implicit-def: $vgpr6
	s_and_saveexec_b64 s[16:17], vcc
	s_xor_b64 s[16:17], exec, s[16:17]
	s_cbranch_execz .LBB87_2112
; %bb.1887:
	v_bfe_u32 v6, v5, 20, 1
	s_mov_b32 s5, 0x487ffff
	v_add3_u32 v6, v5, v6, s5
	s_mov_b64 s[14:15], exec
	v_lshrrev_b32_e32 v6, 20, v6
	s_andn2_saveexec_b64 s[16:17], s[16:17]
	s_cbranch_execnz .LBB87_2113
.LBB87_1888:
	s_or_b64 exec, exec, s[16:17]
	v_mov_b32_e32 v7, 0
	s_and_saveexec_b64 s[16:17], s[14:15]
.LBB87_1889:
	v_lshrrev_b32_e32 v5, 24, v5
	s_movk_i32 s5, 0x80
	v_and_or_b32 v7, v5, s5, v6
.LBB87_1890:
	s_or_b64 exec, exec, s[16:17]
.LBB87_1891:
	s_or_b64 exec, exec, s[12:13]
	global_store_byte v[1:2], v7, off
.LBB87_1892:
	s_mov_b64 s[12:13], -1
.LBB87_1893:
	s_mov_b64 s[14:15], 0
.LBB87_1894:
	s_and_b64 vcc, exec, s[14:15]
	s_cbranch_vccz .LBB87_1934
; %bb.1895:
	s_cmp_gt_i32 s19, 22
	s_mov_b64 s[10:11], -1
	s_cbranch_scc0 .LBB87_1927
; %bb.1896:
	s_cmp_lt_i32 s19, 24
	s_cbranch_scc1 .LBB87_1916
; %bb.1897:
	s_cmp_gt_i32 s19, 24
	s_cbranch_scc0 .LBB87_1905
; %bb.1898:
	v_xor_b32_e32 v6, v3, v4
	v_ffbh_i32_e32 v5, v4
	v_ashrrev_i32_e32 v6, 31, v6
	v_add_u32_e32 v5, -1, v5
	v_add_u32_e32 v6, 32, v6
	v_min_u32_e32 v7, v5, v6
	v_lshlrev_b64 v[5:6], v7, v[3:4]
	s_mov_b32 s5, 0x47800000
	v_min_u32_e32 v5, 1, v5
	v_or_b32_e32 v5, v6, v5
	v_cvt_f32_i32_e32 v5, v5
	v_sub_u32_e32 v6, 32, v7
	v_mov_b32_e32 v7, 0x80
	v_ldexp_f32 v5, v5, v6
	v_and_b32_e32 v6, 0x7fffffff, v5
	v_cmp_gt_u32_e32 vcc, s5, v6
	s_and_saveexec_b64 s[10:11], vcc
	s_cbranch_execz .LBB87_1904
; %bb.1899:
	s_mov_b32 s5, 0x37ffffff
	v_cmp_lt_u32_e32 vcc, s5, v6
	s_mov_b64 s[12:13], 0
                                        ; implicit-def: $vgpr6
	s_and_saveexec_b64 s[14:15], vcc
	s_xor_b64 s[14:15], exec, s[14:15]
	s_cbranch_execz .LBB87_2115
; %bb.1900:
	v_bfe_u32 v6, v5, 21, 1
	s_mov_b32 s5, 0x88fffff
	v_add3_u32 v6, v5, v6, s5
	s_mov_b64 s[12:13], exec
	v_lshrrev_b32_e32 v6, 21, v6
	s_andn2_saveexec_b64 s[14:15], s[14:15]
	s_cbranch_execnz .LBB87_2116
.LBB87_1901:
	s_or_b64 exec, exec, s[14:15]
	v_mov_b32_e32 v7, 0
	s_and_saveexec_b64 s[14:15], s[12:13]
.LBB87_1902:
	v_lshrrev_b32_e32 v5, 24, v5
	s_movk_i32 s5, 0x80
	v_and_or_b32 v7, v5, s5, v6
.LBB87_1903:
	s_or_b64 exec, exec, s[14:15]
.LBB87_1904:
	s_or_b64 exec, exec, s[10:11]
	s_mov_b64 s[10:11], 0
	global_store_byte v[1:2], v7, off
.LBB87_1905:
	s_and_b64 vcc, exec, s[10:11]
	s_cbranch_vccz .LBB87_1915
; %bb.1906:
	v_xor_b32_e32 v6, v3, v4
	v_ffbh_i32_e32 v5, v4
	v_ashrrev_i32_e32 v6, 31, v6
	v_add_u32_e32 v5, -1, v5
	v_add_u32_e32 v6, 32, v6
	v_min_u32_e32 v7, v5, v6
	v_lshlrev_b64 v[5:6], v7, v[3:4]
	s_mov_b32 s5, 0x43f00000
	v_min_u32_e32 v5, 1, v5
	v_or_b32_e32 v5, v6, v5
	v_cvt_f32_i32_e32 v5, v5
	v_sub_u32_e32 v6, 32, v7
	v_ldexp_f32 v5, v5, v6
	v_and_b32_e32 v7, 0x7fffffff, v5
	v_cmp_gt_u32_e32 vcc, s5, v7
                                        ; implicit-def: $vgpr6
	s_and_saveexec_b64 s[10:11], vcc
	s_xor_b64 s[10:11], exec, s[10:11]
	s_cbranch_execz .LBB87_1912
; %bb.1907:
	s_mov_b32 s5, 0x3c7fffff
	v_cmp_lt_u32_e32 vcc, s5, v7
                                        ; implicit-def: $vgpr6
	s_and_saveexec_b64 s[12:13], vcc
	s_xor_b64 s[12:13], exec, s[12:13]
; %bb.1908:
	v_bfe_u32 v6, v5, 20, 1
	s_mov_b32 s5, 0x407ffff
	v_add3_u32 v6, v5, v6, s5
	v_lshrrev_b32_e32 v7, 20, v6
	v_and_b32_e32 v6, 0xff00000, v6
	s_mov_b32 s5, 0x7f00000
	v_mov_b32_e32 v8, 0x7e
	v_cmp_ne_u32_e32 vcc, s5, v6
	v_cndmask_b32_e32 v6, v8, v7, vcc
; %bb.1909:
	s_andn2_saveexec_b64 s[12:13], s[12:13]
; %bb.1910:
	s_mov_b32 s5, 0x46800000
	v_add_f32_e64 v6, |v5|, s5
; %bb.1911:
	s_or_b64 exec, exec, s[12:13]
                                        ; implicit-def: $vgpr7
.LBB87_1912:
	s_andn2_saveexec_b64 s[10:11], s[10:11]
; %bb.1913:
	s_mov_b32 s5, 0x7f800000
	v_mov_b32_e32 v6, 0x7e
	v_mov_b32_e32 v8, 0x7f
	v_cmp_lt_u32_e32 vcc, s5, v7
	v_cndmask_b32_e32 v6, v6, v8, vcc
; %bb.1914:
	s_or_b64 exec, exec, s[10:11]
	v_lshrrev_b32_e32 v5, 24, v5
	s_movk_i32 s5, 0x80
	v_and_or_b32 v5, v5, s5, v6
	global_store_byte v[1:2], v5, off
.LBB87_1915:
	s_mov_b64 s[10:11], 0
.LBB87_1916:
	s_andn2_b64 vcc, exec, s[10:11]
	s_cbranch_vccnz .LBB87_1926
; %bb.1917:
	v_xor_b32_e32 v6, v3, v4
	v_ffbh_i32_e32 v5, v4
	v_ashrrev_i32_e32 v6, 31, v6
	v_add_u32_e32 v5, -1, v5
	v_add_u32_e32 v6, 32, v6
	v_min_u32_e32 v7, v5, v6
	v_lshlrev_b64 v[5:6], v7, v[3:4]
	s_mov_b32 s5, 0x47800000
	v_min_u32_e32 v5, 1, v5
	v_or_b32_e32 v5, v6, v5
	v_cvt_f32_i32_e32 v5, v5
	v_sub_u32_e32 v6, 32, v7
	v_ldexp_f32 v5, v5, v6
	v_and_b32_e32 v7, 0x7fffffff, v5
	v_cmp_gt_u32_e32 vcc, s5, v7
                                        ; implicit-def: $vgpr6
	s_and_saveexec_b64 s[10:11], vcc
	s_xor_b64 s[10:11], exec, s[10:11]
	s_cbranch_execz .LBB87_1923
; %bb.1918:
	s_mov_b32 s5, 0x387fffff
	v_cmp_lt_u32_e32 vcc, s5, v7
                                        ; implicit-def: $vgpr6
	s_and_saveexec_b64 s[12:13], vcc
	s_xor_b64 s[12:13], exec, s[12:13]
; %bb.1919:
	v_bfe_u32 v6, v5, 21, 1
	s_mov_b32 s5, 0x80fffff
	v_add3_u32 v6, v5, v6, s5
	v_lshrrev_b32_e32 v6, 21, v6
; %bb.1920:
	s_andn2_saveexec_b64 s[12:13], s[12:13]
; %bb.1921:
	s_mov_b32 s5, 0x43000000
	v_add_f32_e64 v6, |v5|, s5
; %bb.1922:
	s_or_b64 exec, exec, s[12:13]
                                        ; implicit-def: $vgpr7
.LBB87_1923:
	s_andn2_saveexec_b64 s[10:11], s[10:11]
; %bb.1924:
	s_mov_b32 s5, 0x7f800000
	v_mov_b32_e32 v6, 0x7c
	v_mov_b32_e32 v8, 0x7f
	v_cmp_lt_u32_e32 vcc, s5, v7
	v_cndmask_b32_e32 v6, v6, v8, vcc
; %bb.1925:
	s_or_b64 exec, exec, s[10:11]
	v_lshrrev_b32_e32 v5, 24, v5
	s_movk_i32 s5, 0x80
	v_and_or_b32 v5, v5, s5, v6
	global_store_byte v[1:2], v5, off
.LBB87_1926:
	s_mov_b64 s[10:11], 0
	s_mov_b64 s[12:13], -1
.LBB87_1927:
	s_andn2_b64 vcc, exec, s[10:11]
	s_mov_b64 s[10:11], 0
	s_cbranch_vccnz .LBB87_1934
; %bb.1928:
	s_cmp_gt_i32 s19, 14
	s_mov_b64 s[14:15], -1
	s_cbranch_scc0 .LBB87_1932
; %bb.1929:
	s_cmp_eq_u32 s19, 15
	s_mov_b64 s[0:1], -1
	s_cbranch_scc0 .LBB87_1931
; %bb.1930:
	v_xor_b32_e32 v6, v3, v4
	v_ffbh_i32_e32 v5, v4
	v_ashrrev_i32_e32 v6, 31, v6
	v_add_u32_e32 v5, -1, v5
	v_add_u32_e32 v6, 32, v6
	v_min_u32_e32 v7, v5, v6
	v_lshlrev_b64 v[5:6], v7, v[3:4]
	s_movk_i32 s0, 0x7fff
	v_min_u32_e32 v5, 1, v5
	v_or_b32_e32 v5, v6, v5
	v_cvt_f32_i32_e32 v5, v5
	v_sub_u32_e32 v6, 32, v7
	s_mov_b64 s[12:13], -1
	v_ldexp_f32 v5, v5, v6
	v_bfe_u32 v6, v5, 16, 1
	v_add3_u32 v5, v5, v6, s0
	global_store_short_d16_hi v[1:2], v5, off
	s_mov_b64 s[0:1], 0
.LBB87_1931:
	s_mov_b64 s[14:15], 0
.LBB87_1932:
	s_and_b64 vcc, exec, s[14:15]
	s_cbranch_vccz .LBB87_1934
; %bb.1933:
	s_cmp_lg_u32 s19, 11
	s_mov_b64 s[10:11], -1
	s_cselect_b64 s[0:1], -1, 0
.LBB87_1934:
	s_and_b64 vcc, exec, s[0:1]
	s_cbranch_vccnz .LBB87_2114
; %bb.1935:
	s_andn2_b64 vcc, exec, s[10:11]
	s_cbranch_vccnz .LBB87_1937
.LBB87_1936:
	v_cmp_ne_u64_e32 vcc, 0, v[3:4]
	s_mov_b64 s[12:13], -1
	v_cndmask_b32_e64 v5, 0, 1, vcc
	global_store_byte v[1:2], v5, off
.LBB87_1937:
	s_mov_b64 s[0:1], 0
	s_branch .LBB87_1939
.LBB87_1938:
	s_mov_b64 s[0:1], -1
	s_mov_b64 s[12:13], 0
.LBB87_1939:
	s_and_b64 vcc, exec, s[0:1]
	s_cbranch_vccz .LBB87_1978
; %bb.1940:
	s_cmp_lt_i32 s19, 5
	s_mov_b64 s[0:1], -1
	s_cbranch_scc1 .LBB87_1961
; %bb.1941:
	s_cmp_lt_i32 s19, 8
	s_cbranch_scc1 .LBB87_1951
; %bb.1942:
	s_cmp_lt_i32 s19, 9
	s_cbranch_scc1 .LBB87_1948
; %bb.1943:
	s_cmp_gt_i32 s19, 9
	s_cbranch_scc0 .LBB87_1945
; %bb.1944:
	v_cvt_f64_i32_e32 v[5:6], v4
	v_cvt_f64_u32_e32 v[7:8], v3
	s_mov_b64 s[0:1], 0
	v_ldexp_f64 v[5:6], v[5:6], 32
	v_add_f64 v[5:6], v[5:6], v[7:8]
	v_mov_b32_e32 v7, 0
	v_mov_b32_e32 v8, v7
	global_store_dwordx4 v[1:2], v[5:8], off
.LBB87_1945:
	s_andn2_b64 vcc, exec, s[0:1]
	s_cbranch_vccnz .LBB87_1947
; %bb.1946:
	v_xor_b32_e32 v6, v3, v4
	v_ffbh_i32_e32 v5, v4
	v_ashrrev_i32_e32 v6, 31, v6
	v_add_u32_e32 v5, -1, v5
	v_add_u32_e32 v6, 32, v6
	v_min_u32_e32 v7, v5, v6
	v_lshlrev_b64 v[5:6], v7, v[3:4]
	v_min_u32_e32 v5, 1, v5
	v_or_b32_e32 v5, v6, v5
	v_cvt_f32_i32_e32 v5, v5
	v_sub_u32_e32 v6, 32, v7
	v_ldexp_f32 v5, v5, v6
	v_mov_b32_e32 v6, 0
	global_store_dwordx2 v[1:2], v[5:6], off
.LBB87_1947:
	s_mov_b64 s[0:1], 0
.LBB87_1948:
	s_andn2_b64 vcc, exec, s[0:1]
	s_cbranch_vccnz .LBB87_1950
; %bb.1949:
	v_xor_b32_e32 v6, v3, v4
	v_ffbh_i32_e32 v5, v4
	v_ashrrev_i32_e32 v6, 31, v6
	v_add_u32_e32 v5, -1, v5
	v_add_u32_e32 v6, 32, v6
	v_min_u32_e32 v7, v5, v6
	v_lshlrev_b64 v[5:6], v7, v[3:4]
	v_min_u32_e32 v5, 1, v5
	v_or_b32_e32 v5, v6, v5
	v_cvt_f32_i32_e32 v5, v5
	v_sub_u32_e32 v6, 32, v7
	v_ldexp_f32 v5, v5, v6
	v_cvt_f16_f32_e32 v5, v5
	global_store_dword v[1:2], v5, off
.LBB87_1950:
	s_mov_b64 s[0:1], 0
.LBB87_1951:
	s_andn2_b64 vcc, exec, s[0:1]
	s_cbranch_vccnz .LBB87_1960
; %bb.1952:
	s_cmp_lt_i32 s19, 6
	s_mov_b64 s[0:1], -1
	s_cbranch_scc1 .LBB87_1958
; %bb.1953:
	s_cmp_gt_i32 s19, 6
	s_cbranch_scc0 .LBB87_1955
; %bb.1954:
	v_cvt_f64_i32_e32 v[5:6], v4
	v_cvt_f64_u32_e32 v[7:8], v3
	s_mov_b64 s[0:1], 0
	v_ldexp_f64 v[5:6], v[5:6], 32
	v_add_f64 v[5:6], v[5:6], v[7:8]
	global_store_dwordx2 v[1:2], v[5:6], off
.LBB87_1955:
	s_andn2_b64 vcc, exec, s[0:1]
	s_cbranch_vccnz .LBB87_1957
; %bb.1956:
	v_xor_b32_e32 v6, v3, v4
	v_ffbh_i32_e32 v5, v4
	v_ashrrev_i32_e32 v6, 31, v6
	v_add_u32_e32 v5, -1, v5
	v_add_u32_e32 v6, 32, v6
	v_min_u32_e32 v7, v5, v6
	v_lshlrev_b64 v[5:6], v7, v[3:4]
	v_min_u32_e32 v5, 1, v5
	v_or_b32_e32 v5, v6, v5
	v_cvt_f32_i32_e32 v5, v5
	v_sub_u32_e32 v6, 32, v7
	v_ldexp_f32 v5, v5, v6
	global_store_dword v[1:2], v5, off
.LBB87_1957:
	s_mov_b64 s[0:1], 0
.LBB87_1958:
	s_andn2_b64 vcc, exec, s[0:1]
	s_cbranch_vccnz .LBB87_1960
; %bb.1959:
	v_xor_b32_e32 v6, v3, v4
	v_ffbh_i32_e32 v5, v4
	v_ashrrev_i32_e32 v6, 31, v6
	v_add_u32_e32 v5, -1, v5
	v_add_u32_e32 v6, 32, v6
	v_min_u32_e32 v7, v5, v6
	v_lshlrev_b64 v[5:6], v7, v[3:4]
	v_min_u32_e32 v5, 1, v5
	v_or_b32_e32 v5, v6, v5
	v_cvt_f32_i32_e32 v5, v5
	v_sub_u32_e32 v6, 32, v7
	v_ldexp_f32 v5, v5, v6
	v_cvt_f16_f32_e32 v5, v5
	global_store_short v[1:2], v5, off
.LBB87_1960:
	s_mov_b64 s[0:1], 0
.LBB87_1961:
	s_andn2_b64 vcc, exec, s[0:1]
	s_cbranch_vccnz .LBB87_1977
; %bb.1962:
	s_cmp_lt_i32 s19, 2
	s_mov_b64 s[0:1], -1
	s_cbranch_scc1 .LBB87_1972
; %bb.1963:
	s_cmp_lt_i32 s19, 3
	s_cbranch_scc1 .LBB87_1969
; %bb.1964:
	s_cmp_gt_i32 s19, 3
	s_cbranch_scc0 .LBB87_1966
; %bb.1965:
	global_store_dwordx2 v[1:2], v[3:4], off
	s_mov_b64 s[0:1], 0
.LBB87_1966:
	s_andn2_b64 vcc, exec, s[0:1]
	s_cbranch_vccnz .LBB87_1968
; %bb.1967:
	global_store_dword v[1:2], v3, off
.LBB87_1968:
	s_mov_b64 s[0:1], 0
.LBB87_1969:
	s_andn2_b64 vcc, exec, s[0:1]
	s_cbranch_vccnz .LBB87_1971
; %bb.1970:
	global_store_short v[1:2], v3, off
.LBB87_1971:
	s_mov_b64 s[0:1], 0
.LBB87_1972:
	s_andn2_b64 vcc, exec, s[0:1]
	s_cbranch_vccnz .LBB87_1977
; %bb.1973:
	s_cmp_gt_i32 s19, 0
	s_mov_b64 s[0:1], -1
	s_cbranch_scc0 .LBB87_1975
; %bb.1974:
	global_store_byte v[1:2], v3, off
	s_mov_b64 s[0:1], 0
.LBB87_1975:
	s_andn2_b64 vcc, exec, s[0:1]
	s_cbranch_vccnz .LBB87_1977
; %bb.1976:
	global_store_byte v[1:2], v3, off
.LBB87_1977:
	s_mov_b64 s[12:13], -1
.LBB87_1978:
	s_andn2_b64 vcc, exec, s[12:13]
	s_cbranch_vccnz .LBB87_2055
; %bb.1979:
	v_lshlrev_b64 v[1:2], s4, v[13:14]
	v_add_co_u32_e32 v0, vcc, s8, v0
	v_cndmask_b32_e64 v3, v2, 0, s[6:7]
	v_cndmask_b32_e64 v2, v1, 0, s[6:7]
	v_mov_b32_e32 v1, s9
	s_cmp_lt_i32 s19, 11
	v_addc_co_u32_e32 v1, vcc, 0, v1, vcc
	s_cbranch_scc1 .LBB87_2100
; %bb.1980:
	s_mov_b64 s[6:7], -1
	s_mov_b64 s[4:5], 0
	s_cmp_gt_i32 s19, 25
	s_mov_b64 s[0:1], 0
	s_cbranch_scc0 .LBB87_2013
; %bb.1981:
	s_cmp_gt_i32 s19, 28
	s_cbranch_scc0 .LBB87_1997
; %bb.1982:
	s_cmp_gt_i32 s19, 43
	;; [unrolled: 3-line block ×3, first 2 shown]
	s_cbranch_scc0 .LBB87_1987
; %bb.1984:
	s_cmp_eq_u32 s19, 46
	s_mov_b64 s[0:1], -1
	s_cbranch_scc0 .LBB87_1986
; %bb.1985:
	v_xor_b32_e32 v5, v2, v3
	v_ffbh_i32_e32 v4, v3
	v_ashrrev_i32_e32 v5, 31, v5
	v_add_u32_e32 v4, -1, v4
	v_add_u32_e32 v5, 32, v5
	v_min_u32_e32 v6, v4, v5
	v_lshlrev_b64 v[4:5], v6, v[2:3]
	s_movk_i32 s0, 0x7fff
	v_min_u32_e32 v4, 1, v4
	v_or_b32_e32 v4, v5, v4
	v_cvt_f32_i32_e32 v4, v4
	v_sub_u32_e32 v5, 32, v6
	v_ldexp_f32 v4, v4, v5
	v_bfe_u32 v5, v4, 16, 1
	v_add3_u32 v4, v4, v5, s0
	v_lshrrev_b32_e32 v4, 16, v4
	global_store_dword v[0:1], v4, off
	s_mov_b64 s[0:1], 0
.LBB87_1986:
	s_mov_b64 s[6:7], 0
.LBB87_1987:
	s_and_b64 vcc, exec, s[6:7]
	s_cbranch_vccz .LBB87_1992
; %bb.1988:
	s_cmp_eq_u32 s19, 44
	s_mov_b64 s[0:1], -1
	s_cbranch_scc0 .LBB87_1992
; %bb.1989:
	v_xor_b32_e32 v5, v2, v3
	v_ffbh_i32_e32 v4, v3
	v_ashrrev_i32_e32 v5, 31, v5
	v_add_u32_e32 v4, -1, v4
	v_add_u32_e32 v5, 32, v5
	v_min_u32_e32 v6, v4, v5
	v_lshlrev_b64 v[4:5], v6, v[2:3]
	s_movk_i32 s0, 0xff
	v_min_u32_e32 v4, 1, v4
	v_or_b32_e32 v4, v5, v4
	v_cvt_f32_i32_e32 v4, v4
	v_sub_u32_e32 v5, 32, v6
	v_mov_b32_e32 v6, 0xff
	v_ldexp_f32 v4, v4, v5
	v_bfe_u32 v5, v4, 23, 8
	v_cmp_ne_u32_e32 vcc, s0, v5
	s_and_saveexec_b64 s[6:7], vcc
; %bb.1990:
	s_mov_b32 s0, 0x3fffff
	v_lshrrev_b32_e32 v6, 23, v4
	v_and_b32_e32 v7, 0x400000, v4
	v_and_or_b32 v4, v4, s0, v5
	v_cmp_ne_u32_e32 vcc, 0, v7
	v_cmp_ne_u32_e64 s[0:1], 0, v4
	s_and_b64 s[0:1], vcc, s[0:1]
	v_cndmask_b32_e64 v4, 0, 1, s[0:1]
	v_add_u32_e32 v6, v6, v4
; %bb.1991:
	s_or_b64 exec, exec, s[6:7]
	s_mov_b64 s[0:1], 0
	global_store_byte v[0:1], v6, off
.LBB87_1992:
	s_mov_b64 s[6:7], 0
.LBB87_1993:
	s_and_b64 vcc, exec, s[6:7]
	s_cbranch_vccz .LBB87_1996
; %bb.1994:
	s_cmp_eq_u32 s19, 29
	s_mov_b64 s[0:1], -1
	s_cbranch_scc0 .LBB87_1996
; %bb.1995:
	global_store_dwordx2 v[0:1], v[2:3], off
	s_mov_b64 s[0:1], 0
.LBB87_1996:
	s_mov_b64 s[6:7], 0
.LBB87_1997:
	s_and_b64 vcc, exec, s[6:7]
	s_cbranch_vccz .LBB87_2012
; %bb.1998:
	s_cmp_lt_i32 s19, 27
	s_mov_b64 s[6:7], -1
	s_cbranch_scc1 .LBB87_2004
; %bb.1999:
	s_cmp_gt_i32 s19, 27
	s_cbranch_scc0 .LBB87_2001
; %bb.2000:
	global_store_dword v[0:1], v2, off
	s_mov_b64 s[6:7], 0
.LBB87_2001:
	s_andn2_b64 vcc, exec, s[6:7]
	s_cbranch_vccnz .LBB87_2003
; %bb.2002:
	global_store_short v[0:1], v2, off
.LBB87_2003:
	s_mov_b64 s[6:7], 0
.LBB87_2004:
	s_andn2_b64 vcc, exec, s[6:7]
	s_cbranch_vccnz .LBB87_2012
; %bb.2005:
	v_xor_b32_e32 v5, v2, v3
	v_ffbh_i32_e32 v4, v3
	v_ashrrev_i32_e32 v5, 31, v5
	v_add_u32_e32 v4, -1, v4
	v_add_u32_e32 v5, 32, v5
	v_min_u32_e32 v6, v4, v5
	v_lshlrev_b64 v[4:5], v6, v[2:3]
	s_mov_b32 s6, 0x43800000
	v_min_u32_e32 v4, 1, v4
	v_or_b32_e32 v4, v5, v4
	v_cvt_f32_i32_e32 v4, v4
	v_sub_u32_e32 v5, 32, v6
	v_mov_b32_e32 v6, 0x80
	v_ldexp_f32 v4, v4, v5
	v_and_b32_e32 v5, 0x7fffffff, v4
	v_cmp_gt_u32_e32 vcc, s6, v5
	s_and_saveexec_b64 s[6:7], vcc
	s_cbranch_execz .LBB87_2011
; %bb.2006:
	s_mov_b32 s8, 0x3bffffff
	v_cmp_lt_u32_e32 vcc, s8, v5
	s_mov_b64 s[8:9], 0
                                        ; implicit-def: $vgpr5
	s_and_saveexec_b64 s[10:11], vcc
	s_xor_b64 s[10:11], exec, s[10:11]
	s_cbranch_execz .LBB87_2117
; %bb.2007:
	v_bfe_u32 v5, v4, 20, 1
	s_mov_b32 s12, 0x487ffff
	v_add3_u32 v5, v4, v5, s12
	s_mov_b64 s[8:9], exec
	v_lshrrev_b32_e32 v5, 20, v5
	s_andn2_saveexec_b64 s[10:11], s[10:11]
	s_cbranch_execnz .LBB87_2118
.LBB87_2008:
	s_or_b64 exec, exec, s[10:11]
	v_mov_b32_e32 v6, 0
	s_and_saveexec_b64 s[10:11], s[8:9]
.LBB87_2009:
	v_lshrrev_b32_e32 v4, 24, v4
	s_movk_i32 s8, 0x80
	v_and_or_b32 v6, v4, s8, v5
.LBB87_2010:
	s_or_b64 exec, exec, s[10:11]
.LBB87_2011:
	s_or_b64 exec, exec, s[6:7]
	global_store_byte v[0:1], v6, off
.LBB87_2012:
	s_mov_b64 s[6:7], 0
.LBB87_2013:
	s_and_b64 vcc, exec, s[6:7]
	s_cbranch_vccz .LBB87_2053
; %bb.2014:
	s_cmp_gt_i32 s19, 22
	s_mov_b64 s[4:5], -1
	s_cbranch_scc0 .LBB87_2046
; %bb.2015:
	s_cmp_lt_i32 s19, 24
	s_cbranch_scc1 .LBB87_2035
; %bb.2016:
	s_cmp_gt_i32 s19, 24
	s_cbranch_scc0 .LBB87_2024
; %bb.2017:
	v_xor_b32_e32 v5, v2, v3
	v_ffbh_i32_e32 v4, v3
	v_ashrrev_i32_e32 v5, 31, v5
	v_add_u32_e32 v4, -1, v4
	v_add_u32_e32 v5, 32, v5
	v_min_u32_e32 v6, v4, v5
	v_lshlrev_b64 v[4:5], v6, v[2:3]
	s_mov_b32 s4, 0x47800000
	v_min_u32_e32 v4, 1, v4
	v_or_b32_e32 v4, v5, v4
	v_cvt_f32_i32_e32 v4, v4
	v_sub_u32_e32 v5, 32, v6
	v_mov_b32_e32 v6, 0x80
	v_ldexp_f32 v4, v4, v5
	v_and_b32_e32 v5, 0x7fffffff, v4
	v_cmp_gt_u32_e32 vcc, s4, v5
	s_and_saveexec_b64 s[4:5], vcc
	s_cbranch_execz .LBB87_2023
; %bb.2018:
	s_mov_b32 s6, 0x37ffffff
	v_cmp_lt_u32_e32 vcc, s6, v5
	s_mov_b64 s[6:7], 0
                                        ; implicit-def: $vgpr5
	s_and_saveexec_b64 s[8:9], vcc
	s_xor_b64 s[8:9], exec, s[8:9]
	s_cbranch_execz .LBB87_2120
; %bb.2019:
	v_bfe_u32 v5, v4, 21, 1
	s_mov_b32 s10, 0x88fffff
	v_add3_u32 v5, v4, v5, s10
	s_mov_b64 s[6:7], exec
	v_lshrrev_b32_e32 v5, 21, v5
	s_andn2_saveexec_b64 s[8:9], s[8:9]
	s_cbranch_execnz .LBB87_2121
.LBB87_2020:
	s_or_b64 exec, exec, s[8:9]
	v_mov_b32_e32 v6, 0
	s_and_saveexec_b64 s[8:9], s[6:7]
.LBB87_2021:
	v_lshrrev_b32_e32 v4, 24, v4
	s_movk_i32 s6, 0x80
	v_and_or_b32 v6, v4, s6, v5
.LBB87_2022:
	s_or_b64 exec, exec, s[8:9]
.LBB87_2023:
	s_or_b64 exec, exec, s[4:5]
	s_mov_b64 s[4:5], 0
	global_store_byte v[0:1], v6, off
.LBB87_2024:
	s_and_b64 vcc, exec, s[4:5]
	s_cbranch_vccz .LBB87_2034
; %bb.2025:
	v_xor_b32_e32 v5, v2, v3
	v_ffbh_i32_e32 v4, v3
	v_ashrrev_i32_e32 v5, 31, v5
	v_add_u32_e32 v4, -1, v4
	v_add_u32_e32 v5, 32, v5
	v_min_u32_e32 v6, v4, v5
	v_lshlrev_b64 v[4:5], v6, v[2:3]
	s_mov_b32 s4, 0x43f00000
	v_min_u32_e32 v4, 1, v4
	v_or_b32_e32 v4, v5, v4
	v_cvt_f32_i32_e32 v4, v4
	v_sub_u32_e32 v5, 32, v6
	v_ldexp_f32 v4, v4, v5
	v_and_b32_e32 v6, 0x7fffffff, v4
	v_cmp_gt_u32_e32 vcc, s4, v6
                                        ; implicit-def: $vgpr5
	s_and_saveexec_b64 s[4:5], vcc
	s_xor_b64 s[4:5], exec, s[4:5]
	s_cbranch_execz .LBB87_2031
; %bb.2026:
	s_mov_b32 s6, 0x3c7fffff
	v_cmp_lt_u32_e32 vcc, s6, v6
                                        ; implicit-def: $vgpr5
	s_and_saveexec_b64 s[6:7], vcc
	s_xor_b64 s[6:7], exec, s[6:7]
; %bb.2027:
	v_bfe_u32 v5, v4, 20, 1
	s_mov_b32 s8, 0x407ffff
	v_add3_u32 v5, v4, v5, s8
	v_lshrrev_b32_e32 v6, 20, v5
	v_and_b32_e32 v5, 0xff00000, v5
	s_mov_b32 s8, 0x7f00000
	v_mov_b32_e32 v7, 0x7e
	v_cmp_ne_u32_e32 vcc, s8, v5
	v_cndmask_b32_e32 v5, v7, v6, vcc
; %bb.2028:
	s_andn2_saveexec_b64 s[6:7], s[6:7]
; %bb.2029:
	s_mov_b32 s8, 0x46800000
	v_add_f32_e64 v5, |v4|, s8
; %bb.2030:
	s_or_b64 exec, exec, s[6:7]
                                        ; implicit-def: $vgpr6
.LBB87_2031:
	s_andn2_saveexec_b64 s[4:5], s[4:5]
; %bb.2032:
	s_mov_b32 s6, 0x7f800000
	v_mov_b32_e32 v5, 0x7e
	v_mov_b32_e32 v7, 0x7f
	v_cmp_lt_u32_e32 vcc, s6, v6
	v_cndmask_b32_e32 v5, v5, v7, vcc
; %bb.2033:
	s_or_b64 exec, exec, s[4:5]
	v_lshrrev_b32_e32 v4, 24, v4
	s_movk_i32 s4, 0x80
	v_and_or_b32 v4, v4, s4, v5
	global_store_byte v[0:1], v4, off
.LBB87_2034:
	s_mov_b64 s[4:5], 0
.LBB87_2035:
	s_andn2_b64 vcc, exec, s[4:5]
	s_cbranch_vccnz .LBB87_2045
; %bb.2036:
	v_xor_b32_e32 v5, v2, v3
	v_ffbh_i32_e32 v4, v3
	v_ashrrev_i32_e32 v5, 31, v5
	v_add_u32_e32 v4, -1, v4
	v_add_u32_e32 v5, 32, v5
	v_min_u32_e32 v6, v4, v5
	v_lshlrev_b64 v[4:5], v6, v[2:3]
	s_mov_b32 s4, 0x47800000
	v_min_u32_e32 v4, 1, v4
	v_or_b32_e32 v4, v5, v4
	v_cvt_f32_i32_e32 v4, v4
	v_sub_u32_e32 v5, 32, v6
	v_ldexp_f32 v4, v4, v5
	v_and_b32_e32 v6, 0x7fffffff, v4
	v_cmp_gt_u32_e32 vcc, s4, v6
                                        ; implicit-def: $vgpr5
	s_and_saveexec_b64 s[4:5], vcc
	s_xor_b64 s[4:5], exec, s[4:5]
	s_cbranch_execz .LBB87_2042
; %bb.2037:
	s_mov_b32 s6, 0x387fffff
	v_cmp_lt_u32_e32 vcc, s6, v6
                                        ; implicit-def: $vgpr5
	s_and_saveexec_b64 s[6:7], vcc
	s_xor_b64 s[6:7], exec, s[6:7]
; %bb.2038:
	v_bfe_u32 v5, v4, 21, 1
	s_mov_b32 s8, 0x80fffff
	v_add3_u32 v5, v4, v5, s8
	v_lshrrev_b32_e32 v5, 21, v5
; %bb.2039:
	s_andn2_saveexec_b64 s[6:7], s[6:7]
; %bb.2040:
	s_mov_b32 s8, 0x43000000
	v_add_f32_e64 v5, |v4|, s8
; %bb.2041:
	s_or_b64 exec, exec, s[6:7]
                                        ; implicit-def: $vgpr6
.LBB87_2042:
	s_andn2_saveexec_b64 s[4:5], s[4:5]
; %bb.2043:
	s_mov_b32 s6, 0x7f800000
	v_mov_b32_e32 v5, 0x7c
	v_mov_b32_e32 v7, 0x7f
	v_cmp_lt_u32_e32 vcc, s6, v6
	v_cndmask_b32_e32 v5, v5, v7, vcc
; %bb.2044:
	s_or_b64 exec, exec, s[4:5]
	v_lshrrev_b32_e32 v4, 24, v4
	s_movk_i32 s4, 0x80
	v_and_or_b32 v4, v4, s4, v5
	global_store_byte v[0:1], v4, off
.LBB87_2045:
	s_mov_b64 s[4:5], 0
.LBB87_2046:
	s_andn2_b64 vcc, exec, s[4:5]
	s_mov_b64 s[4:5], 0
	s_cbranch_vccnz .LBB87_2053
; %bb.2047:
	s_cmp_gt_i32 s19, 14
	s_mov_b64 s[6:7], -1
	s_cbranch_scc0 .LBB87_2051
; %bb.2048:
	s_cmp_eq_u32 s19, 15
	s_mov_b64 s[0:1], -1
	s_cbranch_scc0 .LBB87_2050
; %bb.2049:
	v_xor_b32_e32 v5, v2, v3
	v_ffbh_i32_e32 v4, v3
	v_ashrrev_i32_e32 v5, 31, v5
	v_add_u32_e32 v4, -1, v4
	v_add_u32_e32 v5, 32, v5
	v_min_u32_e32 v6, v4, v5
	v_lshlrev_b64 v[4:5], v6, v[2:3]
	s_movk_i32 s0, 0x7fff
	v_min_u32_e32 v4, 1, v4
	v_or_b32_e32 v4, v5, v4
	v_cvt_f32_i32_e32 v4, v4
	v_sub_u32_e32 v5, 32, v6
	v_ldexp_f32 v4, v4, v5
	v_bfe_u32 v5, v4, 16, 1
	v_add3_u32 v4, v4, v5, s0
	global_store_short_d16_hi v[0:1], v4, off
	s_mov_b64 s[0:1], 0
.LBB87_2050:
	s_mov_b64 s[6:7], 0
.LBB87_2051:
	s_and_b64 vcc, exec, s[6:7]
	s_cbranch_vccz .LBB87_2053
; %bb.2052:
	s_cmp_lg_u32 s19, 11
	s_mov_b64 s[4:5], -1
	s_cselect_b64 s[0:1], -1, 0
.LBB87_2053:
	s_and_b64 vcc, exec, s[0:1]
	s_cbranch_vccnz .LBB87_2119
.LBB87_2054:
	s_mov_b64 s[0:1], 0
	s_branch .LBB87_2056
.LBB87_2055:
	s_mov_b64 s[0:1], 0
	s_mov_b64 s[4:5], 0
                                        ; implicit-def: $vgpr0_vgpr1
                                        ; implicit-def: $sgpr18
                                        ; implicit-def: $vgpr2_vgpr3
.LBB87_2056:
	s_and_b64 s[6:7], s[4:5], exec
	s_andn2_b64 s[4:5], s[28:29], exec
	s_and_b64 s[2:3], s[2:3], exec
	s_and_b64 s[0:1], s[0:1], exec
	s_or_b64 s[28:29], s[4:5], s[2:3]
.LBB87_2057:
	s_or_b64 exec, exec, s[30:31]
	s_and_saveexec_b64 s[2:3], s[28:29]
	s_cbranch_execz .LBB87_2060
; %bb.2058:
	; divergent unreachable
	s_or_b64 exec, exec, s[2:3]
	s_and_saveexec_b64 s[2:3], s[6:7]
	s_xor_b64 s[2:3], exec, s[2:3]
	s_cbranch_execnz .LBB87_2061
.LBB87_2059:
	s_or_b64 exec, exec, s[2:3]
	s_and_saveexec_b64 s[2:3], s[0:1]
	s_cbranch_execnz .LBB87_2062
	s_branch .LBB87_2099
.LBB87_2060:
	s_or_b64 exec, exec, s[2:3]
	s_and_saveexec_b64 s[2:3], s[6:7]
	s_xor_b64 s[2:3], exec, s[2:3]
	s_cbranch_execz .LBB87_2059
.LBB87_2061:
	s_waitcnt vmcnt(0)
	v_cmp_ne_u64_e32 vcc, 0, v[2:3]
	v_cndmask_b32_e64 v4, 0, 1, vcc
	global_store_byte v[0:1], v4, off
	s_or_b64 exec, exec, s[2:3]
	s_and_saveexec_b64 s[2:3], s[0:1]
	s_cbranch_execz .LBB87_2099
.LBB87_2062:
	s_sext_i32_i16 s2, s18
	s_cmp_lt_i32 s2, 5
	s_mov_b64 s[0:1], -1
	s_cbranch_scc1 .LBB87_2083
; %bb.2063:
	s_cmp_lt_i32 s2, 8
	s_cbranch_scc1 .LBB87_2073
; %bb.2064:
	s_cmp_lt_i32 s2, 9
	s_cbranch_scc1 .LBB87_2070
; %bb.2065:
	s_cmp_gt_i32 s2, 9
	s_cbranch_scc0 .LBB87_2067
; %bb.2066:
	s_waitcnt vmcnt(0)
	v_cvt_f64_i32_e32 v[4:5], v3
	v_cvt_f64_u32_e32 v[6:7], v2
	s_mov_b64 s[0:1], 0
	v_ldexp_f64 v[4:5], v[4:5], 32
	v_add_f64 v[4:5], v[4:5], v[6:7]
	v_mov_b32_e32 v6, 0
	v_mov_b32_e32 v7, v6
	global_store_dwordx4 v[0:1], v[4:7], off
.LBB87_2067:
	s_andn2_b64 vcc, exec, s[0:1]
	s_cbranch_vccnz .LBB87_2069
; %bb.2068:
	s_waitcnt vmcnt(0)
	v_xor_b32_e32 v5, v2, v3
	v_ffbh_i32_e32 v4, v3
	v_ashrrev_i32_e32 v5, 31, v5
	v_add_u32_e32 v4, -1, v4
	v_add_u32_e32 v5, 32, v5
	v_min_u32_e32 v6, v4, v5
	v_lshlrev_b64 v[4:5], v6, v[2:3]
	v_min_u32_e32 v4, 1, v4
	v_or_b32_e32 v4, v5, v4
	v_cvt_f32_i32_e32 v4, v4
	v_sub_u32_e32 v5, 32, v6
	v_ldexp_f32 v4, v4, v5
	v_mov_b32_e32 v5, 0
	global_store_dwordx2 v[0:1], v[4:5], off
.LBB87_2069:
	s_mov_b64 s[0:1], 0
.LBB87_2070:
	s_andn2_b64 vcc, exec, s[0:1]
	s_cbranch_vccnz .LBB87_2072
; %bb.2071:
	s_waitcnt vmcnt(0)
	v_xor_b32_e32 v5, v2, v3
	v_ffbh_i32_e32 v4, v3
	v_ashrrev_i32_e32 v5, 31, v5
	v_add_u32_e32 v4, -1, v4
	v_add_u32_e32 v5, 32, v5
	v_min_u32_e32 v6, v4, v5
	v_lshlrev_b64 v[4:5], v6, v[2:3]
	v_min_u32_e32 v4, 1, v4
	v_or_b32_e32 v4, v5, v4
	v_cvt_f32_i32_e32 v4, v4
	v_sub_u32_e32 v5, 32, v6
	v_ldexp_f32 v4, v4, v5
	v_cvt_f16_f32_e32 v4, v4
	global_store_dword v[0:1], v4, off
.LBB87_2072:
	s_mov_b64 s[0:1], 0
.LBB87_2073:
	s_andn2_b64 vcc, exec, s[0:1]
	s_cbranch_vccnz .LBB87_2082
; %bb.2074:
	s_sext_i32_i16 s2, s18
	s_cmp_lt_i32 s2, 6
	s_mov_b64 s[0:1], -1
	s_cbranch_scc1 .LBB87_2080
; %bb.2075:
	s_cmp_gt_i32 s2, 6
	s_cbranch_scc0 .LBB87_2077
; %bb.2076:
	s_waitcnt vmcnt(0)
	v_cvt_f64_i32_e32 v[4:5], v3
	v_cvt_f64_u32_e32 v[6:7], v2
	s_mov_b64 s[0:1], 0
	v_ldexp_f64 v[4:5], v[4:5], 32
	v_add_f64 v[4:5], v[4:5], v[6:7]
	global_store_dwordx2 v[0:1], v[4:5], off
.LBB87_2077:
	s_andn2_b64 vcc, exec, s[0:1]
	s_cbranch_vccnz .LBB87_2079
; %bb.2078:
	s_waitcnt vmcnt(0)
	v_xor_b32_e32 v5, v2, v3
	v_ffbh_i32_e32 v4, v3
	v_ashrrev_i32_e32 v5, 31, v5
	v_add_u32_e32 v4, -1, v4
	v_add_u32_e32 v5, 32, v5
	v_min_u32_e32 v6, v4, v5
	v_lshlrev_b64 v[4:5], v6, v[2:3]
	v_min_u32_e32 v4, 1, v4
	v_or_b32_e32 v4, v5, v4
	v_cvt_f32_i32_e32 v4, v4
	v_sub_u32_e32 v5, 32, v6
	v_ldexp_f32 v4, v4, v5
	global_store_dword v[0:1], v4, off
.LBB87_2079:
	s_mov_b64 s[0:1], 0
.LBB87_2080:
	s_andn2_b64 vcc, exec, s[0:1]
	s_cbranch_vccnz .LBB87_2082
; %bb.2081:
	s_waitcnt vmcnt(0)
	v_xor_b32_e32 v5, v2, v3
	v_ffbh_i32_e32 v4, v3
	v_ashrrev_i32_e32 v5, 31, v5
	v_add_u32_e32 v4, -1, v4
	v_add_u32_e32 v5, 32, v5
	v_min_u32_e32 v6, v4, v5
	v_lshlrev_b64 v[4:5], v6, v[2:3]
	v_min_u32_e32 v4, 1, v4
	v_or_b32_e32 v4, v5, v4
	v_cvt_f32_i32_e32 v4, v4
	v_sub_u32_e32 v5, 32, v6
	v_ldexp_f32 v4, v4, v5
	v_cvt_f16_f32_e32 v4, v4
	global_store_short v[0:1], v4, off
.LBB87_2082:
	s_mov_b64 s[0:1], 0
.LBB87_2083:
	s_andn2_b64 vcc, exec, s[0:1]
	s_cbranch_vccnz .LBB87_2099
; %bb.2084:
	s_sext_i32_i16 s2, s18
	s_cmp_lt_i32 s2, 2
	s_mov_b64 s[0:1], -1
	s_cbranch_scc1 .LBB87_2094
; %bb.2085:
	s_cmp_lt_i32 s2, 3
	s_cbranch_scc1 .LBB87_2091
; %bb.2086:
	s_cmp_gt_i32 s2, 3
	s_cbranch_scc0 .LBB87_2088
; %bb.2087:
	s_waitcnt vmcnt(0)
	global_store_dwordx2 v[0:1], v[2:3], off
	s_mov_b64 s[0:1], 0
.LBB87_2088:
	s_andn2_b64 vcc, exec, s[0:1]
	s_cbranch_vccnz .LBB87_2090
; %bb.2089:
	global_store_dword v[0:1], v2, off
.LBB87_2090:
	s_mov_b64 s[0:1], 0
.LBB87_2091:
	s_andn2_b64 vcc, exec, s[0:1]
	s_cbranch_vccnz .LBB87_2093
; %bb.2092:
	global_store_short v[0:1], v2, off
.LBB87_2093:
	s_mov_b64 s[0:1], 0
.LBB87_2094:
	s_andn2_b64 vcc, exec, s[0:1]
	s_cbranch_vccnz .LBB87_2099
; %bb.2095:
	s_sext_i32_i16 s0, s18
	s_cmp_gt_i32 s0, 0
	s_mov_b64 s[0:1], -1
	s_cbranch_scc0 .LBB87_2097
; %bb.2096:
	global_store_byte v[0:1], v2, off
	s_mov_b64 s[0:1], 0
.LBB87_2097:
	s_andn2_b64 vcc, exec, s[0:1]
	s_cbranch_vccnz .LBB87_2099
; %bb.2098:
	global_store_byte v[0:1], v2, off
	s_endpgm
.LBB87_2099:
	s_endpgm
.LBB87_2100:
	s_mov_b64 s[4:5], 0
	s_mov_b64 s[0:1], -1
	s_branch .LBB87_2056
.LBB87_2101:
	s_trap 2
	s_or_b64 s[2:3], s[2:3], exec
	s_cbranch_execz .LBB87_1570
	s_branch .LBB87_1571
.LBB87_2102:
	s_andn2_saveexec_b64 s[16:17], s[16:17]
	s_cbranch_execz .LBB87_1650
.LBB87_2103:
	s_mov_b32 s19, 0x46000000
	v_add_f32_e64 v3, |v1|, s19
	v_and_b32_e32 v3, 0xff, v3
	v_cmp_ne_u32_e32 vcc, 0, v3
	s_andn2_b64 s[14:15], s[14:15], exec
	s_and_b64 s[20:21], vcc, exec
	s_or_b64 s[14:15], s[14:15], s[20:21]
	s_or_b64 exec, exec, s[16:17]
	v_mov_b32_e32 v15, 0
	s_and_saveexec_b64 s[16:17], s[14:15]
	s_cbranch_execnz .LBB87_1651
	s_branch .LBB87_1652
.LBB87_2104:
	s_trap 2
	s_or_b64 s[2:3], s[2:3], exec
	s_cbranch_execz .LBB87_1698
	s_branch .LBB87_1699
.LBB87_2105:
	s_andn2_saveexec_b64 s[14:15], s[14:15]
	s_cbranch_execz .LBB87_1663
.LBB87_2106:
	s_mov_b32 s16, 0x42800000
	v_add_f32_e64 v3, |v1|, s16
	v_and_b32_e32 v3, 0xff, v3
	v_cmp_ne_u32_e32 vcc, 0, v3
	s_andn2_b64 s[12:13], s[12:13], exec
	s_and_b64 s[16:17], vcc, exec
	s_or_b64 s[12:13], s[12:13], s[16:17]
	s_or_b64 exec, exec, s[14:15]
	v_mov_b32_e32 v15, 0
	s_and_saveexec_b64 s[14:15], s[12:13]
	s_cbranch_execnz .LBB87_1664
	s_branch .LBB87_1665
.LBB87_2107:
	s_andn2_saveexec_b64 s[16:17], s[16:17]
	s_cbranch_execz .LBB87_1769
.LBB87_2108:
	s_mov_b32 s5, 0x46000000
	v_add_f32_e64 v7, |v1|, s5
	v_and_b32_e32 v7, 0xff, v7
	v_cmp_ne_u32_e32 vcc, 0, v7
	s_andn2_b64 s[14:15], s[14:15], exec
	s_and_b64 s[20:21], vcc, exec
	s_or_b64 s[14:15], s[14:15], s[20:21]
	s_or_b64 exec, exec, s[16:17]
	v_mov_b32_e32 v8, 0
	s_and_saveexec_b64 s[16:17], s[14:15]
	s_cbranch_execnz .LBB87_1770
	s_branch .LBB87_1771
.LBB87_2109:
	s_trap 2
	s_or_b64 s[2:3], s[2:3], exec
	s_cbranch_execz .LBB87_1817
	s_branch .LBB87_1818
.LBB87_2110:
	s_andn2_saveexec_b64 s[14:15], s[14:15]
	s_cbranch_execz .LBB87_1782
.LBB87_2111:
	s_mov_b32 s5, 0x42800000
	v_add_f32_e64 v7, |v1|, s5
	v_and_b32_e32 v7, 0xff, v7
	v_cmp_ne_u32_e32 vcc, 0, v7
	s_andn2_b64 s[12:13], s[12:13], exec
	s_and_b64 s[16:17], vcc, exec
	s_or_b64 s[12:13], s[12:13], s[16:17]
	s_or_b64 exec, exec, s[14:15]
	v_mov_b32_e32 v8, 0
	s_and_saveexec_b64 s[14:15], s[12:13]
	s_cbranch_execnz .LBB87_1783
	s_branch .LBB87_1784
.LBB87_2112:
	s_andn2_saveexec_b64 s[16:17], s[16:17]
	s_cbranch_execz .LBB87_1888
.LBB87_2113:
	s_mov_b32 s5, 0x46000000
	v_add_f32_e64 v6, |v5|, s5
	v_and_b32_e32 v6, 0xff, v6
	v_cmp_ne_u32_e32 vcc, 0, v6
	s_andn2_b64 s[14:15], s[14:15], exec
	s_and_b64 s[20:21], vcc, exec
	s_or_b64 s[14:15], s[14:15], s[20:21]
	s_or_b64 exec, exec, s[16:17]
	v_mov_b32_e32 v7, 0
	s_and_saveexec_b64 s[16:17], s[14:15]
	s_cbranch_execnz .LBB87_1889
	s_branch .LBB87_1890
.LBB87_2114:
	s_trap 2
	s_or_b64 s[2:3], s[2:3], exec
	s_cbranch_execz .LBB87_1936
	s_branch .LBB87_1937
.LBB87_2115:
	s_andn2_saveexec_b64 s[14:15], s[14:15]
	s_cbranch_execz .LBB87_1901
.LBB87_2116:
	s_mov_b32 s5, 0x42800000
	v_add_f32_e64 v6, |v5|, s5
	v_and_b32_e32 v6, 0xff, v6
	v_cmp_ne_u32_e32 vcc, 0, v6
	s_andn2_b64 s[12:13], s[12:13], exec
	s_and_b64 s[16:17], vcc, exec
	s_or_b64 s[12:13], s[12:13], s[16:17]
	s_or_b64 exec, exec, s[14:15]
	v_mov_b32_e32 v7, 0
	s_and_saveexec_b64 s[14:15], s[12:13]
	s_cbranch_execnz .LBB87_1902
	s_branch .LBB87_1903
.LBB87_2117:
	s_andn2_saveexec_b64 s[10:11], s[10:11]
	s_cbranch_execz .LBB87_2008
.LBB87_2118:
	s_mov_b32 s12, 0x46000000
	v_add_f32_e64 v5, |v4|, s12
	v_and_b32_e32 v5, 0xff, v5
	v_cmp_ne_u32_e32 vcc, 0, v5
	s_andn2_b64 s[8:9], s[8:9], exec
	s_and_b64 s[12:13], vcc, exec
	s_or_b64 s[8:9], s[8:9], s[12:13]
	s_or_b64 exec, exec, s[10:11]
	v_mov_b32_e32 v6, 0
	s_and_saveexec_b64 s[10:11], s[8:9]
	s_cbranch_execnz .LBB87_2009
	s_branch .LBB87_2010
.LBB87_2119:
	s_mov_b64 s[4:5], 0
	s_or_b64 s[2:3], s[2:3], exec
	s_trap 2
	s_branch .LBB87_2054
.LBB87_2120:
	s_andn2_saveexec_b64 s[8:9], s[8:9]
	s_cbranch_execz .LBB87_2020
.LBB87_2121:
	s_mov_b32 s10, 0x42800000
	v_add_f32_e64 v5, |v4|, s10
	v_and_b32_e32 v5, 0xff, v5
	v_cmp_ne_u32_e32 vcc, 0, v5
	s_andn2_b64 s[6:7], s[6:7], exec
	s_and_b64 s[10:11], vcc, exec
	s_or_b64 s[6:7], s[6:7], s[10:11]
	s_or_b64 exec, exec, s[8:9]
	v_mov_b32_e32 v6, 0
	s_and_saveexec_b64 s[8:9], s[6:7]
	s_cbranch_execnz .LBB87_2021
	s_branch .LBB87_2022
	.section	.rodata,"a",@progbits
	.p2align	6, 0x0
	.amdhsa_kernel _ZN2at6native32elementwise_kernel_manual_unrollILi128ELi4EZNS0_15gpu_kernel_implINS0_13BUnaryFunctorIlllZZZNS0_18lshift_kernel_cudaERNS_18TensorIteratorBaseEENKUlvE_clEvENKUlvE2_clEvEUlllE_EEEEvS5_RKT_EUlibE0_EEviT1_
		.amdhsa_group_segment_fixed_size 0
		.amdhsa_private_segment_fixed_size 0
		.amdhsa_kernarg_size 376
		.amdhsa_user_sgpr_count 6
		.amdhsa_user_sgpr_private_segment_buffer 1
		.amdhsa_user_sgpr_dispatch_ptr 0
		.amdhsa_user_sgpr_queue_ptr 0
		.amdhsa_user_sgpr_kernarg_segment_ptr 1
		.amdhsa_user_sgpr_dispatch_id 0
		.amdhsa_user_sgpr_flat_scratch_init 0
		.amdhsa_user_sgpr_private_segment_size 0
		.amdhsa_uses_dynamic_stack 0
		.amdhsa_system_sgpr_private_segment_wavefront_offset 0
		.amdhsa_system_sgpr_workgroup_id_x 1
		.amdhsa_system_sgpr_workgroup_id_y 0
		.amdhsa_system_sgpr_workgroup_id_z 0
		.amdhsa_system_sgpr_workgroup_info 0
		.amdhsa_system_vgpr_workitem_id 0
		.amdhsa_next_free_vgpr 21
		.amdhsa_next_free_sgpr 81
		.amdhsa_reserve_vcc 1
		.amdhsa_reserve_flat_scratch 0
		.amdhsa_float_round_mode_32 0
		.amdhsa_float_round_mode_16_64 0
		.amdhsa_float_denorm_mode_32 3
		.amdhsa_float_denorm_mode_16_64 3
		.amdhsa_dx10_clamp 1
		.amdhsa_ieee_mode 1
		.amdhsa_fp16_overflow 0
		.amdhsa_exception_fp_ieee_invalid_op 0
		.amdhsa_exception_fp_denorm_src 0
		.amdhsa_exception_fp_ieee_div_zero 0
		.amdhsa_exception_fp_ieee_overflow 0
		.amdhsa_exception_fp_ieee_underflow 0
		.amdhsa_exception_fp_ieee_inexact 0
		.amdhsa_exception_int_div_zero 0
	.end_amdhsa_kernel
	.section	.text._ZN2at6native32elementwise_kernel_manual_unrollILi128ELi4EZNS0_15gpu_kernel_implINS0_13BUnaryFunctorIlllZZZNS0_18lshift_kernel_cudaERNS_18TensorIteratorBaseEENKUlvE_clEvENKUlvE2_clEvEUlllE_EEEEvS5_RKT_EUlibE0_EEviT1_,"axG",@progbits,_ZN2at6native32elementwise_kernel_manual_unrollILi128ELi4EZNS0_15gpu_kernel_implINS0_13BUnaryFunctorIlllZZZNS0_18lshift_kernel_cudaERNS_18TensorIteratorBaseEENKUlvE_clEvENKUlvE2_clEvEUlllE_EEEEvS5_RKT_EUlibE0_EEviT1_,comdat
.Lfunc_end87:
	.size	_ZN2at6native32elementwise_kernel_manual_unrollILi128ELi4EZNS0_15gpu_kernel_implINS0_13BUnaryFunctorIlllZZZNS0_18lshift_kernel_cudaERNS_18TensorIteratorBaseEENKUlvE_clEvENKUlvE2_clEvEUlllE_EEEEvS5_RKT_EUlibE0_EEviT1_, .Lfunc_end87-_ZN2at6native32elementwise_kernel_manual_unrollILi128ELi4EZNS0_15gpu_kernel_implINS0_13BUnaryFunctorIlllZZZNS0_18lshift_kernel_cudaERNS_18TensorIteratorBaseEENKUlvE_clEvENKUlvE2_clEvEUlllE_EEEEvS5_RKT_EUlibE0_EEviT1_
                                        ; -- End function
	.set _ZN2at6native32elementwise_kernel_manual_unrollILi128ELi4EZNS0_15gpu_kernel_implINS0_13BUnaryFunctorIlllZZZNS0_18lshift_kernel_cudaERNS_18TensorIteratorBaseEENKUlvE_clEvENKUlvE2_clEvEUlllE_EEEEvS5_RKT_EUlibE0_EEviT1_.num_vgpr, 21
	.set _ZN2at6native32elementwise_kernel_manual_unrollILi128ELi4EZNS0_15gpu_kernel_implINS0_13BUnaryFunctorIlllZZZNS0_18lshift_kernel_cudaERNS_18TensorIteratorBaseEENKUlvE_clEvENKUlvE2_clEvEUlllE_EEEEvS5_RKT_EUlibE0_EEviT1_.num_agpr, 0
	.set _ZN2at6native32elementwise_kernel_manual_unrollILi128ELi4EZNS0_15gpu_kernel_implINS0_13BUnaryFunctorIlllZZZNS0_18lshift_kernel_cudaERNS_18TensorIteratorBaseEENKUlvE_clEvENKUlvE2_clEvEUlllE_EEEEvS5_RKT_EUlibE0_EEviT1_.numbered_sgpr, 81
	.set _ZN2at6native32elementwise_kernel_manual_unrollILi128ELi4EZNS0_15gpu_kernel_implINS0_13BUnaryFunctorIlllZZZNS0_18lshift_kernel_cudaERNS_18TensorIteratorBaseEENKUlvE_clEvENKUlvE2_clEvEUlllE_EEEEvS5_RKT_EUlibE0_EEviT1_.num_named_barrier, 0
	.set _ZN2at6native32elementwise_kernel_manual_unrollILi128ELi4EZNS0_15gpu_kernel_implINS0_13BUnaryFunctorIlllZZZNS0_18lshift_kernel_cudaERNS_18TensorIteratorBaseEENKUlvE_clEvENKUlvE2_clEvEUlllE_EEEEvS5_RKT_EUlibE0_EEviT1_.private_seg_size, 0
	.set _ZN2at6native32elementwise_kernel_manual_unrollILi128ELi4EZNS0_15gpu_kernel_implINS0_13BUnaryFunctorIlllZZZNS0_18lshift_kernel_cudaERNS_18TensorIteratorBaseEENKUlvE_clEvENKUlvE2_clEvEUlllE_EEEEvS5_RKT_EUlibE0_EEviT1_.uses_vcc, 1
	.set _ZN2at6native32elementwise_kernel_manual_unrollILi128ELi4EZNS0_15gpu_kernel_implINS0_13BUnaryFunctorIlllZZZNS0_18lshift_kernel_cudaERNS_18TensorIteratorBaseEENKUlvE_clEvENKUlvE2_clEvEUlllE_EEEEvS5_RKT_EUlibE0_EEviT1_.uses_flat_scratch, 0
	.set _ZN2at6native32elementwise_kernel_manual_unrollILi128ELi4EZNS0_15gpu_kernel_implINS0_13BUnaryFunctorIlllZZZNS0_18lshift_kernel_cudaERNS_18TensorIteratorBaseEENKUlvE_clEvENKUlvE2_clEvEUlllE_EEEEvS5_RKT_EUlibE0_EEviT1_.has_dyn_sized_stack, 0
	.set _ZN2at6native32elementwise_kernel_manual_unrollILi128ELi4EZNS0_15gpu_kernel_implINS0_13BUnaryFunctorIlllZZZNS0_18lshift_kernel_cudaERNS_18TensorIteratorBaseEENKUlvE_clEvENKUlvE2_clEvEUlllE_EEEEvS5_RKT_EUlibE0_EEviT1_.has_recursion, 0
	.set _ZN2at6native32elementwise_kernel_manual_unrollILi128ELi4EZNS0_15gpu_kernel_implINS0_13BUnaryFunctorIlllZZZNS0_18lshift_kernel_cudaERNS_18TensorIteratorBaseEENKUlvE_clEvENKUlvE2_clEvEUlllE_EEEEvS5_RKT_EUlibE0_EEviT1_.has_indirect_call, 0
	.section	.AMDGPU.csdata,"",@progbits
; Kernel info:
; codeLenInByte = 45352
; TotalNumSgprs: 85
; NumVgprs: 21
; ScratchSize: 0
; MemoryBound: 1
; FloatMode: 240
; IeeeMode: 1
; LDSByteSize: 0 bytes/workgroup (compile time only)
; SGPRBlocks: 10
; VGPRBlocks: 5
; NumSGPRsForWavesPerEU: 85
; NumVGPRsForWavesPerEU: 21
; Occupancy: 9
; WaveLimiterHint : 1
; COMPUTE_PGM_RSRC2:SCRATCH_EN: 0
; COMPUTE_PGM_RSRC2:USER_SGPR: 6
; COMPUTE_PGM_RSRC2:TRAP_HANDLER: 0
; COMPUTE_PGM_RSRC2:TGID_X_EN: 1
; COMPUTE_PGM_RSRC2:TGID_Y_EN: 0
; COMPUTE_PGM_RSRC2:TGID_Z_EN: 0
; COMPUTE_PGM_RSRC2:TIDIG_COMP_CNT: 0
	.section	.text._ZN2at6native29vectorized_elementwise_kernelILi16ENS0_13BinaryFunctorIlllZZZNS0_18lshift_kernel_cudaERNS_18TensorIteratorBaseEENKUlvE_clEvENKUlvE2_clEvEUlllE_EESt5arrayIPcLm3EEEEviT0_T1_,"axG",@progbits,_ZN2at6native29vectorized_elementwise_kernelILi16ENS0_13BinaryFunctorIlllZZZNS0_18lshift_kernel_cudaERNS_18TensorIteratorBaseEENKUlvE_clEvENKUlvE2_clEvEUlllE_EESt5arrayIPcLm3EEEEviT0_T1_,comdat
	.globl	_ZN2at6native29vectorized_elementwise_kernelILi16ENS0_13BinaryFunctorIlllZZZNS0_18lshift_kernel_cudaERNS_18TensorIteratorBaseEENKUlvE_clEvENKUlvE2_clEvEUlllE_EESt5arrayIPcLm3EEEEviT0_T1_ ; -- Begin function _ZN2at6native29vectorized_elementwise_kernelILi16ENS0_13BinaryFunctorIlllZZZNS0_18lshift_kernel_cudaERNS_18TensorIteratorBaseEENKUlvE_clEvENKUlvE2_clEvEUlllE_EESt5arrayIPcLm3EEEEviT0_T1_
	.p2align	8
	.type	_ZN2at6native29vectorized_elementwise_kernelILi16ENS0_13BinaryFunctorIlllZZZNS0_18lshift_kernel_cudaERNS_18TensorIteratorBaseEENKUlvE_clEvENKUlvE2_clEvEUlllE_EESt5arrayIPcLm3EEEEviT0_T1_,@function
_ZN2at6native29vectorized_elementwise_kernelILi16ENS0_13BinaryFunctorIlllZZZNS0_18lshift_kernel_cudaERNS_18TensorIteratorBaseEENKUlvE_clEvENKUlvE2_clEvEUlllE_EESt5arrayIPcLm3EEEEviT0_T1_: ; @_ZN2at6native29vectorized_elementwise_kernelILi16ENS0_13BinaryFunctorIlllZZZNS0_18lshift_kernel_cudaERNS_18TensorIteratorBaseEENKUlvE_clEvENKUlvE2_clEvEUlllE_EESt5arrayIPcLm3EEEEviT0_T1_
; %bb.0:
	s_load_dword s0, s[4:5], 0x0
	s_load_dwordx4 s[8:11], s[4:5], 0x8
	s_load_dwordx2 s[12:13], s[4:5], 0x18
	s_lshl_b32 s2, s6, 10
	s_waitcnt lgkmcnt(0)
	s_sub_i32 s6, s0, s2
	s_cmpk_gt_i32 s6, 0x3ff
	s_mov_b64 s[0:1], -1
	s_cbranch_scc0 .LBB88_2
; %bb.1:
	s_ashr_i32 s3, s2, 31
	s_lshl_b64 s[0:1], s[2:3], 3
	s_add_u32 s4, s10, s0
	s_addc_u32 s5, s11, s1
	s_add_u32 s14, s12, s0
	v_lshlrev_b32_e32 v17, 5, v0
	s_addc_u32 s15, s13, s1
	global_load_dwordx4 v[1:4], v17, s[14:15]
	global_load_dwordx4 v[5:8], v17, s[4:5]
	global_load_dwordx4 v[9:12], v17, s[4:5] offset:16
	global_load_dwordx4 v[13:16], v17, s[14:15] offset:16
	s_add_u32 s0, s8, s0
	s_addc_u32 s1, s9, s1
	s_waitcnt vmcnt(3)
	v_cmp_gt_u64_e32 vcc, 64, v[1:2]
	s_waitcnt vmcnt(2)
	v_lshlrev_b64 v[5:6], v1, v[5:6]
	v_lshlrev_b64 v[7:8], v3, v[7:8]
	v_cndmask_b32_e32 v2, 0, v6, vcc
	v_cndmask_b32_e32 v1, 0, v5, vcc
	v_cmp_gt_u64_e32 vcc, 64, v[3:4]
	s_waitcnt vmcnt(0)
	v_lshlrev_b64 v[9:10], v13, v[9:10]
	v_cndmask_b32_e32 v4, 0, v8, vcc
	v_cndmask_b32_e32 v3, 0, v7, vcc
	v_cmp_gt_u64_e32 vcc, 64, v[13:14]
	v_lshlrev_b64 v[11:12], v15, v[11:12]
	v_cndmask_b32_e32 v6, 0, v10, vcc
	v_cndmask_b32_e32 v5, 0, v9, vcc
	v_cmp_gt_u64_e32 vcc, 64, v[15:16]
	v_cndmask_b32_e32 v8, 0, v12, vcc
	v_cndmask_b32_e32 v7, 0, v11, vcc
	global_store_dwordx4 v17, v[1:4], s[0:1]
	global_store_dwordx4 v17, v[5:8], s[0:1] offset:16
	s_mov_b64 s[0:1], 0
.LBB88_2:
	s_andn2_b64 vcc, exec, s[0:1]
	s_cbranch_vccnz .LBB88_15
; %bb.3:
	v_mov_b32_e32 v1, 0
	v_mov_b32_e32 v7, 0
	;; [unrolled: 1-line block ×3, first 2 shown]
	v_cmp_gt_i32_e32 vcc, s6, v0
	v_mov_b32_e32 v2, 0
	v_or_b32_e32 v3, s2, v0
	v_mov_b32_e32 v8, 0
	v_mov_b32_e32 v10, 0
	v_mov_b32_e32 v4, v0
	s_and_saveexec_b64 s[4:5], vcc
	s_cbranch_execz .LBB88_5
; %bb.4:
	v_mov_b32_e32 v4, 0
	v_lshlrev_b64 v[4:5], 3, v[3:4]
	v_mov_b32_e32 v6, s13
	v_add_co_u32_e64 v11, s[0:1], s12, v4
	v_addc_co_u32_e64 v12, s[0:1], v6, v5, s[0:1]
	v_mov_b32_e32 v6, s11
	v_add_co_u32_e64 v4, s[0:1], s10, v4
	v_addc_co_u32_e64 v5, s[0:1], v6, v5, s[0:1]
	global_load_dwordx2 v[7:8], v[4:5], off
	global_load_dwordx2 v[9:10], v[11:12], off
	v_or_b32_e32 v4, 0x100, v0
.LBB88_5:
	s_or_b64 exec, exec, s[4:5]
	v_mov_b32_e32 v11, 0
	v_mov_b32_e32 v12, 0
	v_cmp_gt_i32_e64 s[0:1], s6, v4
	s_and_saveexec_b64 s[4:5], s[0:1]
	s_cbranch_execz .LBB88_7
; %bb.6:
	v_add_u32_e32 v1, s2, v4
	v_mov_b32_e32 v2, 0
	v_lshlrev_b64 v[1:2], 3, v[1:2]
	v_mov_b32_e32 v6, s13
	v_add_co_u32_e64 v5, s[0:1], s12, v1
	v_addc_co_u32_e64 v6, s[0:1], v6, v2, s[0:1]
	v_mov_b32_e32 v11, s11
	v_add_co_u32_e64 v13, s[0:1], s10, v1
	v_addc_co_u32_e64 v14, s[0:1], v11, v2, s[0:1]
	global_load_dwordx2 v[1:2], v[13:14], off
	global_load_dwordx2 v[11:12], v[5:6], off
	v_add_u32_e32 v4, 0x100, v4
.LBB88_7:
	s_or_b64 exec, exec, s[4:5]
	v_mov_b32_e32 v5, 0
	v_mov_b32_e32 v13, 0
	;; [unrolled: 1-line block ×6, first 2 shown]
	v_cmp_gt_i32_e64 s[0:1], s6, v4
	s_and_saveexec_b64 s[4:5], s[0:1]
	s_cbranch_execz .LBB88_9
; %bb.8:
	v_add_u32_e32 v13, s2, v4
	v_mov_b32_e32 v14, 0
	v_lshlrev_b64 v[13:14], 3, v[13:14]
	v_mov_b32_e32 v15, s13
	v_add_co_u32_e64 v17, s[0:1], s12, v13
	v_addc_co_u32_e64 v18, s[0:1], v15, v14, s[0:1]
	v_mov_b32_e32 v15, s11
	v_add_co_u32_e64 v19, s[0:1], s10, v13
	v_addc_co_u32_e64 v20, s[0:1], v15, v14, s[0:1]
	global_load_dwordx2 v[13:14], v[19:20], off
	global_load_dwordx2 v[15:16], v[17:18], off
	v_add_u32_e32 v4, 0x100, v4
.LBB88_9:
	s_or_b64 exec, exec, s[4:5]
	v_mov_b32_e32 v17, 0
	v_mov_b32_e32 v18, 0
	v_cmp_gt_i32_e64 s[0:1], s6, v4
	s_and_saveexec_b64 s[4:5], s[0:1]
	s_cbranch_execnz .LBB88_16
; %bb.10:
	s_or_b64 exec, exec, s[4:5]
	s_and_saveexec_b64 s[0:1], vcc
	s_cbranch_execnz .LBB88_17
.LBB88_11:
	s_or_b64 exec, exec, s[0:1]
	v_cmp_gt_i32_e32 vcc, s6, v0
	s_and_saveexec_b64 s[0:1], vcc
	s_cbranch_execnz .LBB88_18
.LBB88_12:
	s_or_b64 exec, exec, s[0:1]
	v_cmp_gt_i32_e32 vcc, s6, v0
	s_and_saveexec_b64 s[0:1], vcc
	s_cbranch_execnz .LBB88_19
.LBB88_13:
	s_or_b64 exec, exec, s[0:1]
	v_cmp_gt_i32_e32 vcc, s6, v0
	s_and_saveexec_b64 s[0:1], vcc
	s_cbranch_execz .LBB88_15
.LBB88_14:
	v_add_u32_e32 v3, s2, v0
	v_mov_b32_e32 v4, 0
	s_waitcnt vmcnt(0)
	v_lshlrev_b64 v[1:2], v17, v[5:6]
	v_cmp_gt_u64_e32 vcc, 64, v[17:18]
	v_lshlrev_b64 v[3:4], 3, v[3:4]
	v_cndmask_b32_e32 v2, 0, v2, vcc
	v_cndmask_b32_e32 v1, 0, v1, vcc
	v_mov_b32_e32 v0, s9
	v_add_co_u32_e32 v3, vcc, s8, v3
	v_addc_co_u32_e32 v4, vcc, v0, v4, vcc
	global_store_dwordx2 v[3:4], v[1:2], off
.LBB88_15:
	s_endpgm
.LBB88_16:
	v_add_u32_e32 v4, s2, v4
	v_mov_b32_e32 v5, 0
	v_lshlrev_b64 v[4:5], 3, v[4:5]
	v_mov_b32_e32 v6, s13
	v_add_co_u32_e64 v19, s[0:1], s12, v4
	v_addc_co_u32_e64 v20, s[0:1], v6, v5, s[0:1]
	v_mov_b32_e32 v6, s11
	v_add_co_u32_e64 v21, s[0:1], s10, v4
	v_addc_co_u32_e64 v22, s[0:1], v6, v5, s[0:1]
	global_load_dwordx2 v[5:6], v[21:22], off
	global_load_dwordx2 v[17:18], v[19:20], off
	s_or_b64 exec, exec, s[4:5]
	s_and_saveexec_b64 s[0:1], vcc
	s_cbranch_execz .LBB88_11
.LBB88_17:
	v_mov_b32_e32 v4, 0
	s_waitcnt vmcnt(0)
	v_lshlrev_b64 v[7:8], v9, v[7:8]
	v_cmp_gt_u64_e32 vcc, 64, v[9:10]
	v_lshlrev_b64 v[3:4], 3, v[3:4]
	v_cndmask_b32_e32 v8, 0, v8, vcc
	v_cndmask_b32_e32 v7, 0, v7, vcc
	v_mov_b32_e32 v9, s9
	v_add_co_u32_e32 v3, vcc, s8, v3
	v_or_b32_e32 v0, 0x100, v0
	v_addc_co_u32_e32 v4, vcc, v9, v4, vcc
	global_store_dwordx2 v[3:4], v[7:8], off
	s_or_b64 exec, exec, s[0:1]
	v_cmp_gt_i32_e32 vcc, s6, v0
	s_and_saveexec_b64 s[0:1], vcc
	s_cbranch_execz .LBB88_12
.LBB88_18:
	v_add_u32_e32 v3, s2, v0
	v_mov_b32_e32 v4, 0
	s_waitcnt vmcnt(0)
	v_lshlrev_b64 v[1:2], v11, v[1:2]
	v_cmp_gt_u64_e32 vcc, 64, v[11:12]
	v_lshlrev_b64 v[3:4], 3, v[3:4]
	v_cndmask_b32_e32 v2, 0, v2, vcc
	v_cndmask_b32_e32 v1, 0, v1, vcc
	v_mov_b32_e32 v7, s9
	v_add_co_u32_e32 v3, vcc, s8, v3
	v_addc_co_u32_e32 v4, vcc, v7, v4, vcc
	v_add_u32_e32 v0, 0x100, v0
	global_store_dwordx2 v[3:4], v[1:2], off
	s_or_b64 exec, exec, s[0:1]
	v_cmp_gt_i32_e32 vcc, s6, v0
	s_and_saveexec_b64 s[0:1], vcc
	s_cbranch_execz .LBB88_13
.LBB88_19:
	v_add_u32_e32 v3, s2, v0
	v_mov_b32_e32 v4, 0
	s_waitcnt vmcnt(0)
	v_lshlrev_b64 v[1:2], v15, v[13:14]
	v_cmp_gt_u64_e32 vcc, 64, v[15:16]
	v_lshlrev_b64 v[3:4], 3, v[3:4]
	v_cndmask_b32_e32 v2, 0, v2, vcc
	v_cndmask_b32_e32 v1, 0, v1, vcc
	v_mov_b32_e32 v7, s9
	v_add_co_u32_e32 v3, vcc, s8, v3
	v_addc_co_u32_e32 v4, vcc, v7, v4, vcc
	v_add_u32_e32 v0, 0x100, v0
	global_store_dwordx2 v[3:4], v[1:2], off
	s_or_b64 exec, exec, s[0:1]
	v_cmp_gt_i32_e32 vcc, s6, v0
	s_and_saveexec_b64 s[0:1], vcc
	s_cbranch_execnz .LBB88_14
	s_branch .LBB88_15
	.section	.rodata,"a",@progbits
	.p2align	6, 0x0
	.amdhsa_kernel _ZN2at6native29vectorized_elementwise_kernelILi16ENS0_13BinaryFunctorIlllZZZNS0_18lshift_kernel_cudaERNS_18TensorIteratorBaseEENKUlvE_clEvENKUlvE2_clEvEUlllE_EESt5arrayIPcLm3EEEEviT0_T1_
		.amdhsa_group_segment_fixed_size 0
		.amdhsa_private_segment_fixed_size 0
		.amdhsa_kernarg_size 32
		.amdhsa_user_sgpr_count 6
		.amdhsa_user_sgpr_private_segment_buffer 1
		.amdhsa_user_sgpr_dispatch_ptr 0
		.amdhsa_user_sgpr_queue_ptr 0
		.amdhsa_user_sgpr_kernarg_segment_ptr 1
		.amdhsa_user_sgpr_dispatch_id 0
		.amdhsa_user_sgpr_flat_scratch_init 0
		.amdhsa_user_sgpr_private_segment_size 0
		.amdhsa_uses_dynamic_stack 0
		.amdhsa_system_sgpr_private_segment_wavefront_offset 0
		.amdhsa_system_sgpr_workgroup_id_x 1
		.amdhsa_system_sgpr_workgroup_id_y 0
		.amdhsa_system_sgpr_workgroup_id_z 0
		.amdhsa_system_sgpr_workgroup_info 0
		.amdhsa_system_vgpr_workitem_id 0
		.amdhsa_next_free_vgpr 23
		.amdhsa_next_free_sgpr 16
		.amdhsa_reserve_vcc 1
		.amdhsa_reserve_flat_scratch 0
		.amdhsa_float_round_mode_32 0
		.amdhsa_float_round_mode_16_64 0
		.amdhsa_float_denorm_mode_32 3
		.amdhsa_float_denorm_mode_16_64 3
		.amdhsa_dx10_clamp 1
		.amdhsa_ieee_mode 1
		.amdhsa_fp16_overflow 0
		.amdhsa_exception_fp_ieee_invalid_op 0
		.amdhsa_exception_fp_denorm_src 0
		.amdhsa_exception_fp_ieee_div_zero 0
		.amdhsa_exception_fp_ieee_overflow 0
		.amdhsa_exception_fp_ieee_underflow 0
		.amdhsa_exception_fp_ieee_inexact 0
		.amdhsa_exception_int_div_zero 0
	.end_amdhsa_kernel
	.section	.text._ZN2at6native29vectorized_elementwise_kernelILi16ENS0_13BinaryFunctorIlllZZZNS0_18lshift_kernel_cudaERNS_18TensorIteratorBaseEENKUlvE_clEvENKUlvE2_clEvEUlllE_EESt5arrayIPcLm3EEEEviT0_T1_,"axG",@progbits,_ZN2at6native29vectorized_elementwise_kernelILi16ENS0_13BinaryFunctorIlllZZZNS0_18lshift_kernel_cudaERNS_18TensorIteratorBaseEENKUlvE_clEvENKUlvE2_clEvEUlllE_EESt5arrayIPcLm3EEEEviT0_T1_,comdat
.Lfunc_end88:
	.size	_ZN2at6native29vectorized_elementwise_kernelILi16ENS0_13BinaryFunctorIlllZZZNS0_18lshift_kernel_cudaERNS_18TensorIteratorBaseEENKUlvE_clEvENKUlvE2_clEvEUlllE_EESt5arrayIPcLm3EEEEviT0_T1_, .Lfunc_end88-_ZN2at6native29vectorized_elementwise_kernelILi16ENS0_13BinaryFunctorIlllZZZNS0_18lshift_kernel_cudaERNS_18TensorIteratorBaseEENKUlvE_clEvENKUlvE2_clEvEUlllE_EESt5arrayIPcLm3EEEEviT0_T1_
                                        ; -- End function
	.set _ZN2at6native29vectorized_elementwise_kernelILi16ENS0_13BinaryFunctorIlllZZZNS0_18lshift_kernel_cudaERNS_18TensorIteratorBaseEENKUlvE_clEvENKUlvE2_clEvEUlllE_EESt5arrayIPcLm3EEEEviT0_T1_.num_vgpr, 23
	.set _ZN2at6native29vectorized_elementwise_kernelILi16ENS0_13BinaryFunctorIlllZZZNS0_18lshift_kernel_cudaERNS_18TensorIteratorBaseEENKUlvE_clEvENKUlvE2_clEvEUlllE_EESt5arrayIPcLm3EEEEviT0_T1_.num_agpr, 0
	.set _ZN2at6native29vectorized_elementwise_kernelILi16ENS0_13BinaryFunctorIlllZZZNS0_18lshift_kernel_cudaERNS_18TensorIteratorBaseEENKUlvE_clEvENKUlvE2_clEvEUlllE_EESt5arrayIPcLm3EEEEviT0_T1_.numbered_sgpr, 16
	.set _ZN2at6native29vectorized_elementwise_kernelILi16ENS0_13BinaryFunctorIlllZZZNS0_18lshift_kernel_cudaERNS_18TensorIteratorBaseEENKUlvE_clEvENKUlvE2_clEvEUlllE_EESt5arrayIPcLm3EEEEviT0_T1_.num_named_barrier, 0
	.set _ZN2at6native29vectorized_elementwise_kernelILi16ENS0_13BinaryFunctorIlllZZZNS0_18lshift_kernel_cudaERNS_18TensorIteratorBaseEENKUlvE_clEvENKUlvE2_clEvEUlllE_EESt5arrayIPcLm3EEEEviT0_T1_.private_seg_size, 0
	.set _ZN2at6native29vectorized_elementwise_kernelILi16ENS0_13BinaryFunctorIlllZZZNS0_18lshift_kernel_cudaERNS_18TensorIteratorBaseEENKUlvE_clEvENKUlvE2_clEvEUlllE_EESt5arrayIPcLm3EEEEviT0_T1_.uses_vcc, 1
	.set _ZN2at6native29vectorized_elementwise_kernelILi16ENS0_13BinaryFunctorIlllZZZNS0_18lshift_kernel_cudaERNS_18TensorIteratorBaseEENKUlvE_clEvENKUlvE2_clEvEUlllE_EESt5arrayIPcLm3EEEEviT0_T1_.uses_flat_scratch, 0
	.set _ZN2at6native29vectorized_elementwise_kernelILi16ENS0_13BinaryFunctorIlllZZZNS0_18lshift_kernel_cudaERNS_18TensorIteratorBaseEENKUlvE_clEvENKUlvE2_clEvEUlllE_EESt5arrayIPcLm3EEEEviT0_T1_.has_dyn_sized_stack, 0
	.set _ZN2at6native29vectorized_elementwise_kernelILi16ENS0_13BinaryFunctorIlllZZZNS0_18lshift_kernel_cudaERNS_18TensorIteratorBaseEENKUlvE_clEvENKUlvE2_clEvEUlllE_EESt5arrayIPcLm3EEEEviT0_T1_.has_recursion, 0
	.set _ZN2at6native29vectorized_elementwise_kernelILi16ENS0_13BinaryFunctorIlllZZZNS0_18lshift_kernel_cudaERNS_18TensorIteratorBaseEENKUlvE_clEvENKUlvE2_clEvEUlllE_EESt5arrayIPcLm3EEEEviT0_T1_.has_indirect_call, 0
	.section	.AMDGPU.csdata,"",@progbits
; Kernel info:
; codeLenInByte = 1076
; TotalNumSgprs: 20
; NumVgprs: 23
; ScratchSize: 0
; MemoryBound: 0
; FloatMode: 240
; IeeeMode: 1
; LDSByteSize: 0 bytes/workgroup (compile time only)
; SGPRBlocks: 2
; VGPRBlocks: 5
; NumSGPRsForWavesPerEU: 20
; NumVGPRsForWavesPerEU: 23
; Occupancy: 10
; WaveLimiterHint : 0
; COMPUTE_PGM_RSRC2:SCRATCH_EN: 0
; COMPUTE_PGM_RSRC2:USER_SGPR: 6
; COMPUTE_PGM_RSRC2:TRAP_HANDLER: 0
; COMPUTE_PGM_RSRC2:TGID_X_EN: 1
; COMPUTE_PGM_RSRC2:TGID_Y_EN: 0
; COMPUTE_PGM_RSRC2:TGID_Z_EN: 0
; COMPUTE_PGM_RSRC2:TIDIG_COMP_CNT: 0
	.section	.text._ZN2at6native29vectorized_elementwise_kernelILi8ENS0_13BinaryFunctorIlllZZZNS0_18lshift_kernel_cudaERNS_18TensorIteratorBaseEENKUlvE_clEvENKUlvE2_clEvEUlllE_EESt5arrayIPcLm3EEEEviT0_T1_,"axG",@progbits,_ZN2at6native29vectorized_elementwise_kernelILi8ENS0_13BinaryFunctorIlllZZZNS0_18lshift_kernel_cudaERNS_18TensorIteratorBaseEENKUlvE_clEvENKUlvE2_clEvEUlllE_EESt5arrayIPcLm3EEEEviT0_T1_,comdat
	.globl	_ZN2at6native29vectorized_elementwise_kernelILi8ENS0_13BinaryFunctorIlllZZZNS0_18lshift_kernel_cudaERNS_18TensorIteratorBaseEENKUlvE_clEvENKUlvE2_clEvEUlllE_EESt5arrayIPcLm3EEEEviT0_T1_ ; -- Begin function _ZN2at6native29vectorized_elementwise_kernelILi8ENS0_13BinaryFunctorIlllZZZNS0_18lshift_kernel_cudaERNS_18TensorIteratorBaseEENKUlvE_clEvENKUlvE2_clEvEUlllE_EESt5arrayIPcLm3EEEEviT0_T1_
	.p2align	8
	.type	_ZN2at6native29vectorized_elementwise_kernelILi8ENS0_13BinaryFunctorIlllZZZNS0_18lshift_kernel_cudaERNS_18TensorIteratorBaseEENKUlvE_clEvENKUlvE2_clEvEUlllE_EESt5arrayIPcLm3EEEEviT0_T1_,@function
_ZN2at6native29vectorized_elementwise_kernelILi8ENS0_13BinaryFunctorIlllZZZNS0_18lshift_kernel_cudaERNS_18TensorIteratorBaseEENKUlvE_clEvENKUlvE2_clEvEUlllE_EESt5arrayIPcLm3EEEEviT0_T1_: ; @_ZN2at6native29vectorized_elementwise_kernelILi8ENS0_13BinaryFunctorIlllZZZNS0_18lshift_kernel_cudaERNS_18TensorIteratorBaseEENKUlvE_clEvENKUlvE2_clEvEUlllE_EESt5arrayIPcLm3EEEEviT0_T1_
; %bb.0:
	s_load_dword s0, s[4:5], 0x0
	s_load_dwordx4 s[8:11], s[4:5], 0x8
	s_load_dwordx2 s[12:13], s[4:5], 0x18
	s_lshl_b32 s2, s6, 10
	s_waitcnt lgkmcnt(0)
	s_sub_i32 s6, s0, s2
	s_cmpk_gt_i32 s6, 0x3ff
	s_mov_b64 s[0:1], -1
	s_cbranch_scc0 .LBB89_2
; %bb.1:
	s_ashr_i32 s3, s2, 31
	s_lshl_b64 s[0:1], s[2:3], 3
	s_add_u32 s4, s10, s0
	s_addc_u32 s5, s11, s1
	s_add_u32 s14, s12, s0
	v_lshlrev_b32_e32 v17, 5, v0
	s_addc_u32 s15, s13, s1
	global_load_dwordx4 v[1:4], v17, s[14:15]
	global_load_dwordx4 v[5:8], v17, s[4:5]
	global_load_dwordx4 v[9:12], v17, s[4:5] offset:16
	global_load_dwordx4 v[13:16], v17, s[14:15] offset:16
	s_add_u32 s0, s8, s0
	s_addc_u32 s1, s9, s1
	s_waitcnt vmcnt(3)
	v_cmp_gt_u64_e32 vcc, 64, v[1:2]
	s_waitcnt vmcnt(2)
	v_lshlrev_b64 v[5:6], v1, v[5:6]
	v_lshlrev_b64 v[7:8], v3, v[7:8]
	v_cndmask_b32_e32 v2, 0, v6, vcc
	v_cndmask_b32_e32 v1, 0, v5, vcc
	v_cmp_gt_u64_e32 vcc, 64, v[3:4]
	s_waitcnt vmcnt(0)
	v_lshlrev_b64 v[9:10], v13, v[9:10]
	v_cndmask_b32_e32 v4, 0, v8, vcc
	v_cndmask_b32_e32 v3, 0, v7, vcc
	v_cmp_gt_u64_e32 vcc, 64, v[13:14]
	v_lshlrev_b64 v[11:12], v15, v[11:12]
	v_cndmask_b32_e32 v6, 0, v10, vcc
	v_cndmask_b32_e32 v5, 0, v9, vcc
	v_cmp_gt_u64_e32 vcc, 64, v[15:16]
	v_cndmask_b32_e32 v8, 0, v12, vcc
	v_cndmask_b32_e32 v7, 0, v11, vcc
	global_store_dwordx4 v17, v[1:4], s[0:1]
	global_store_dwordx4 v17, v[5:8], s[0:1] offset:16
	s_mov_b64 s[0:1], 0
.LBB89_2:
	s_andn2_b64 vcc, exec, s[0:1]
	s_cbranch_vccnz .LBB89_15
; %bb.3:
	v_mov_b32_e32 v1, 0
	v_mov_b32_e32 v7, 0
	;; [unrolled: 1-line block ×3, first 2 shown]
	v_cmp_gt_i32_e32 vcc, s6, v0
	v_mov_b32_e32 v2, 0
	v_or_b32_e32 v3, s2, v0
	v_mov_b32_e32 v8, 0
	v_mov_b32_e32 v10, 0
	;; [unrolled: 1-line block ×3, first 2 shown]
	s_and_saveexec_b64 s[4:5], vcc
	s_cbranch_execz .LBB89_5
; %bb.4:
	v_mov_b32_e32 v4, 0
	v_lshlrev_b64 v[4:5], 3, v[3:4]
	v_mov_b32_e32 v6, s13
	v_add_co_u32_e64 v11, s[0:1], s12, v4
	v_addc_co_u32_e64 v12, s[0:1], v6, v5, s[0:1]
	v_mov_b32_e32 v6, s11
	v_add_co_u32_e64 v4, s[0:1], s10, v4
	v_addc_co_u32_e64 v5, s[0:1], v6, v5, s[0:1]
	global_load_dwordx2 v[7:8], v[4:5], off
	global_load_dwordx2 v[9:10], v[11:12], off
	v_or_b32_e32 v4, 0x100, v0
.LBB89_5:
	s_or_b64 exec, exec, s[4:5]
	v_mov_b32_e32 v11, 0
	v_mov_b32_e32 v12, 0
	v_cmp_gt_i32_e64 s[0:1], s6, v4
	s_and_saveexec_b64 s[4:5], s[0:1]
	s_cbranch_execz .LBB89_7
; %bb.6:
	v_add_u32_e32 v1, s2, v4
	v_mov_b32_e32 v2, 0
	v_lshlrev_b64 v[1:2], 3, v[1:2]
	v_mov_b32_e32 v6, s13
	v_add_co_u32_e64 v5, s[0:1], s12, v1
	v_addc_co_u32_e64 v6, s[0:1], v6, v2, s[0:1]
	v_mov_b32_e32 v11, s11
	v_add_co_u32_e64 v13, s[0:1], s10, v1
	v_addc_co_u32_e64 v14, s[0:1], v11, v2, s[0:1]
	global_load_dwordx2 v[1:2], v[13:14], off
	global_load_dwordx2 v[11:12], v[5:6], off
	v_add_u32_e32 v4, 0x100, v4
.LBB89_7:
	s_or_b64 exec, exec, s[4:5]
	v_mov_b32_e32 v5, 0
	v_mov_b32_e32 v13, 0
	;; [unrolled: 1-line block ×6, first 2 shown]
	v_cmp_gt_i32_e64 s[0:1], s6, v4
	s_and_saveexec_b64 s[4:5], s[0:1]
	s_cbranch_execz .LBB89_9
; %bb.8:
	v_add_u32_e32 v13, s2, v4
	v_mov_b32_e32 v14, 0
	v_lshlrev_b64 v[13:14], 3, v[13:14]
	v_mov_b32_e32 v15, s13
	v_add_co_u32_e64 v17, s[0:1], s12, v13
	v_addc_co_u32_e64 v18, s[0:1], v15, v14, s[0:1]
	v_mov_b32_e32 v15, s11
	v_add_co_u32_e64 v19, s[0:1], s10, v13
	v_addc_co_u32_e64 v20, s[0:1], v15, v14, s[0:1]
	global_load_dwordx2 v[13:14], v[19:20], off
	global_load_dwordx2 v[15:16], v[17:18], off
	v_add_u32_e32 v4, 0x100, v4
.LBB89_9:
	s_or_b64 exec, exec, s[4:5]
	v_mov_b32_e32 v17, 0
	v_mov_b32_e32 v18, 0
	v_cmp_gt_i32_e64 s[0:1], s6, v4
	s_and_saveexec_b64 s[4:5], s[0:1]
	s_cbranch_execnz .LBB89_16
; %bb.10:
	s_or_b64 exec, exec, s[4:5]
	s_and_saveexec_b64 s[0:1], vcc
	s_cbranch_execnz .LBB89_17
.LBB89_11:
	s_or_b64 exec, exec, s[0:1]
	v_cmp_gt_i32_e32 vcc, s6, v0
	s_and_saveexec_b64 s[0:1], vcc
	s_cbranch_execnz .LBB89_18
.LBB89_12:
	s_or_b64 exec, exec, s[0:1]
	v_cmp_gt_i32_e32 vcc, s6, v0
	s_and_saveexec_b64 s[0:1], vcc
	s_cbranch_execnz .LBB89_19
.LBB89_13:
	s_or_b64 exec, exec, s[0:1]
	v_cmp_gt_i32_e32 vcc, s6, v0
	s_and_saveexec_b64 s[0:1], vcc
	s_cbranch_execz .LBB89_15
.LBB89_14:
	v_add_u32_e32 v3, s2, v0
	v_mov_b32_e32 v4, 0
	s_waitcnt vmcnt(0)
	v_lshlrev_b64 v[1:2], v17, v[5:6]
	v_cmp_gt_u64_e32 vcc, 64, v[17:18]
	v_lshlrev_b64 v[3:4], 3, v[3:4]
	v_cndmask_b32_e32 v2, 0, v2, vcc
	v_cndmask_b32_e32 v1, 0, v1, vcc
	v_mov_b32_e32 v0, s9
	v_add_co_u32_e32 v3, vcc, s8, v3
	v_addc_co_u32_e32 v4, vcc, v0, v4, vcc
	global_store_dwordx2 v[3:4], v[1:2], off
.LBB89_15:
	s_endpgm
.LBB89_16:
	v_add_u32_e32 v4, s2, v4
	v_mov_b32_e32 v5, 0
	v_lshlrev_b64 v[4:5], 3, v[4:5]
	v_mov_b32_e32 v6, s13
	v_add_co_u32_e64 v19, s[0:1], s12, v4
	v_addc_co_u32_e64 v20, s[0:1], v6, v5, s[0:1]
	v_mov_b32_e32 v6, s11
	v_add_co_u32_e64 v21, s[0:1], s10, v4
	v_addc_co_u32_e64 v22, s[0:1], v6, v5, s[0:1]
	global_load_dwordx2 v[5:6], v[21:22], off
	global_load_dwordx2 v[17:18], v[19:20], off
	s_or_b64 exec, exec, s[4:5]
	s_and_saveexec_b64 s[0:1], vcc
	s_cbranch_execz .LBB89_11
.LBB89_17:
	v_mov_b32_e32 v4, 0
	s_waitcnt vmcnt(0)
	v_lshlrev_b64 v[7:8], v9, v[7:8]
	v_cmp_gt_u64_e32 vcc, 64, v[9:10]
	v_lshlrev_b64 v[3:4], 3, v[3:4]
	v_cndmask_b32_e32 v8, 0, v8, vcc
	v_cndmask_b32_e32 v7, 0, v7, vcc
	v_mov_b32_e32 v9, s9
	v_add_co_u32_e32 v3, vcc, s8, v3
	v_or_b32_e32 v0, 0x100, v0
	v_addc_co_u32_e32 v4, vcc, v9, v4, vcc
	global_store_dwordx2 v[3:4], v[7:8], off
	s_or_b64 exec, exec, s[0:1]
	v_cmp_gt_i32_e32 vcc, s6, v0
	s_and_saveexec_b64 s[0:1], vcc
	s_cbranch_execz .LBB89_12
.LBB89_18:
	v_add_u32_e32 v3, s2, v0
	v_mov_b32_e32 v4, 0
	s_waitcnt vmcnt(0)
	v_lshlrev_b64 v[1:2], v11, v[1:2]
	v_cmp_gt_u64_e32 vcc, 64, v[11:12]
	v_lshlrev_b64 v[3:4], 3, v[3:4]
	v_cndmask_b32_e32 v2, 0, v2, vcc
	v_cndmask_b32_e32 v1, 0, v1, vcc
	v_mov_b32_e32 v7, s9
	v_add_co_u32_e32 v3, vcc, s8, v3
	v_addc_co_u32_e32 v4, vcc, v7, v4, vcc
	v_add_u32_e32 v0, 0x100, v0
	global_store_dwordx2 v[3:4], v[1:2], off
	s_or_b64 exec, exec, s[0:1]
	v_cmp_gt_i32_e32 vcc, s6, v0
	s_and_saveexec_b64 s[0:1], vcc
	s_cbranch_execz .LBB89_13
.LBB89_19:
	v_add_u32_e32 v3, s2, v0
	v_mov_b32_e32 v4, 0
	s_waitcnt vmcnt(0)
	v_lshlrev_b64 v[1:2], v15, v[13:14]
	v_cmp_gt_u64_e32 vcc, 64, v[15:16]
	v_lshlrev_b64 v[3:4], 3, v[3:4]
	v_cndmask_b32_e32 v2, 0, v2, vcc
	v_cndmask_b32_e32 v1, 0, v1, vcc
	v_mov_b32_e32 v7, s9
	v_add_co_u32_e32 v3, vcc, s8, v3
	v_addc_co_u32_e32 v4, vcc, v7, v4, vcc
	v_add_u32_e32 v0, 0x100, v0
	global_store_dwordx2 v[3:4], v[1:2], off
	s_or_b64 exec, exec, s[0:1]
	v_cmp_gt_i32_e32 vcc, s6, v0
	s_and_saveexec_b64 s[0:1], vcc
	s_cbranch_execnz .LBB89_14
	s_branch .LBB89_15
	.section	.rodata,"a",@progbits
	.p2align	6, 0x0
	.amdhsa_kernel _ZN2at6native29vectorized_elementwise_kernelILi8ENS0_13BinaryFunctorIlllZZZNS0_18lshift_kernel_cudaERNS_18TensorIteratorBaseEENKUlvE_clEvENKUlvE2_clEvEUlllE_EESt5arrayIPcLm3EEEEviT0_T1_
		.amdhsa_group_segment_fixed_size 0
		.amdhsa_private_segment_fixed_size 0
		.amdhsa_kernarg_size 32
		.amdhsa_user_sgpr_count 6
		.amdhsa_user_sgpr_private_segment_buffer 1
		.amdhsa_user_sgpr_dispatch_ptr 0
		.amdhsa_user_sgpr_queue_ptr 0
		.amdhsa_user_sgpr_kernarg_segment_ptr 1
		.amdhsa_user_sgpr_dispatch_id 0
		.amdhsa_user_sgpr_flat_scratch_init 0
		.amdhsa_user_sgpr_private_segment_size 0
		.amdhsa_uses_dynamic_stack 0
		.amdhsa_system_sgpr_private_segment_wavefront_offset 0
		.amdhsa_system_sgpr_workgroup_id_x 1
		.amdhsa_system_sgpr_workgroup_id_y 0
		.amdhsa_system_sgpr_workgroup_id_z 0
		.amdhsa_system_sgpr_workgroup_info 0
		.amdhsa_system_vgpr_workitem_id 0
		.amdhsa_next_free_vgpr 23
		.amdhsa_next_free_sgpr 16
		.amdhsa_reserve_vcc 1
		.amdhsa_reserve_flat_scratch 0
		.amdhsa_float_round_mode_32 0
		.amdhsa_float_round_mode_16_64 0
		.amdhsa_float_denorm_mode_32 3
		.amdhsa_float_denorm_mode_16_64 3
		.amdhsa_dx10_clamp 1
		.amdhsa_ieee_mode 1
		.amdhsa_fp16_overflow 0
		.amdhsa_exception_fp_ieee_invalid_op 0
		.amdhsa_exception_fp_denorm_src 0
		.amdhsa_exception_fp_ieee_div_zero 0
		.amdhsa_exception_fp_ieee_overflow 0
		.amdhsa_exception_fp_ieee_underflow 0
		.amdhsa_exception_fp_ieee_inexact 0
		.amdhsa_exception_int_div_zero 0
	.end_amdhsa_kernel
	.section	.text._ZN2at6native29vectorized_elementwise_kernelILi8ENS0_13BinaryFunctorIlllZZZNS0_18lshift_kernel_cudaERNS_18TensorIteratorBaseEENKUlvE_clEvENKUlvE2_clEvEUlllE_EESt5arrayIPcLm3EEEEviT0_T1_,"axG",@progbits,_ZN2at6native29vectorized_elementwise_kernelILi8ENS0_13BinaryFunctorIlllZZZNS0_18lshift_kernel_cudaERNS_18TensorIteratorBaseEENKUlvE_clEvENKUlvE2_clEvEUlllE_EESt5arrayIPcLm3EEEEviT0_T1_,comdat
.Lfunc_end89:
	.size	_ZN2at6native29vectorized_elementwise_kernelILi8ENS0_13BinaryFunctorIlllZZZNS0_18lshift_kernel_cudaERNS_18TensorIteratorBaseEENKUlvE_clEvENKUlvE2_clEvEUlllE_EESt5arrayIPcLm3EEEEviT0_T1_, .Lfunc_end89-_ZN2at6native29vectorized_elementwise_kernelILi8ENS0_13BinaryFunctorIlllZZZNS0_18lshift_kernel_cudaERNS_18TensorIteratorBaseEENKUlvE_clEvENKUlvE2_clEvEUlllE_EESt5arrayIPcLm3EEEEviT0_T1_
                                        ; -- End function
	.set _ZN2at6native29vectorized_elementwise_kernelILi8ENS0_13BinaryFunctorIlllZZZNS0_18lshift_kernel_cudaERNS_18TensorIteratorBaseEENKUlvE_clEvENKUlvE2_clEvEUlllE_EESt5arrayIPcLm3EEEEviT0_T1_.num_vgpr, 23
	.set _ZN2at6native29vectorized_elementwise_kernelILi8ENS0_13BinaryFunctorIlllZZZNS0_18lshift_kernel_cudaERNS_18TensorIteratorBaseEENKUlvE_clEvENKUlvE2_clEvEUlllE_EESt5arrayIPcLm3EEEEviT0_T1_.num_agpr, 0
	.set _ZN2at6native29vectorized_elementwise_kernelILi8ENS0_13BinaryFunctorIlllZZZNS0_18lshift_kernel_cudaERNS_18TensorIteratorBaseEENKUlvE_clEvENKUlvE2_clEvEUlllE_EESt5arrayIPcLm3EEEEviT0_T1_.numbered_sgpr, 16
	.set _ZN2at6native29vectorized_elementwise_kernelILi8ENS0_13BinaryFunctorIlllZZZNS0_18lshift_kernel_cudaERNS_18TensorIteratorBaseEENKUlvE_clEvENKUlvE2_clEvEUlllE_EESt5arrayIPcLm3EEEEviT0_T1_.num_named_barrier, 0
	.set _ZN2at6native29vectorized_elementwise_kernelILi8ENS0_13BinaryFunctorIlllZZZNS0_18lshift_kernel_cudaERNS_18TensorIteratorBaseEENKUlvE_clEvENKUlvE2_clEvEUlllE_EESt5arrayIPcLm3EEEEviT0_T1_.private_seg_size, 0
	.set _ZN2at6native29vectorized_elementwise_kernelILi8ENS0_13BinaryFunctorIlllZZZNS0_18lshift_kernel_cudaERNS_18TensorIteratorBaseEENKUlvE_clEvENKUlvE2_clEvEUlllE_EESt5arrayIPcLm3EEEEviT0_T1_.uses_vcc, 1
	.set _ZN2at6native29vectorized_elementwise_kernelILi8ENS0_13BinaryFunctorIlllZZZNS0_18lshift_kernel_cudaERNS_18TensorIteratorBaseEENKUlvE_clEvENKUlvE2_clEvEUlllE_EESt5arrayIPcLm3EEEEviT0_T1_.uses_flat_scratch, 0
	.set _ZN2at6native29vectorized_elementwise_kernelILi8ENS0_13BinaryFunctorIlllZZZNS0_18lshift_kernel_cudaERNS_18TensorIteratorBaseEENKUlvE_clEvENKUlvE2_clEvEUlllE_EESt5arrayIPcLm3EEEEviT0_T1_.has_dyn_sized_stack, 0
	.set _ZN2at6native29vectorized_elementwise_kernelILi8ENS0_13BinaryFunctorIlllZZZNS0_18lshift_kernel_cudaERNS_18TensorIteratorBaseEENKUlvE_clEvENKUlvE2_clEvEUlllE_EESt5arrayIPcLm3EEEEviT0_T1_.has_recursion, 0
	.set _ZN2at6native29vectorized_elementwise_kernelILi8ENS0_13BinaryFunctorIlllZZZNS0_18lshift_kernel_cudaERNS_18TensorIteratorBaseEENKUlvE_clEvENKUlvE2_clEvEUlllE_EESt5arrayIPcLm3EEEEviT0_T1_.has_indirect_call, 0
	.section	.AMDGPU.csdata,"",@progbits
; Kernel info:
; codeLenInByte = 1076
; TotalNumSgprs: 20
; NumVgprs: 23
; ScratchSize: 0
; MemoryBound: 0
; FloatMode: 240
; IeeeMode: 1
; LDSByteSize: 0 bytes/workgroup (compile time only)
; SGPRBlocks: 2
; VGPRBlocks: 5
; NumSGPRsForWavesPerEU: 20
; NumVGPRsForWavesPerEU: 23
; Occupancy: 10
; WaveLimiterHint : 0
; COMPUTE_PGM_RSRC2:SCRATCH_EN: 0
; COMPUTE_PGM_RSRC2:USER_SGPR: 6
; COMPUTE_PGM_RSRC2:TRAP_HANDLER: 0
; COMPUTE_PGM_RSRC2:TGID_X_EN: 1
; COMPUTE_PGM_RSRC2:TGID_Y_EN: 0
; COMPUTE_PGM_RSRC2:TGID_Z_EN: 0
; COMPUTE_PGM_RSRC2:TIDIG_COMP_CNT: 0
	.section	.text._ZN2at6native29vectorized_elementwise_kernelILi4ENS0_13BinaryFunctorIlllZZZNS0_18lshift_kernel_cudaERNS_18TensorIteratorBaseEENKUlvE_clEvENKUlvE2_clEvEUlllE_EESt5arrayIPcLm3EEEEviT0_T1_,"axG",@progbits,_ZN2at6native29vectorized_elementwise_kernelILi4ENS0_13BinaryFunctorIlllZZZNS0_18lshift_kernel_cudaERNS_18TensorIteratorBaseEENKUlvE_clEvENKUlvE2_clEvEUlllE_EESt5arrayIPcLm3EEEEviT0_T1_,comdat
	.globl	_ZN2at6native29vectorized_elementwise_kernelILi4ENS0_13BinaryFunctorIlllZZZNS0_18lshift_kernel_cudaERNS_18TensorIteratorBaseEENKUlvE_clEvENKUlvE2_clEvEUlllE_EESt5arrayIPcLm3EEEEviT0_T1_ ; -- Begin function _ZN2at6native29vectorized_elementwise_kernelILi4ENS0_13BinaryFunctorIlllZZZNS0_18lshift_kernel_cudaERNS_18TensorIteratorBaseEENKUlvE_clEvENKUlvE2_clEvEUlllE_EESt5arrayIPcLm3EEEEviT0_T1_
	.p2align	8
	.type	_ZN2at6native29vectorized_elementwise_kernelILi4ENS0_13BinaryFunctorIlllZZZNS0_18lshift_kernel_cudaERNS_18TensorIteratorBaseEENKUlvE_clEvENKUlvE2_clEvEUlllE_EESt5arrayIPcLm3EEEEviT0_T1_,@function
_ZN2at6native29vectorized_elementwise_kernelILi4ENS0_13BinaryFunctorIlllZZZNS0_18lshift_kernel_cudaERNS_18TensorIteratorBaseEENKUlvE_clEvENKUlvE2_clEvEUlllE_EESt5arrayIPcLm3EEEEviT0_T1_: ; @_ZN2at6native29vectorized_elementwise_kernelILi4ENS0_13BinaryFunctorIlllZZZNS0_18lshift_kernel_cudaERNS_18TensorIteratorBaseEENKUlvE_clEvENKUlvE2_clEvEUlllE_EESt5arrayIPcLm3EEEEviT0_T1_
; %bb.0:
	s_load_dword s0, s[4:5], 0x0
	s_load_dwordx4 s[8:11], s[4:5], 0x8
	s_load_dwordx2 s[12:13], s[4:5], 0x18
	s_lshl_b32 s2, s6, 10
	s_waitcnt lgkmcnt(0)
	s_sub_i32 s6, s0, s2
	s_cmpk_gt_i32 s6, 0x3ff
	s_mov_b64 s[0:1], -1
	s_cbranch_scc0 .LBB90_2
; %bb.1:
	s_ashr_i32 s3, s2, 31
	s_lshl_b64 s[0:1], s[2:3], 3
	s_add_u32 s4, s10, s0
	s_addc_u32 s5, s11, s1
	s_add_u32 s14, s12, s0
	v_lshlrev_b32_e32 v17, 5, v0
	s_addc_u32 s15, s13, s1
	global_load_dwordx4 v[1:4], v17, s[14:15]
	global_load_dwordx4 v[5:8], v17, s[4:5]
	global_load_dwordx4 v[9:12], v17, s[4:5] offset:16
	global_load_dwordx4 v[13:16], v17, s[14:15] offset:16
	s_add_u32 s0, s8, s0
	s_addc_u32 s1, s9, s1
	s_waitcnt vmcnt(3)
	v_cmp_gt_u64_e32 vcc, 64, v[1:2]
	s_waitcnt vmcnt(2)
	v_lshlrev_b64 v[5:6], v1, v[5:6]
	v_lshlrev_b64 v[7:8], v3, v[7:8]
	v_cndmask_b32_e32 v2, 0, v6, vcc
	v_cndmask_b32_e32 v1, 0, v5, vcc
	v_cmp_gt_u64_e32 vcc, 64, v[3:4]
	s_waitcnt vmcnt(0)
	v_lshlrev_b64 v[9:10], v13, v[9:10]
	v_cndmask_b32_e32 v4, 0, v8, vcc
	v_cndmask_b32_e32 v3, 0, v7, vcc
	v_cmp_gt_u64_e32 vcc, 64, v[13:14]
	v_lshlrev_b64 v[11:12], v15, v[11:12]
	v_cndmask_b32_e32 v6, 0, v10, vcc
	v_cndmask_b32_e32 v5, 0, v9, vcc
	v_cmp_gt_u64_e32 vcc, 64, v[15:16]
	v_cndmask_b32_e32 v8, 0, v12, vcc
	v_cndmask_b32_e32 v7, 0, v11, vcc
	global_store_dwordx4 v17, v[1:4], s[0:1]
	global_store_dwordx4 v17, v[5:8], s[0:1] offset:16
	s_mov_b64 s[0:1], 0
.LBB90_2:
	s_andn2_b64 vcc, exec, s[0:1]
	s_cbranch_vccnz .LBB90_15
; %bb.3:
	v_mov_b32_e32 v1, 0
	v_mov_b32_e32 v7, 0
	;; [unrolled: 1-line block ×3, first 2 shown]
	v_cmp_gt_i32_e32 vcc, s6, v0
	v_mov_b32_e32 v2, 0
	v_or_b32_e32 v3, s2, v0
	v_mov_b32_e32 v8, 0
	v_mov_b32_e32 v10, 0
	;; [unrolled: 1-line block ×3, first 2 shown]
	s_and_saveexec_b64 s[4:5], vcc
	s_cbranch_execz .LBB90_5
; %bb.4:
	v_mov_b32_e32 v4, 0
	v_lshlrev_b64 v[4:5], 3, v[3:4]
	v_mov_b32_e32 v6, s13
	v_add_co_u32_e64 v11, s[0:1], s12, v4
	v_addc_co_u32_e64 v12, s[0:1], v6, v5, s[0:1]
	v_mov_b32_e32 v6, s11
	v_add_co_u32_e64 v4, s[0:1], s10, v4
	v_addc_co_u32_e64 v5, s[0:1], v6, v5, s[0:1]
	global_load_dwordx2 v[7:8], v[4:5], off
	global_load_dwordx2 v[9:10], v[11:12], off
	v_or_b32_e32 v4, 0x100, v0
.LBB90_5:
	s_or_b64 exec, exec, s[4:5]
	v_mov_b32_e32 v11, 0
	v_mov_b32_e32 v12, 0
	v_cmp_gt_i32_e64 s[0:1], s6, v4
	s_and_saveexec_b64 s[4:5], s[0:1]
	s_cbranch_execz .LBB90_7
; %bb.6:
	v_add_u32_e32 v1, s2, v4
	v_mov_b32_e32 v2, 0
	v_lshlrev_b64 v[1:2], 3, v[1:2]
	v_mov_b32_e32 v6, s13
	v_add_co_u32_e64 v5, s[0:1], s12, v1
	v_addc_co_u32_e64 v6, s[0:1], v6, v2, s[0:1]
	v_mov_b32_e32 v11, s11
	v_add_co_u32_e64 v13, s[0:1], s10, v1
	v_addc_co_u32_e64 v14, s[0:1], v11, v2, s[0:1]
	global_load_dwordx2 v[1:2], v[13:14], off
	global_load_dwordx2 v[11:12], v[5:6], off
	v_add_u32_e32 v4, 0x100, v4
.LBB90_7:
	s_or_b64 exec, exec, s[4:5]
	v_mov_b32_e32 v5, 0
	v_mov_b32_e32 v13, 0
	;; [unrolled: 1-line block ×6, first 2 shown]
	v_cmp_gt_i32_e64 s[0:1], s6, v4
	s_and_saveexec_b64 s[4:5], s[0:1]
	s_cbranch_execz .LBB90_9
; %bb.8:
	v_add_u32_e32 v13, s2, v4
	v_mov_b32_e32 v14, 0
	v_lshlrev_b64 v[13:14], 3, v[13:14]
	v_mov_b32_e32 v15, s13
	v_add_co_u32_e64 v17, s[0:1], s12, v13
	v_addc_co_u32_e64 v18, s[0:1], v15, v14, s[0:1]
	v_mov_b32_e32 v15, s11
	v_add_co_u32_e64 v19, s[0:1], s10, v13
	v_addc_co_u32_e64 v20, s[0:1], v15, v14, s[0:1]
	global_load_dwordx2 v[13:14], v[19:20], off
	global_load_dwordx2 v[15:16], v[17:18], off
	v_add_u32_e32 v4, 0x100, v4
.LBB90_9:
	s_or_b64 exec, exec, s[4:5]
	v_mov_b32_e32 v17, 0
	v_mov_b32_e32 v18, 0
	v_cmp_gt_i32_e64 s[0:1], s6, v4
	s_and_saveexec_b64 s[4:5], s[0:1]
	s_cbranch_execnz .LBB90_16
; %bb.10:
	s_or_b64 exec, exec, s[4:5]
	s_and_saveexec_b64 s[0:1], vcc
	s_cbranch_execnz .LBB90_17
.LBB90_11:
	s_or_b64 exec, exec, s[0:1]
	v_cmp_gt_i32_e32 vcc, s6, v0
	s_and_saveexec_b64 s[0:1], vcc
	s_cbranch_execnz .LBB90_18
.LBB90_12:
	s_or_b64 exec, exec, s[0:1]
	v_cmp_gt_i32_e32 vcc, s6, v0
	s_and_saveexec_b64 s[0:1], vcc
	s_cbranch_execnz .LBB90_19
.LBB90_13:
	s_or_b64 exec, exec, s[0:1]
	v_cmp_gt_i32_e32 vcc, s6, v0
	s_and_saveexec_b64 s[0:1], vcc
	s_cbranch_execz .LBB90_15
.LBB90_14:
	v_add_u32_e32 v3, s2, v0
	v_mov_b32_e32 v4, 0
	s_waitcnt vmcnt(0)
	v_lshlrev_b64 v[1:2], v17, v[5:6]
	v_cmp_gt_u64_e32 vcc, 64, v[17:18]
	v_lshlrev_b64 v[3:4], 3, v[3:4]
	v_cndmask_b32_e32 v2, 0, v2, vcc
	v_cndmask_b32_e32 v1, 0, v1, vcc
	v_mov_b32_e32 v0, s9
	v_add_co_u32_e32 v3, vcc, s8, v3
	v_addc_co_u32_e32 v4, vcc, v0, v4, vcc
	global_store_dwordx2 v[3:4], v[1:2], off
.LBB90_15:
	s_endpgm
.LBB90_16:
	v_add_u32_e32 v4, s2, v4
	v_mov_b32_e32 v5, 0
	v_lshlrev_b64 v[4:5], 3, v[4:5]
	v_mov_b32_e32 v6, s13
	v_add_co_u32_e64 v19, s[0:1], s12, v4
	v_addc_co_u32_e64 v20, s[0:1], v6, v5, s[0:1]
	v_mov_b32_e32 v6, s11
	v_add_co_u32_e64 v21, s[0:1], s10, v4
	v_addc_co_u32_e64 v22, s[0:1], v6, v5, s[0:1]
	global_load_dwordx2 v[5:6], v[21:22], off
	global_load_dwordx2 v[17:18], v[19:20], off
	s_or_b64 exec, exec, s[4:5]
	s_and_saveexec_b64 s[0:1], vcc
	s_cbranch_execz .LBB90_11
.LBB90_17:
	v_mov_b32_e32 v4, 0
	s_waitcnt vmcnt(0)
	v_lshlrev_b64 v[7:8], v9, v[7:8]
	v_cmp_gt_u64_e32 vcc, 64, v[9:10]
	v_lshlrev_b64 v[3:4], 3, v[3:4]
	v_cndmask_b32_e32 v8, 0, v8, vcc
	v_cndmask_b32_e32 v7, 0, v7, vcc
	v_mov_b32_e32 v9, s9
	v_add_co_u32_e32 v3, vcc, s8, v3
	v_or_b32_e32 v0, 0x100, v0
	v_addc_co_u32_e32 v4, vcc, v9, v4, vcc
	global_store_dwordx2 v[3:4], v[7:8], off
	s_or_b64 exec, exec, s[0:1]
	v_cmp_gt_i32_e32 vcc, s6, v0
	s_and_saveexec_b64 s[0:1], vcc
	s_cbranch_execz .LBB90_12
.LBB90_18:
	v_add_u32_e32 v3, s2, v0
	v_mov_b32_e32 v4, 0
	s_waitcnt vmcnt(0)
	v_lshlrev_b64 v[1:2], v11, v[1:2]
	v_cmp_gt_u64_e32 vcc, 64, v[11:12]
	v_lshlrev_b64 v[3:4], 3, v[3:4]
	v_cndmask_b32_e32 v2, 0, v2, vcc
	v_cndmask_b32_e32 v1, 0, v1, vcc
	v_mov_b32_e32 v7, s9
	v_add_co_u32_e32 v3, vcc, s8, v3
	v_addc_co_u32_e32 v4, vcc, v7, v4, vcc
	v_add_u32_e32 v0, 0x100, v0
	global_store_dwordx2 v[3:4], v[1:2], off
	s_or_b64 exec, exec, s[0:1]
	v_cmp_gt_i32_e32 vcc, s6, v0
	s_and_saveexec_b64 s[0:1], vcc
	s_cbranch_execz .LBB90_13
.LBB90_19:
	v_add_u32_e32 v3, s2, v0
	v_mov_b32_e32 v4, 0
	s_waitcnt vmcnt(0)
	v_lshlrev_b64 v[1:2], v15, v[13:14]
	v_cmp_gt_u64_e32 vcc, 64, v[15:16]
	v_lshlrev_b64 v[3:4], 3, v[3:4]
	v_cndmask_b32_e32 v2, 0, v2, vcc
	v_cndmask_b32_e32 v1, 0, v1, vcc
	v_mov_b32_e32 v7, s9
	v_add_co_u32_e32 v3, vcc, s8, v3
	v_addc_co_u32_e32 v4, vcc, v7, v4, vcc
	v_add_u32_e32 v0, 0x100, v0
	global_store_dwordx2 v[3:4], v[1:2], off
	s_or_b64 exec, exec, s[0:1]
	v_cmp_gt_i32_e32 vcc, s6, v0
	s_and_saveexec_b64 s[0:1], vcc
	s_cbranch_execnz .LBB90_14
	s_branch .LBB90_15
	.section	.rodata,"a",@progbits
	.p2align	6, 0x0
	.amdhsa_kernel _ZN2at6native29vectorized_elementwise_kernelILi4ENS0_13BinaryFunctorIlllZZZNS0_18lshift_kernel_cudaERNS_18TensorIteratorBaseEENKUlvE_clEvENKUlvE2_clEvEUlllE_EESt5arrayIPcLm3EEEEviT0_T1_
		.amdhsa_group_segment_fixed_size 0
		.amdhsa_private_segment_fixed_size 0
		.amdhsa_kernarg_size 32
		.amdhsa_user_sgpr_count 6
		.amdhsa_user_sgpr_private_segment_buffer 1
		.amdhsa_user_sgpr_dispatch_ptr 0
		.amdhsa_user_sgpr_queue_ptr 0
		.amdhsa_user_sgpr_kernarg_segment_ptr 1
		.amdhsa_user_sgpr_dispatch_id 0
		.amdhsa_user_sgpr_flat_scratch_init 0
		.amdhsa_user_sgpr_private_segment_size 0
		.amdhsa_uses_dynamic_stack 0
		.amdhsa_system_sgpr_private_segment_wavefront_offset 0
		.amdhsa_system_sgpr_workgroup_id_x 1
		.amdhsa_system_sgpr_workgroup_id_y 0
		.amdhsa_system_sgpr_workgroup_id_z 0
		.amdhsa_system_sgpr_workgroup_info 0
		.amdhsa_system_vgpr_workitem_id 0
		.amdhsa_next_free_vgpr 23
		.amdhsa_next_free_sgpr 16
		.amdhsa_reserve_vcc 1
		.amdhsa_reserve_flat_scratch 0
		.amdhsa_float_round_mode_32 0
		.amdhsa_float_round_mode_16_64 0
		.amdhsa_float_denorm_mode_32 3
		.amdhsa_float_denorm_mode_16_64 3
		.amdhsa_dx10_clamp 1
		.amdhsa_ieee_mode 1
		.amdhsa_fp16_overflow 0
		.amdhsa_exception_fp_ieee_invalid_op 0
		.amdhsa_exception_fp_denorm_src 0
		.amdhsa_exception_fp_ieee_div_zero 0
		.amdhsa_exception_fp_ieee_overflow 0
		.amdhsa_exception_fp_ieee_underflow 0
		.amdhsa_exception_fp_ieee_inexact 0
		.amdhsa_exception_int_div_zero 0
	.end_amdhsa_kernel
	.section	.text._ZN2at6native29vectorized_elementwise_kernelILi4ENS0_13BinaryFunctorIlllZZZNS0_18lshift_kernel_cudaERNS_18TensorIteratorBaseEENKUlvE_clEvENKUlvE2_clEvEUlllE_EESt5arrayIPcLm3EEEEviT0_T1_,"axG",@progbits,_ZN2at6native29vectorized_elementwise_kernelILi4ENS0_13BinaryFunctorIlllZZZNS0_18lshift_kernel_cudaERNS_18TensorIteratorBaseEENKUlvE_clEvENKUlvE2_clEvEUlllE_EESt5arrayIPcLm3EEEEviT0_T1_,comdat
.Lfunc_end90:
	.size	_ZN2at6native29vectorized_elementwise_kernelILi4ENS0_13BinaryFunctorIlllZZZNS0_18lshift_kernel_cudaERNS_18TensorIteratorBaseEENKUlvE_clEvENKUlvE2_clEvEUlllE_EESt5arrayIPcLm3EEEEviT0_T1_, .Lfunc_end90-_ZN2at6native29vectorized_elementwise_kernelILi4ENS0_13BinaryFunctorIlllZZZNS0_18lshift_kernel_cudaERNS_18TensorIteratorBaseEENKUlvE_clEvENKUlvE2_clEvEUlllE_EESt5arrayIPcLm3EEEEviT0_T1_
                                        ; -- End function
	.set _ZN2at6native29vectorized_elementwise_kernelILi4ENS0_13BinaryFunctorIlllZZZNS0_18lshift_kernel_cudaERNS_18TensorIteratorBaseEENKUlvE_clEvENKUlvE2_clEvEUlllE_EESt5arrayIPcLm3EEEEviT0_T1_.num_vgpr, 23
	.set _ZN2at6native29vectorized_elementwise_kernelILi4ENS0_13BinaryFunctorIlllZZZNS0_18lshift_kernel_cudaERNS_18TensorIteratorBaseEENKUlvE_clEvENKUlvE2_clEvEUlllE_EESt5arrayIPcLm3EEEEviT0_T1_.num_agpr, 0
	.set _ZN2at6native29vectorized_elementwise_kernelILi4ENS0_13BinaryFunctorIlllZZZNS0_18lshift_kernel_cudaERNS_18TensorIteratorBaseEENKUlvE_clEvENKUlvE2_clEvEUlllE_EESt5arrayIPcLm3EEEEviT0_T1_.numbered_sgpr, 16
	.set _ZN2at6native29vectorized_elementwise_kernelILi4ENS0_13BinaryFunctorIlllZZZNS0_18lshift_kernel_cudaERNS_18TensorIteratorBaseEENKUlvE_clEvENKUlvE2_clEvEUlllE_EESt5arrayIPcLm3EEEEviT0_T1_.num_named_barrier, 0
	.set _ZN2at6native29vectorized_elementwise_kernelILi4ENS0_13BinaryFunctorIlllZZZNS0_18lshift_kernel_cudaERNS_18TensorIteratorBaseEENKUlvE_clEvENKUlvE2_clEvEUlllE_EESt5arrayIPcLm3EEEEviT0_T1_.private_seg_size, 0
	.set _ZN2at6native29vectorized_elementwise_kernelILi4ENS0_13BinaryFunctorIlllZZZNS0_18lshift_kernel_cudaERNS_18TensorIteratorBaseEENKUlvE_clEvENKUlvE2_clEvEUlllE_EESt5arrayIPcLm3EEEEviT0_T1_.uses_vcc, 1
	.set _ZN2at6native29vectorized_elementwise_kernelILi4ENS0_13BinaryFunctorIlllZZZNS0_18lshift_kernel_cudaERNS_18TensorIteratorBaseEENKUlvE_clEvENKUlvE2_clEvEUlllE_EESt5arrayIPcLm3EEEEviT0_T1_.uses_flat_scratch, 0
	.set _ZN2at6native29vectorized_elementwise_kernelILi4ENS0_13BinaryFunctorIlllZZZNS0_18lshift_kernel_cudaERNS_18TensorIteratorBaseEENKUlvE_clEvENKUlvE2_clEvEUlllE_EESt5arrayIPcLm3EEEEviT0_T1_.has_dyn_sized_stack, 0
	.set _ZN2at6native29vectorized_elementwise_kernelILi4ENS0_13BinaryFunctorIlllZZZNS0_18lshift_kernel_cudaERNS_18TensorIteratorBaseEENKUlvE_clEvENKUlvE2_clEvEUlllE_EESt5arrayIPcLm3EEEEviT0_T1_.has_recursion, 0
	.set _ZN2at6native29vectorized_elementwise_kernelILi4ENS0_13BinaryFunctorIlllZZZNS0_18lshift_kernel_cudaERNS_18TensorIteratorBaseEENKUlvE_clEvENKUlvE2_clEvEUlllE_EESt5arrayIPcLm3EEEEviT0_T1_.has_indirect_call, 0
	.section	.AMDGPU.csdata,"",@progbits
; Kernel info:
; codeLenInByte = 1076
; TotalNumSgprs: 20
; NumVgprs: 23
; ScratchSize: 0
; MemoryBound: 0
; FloatMode: 240
; IeeeMode: 1
; LDSByteSize: 0 bytes/workgroup (compile time only)
; SGPRBlocks: 2
; VGPRBlocks: 5
; NumSGPRsForWavesPerEU: 20
; NumVGPRsForWavesPerEU: 23
; Occupancy: 10
; WaveLimiterHint : 0
; COMPUTE_PGM_RSRC2:SCRATCH_EN: 0
; COMPUTE_PGM_RSRC2:USER_SGPR: 6
; COMPUTE_PGM_RSRC2:TRAP_HANDLER: 0
; COMPUTE_PGM_RSRC2:TGID_X_EN: 1
; COMPUTE_PGM_RSRC2:TGID_Y_EN: 0
; COMPUTE_PGM_RSRC2:TGID_Z_EN: 0
; COMPUTE_PGM_RSRC2:TIDIG_COMP_CNT: 0
	.section	.text._ZN2at6native29vectorized_elementwise_kernelILi2ENS0_13BinaryFunctorIlllZZZNS0_18lshift_kernel_cudaERNS_18TensorIteratorBaseEENKUlvE_clEvENKUlvE2_clEvEUlllE_EESt5arrayIPcLm3EEEEviT0_T1_,"axG",@progbits,_ZN2at6native29vectorized_elementwise_kernelILi2ENS0_13BinaryFunctorIlllZZZNS0_18lshift_kernel_cudaERNS_18TensorIteratorBaseEENKUlvE_clEvENKUlvE2_clEvEUlllE_EESt5arrayIPcLm3EEEEviT0_T1_,comdat
	.globl	_ZN2at6native29vectorized_elementwise_kernelILi2ENS0_13BinaryFunctorIlllZZZNS0_18lshift_kernel_cudaERNS_18TensorIteratorBaseEENKUlvE_clEvENKUlvE2_clEvEUlllE_EESt5arrayIPcLm3EEEEviT0_T1_ ; -- Begin function _ZN2at6native29vectorized_elementwise_kernelILi2ENS0_13BinaryFunctorIlllZZZNS0_18lshift_kernel_cudaERNS_18TensorIteratorBaseEENKUlvE_clEvENKUlvE2_clEvEUlllE_EESt5arrayIPcLm3EEEEviT0_T1_
	.p2align	8
	.type	_ZN2at6native29vectorized_elementwise_kernelILi2ENS0_13BinaryFunctorIlllZZZNS0_18lshift_kernel_cudaERNS_18TensorIteratorBaseEENKUlvE_clEvENKUlvE2_clEvEUlllE_EESt5arrayIPcLm3EEEEviT0_T1_,@function
_ZN2at6native29vectorized_elementwise_kernelILi2ENS0_13BinaryFunctorIlllZZZNS0_18lshift_kernel_cudaERNS_18TensorIteratorBaseEENKUlvE_clEvENKUlvE2_clEvEUlllE_EESt5arrayIPcLm3EEEEviT0_T1_: ; @_ZN2at6native29vectorized_elementwise_kernelILi2ENS0_13BinaryFunctorIlllZZZNS0_18lshift_kernel_cudaERNS_18TensorIteratorBaseEENKUlvE_clEvENKUlvE2_clEvEUlllE_EESt5arrayIPcLm3EEEEviT0_T1_
; %bb.0:
	s_load_dword s0, s[4:5], 0x0
	s_load_dwordx4 s[8:11], s[4:5], 0x8
	s_load_dwordx2 s[12:13], s[4:5], 0x18
	s_lshl_b32 s2, s6, 10
	s_waitcnt lgkmcnt(0)
	s_sub_i32 s6, s0, s2
	s_cmpk_gt_i32 s6, 0x3ff
	s_mov_b64 s[0:1], -1
	s_cbranch_scc0 .LBB91_2
; %bb.1:
	s_ashr_i32 s3, s2, 31
	s_lshl_b64 s[0:1], s[2:3], 3
	s_add_u32 s4, s10, s0
	s_addc_u32 s5, s11, s1
	v_lshlrev_b32_e32 v21, 4, v0
	s_add_u32 s14, s12, s0
	s_addc_u32 s15, s13, s1
	global_load_dwordx4 v[1:4], v21, s[4:5]
	global_load_dwordx4 v[5:8], v21, s[14:15]
	v_mov_b32_e32 v9, s5
	v_add_co_u32_e32 v10, vcc, s4, v21
	v_addc_co_u32_e32 v11, vcc, 0, v9, vcc
	v_add_co_u32_e32 v9, vcc, 0x1000, v10
	v_addc_co_u32_e32 v10, vcc, 0, v11, vcc
	v_mov_b32_e32 v13, s15
	v_add_co_u32_e32 v14, vcc, s14, v21
	s_movk_i32 s3, 0x1000
	v_addc_co_u32_e32 v15, vcc, 0, v13, vcc
	s_add_u32 s4, s8, s0
	v_add_co_u32_e32 v13, vcc, s3, v14
	s_addc_u32 s5, s9, s1
	v_addc_co_u32_e32 v14, vcc, 0, v15, vcc
	v_mov_b32_e32 v15, s5
	v_add_co_u32_e32 v16, vcc, s4, v21
	v_addc_co_u32_e32 v17, vcc, 0, v15, vcc
	v_add_co_u32_e32 v15, vcc, 0x1000, v16
	global_load_dwordx4 v[9:12], v[9:10], off
	v_addc_co_u32_e32 v16, vcc, 0, v17, vcc
	s_waitcnt vmcnt(1)
	v_lshlrev_b64 v[17:18], v5, v[1:2]
	v_lshlrev_b64 v[19:20], v7, v[3:4]
	global_load_dwordx4 v[1:4], v[13:14], off
	v_cmp_gt_u64_e32 vcc, 64, v[7:8]
	v_cmp_gt_u64_e64 s[0:1], 64, v[5:6]
	v_cndmask_b32_e32 v8, 0, v20, vcc
	v_cndmask_b32_e32 v7, 0, v19, vcc
	v_cndmask_b32_e64 v6, 0, v18, s[0:1]
	v_cndmask_b32_e64 v5, 0, v17, s[0:1]
	global_store_dwordx4 v21, v[5:8], s[4:5]
	s_mov_b64 s[0:1], 0
	s_waitcnt vmcnt(1)
	v_lshlrev_b64 v[9:10], v1, v[9:10]
	v_cmp_gt_u64_e32 vcc, 64, v[1:2]
	v_lshlrev_b64 v[11:12], v3, v[11:12]
	v_cndmask_b32_e32 v2, 0, v10, vcc
	v_cndmask_b32_e32 v1, 0, v9, vcc
	v_cmp_gt_u64_e32 vcc, 64, v[3:4]
	v_cndmask_b32_e32 v4, 0, v12, vcc
	v_cndmask_b32_e32 v3, 0, v11, vcc
	global_store_dwordx4 v[15:16], v[1:4], off
.LBB91_2:
	s_andn2_b64 vcc, exec, s[0:1]
	s_cbranch_vccnz .LBB91_15
; %bb.3:
	v_mov_b32_e32 v1, 0
	v_mov_b32_e32 v7, 0
	;; [unrolled: 1-line block ×3, first 2 shown]
	v_cmp_gt_i32_e32 vcc, s6, v0
	v_mov_b32_e32 v2, 0
	v_or_b32_e32 v3, s2, v0
	v_mov_b32_e32 v8, 0
	v_mov_b32_e32 v10, 0
	;; [unrolled: 1-line block ×3, first 2 shown]
	s_and_saveexec_b64 s[4:5], vcc
	s_cbranch_execz .LBB91_5
; %bb.4:
	v_mov_b32_e32 v4, 0
	v_lshlrev_b64 v[4:5], 3, v[3:4]
	v_mov_b32_e32 v6, s13
	v_add_co_u32_e64 v11, s[0:1], s12, v4
	v_addc_co_u32_e64 v12, s[0:1], v6, v5, s[0:1]
	v_mov_b32_e32 v6, s11
	v_add_co_u32_e64 v4, s[0:1], s10, v4
	v_addc_co_u32_e64 v5, s[0:1], v6, v5, s[0:1]
	global_load_dwordx2 v[7:8], v[4:5], off
	global_load_dwordx2 v[9:10], v[11:12], off
	v_or_b32_e32 v4, 0x100, v0
.LBB91_5:
	s_or_b64 exec, exec, s[4:5]
	v_mov_b32_e32 v11, 0
	v_mov_b32_e32 v12, 0
	v_cmp_gt_i32_e64 s[0:1], s6, v4
	s_and_saveexec_b64 s[4:5], s[0:1]
	s_cbranch_execz .LBB91_7
; %bb.6:
	v_add_u32_e32 v1, s2, v4
	v_mov_b32_e32 v2, 0
	v_lshlrev_b64 v[1:2], 3, v[1:2]
	v_mov_b32_e32 v6, s13
	v_add_co_u32_e64 v5, s[0:1], s12, v1
	v_addc_co_u32_e64 v6, s[0:1], v6, v2, s[0:1]
	v_mov_b32_e32 v11, s11
	v_add_co_u32_e64 v13, s[0:1], s10, v1
	v_addc_co_u32_e64 v14, s[0:1], v11, v2, s[0:1]
	global_load_dwordx2 v[1:2], v[13:14], off
	global_load_dwordx2 v[11:12], v[5:6], off
	v_add_u32_e32 v4, 0x100, v4
.LBB91_7:
	s_or_b64 exec, exec, s[4:5]
	v_mov_b32_e32 v5, 0
	v_mov_b32_e32 v13, 0
	;; [unrolled: 1-line block ×6, first 2 shown]
	v_cmp_gt_i32_e64 s[0:1], s6, v4
	s_and_saveexec_b64 s[4:5], s[0:1]
	s_cbranch_execz .LBB91_9
; %bb.8:
	v_add_u32_e32 v13, s2, v4
	v_mov_b32_e32 v14, 0
	v_lshlrev_b64 v[13:14], 3, v[13:14]
	v_mov_b32_e32 v15, s13
	v_add_co_u32_e64 v17, s[0:1], s12, v13
	v_addc_co_u32_e64 v18, s[0:1], v15, v14, s[0:1]
	v_mov_b32_e32 v15, s11
	v_add_co_u32_e64 v19, s[0:1], s10, v13
	v_addc_co_u32_e64 v20, s[0:1], v15, v14, s[0:1]
	global_load_dwordx2 v[13:14], v[19:20], off
	global_load_dwordx2 v[15:16], v[17:18], off
	v_add_u32_e32 v4, 0x100, v4
.LBB91_9:
	s_or_b64 exec, exec, s[4:5]
	v_mov_b32_e32 v17, 0
	v_mov_b32_e32 v18, 0
	v_cmp_gt_i32_e64 s[0:1], s6, v4
	s_and_saveexec_b64 s[4:5], s[0:1]
	s_cbranch_execnz .LBB91_16
; %bb.10:
	s_or_b64 exec, exec, s[4:5]
	s_and_saveexec_b64 s[0:1], vcc
	s_cbranch_execnz .LBB91_17
.LBB91_11:
	s_or_b64 exec, exec, s[0:1]
	v_cmp_gt_i32_e32 vcc, s6, v0
	s_and_saveexec_b64 s[0:1], vcc
	s_cbranch_execnz .LBB91_18
.LBB91_12:
	s_or_b64 exec, exec, s[0:1]
	v_cmp_gt_i32_e32 vcc, s6, v0
	s_and_saveexec_b64 s[0:1], vcc
	s_cbranch_execnz .LBB91_19
.LBB91_13:
	s_or_b64 exec, exec, s[0:1]
	v_cmp_gt_i32_e32 vcc, s6, v0
	s_and_saveexec_b64 s[0:1], vcc
	s_cbranch_execz .LBB91_15
.LBB91_14:
	v_add_u32_e32 v3, s2, v0
	v_mov_b32_e32 v4, 0
	s_waitcnt vmcnt(0)
	v_lshlrev_b64 v[1:2], v17, v[5:6]
	v_cmp_gt_u64_e32 vcc, 64, v[17:18]
	v_lshlrev_b64 v[3:4], 3, v[3:4]
	v_cndmask_b32_e32 v2, 0, v2, vcc
	v_cndmask_b32_e32 v1, 0, v1, vcc
	v_mov_b32_e32 v0, s9
	v_add_co_u32_e32 v3, vcc, s8, v3
	v_addc_co_u32_e32 v4, vcc, v0, v4, vcc
	global_store_dwordx2 v[3:4], v[1:2], off
.LBB91_15:
	s_endpgm
.LBB91_16:
	v_add_u32_e32 v4, s2, v4
	v_mov_b32_e32 v5, 0
	v_lshlrev_b64 v[4:5], 3, v[4:5]
	v_mov_b32_e32 v6, s13
	v_add_co_u32_e64 v19, s[0:1], s12, v4
	v_addc_co_u32_e64 v20, s[0:1], v6, v5, s[0:1]
	v_mov_b32_e32 v6, s11
	v_add_co_u32_e64 v21, s[0:1], s10, v4
	v_addc_co_u32_e64 v22, s[0:1], v6, v5, s[0:1]
	global_load_dwordx2 v[5:6], v[21:22], off
	global_load_dwordx2 v[17:18], v[19:20], off
	s_or_b64 exec, exec, s[4:5]
	s_and_saveexec_b64 s[0:1], vcc
	s_cbranch_execz .LBB91_11
.LBB91_17:
	v_mov_b32_e32 v4, 0
	s_waitcnt vmcnt(0)
	v_lshlrev_b64 v[7:8], v9, v[7:8]
	v_cmp_gt_u64_e32 vcc, 64, v[9:10]
	v_lshlrev_b64 v[3:4], 3, v[3:4]
	v_cndmask_b32_e32 v8, 0, v8, vcc
	v_cndmask_b32_e32 v7, 0, v7, vcc
	v_mov_b32_e32 v9, s9
	v_add_co_u32_e32 v3, vcc, s8, v3
	v_or_b32_e32 v0, 0x100, v0
	v_addc_co_u32_e32 v4, vcc, v9, v4, vcc
	global_store_dwordx2 v[3:4], v[7:8], off
	s_or_b64 exec, exec, s[0:1]
	v_cmp_gt_i32_e32 vcc, s6, v0
	s_and_saveexec_b64 s[0:1], vcc
	s_cbranch_execz .LBB91_12
.LBB91_18:
	v_add_u32_e32 v3, s2, v0
	v_mov_b32_e32 v4, 0
	s_waitcnt vmcnt(0)
	v_lshlrev_b64 v[1:2], v11, v[1:2]
	v_cmp_gt_u64_e32 vcc, 64, v[11:12]
	v_lshlrev_b64 v[3:4], 3, v[3:4]
	v_cndmask_b32_e32 v2, 0, v2, vcc
	v_cndmask_b32_e32 v1, 0, v1, vcc
	v_mov_b32_e32 v7, s9
	v_add_co_u32_e32 v3, vcc, s8, v3
	v_addc_co_u32_e32 v4, vcc, v7, v4, vcc
	v_add_u32_e32 v0, 0x100, v0
	global_store_dwordx2 v[3:4], v[1:2], off
	s_or_b64 exec, exec, s[0:1]
	v_cmp_gt_i32_e32 vcc, s6, v0
	s_and_saveexec_b64 s[0:1], vcc
	s_cbranch_execz .LBB91_13
.LBB91_19:
	v_add_u32_e32 v3, s2, v0
	v_mov_b32_e32 v4, 0
	s_waitcnt vmcnt(0)
	v_lshlrev_b64 v[1:2], v15, v[13:14]
	v_cmp_gt_u64_e32 vcc, 64, v[15:16]
	v_lshlrev_b64 v[3:4], 3, v[3:4]
	v_cndmask_b32_e32 v2, 0, v2, vcc
	v_cndmask_b32_e32 v1, 0, v1, vcc
	v_mov_b32_e32 v7, s9
	v_add_co_u32_e32 v3, vcc, s8, v3
	v_addc_co_u32_e32 v4, vcc, v7, v4, vcc
	v_add_u32_e32 v0, 0x100, v0
	global_store_dwordx2 v[3:4], v[1:2], off
	s_or_b64 exec, exec, s[0:1]
	v_cmp_gt_i32_e32 vcc, s6, v0
	s_and_saveexec_b64 s[0:1], vcc
	s_cbranch_execnz .LBB91_14
	s_branch .LBB91_15
	.section	.rodata,"a",@progbits
	.p2align	6, 0x0
	.amdhsa_kernel _ZN2at6native29vectorized_elementwise_kernelILi2ENS0_13BinaryFunctorIlllZZZNS0_18lshift_kernel_cudaERNS_18TensorIteratorBaseEENKUlvE_clEvENKUlvE2_clEvEUlllE_EESt5arrayIPcLm3EEEEviT0_T1_
		.amdhsa_group_segment_fixed_size 0
		.amdhsa_private_segment_fixed_size 0
		.amdhsa_kernarg_size 32
		.amdhsa_user_sgpr_count 6
		.amdhsa_user_sgpr_private_segment_buffer 1
		.amdhsa_user_sgpr_dispatch_ptr 0
		.amdhsa_user_sgpr_queue_ptr 0
		.amdhsa_user_sgpr_kernarg_segment_ptr 1
		.amdhsa_user_sgpr_dispatch_id 0
		.amdhsa_user_sgpr_flat_scratch_init 0
		.amdhsa_user_sgpr_private_segment_size 0
		.amdhsa_uses_dynamic_stack 0
		.amdhsa_system_sgpr_private_segment_wavefront_offset 0
		.amdhsa_system_sgpr_workgroup_id_x 1
		.amdhsa_system_sgpr_workgroup_id_y 0
		.amdhsa_system_sgpr_workgroup_id_z 0
		.amdhsa_system_sgpr_workgroup_info 0
		.amdhsa_system_vgpr_workitem_id 0
		.amdhsa_next_free_vgpr 23
		.amdhsa_next_free_sgpr 16
		.amdhsa_reserve_vcc 1
		.amdhsa_reserve_flat_scratch 0
		.amdhsa_float_round_mode_32 0
		.amdhsa_float_round_mode_16_64 0
		.amdhsa_float_denorm_mode_32 3
		.amdhsa_float_denorm_mode_16_64 3
		.amdhsa_dx10_clamp 1
		.amdhsa_ieee_mode 1
		.amdhsa_fp16_overflow 0
		.amdhsa_exception_fp_ieee_invalid_op 0
		.amdhsa_exception_fp_denorm_src 0
		.amdhsa_exception_fp_ieee_div_zero 0
		.amdhsa_exception_fp_ieee_overflow 0
		.amdhsa_exception_fp_ieee_underflow 0
		.amdhsa_exception_fp_ieee_inexact 0
		.amdhsa_exception_int_div_zero 0
	.end_amdhsa_kernel
	.section	.text._ZN2at6native29vectorized_elementwise_kernelILi2ENS0_13BinaryFunctorIlllZZZNS0_18lshift_kernel_cudaERNS_18TensorIteratorBaseEENKUlvE_clEvENKUlvE2_clEvEUlllE_EESt5arrayIPcLm3EEEEviT0_T1_,"axG",@progbits,_ZN2at6native29vectorized_elementwise_kernelILi2ENS0_13BinaryFunctorIlllZZZNS0_18lshift_kernel_cudaERNS_18TensorIteratorBaseEENKUlvE_clEvENKUlvE2_clEvEUlllE_EESt5arrayIPcLm3EEEEviT0_T1_,comdat
.Lfunc_end91:
	.size	_ZN2at6native29vectorized_elementwise_kernelILi2ENS0_13BinaryFunctorIlllZZZNS0_18lshift_kernel_cudaERNS_18TensorIteratorBaseEENKUlvE_clEvENKUlvE2_clEvEUlllE_EESt5arrayIPcLm3EEEEviT0_T1_, .Lfunc_end91-_ZN2at6native29vectorized_elementwise_kernelILi2ENS0_13BinaryFunctorIlllZZZNS0_18lshift_kernel_cudaERNS_18TensorIteratorBaseEENKUlvE_clEvENKUlvE2_clEvEUlllE_EESt5arrayIPcLm3EEEEviT0_T1_
                                        ; -- End function
	.set _ZN2at6native29vectorized_elementwise_kernelILi2ENS0_13BinaryFunctorIlllZZZNS0_18lshift_kernel_cudaERNS_18TensorIteratorBaseEENKUlvE_clEvENKUlvE2_clEvEUlllE_EESt5arrayIPcLm3EEEEviT0_T1_.num_vgpr, 23
	.set _ZN2at6native29vectorized_elementwise_kernelILi2ENS0_13BinaryFunctorIlllZZZNS0_18lshift_kernel_cudaERNS_18TensorIteratorBaseEENKUlvE_clEvENKUlvE2_clEvEUlllE_EESt5arrayIPcLm3EEEEviT0_T1_.num_agpr, 0
	.set _ZN2at6native29vectorized_elementwise_kernelILi2ENS0_13BinaryFunctorIlllZZZNS0_18lshift_kernel_cudaERNS_18TensorIteratorBaseEENKUlvE_clEvENKUlvE2_clEvEUlllE_EESt5arrayIPcLm3EEEEviT0_T1_.numbered_sgpr, 16
	.set _ZN2at6native29vectorized_elementwise_kernelILi2ENS0_13BinaryFunctorIlllZZZNS0_18lshift_kernel_cudaERNS_18TensorIteratorBaseEENKUlvE_clEvENKUlvE2_clEvEUlllE_EESt5arrayIPcLm3EEEEviT0_T1_.num_named_barrier, 0
	.set _ZN2at6native29vectorized_elementwise_kernelILi2ENS0_13BinaryFunctorIlllZZZNS0_18lshift_kernel_cudaERNS_18TensorIteratorBaseEENKUlvE_clEvENKUlvE2_clEvEUlllE_EESt5arrayIPcLm3EEEEviT0_T1_.private_seg_size, 0
	.set _ZN2at6native29vectorized_elementwise_kernelILi2ENS0_13BinaryFunctorIlllZZZNS0_18lshift_kernel_cudaERNS_18TensorIteratorBaseEENKUlvE_clEvENKUlvE2_clEvEUlllE_EESt5arrayIPcLm3EEEEviT0_T1_.uses_vcc, 1
	.set _ZN2at6native29vectorized_elementwise_kernelILi2ENS0_13BinaryFunctorIlllZZZNS0_18lshift_kernel_cudaERNS_18TensorIteratorBaseEENKUlvE_clEvENKUlvE2_clEvEUlllE_EESt5arrayIPcLm3EEEEviT0_T1_.uses_flat_scratch, 0
	.set _ZN2at6native29vectorized_elementwise_kernelILi2ENS0_13BinaryFunctorIlllZZZNS0_18lshift_kernel_cudaERNS_18TensorIteratorBaseEENKUlvE_clEvENKUlvE2_clEvEUlllE_EESt5arrayIPcLm3EEEEviT0_T1_.has_dyn_sized_stack, 0
	.set _ZN2at6native29vectorized_elementwise_kernelILi2ENS0_13BinaryFunctorIlllZZZNS0_18lshift_kernel_cudaERNS_18TensorIteratorBaseEENKUlvE_clEvENKUlvE2_clEvEUlllE_EESt5arrayIPcLm3EEEEviT0_T1_.has_recursion, 0
	.set _ZN2at6native29vectorized_elementwise_kernelILi2ENS0_13BinaryFunctorIlllZZZNS0_18lshift_kernel_cudaERNS_18TensorIteratorBaseEENKUlvE_clEvENKUlvE2_clEvEUlllE_EESt5arrayIPcLm3EEEEviT0_T1_.has_indirect_call, 0
	.section	.AMDGPU.csdata,"",@progbits
; Kernel info:
; codeLenInByte = 1156
; TotalNumSgprs: 20
; NumVgprs: 23
; ScratchSize: 0
; MemoryBound: 0
; FloatMode: 240
; IeeeMode: 1
; LDSByteSize: 0 bytes/workgroup (compile time only)
; SGPRBlocks: 2
; VGPRBlocks: 5
; NumSGPRsForWavesPerEU: 20
; NumVGPRsForWavesPerEU: 23
; Occupancy: 10
; WaveLimiterHint : 1
; COMPUTE_PGM_RSRC2:SCRATCH_EN: 0
; COMPUTE_PGM_RSRC2:USER_SGPR: 6
; COMPUTE_PGM_RSRC2:TRAP_HANDLER: 0
; COMPUTE_PGM_RSRC2:TGID_X_EN: 1
; COMPUTE_PGM_RSRC2:TGID_Y_EN: 0
; COMPUTE_PGM_RSRC2:TGID_Z_EN: 0
; COMPUTE_PGM_RSRC2:TIDIG_COMP_CNT: 0
	.section	.text._ZN2at6native27unrolled_elementwise_kernelINS0_13BinaryFunctorIlllZZZNS0_18lshift_kernel_cudaERNS_18TensorIteratorBaseEENKUlvE_clEvENKUlvE2_clEvEUlllE_EESt5arrayIPcLm3EELi4E23TrivialOffsetCalculatorILi2EjESC_ILi1EjENS0_6memory15LoadWithoutCastENSF_16StoreWithoutCastEEEviT_T0_T2_T3_T4_T5_,"axG",@progbits,_ZN2at6native27unrolled_elementwise_kernelINS0_13BinaryFunctorIlllZZZNS0_18lshift_kernel_cudaERNS_18TensorIteratorBaseEENKUlvE_clEvENKUlvE2_clEvEUlllE_EESt5arrayIPcLm3EELi4E23TrivialOffsetCalculatorILi2EjESC_ILi1EjENS0_6memory15LoadWithoutCastENSF_16StoreWithoutCastEEEviT_T0_T2_T3_T4_T5_,comdat
	.globl	_ZN2at6native27unrolled_elementwise_kernelINS0_13BinaryFunctorIlllZZZNS0_18lshift_kernel_cudaERNS_18TensorIteratorBaseEENKUlvE_clEvENKUlvE2_clEvEUlllE_EESt5arrayIPcLm3EELi4E23TrivialOffsetCalculatorILi2EjESC_ILi1EjENS0_6memory15LoadWithoutCastENSF_16StoreWithoutCastEEEviT_T0_T2_T3_T4_T5_ ; -- Begin function _ZN2at6native27unrolled_elementwise_kernelINS0_13BinaryFunctorIlllZZZNS0_18lshift_kernel_cudaERNS_18TensorIteratorBaseEENKUlvE_clEvENKUlvE2_clEvEUlllE_EESt5arrayIPcLm3EELi4E23TrivialOffsetCalculatorILi2EjESC_ILi1EjENS0_6memory15LoadWithoutCastENSF_16StoreWithoutCastEEEviT_T0_T2_T3_T4_T5_
	.p2align	8
	.type	_ZN2at6native27unrolled_elementwise_kernelINS0_13BinaryFunctorIlllZZZNS0_18lshift_kernel_cudaERNS_18TensorIteratorBaseEENKUlvE_clEvENKUlvE2_clEvEUlllE_EESt5arrayIPcLm3EELi4E23TrivialOffsetCalculatorILi2EjESC_ILi1EjENS0_6memory15LoadWithoutCastENSF_16StoreWithoutCastEEEviT_T0_T2_T3_T4_T5_,@function
_ZN2at6native27unrolled_elementwise_kernelINS0_13BinaryFunctorIlllZZZNS0_18lshift_kernel_cudaERNS_18TensorIteratorBaseEENKUlvE_clEvENKUlvE2_clEvEUlllE_EESt5arrayIPcLm3EELi4E23TrivialOffsetCalculatorILi2EjESC_ILi1EjENS0_6memory15LoadWithoutCastENSF_16StoreWithoutCastEEEviT_T0_T2_T3_T4_T5_: ; @_ZN2at6native27unrolled_elementwise_kernelINS0_13BinaryFunctorIlllZZZNS0_18lshift_kernel_cudaERNS_18TensorIteratorBaseEENKUlvE_clEvENKUlvE2_clEvEUlllE_EESt5arrayIPcLm3EELi4E23TrivialOffsetCalculatorILi2EjESC_ILi1EjENS0_6memory15LoadWithoutCastENSF_16StoreWithoutCastEEEviT_T0_T2_T3_T4_T5_
; %bb.0:
	s_load_dword s0, s[4:5], 0x0
	s_load_dwordx4 s[8:11], s[4:5], 0x8
	s_load_dwordx2 s[2:3], s[4:5], 0x18
	s_lshl_b32 s6, s6, 10
	v_mov_b32_e32 v1, 0
	s_waitcnt lgkmcnt(0)
	s_sub_i32 s7, s0, s6
	v_mov_b32_e32 v5, 0
	v_mov_b32_e32 v7, 0
	v_cmp_gt_i32_e32 vcc, s7, v0
	v_mov_b32_e32 v2, 0
	v_or_b32_e32 v3, s6, v0
	v_mov_b32_e32 v6, 0
	v_mov_b32_e32 v8, 0
	;; [unrolled: 1-line block ×3, first 2 shown]
	s_and_saveexec_b64 s[4:5], vcc
	s_cbranch_execz .LBB92_2
; %bb.1:
	v_mov_b32_e32 v4, 0
	v_lshlrev_b64 v[4:5], 3, v[3:4]
	v_mov_b32_e32 v6, s11
	v_add_co_u32_e64 v9, s[0:1], s10, v4
	v_addc_co_u32_e64 v10, s[0:1], v6, v5, s[0:1]
	v_mov_b32_e32 v6, s3
	v_add_co_u32_e64 v11, s[0:1], s2, v4
	v_addc_co_u32_e64 v12, s[0:1], v6, v5, s[0:1]
	global_load_dwordx2 v[5:6], v[9:10], off
	global_load_dwordx2 v[7:8], v[11:12], off
	v_or_b32_e32 v4, 0x100, v0
.LBB92_2:
	s_or_b64 exec, exec, s[4:5]
	v_mov_b32_e32 v11, 0
	v_mov_b32_e32 v12, 0
	v_cmp_gt_i32_e64 s[0:1], s7, v4
	s_and_saveexec_b64 s[4:5], s[0:1]
	s_cbranch_execz .LBB92_4
; %bb.3:
	v_add_u32_e32 v1, s6, v4
	v_mov_b32_e32 v2, 0
	v_lshlrev_b64 v[1:2], 3, v[1:2]
	v_mov_b32_e32 v10, s11
	v_add_co_u32_e64 v9, s[0:1], s10, v1
	v_addc_co_u32_e64 v10, s[0:1], v10, v2, s[0:1]
	v_mov_b32_e32 v11, s3
	v_add_co_u32_e64 v13, s[0:1], s2, v1
	v_addc_co_u32_e64 v14, s[0:1], v11, v2, s[0:1]
	global_load_dwordx2 v[1:2], v[9:10], off
	global_load_dwordx2 v[11:12], v[13:14], off
	v_add_u32_e32 v4, 0x100, v4
.LBB92_4:
	s_or_b64 exec, exec, s[4:5]
	v_mov_b32_e32 v9, 0
	v_mov_b32_e32 v13, 0
	v_mov_b32_e32 v15, 0
	v_mov_b32_e32 v10, 0
	v_mov_b32_e32 v14, 0
	v_mov_b32_e32 v16, 0
	v_cmp_gt_i32_e64 s[0:1], s7, v4
	s_and_saveexec_b64 s[4:5], s[0:1]
	s_cbranch_execz .LBB92_6
; %bb.5:
	v_add_u32_e32 v13, s6, v4
	v_mov_b32_e32 v14, 0
	v_lshlrev_b64 v[13:14], 3, v[13:14]
	v_mov_b32_e32 v15, s11
	v_add_co_u32_e64 v17, s[0:1], s10, v13
	v_addc_co_u32_e64 v18, s[0:1], v15, v14, s[0:1]
	v_mov_b32_e32 v15, s3
	v_add_co_u32_e64 v19, s[0:1], s2, v13
	v_addc_co_u32_e64 v20, s[0:1], v15, v14, s[0:1]
	global_load_dwordx2 v[13:14], v[17:18], off
	global_load_dwordx2 v[15:16], v[19:20], off
	v_add_u32_e32 v4, 0x100, v4
.LBB92_6:
	s_or_b64 exec, exec, s[4:5]
	v_mov_b32_e32 v17, 0
	v_mov_b32_e32 v18, 0
	v_cmp_gt_i32_e64 s[0:1], s7, v4
	s_and_saveexec_b64 s[4:5], s[0:1]
	s_cbranch_execnz .LBB92_12
; %bb.7:
	s_or_b64 exec, exec, s[4:5]
	s_and_saveexec_b64 s[0:1], vcc
	s_cbranch_execnz .LBB92_13
.LBB92_8:
	s_or_b64 exec, exec, s[0:1]
	v_cmp_gt_i32_e32 vcc, s7, v0
	s_and_saveexec_b64 s[0:1], vcc
	s_cbranch_execnz .LBB92_14
.LBB92_9:
	s_or_b64 exec, exec, s[0:1]
	v_cmp_gt_i32_e32 vcc, s7, v0
	s_and_saveexec_b64 s[0:1], vcc
	s_cbranch_execnz .LBB92_15
.LBB92_10:
	s_or_b64 exec, exec, s[0:1]
	v_cmp_gt_i32_e32 vcc, s7, v0
	s_and_saveexec_b64 s[0:1], vcc
	s_cbranch_execnz .LBB92_16
.LBB92_11:
	s_endpgm
.LBB92_12:
	v_add_u32_e32 v9, s6, v4
	v_mov_b32_e32 v10, 0
	v_lshlrev_b64 v[9:10], 3, v[9:10]
	v_mov_b32_e32 v4, s11
	v_add_co_u32_e64 v19, s[0:1], s10, v9
	v_addc_co_u32_e64 v20, s[0:1], v4, v10, s[0:1]
	v_mov_b32_e32 v4, s3
	v_add_co_u32_e64 v21, s[0:1], s2, v9
	v_addc_co_u32_e64 v22, s[0:1], v4, v10, s[0:1]
	global_load_dwordx2 v[9:10], v[19:20], off
	global_load_dwordx2 v[17:18], v[21:22], off
	s_or_b64 exec, exec, s[4:5]
	s_and_saveexec_b64 s[0:1], vcc
	s_cbranch_execz .LBB92_8
.LBB92_13:
	v_mov_b32_e32 v4, 0
	v_lshlrev_b64 v[3:4], 3, v[3:4]
	v_mov_b32_e32 v19, s9
	v_add_co_u32_e32 v3, vcc, s8, v3
	v_addc_co_u32_e32 v4, vcc, v19, v4, vcc
	s_waitcnt vmcnt(0)
	v_lshlrev_b64 v[5:6], v7, v[5:6]
	v_cmp_gt_u64_e32 vcc, 64, v[7:8]
	v_or_b32_e32 v0, 0x100, v0
	v_cndmask_b32_e32 v6, 0, v6, vcc
	v_cndmask_b32_e32 v5, 0, v5, vcc
	global_store_dwordx2 v[3:4], v[5:6], off
	s_or_b64 exec, exec, s[0:1]
	v_cmp_gt_i32_e32 vcc, s7, v0
	s_and_saveexec_b64 s[0:1], vcc
	s_cbranch_execz .LBB92_9
.LBB92_14:
	v_add_u32_e32 v3, s6, v0
	v_mov_b32_e32 v4, 0
	s_waitcnt vmcnt(0)
	v_lshlrev_b64 v[1:2], v11, v[1:2]
	v_cmp_gt_u64_e32 vcc, 64, v[11:12]
	v_lshlrev_b64 v[3:4], 3, v[3:4]
	v_cndmask_b32_e32 v2, 0, v2, vcc
	v_cndmask_b32_e32 v1, 0, v1, vcc
	v_add_u32_e32 v5, 0x100, v0
	v_mov_b32_e32 v0, s9
	v_add_co_u32_e32 v3, vcc, s8, v3
	v_addc_co_u32_e32 v4, vcc, v0, v4, vcc
	v_mov_b32_e32 v0, v5
	global_store_dwordx2 v[3:4], v[1:2], off
	s_or_b64 exec, exec, s[0:1]
	v_cmp_gt_i32_e32 vcc, s7, v0
	s_and_saveexec_b64 s[0:1], vcc
	s_cbranch_execz .LBB92_10
.LBB92_15:
	v_add_u32_e32 v3, s6, v0
	v_mov_b32_e32 v4, 0
	s_waitcnt vmcnt(0)
	v_lshlrev_b64 v[1:2], v15, v[13:14]
	v_cmp_gt_u64_e32 vcc, 64, v[15:16]
	v_lshlrev_b64 v[3:4], 3, v[3:4]
	v_cndmask_b32_e32 v2, 0, v2, vcc
	v_cndmask_b32_e32 v1, 0, v1, vcc
	v_add_u32_e32 v5, 0x100, v0
	v_mov_b32_e32 v0, s9
	v_add_co_u32_e32 v3, vcc, s8, v3
	v_addc_co_u32_e32 v4, vcc, v0, v4, vcc
	v_mov_b32_e32 v0, v5
	global_store_dwordx2 v[3:4], v[1:2], off
	s_or_b64 exec, exec, s[0:1]
	v_cmp_gt_i32_e32 vcc, s7, v0
	s_and_saveexec_b64 s[0:1], vcc
	s_cbranch_execz .LBB92_11
.LBB92_16:
	v_add_u32_e32 v3, s6, v0
	v_mov_b32_e32 v4, 0
	s_waitcnt vmcnt(0)
	v_lshlrev_b64 v[1:2], v17, v[9:10]
	v_cmp_gt_u64_e32 vcc, 64, v[17:18]
	v_lshlrev_b64 v[3:4], 3, v[3:4]
	v_cndmask_b32_e32 v2, 0, v2, vcc
	v_cndmask_b32_e32 v1, 0, v1, vcc
	v_mov_b32_e32 v0, s9
	v_add_co_u32_e32 v3, vcc, s8, v3
	v_addc_co_u32_e32 v4, vcc, v0, v4, vcc
	global_store_dwordx2 v[3:4], v[1:2], off
	s_endpgm
	.section	.rodata,"a",@progbits
	.p2align	6, 0x0
	.amdhsa_kernel _ZN2at6native27unrolled_elementwise_kernelINS0_13BinaryFunctorIlllZZZNS0_18lshift_kernel_cudaERNS_18TensorIteratorBaseEENKUlvE_clEvENKUlvE2_clEvEUlllE_EESt5arrayIPcLm3EELi4E23TrivialOffsetCalculatorILi2EjESC_ILi1EjENS0_6memory15LoadWithoutCastENSF_16StoreWithoutCastEEEviT_T0_T2_T3_T4_T5_
		.amdhsa_group_segment_fixed_size 0
		.amdhsa_private_segment_fixed_size 0
		.amdhsa_kernarg_size 36
		.amdhsa_user_sgpr_count 6
		.amdhsa_user_sgpr_private_segment_buffer 1
		.amdhsa_user_sgpr_dispatch_ptr 0
		.amdhsa_user_sgpr_queue_ptr 0
		.amdhsa_user_sgpr_kernarg_segment_ptr 1
		.amdhsa_user_sgpr_dispatch_id 0
		.amdhsa_user_sgpr_flat_scratch_init 0
		.amdhsa_user_sgpr_private_segment_size 0
		.amdhsa_uses_dynamic_stack 0
		.amdhsa_system_sgpr_private_segment_wavefront_offset 0
		.amdhsa_system_sgpr_workgroup_id_x 1
		.amdhsa_system_sgpr_workgroup_id_y 0
		.amdhsa_system_sgpr_workgroup_id_z 0
		.amdhsa_system_sgpr_workgroup_info 0
		.amdhsa_system_vgpr_workitem_id 0
		.amdhsa_next_free_vgpr 23
		.amdhsa_next_free_sgpr 12
		.amdhsa_reserve_vcc 1
		.amdhsa_reserve_flat_scratch 0
		.amdhsa_float_round_mode_32 0
		.amdhsa_float_round_mode_16_64 0
		.amdhsa_float_denorm_mode_32 3
		.amdhsa_float_denorm_mode_16_64 3
		.amdhsa_dx10_clamp 1
		.amdhsa_ieee_mode 1
		.amdhsa_fp16_overflow 0
		.amdhsa_exception_fp_ieee_invalid_op 0
		.amdhsa_exception_fp_denorm_src 0
		.amdhsa_exception_fp_ieee_div_zero 0
		.amdhsa_exception_fp_ieee_overflow 0
		.amdhsa_exception_fp_ieee_underflow 0
		.amdhsa_exception_fp_ieee_inexact 0
		.amdhsa_exception_int_div_zero 0
	.end_amdhsa_kernel
	.section	.text._ZN2at6native27unrolled_elementwise_kernelINS0_13BinaryFunctorIlllZZZNS0_18lshift_kernel_cudaERNS_18TensorIteratorBaseEENKUlvE_clEvENKUlvE2_clEvEUlllE_EESt5arrayIPcLm3EELi4E23TrivialOffsetCalculatorILi2EjESC_ILi1EjENS0_6memory15LoadWithoutCastENSF_16StoreWithoutCastEEEviT_T0_T2_T3_T4_T5_,"axG",@progbits,_ZN2at6native27unrolled_elementwise_kernelINS0_13BinaryFunctorIlllZZZNS0_18lshift_kernel_cudaERNS_18TensorIteratorBaseEENKUlvE_clEvENKUlvE2_clEvEUlllE_EESt5arrayIPcLm3EELi4E23TrivialOffsetCalculatorILi2EjESC_ILi1EjENS0_6memory15LoadWithoutCastENSF_16StoreWithoutCastEEEviT_T0_T2_T3_T4_T5_,comdat
.Lfunc_end92:
	.size	_ZN2at6native27unrolled_elementwise_kernelINS0_13BinaryFunctorIlllZZZNS0_18lshift_kernel_cudaERNS_18TensorIteratorBaseEENKUlvE_clEvENKUlvE2_clEvEUlllE_EESt5arrayIPcLm3EELi4E23TrivialOffsetCalculatorILi2EjESC_ILi1EjENS0_6memory15LoadWithoutCastENSF_16StoreWithoutCastEEEviT_T0_T2_T3_T4_T5_, .Lfunc_end92-_ZN2at6native27unrolled_elementwise_kernelINS0_13BinaryFunctorIlllZZZNS0_18lshift_kernel_cudaERNS_18TensorIteratorBaseEENKUlvE_clEvENKUlvE2_clEvEUlllE_EESt5arrayIPcLm3EELi4E23TrivialOffsetCalculatorILi2EjESC_ILi1EjENS0_6memory15LoadWithoutCastENSF_16StoreWithoutCastEEEviT_T0_T2_T3_T4_T5_
                                        ; -- End function
	.set _ZN2at6native27unrolled_elementwise_kernelINS0_13BinaryFunctorIlllZZZNS0_18lshift_kernel_cudaERNS_18TensorIteratorBaseEENKUlvE_clEvENKUlvE2_clEvEUlllE_EESt5arrayIPcLm3EELi4E23TrivialOffsetCalculatorILi2EjESC_ILi1EjENS0_6memory15LoadWithoutCastENSF_16StoreWithoutCastEEEviT_T0_T2_T3_T4_T5_.num_vgpr, 23
	.set _ZN2at6native27unrolled_elementwise_kernelINS0_13BinaryFunctorIlllZZZNS0_18lshift_kernel_cudaERNS_18TensorIteratorBaseEENKUlvE_clEvENKUlvE2_clEvEUlllE_EESt5arrayIPcLm3EELi4E23TrivialOffsetCalculatorILi2EjESC_ILi1EjENS0_6memory15LoadWithoutCastENSF_16StoreWithoutCastEEEviT_T0_T2_T3_T4_T5_.num_agpr, 0
	.set _ZN2at6native27unrolled_elementwise_kernelINS0_13BinaryFunctorIlllZZZNS0_18lshift_kernel_cudaERNS_18TensorIteratorBaseEENKUlvE_clEvENKUlvE2_clEvEUlllE_EESt5arrayIPcLm3EELi4E23TrivialOffsetCalculatorILi2EjESC_ILi1EjENS0_6memory15LoadWithoutCastENSF_16StoreWithoutCastEEEviT_T0_T2_T3_T4_T5_.numbered_sgpr, 12
	.set _ZN2at6native27unrolled_elementwise_kernelINS0_13BinaryFunctorIlllZZZNS0_18lshift_kernel_cudaERNS_18TensorIteratorBaseEENKUlvE_clEvENKUlvE2_clEvEUlllE_EESt5arrayIPcLm3EELi4E23TrivialOffsetCalculatorILi2EjESC_ILi1EjENS0_6memory15LoadWithoutCastENSF_16StoreWithoutCastEEEviT_T0_T2_T3_T4_T5_.num_named_barrier, 0
	.set _ZN2at6native27unrolled_elementwise_kernelINS0_13BinaryFunctorIlllZZZNS0_18lshift_kernel_cudaERNS_18TensorIteratorBaseEENKUlvE_clEvENKUlvE2_clEvEUlllE_EESt5arrayIPcLm3EELi4E23TrivialOffsetCalculatorILi2EjESC_ILi1EjENS0_6memory15LoadWithoutCastENSF_16StoreWithoutCastEEEviT_T0_T2_T3_T4_T5_.private_seg_size, 0
	.set _ZN2at6native27unrolled_elementwise_kernelINS0_13BinaryFunctorIlllZZZNS0_18lshift_kernel_cudaERNS_18TensorIteratorBaseEENKUlvE_clEvENKUlvE2_clEvEUlllE_EESt5arrayIPcLm3EELi4E23TrivialOffsetCalculatorILi2EjESC_ILi1EjENS0_6memory15LoadWithoutCastENSF_16StoreWithoutCastEEEviT_T0_T2_T3_T4_T5_.uses_vcc, 1
	.set _ZN2at6native27unrolled_elementwise_kernelINS0_13BinaryFunctorIlllZZZNS0_18lshift_kernel_cudaERNS_18TensorIteratorBaseEENKUlvE_clEvENKUlvE2_clEvEUlllE_EESt5arrayIPcLm3EELi4E23TrivialOffsetCalculatorILi2EjESC_ILi1EjENS0_6memory15LoadWithoutCastENSF_16StoreWithoutCastEEEviT_T0_T2_T3_T4_T5_.uses_flat_scratch, 0
	.set _ZN2at6native27unrolled_elementwise_kernelINS0_13BinaryFunctorIlllZZZNS0_18lshift_kernel_cudaERNS_18TensorIteratorBaseEENKUlvE_clEvENKUlvE2_clEvEUlllE_EESt5arrayIPcLm3EELi4E23TrivialOffsetCalculatorILi2EjESC_ILi1EjENS0_6memory15LoadWithoutCastENSF_16StoreWithoutCastEEEviT_T0_T2_T3_T4_T5_.has_dyn_sized_stack, 0
	.set _ZN2at6native27unrolled_elementwise_kernelINS0_13BinaryFunctorIlllZZZNS0_18lshift_kernel_cudaERNS_18TensorIteratorBaseEENKUlvE_clEvENKUlvE2_clEvEUlllE_EESt5arrayIPcLm3EELi4E23TrivialOffsetCalculatorILi2EjESC_ILi1EjENS0_6memory15LoadWithoutCastENSF_16StoreWithoutCastEEEviT_T0_T2_T3_T4_T5_.has_recursion, 0
	.set _ZN2at6native27unrolled_elementwise_kernelINS0_13BinaryFunctorIlllZZZNS0_18lshift_kernel_cudaERNS_18TensorIteratorBaseEENKUlvE_clEvENKUlvE2_clEvEUlllE_EESt5arrayIPcLm3EELi4E23TrivialOffsetCalculatorILi2EjESC_ILi1EjENS0_6memory15LoadWithoutCastENSF_16StoreWithoutCastEEEviT_T0_T2_T3_T4_T5_.has_indirect_call, 0
	.section	.AMDGPU.csdata,"",@progbits
; Kernel info:
; codeLenInByte = 884
; TotalNumSgprs: 16
; NumVgprs: 23
; ScratchSize: 0
; MemoryBound: 0
; FloatMode: 240
; IeeeMode: 1
; LDSByteSize: 0 bytes/workgroup (compile time only)
; SGPRBlocks: 1
; VGPRBlocks: 5
; NumSGPRsForWavesPerEU: 16
; NumVGPRsForWavesPerEU: 23
; Occupancy: 10
; WaveLimiterHint : 0
; COMPUTE_PGM_RSRC2:SCRATCH_EN: 0
; COMPUTE_PGM_RSRC2:USER_SGPR: 6
; COMPUTE_PGM_RSRC2:TRAP_HANDLER: 0
; COMPUTE_PGM_RSRC2:TGID_X_EN: 1
; COMPUTE_PGM_RSRC2:TGID_Y_EN: 0
; COMPUTE_PGM_RSRC2:TGID_Z_EN: 0
; COMPUTE_PGM_RSRC2:TIDIG_COMP_CNT: 0
	.section	.text._ZN2at6native32elementwise_kernel_manual_unrollILi128ELi4EZNS0_22gpu_kernel_impl_nocastINS0_13BinaryFunctorIlllZZZNS0_18lshift_kernel_cudaERNS_18TensorIteratorBaseEENKUlvE_clEvENKUlvE2_clEvEUlllE_EEEEvS5_RKT_EUlibE_EEviT1_,"axG",@progbits,_ZN2at6native32elementwise_kernel_manual_unrollILi128ELi4EZNS0_22gpu_kernel_impl_nocastINS0_13BinaryFunctorIlllZZZNS0_18lshift_kernel_cudaERNS_18TensorIteratorBaseEENKUlvE_clEvENKUlvE2_clEvEUlllE_EEEEvS5_RKT_EUlibE_EEviT1_,comdat
	.globl	_ZN2at6native32elementwise_kernel_manual_unrollILi128ELi4EZNS0_22gpu_kernel_impl_nocastINS0_13BinaryFunctorIlllZZZNS0_18lshift_kernel_cudaERNS_18TensorIteratorBaseEENKUlvE_clEvENKUlvE2_clEvEUlllE_EEEEvS5_RKT_EUlibE_EEviT1_ ; -- Begin function _ZN2at6native32elementwise_kernel_manual_unrollILi128ELi4EZNS0_22gpu_kernel_impl_nocastINS0_13BinaryFunctorIlllZZZNS0_18lshift_kernel_cudaERNS_18TensorIteratorBaseEENKUlvE_clEvENKUlvE2_clEvEUlllE_EEEEvS5_RKT_EUlibE_EEviT1_
	.p2align	8
	.type	_ZN2at6native32elementwise_kernel_manual_unrollILi128ELi4EZNS0_22gpu_kernel_impl_nocastINS0_13BinaryFunctorIlllZZZNS0_18lshift_kernel_cudaERNS_18TensorIteratorBaseEENKUlvE_clEvENKUlvE2_clEvEUlllE_EEEEvS5_RKT_EUlibE_EEviT1_,@function
_ZN2at6native32elementwise_kernel_manual_unrollILi128ELi4EZNS0_22gpu_kernel_impl_nocastINS0_13BinaryFunctorIlllZZZNS0_18lshift_kernel_cudaERNS_18TensorIteratorBaseEENKUlvE_clEvENKUlvE2_clEvEUlllE_EEEEvS5_RKT_EUlibE_EEviT1_: ; @_ZN2at6native32elementwise_kernel_manual_unrollILi128ELi4EZNS0_22gpu_kernel_impl_nocastINS0_13BinaryFunctorIlllZZZNS0_18lshift_kernel_cudaERNS_18TensorIteratorBaseEENKUlvE_clEvENKUlvE2_clEvEUlllE_EEEEvS5_RKT_EUlibE_EEviT1_
; %bb.0:
	s_load_dword s36, s[4:5], 0x0
	s_load_dword s33, s[4:5], 0x8
	s_add_u32 s12, s4, 8
	s_addc_u32 s13, s5, 0
	v_lshl_or_b32 v11, s6, 9, v0
	v_or_b32_e32 v21, 0x180, v11
	s_waitcnt lgkmcnt(0)
	s_add_i32 s34, s33, -1
	s_cmp_gt_u32 s34, 1
	v_cmp_le_i32_e32 vcc, s36, v21
	s_cselect_b64 s[14:15], -1, 0
	s_and_saveexec_b64 s[0:1], vcc
	s_xor_b64 s[16:17], exec, s[0:1]
	s_cbranch_execz .LBB93_54
; %bb.1:
	s_load_dwordx4 s[8:11], s[12:13], 0x4
	s_load_dwordx2 s[22:23], s[12:13], 0x14
	s_load_dwordx4 s[4:7], s[12:13], 0xc4
	s_load_dwordx2 s[20:21], s[12:13], 0xd4
	s_load_dwordx2 s[18:19], s[12:13], 0x198
	s_load_dwordx4 s[0:3], s[12:13], 0x188
	s_cmp_lg_u32 s33, 0
	s_cselect_b64 s[26:27], -1, 0
	s_min_u32 s35, s34, 15
	s_cmp_gt_u32 s33, 1
	s_cselect_b64 s[24:25], -1, 0
	v_cmp_gt_i32_e32 vcc, s36, v11
	s_and_saveexec_b64 s[28:29], vcc
	s_cbranch_execnz .LBB93_5
; %bb.2:
	s_or_b64 exec, exec, s[28:29]
	v_cmp_gt_i32_e32 vcc, s36, v11
	s_and_saveexec_b64 s[28:29], vcc
	s_cbranch_execnz .LBB93_17
.LBB93_3:
	s_or_b64 exec, exec, s[28:29]
	v_cmp_gt_i32_e32 vcc, s36, v11
	s_and_saveexec_b64 s[28:29], vcc
	s_cbranch_execnz .LBB93_29
.LBB93_4:
	s_or_b64 exec, exec, s[28:29]
	v_cmp_gt_i32_e32 vcc, s36, v11
	s_and_saveexec_b64 s[28:29], vcc
	s_cbranch_execnz .LBB93_41
	s_branch .LBB93_53
.LBB93_5:
	s_andn2_b64 vcc, exec, s[14:15]
	s_cbranch_vccnz .LBB93_11
; %bb.6:
	s_andn2_b64 vcc, exec, s[26:27]
	s_cbranch_vccnz .LBB93_12
; %bb.7:
	s_add_i32 s30, s35, 1
	s_and_b32 s37, s30, 30
	s_add_u32 s30, s12, 0xffffffe8
	s_addc_u32 s31, s13, -1
	v_mov_b32_e32 v2, 0
	v_mov_b32_e32 v4, 0
	;; [unrolled: 1-line block ×4, first 2 shown]
.LBB93_8:                               ; =>This Inner Loop Header: Depth=1
	s_load_dwordx4 s[40:43], s[30:31], 0x1c
	s_load_dwordx2 s[38:39], s[30:31], 0x2c
	s_load_dwordx2 s[48:49], s[30:31], 0xec
	s_load_dwordx4 s[44:47], s[30:31], 0xdc
	s_add_u32 s30, s30, 24
	s_waitcnt lgkmcnt(0)
	v_mul_hi_u32 v3, s41, v1
	s_addc_u32 s31, s31, 0
	s_add_i32 s37, s37, -2
	s_cmp_lg_u32 s37, 0
	v_add_u32_e32 v3, v1, v3
	v_lshrrev_b32_e32 v3, s42, v3
	v_mul_lo_u32 v5, v3, s40
	v_mul_hi_u32 v6, s38, v3
	v_sub_u32_e32 v5, v1, v5
	v_add_u32_e32 v1, v3, v6
	v_lshrrev_b32_e32 v1, s39, v1
	v_mul_lo_u32 v8, v1, s43
	v_mul_lo_u32 v6, v5, s44
	;; [unrolled: 1-line block ×4, first 2 shown]
	v_sub_u32_e32 v3, v3, v8
	v_mul_lo_u32 v8, v3, s47
	v_mul_lo_u32 v9, v3, s48
	;; [unrolled: 1-line block ×3, first 2 shown]
	v_add3_u32 v0, v6, v0, v8
	v_add3_u32 v4, v7, v4, v9
	v_add3_u32 v2, v5, v2, v3
	s_cbranch_scc1 .LBB93_8
; %bb.9:
	s_bitcmp1_b32 s35, 0
	s_cselect_b64 s[38:39], -1, 0
	s_and_b64 vcc, exec, s[38:39]
	s_cbranch_vccnz .LBB93_13
; %bb.10:
	s_load_dwordx2 s[38:39], s[30:31], 0x1c
	s_load_dword s37, s[30:31], 0x24
	s_load_dwordx2 s[40:41], s[30:31], 0xdc
	s_waitcnt lgkmcnt(0)
	v_mul_hi_u32 v3, s39, v1
	v_add_u32_e32 v3, v1, v3
	v_lshrrev_b32_e32 v3, s37, v3
	v_mul_lo_u32 v3, v3, s38
	s_load_dword s37, s[30:31], 0xe4
	v_sub_u32_e32 v3, v1, v3
	v_mad_u64_u32 v[0:1], s[30:31], v3, s40, v[0:1]
	v_mad_u64_u32 v[4:5], s[30:31], v3, s41, v[4:5]
	s_waitcnt lgkmcnt(0)
	v_mad_u64_u32 v[2:3], s[30:31], v3, s37, v[2:3]
	s_cbranch_execz .LBB93_14
	s_branch .LBB93_16
.LBB93_11:
                                        ; implicit-def: $vgpr0
                                        ; implicit-def: $vgpr4
                                        ; implicit-def: $vgpr2
	s_branch .LBB93_14
.LBB93_12:
	v_mov_b32_e32 v0, 0
	v_mov_b32_e32 v4, 0
	;; [unrolled: 1-line block ×3, first 2 shown]
.LBB93_13:
	s_cbranch_execnz .LBB93_16
.LBB93_14:
	s_waitcnt lgkmcnt(0)
	v_mul_hi_u32 v0, s9, v11
	s_andn2_b64 vcc, exec, s[24:25]
	v_add_u32_e32 v0, v11, v0
	v_lshrrev_b32_e32 v1, s10, v0
	v_mul_lo_u32 v0, v1, s8
	v_sub_u32_e32 v2, v11, v0
	v_mul_lo_u32 v0, v2, s4
	v_mul_lo_u32 v4, v2, s5
	;; [unrolled: 1-line block ×3, first 2 shown]
	s_cbranch_vccnz .LBB93_16
; %bb.15:
	v_mul_hi_u32 v3, s22, v1
	v_add_u32_e32 v3, v1, v3
	v_lshrrev_b32_e32 v3, s23, v3
	v_mul_lo_u32 v3, v3, s11
	v_sub_u32_e32 v3, v1, v3
	v_mad_u64_u32 v[0:1], s[30:31], v3, s7, v[0:1]
	v_mad_u64_u32 v[4:5], s[30:31], v3, s20, v[4:5]
	;; [unrolled: 1-line block ×3, first 2 shown]
.LBB93_16:
	s_waitcnt lgkmcnt(0)
	global_load_dwordx2 v[5:6], v4, s[2:3]
	global_load_dwordx2 v[7:8], v2, s[18:19]
	v_add_u32_e32 v11, 0x80, v11
	s_waitcnt vmcnt(0)
	v_lshlrev_b64 v[1:2], v7, v[5:6]
	v_cmp_gt_u64_e32 vcc, 64, v[7:8]
	v_cndmask_b32_e32 v2, 0, v2, vcc
	v_cndmask_b32_e32 v1, 0, v1, vcc
	global_store_dwordx2 v0, v[1:2], s[0:1]
	s_or_b64 exec, exec, s[28:29]
	v_cmp_gt_i32_e32 vcc, s36, v11
	s_and_saveexec_b64 s[28:29], vcc
	s_cbranch_execz .LBB93_3
.LBB93_17:
	s_andn2_b64 vcc, exec, s[14:15]
	s_cbranch_vccnz .LBB93_23
; %bb.18:
	s_andn2_b64 vcc, exec, s[26:27]
	s_cbranch_vccnz .LBB93_24
; %bb.19:
	s_add_i32 s30, s35, 1
	s_and_b32 s37, s30, 30
	s_add_u32 s30, s12, 0xffffffe8
	s_addc_u32 s31, s13, -1
	v_mov_b32_e32 v2, 0
	v_mov_b32_e32 v4, 0
	;; [unrolled: 1-line block ×4, first 2 shown]
.LBB93_20:                              ; =>This Inner Loop Header: Depth=1
	s_load_dwordx4 s[40:43], s[30:31], 0x1c
	s_load_dwordx2 s[38:39], s[30:31], 0x2c
	s_load_dwordx2 s[48:49], s[30:31], 0xec
	s_load_dwordx4 s[44:47], s[30:31], 0xdc
	s_add_u32 s30, s30, 24
	s_waitcnt lgkmcnt(0)
	v_mul_hi_u32 v3, s41, v1
	s_addc_u32 s31, s31, 0
	s_add_i32 s37, s37, -2
	s_cmp_eq_u32 s37, 0
	v_add_u32_e32 v3, v1, v3
	v_lshrrev_b32_e32 v3, s42, v3
	v_mul_lo_u32 v5, v3, s40
	v_mul_hi_u32 v6, s38, v3
	v_sub_u32_e32 v5, v1, v5
	v_add_u32_e32 v1, v3, v6
	v_lshrrev_b32_e32 v1, s39, v1
	v_mul_lo_u32 v8, v1, s43
	v_mul_lo_u32 v6, v5, s44
	;; [unrolled: 1-line block ×4, first 2 shown]
	v_sub_u32_e32 v3, v3, v8
	v_mul_lo_u32 v8, v3, s47
	v_mul_lo_u32 v9, v3, s48
	;; [unrolled: 1-line block ×3, first 2 shown]
	v_add3_u32 v0, v6, v0, v8
	v_add3_u32 v4, v7, v4, v9
	;; [unrolled: 1-line block ×3, first 2 shown]
	s_cbranch_scc0 .LBB93_20
; %bb.21:
	s_bitcmp1_b32 s35, 0
	s_cselect_b64 s[38:39], -1, 0
	s_and_b64 vcc, exec, s[38:39]
	s_cbranch_vccnz .LBB93_25
; %bb.22:
	s_load_dwordx2 s[38:39], s[30:31], 0x1c
	s_load_dword s37, s[30:31], 0x24
	s_load_dwordx2 s[40:41], s[30:31], 0xdc
	s_waitcnt lgkmcnt(0)
	v_mul_hi_u32 v3, s39, v1
	v_add_u32_e32 v3, v1, v3
	v_lshrrev_b32_e32 v3, s37, v3
	v_mul_lo_u32 v3, v3, s38
	s_load_dword s37, s[30:31], 0xe4
	v_sub_u32_e32 v3, v1, v3
	v_mad_u64_u32 v[0:1], s[30:31], v3, s40, v[0:1]
	v_mad_u64_u32 v[4:5], s[30:31], v3, s41, v[4:5]
	s_waitcnt lgkmcnt(0)
	v_mad_u64_u32 v[2:3], s[30:31], v3, s37, v[2:3]
	s_branch .LBB93_25
.LBB93_23:
                                        ; implicit-def: $vgpr0
                                        ; implicit-def: $vgpr4
                                        ; implicit-def: $vgpr2
	s_branch .LBB93_26
.LBB93_24:
	v_mov_b32_e32 v0, 0
	v_mov_b32_e32 v4, 0
	v_mov_b32_e32 v2, 0
.LBB93_25:
	s_cbranch_execnz .LBB93_28
.LBB93_26:
	s_waitcnt lgkmcnt(0)
	v_mul_hi_u32 v0, s9, v11
	s_andn2_b64 vcc, exec, s[24:25]
	v_add_u32_e32 v0, v11, v0
	v_lshrrev_b32_e32 v1, s10, v0
	v_mul_lo_u32 v0, v1, s8
	v_sub_u32_e32 v2, v11, v0
	v_mul_lo_u32 v0, v2, s4
	v_mul_lo_u32 v4, v2, s5
	;; [unrolled: 1-line block ×3, first 2 shown]
	s_cbranch_vccnz .LBB93_28
; %bb.27:
	v_mul_hi_u32 v3, s22, v1
	v_add_u32_e32 v3, v1, v3
	v_lshrrev_b32_e32 v3, s23, v3
	v_mul_lo_u32 v3, v3, s11
	v_sub_u32_e32 v3, v1, v3
	v_mad_u64_u32 v[0:1], s[30:31], v3, s7, v[0:1]
	v_mad_u64_u32 v[4:5], s[30:31], v3, s20, v[4:5]
	v_mad_u64_u32 v[2:3], s[30:31], v3, s21, v[2:3]
.LBB93_28:
	s_waitcnt lgkmcnt(0)
	global_load_dwordx2 v[5:6], v4, s[2:3]
	global_load_dwordx2 v[7:8], v2, s[18:19]
	v_add_u32_e32 v11, 0x80, v11
	s_waitcnt vmcnt(0)
	v_lshlrev_b64 v[1:2], v7, v[5:6]
	v_cmp_gt_u64_e32 vcc, 64, v[7:8]
	v_cndmask_b32_e32 v2, 0, v2, vcc
	v_cndmask_b32_e32 v1, 0, v1, vcc
	global_store_dwordx2 v0, v[1:2], s[0:1]
	s_or_b64 exec, exec, s[28:29]
	v_cmp_gt_i32_e32 vcc, s36, v11
	s_and_saveexec_b64 s[28:29], vcc
	s_cbranch_execz .LBB93_4
.LBB93_29:
	s_andn2_b64 vcc, exec, s[14:15]
	s_cbranch_vccnz .LBB93_35
; %bb.30:
	s_andn2_b64 vcc, exec, s[26:27]
	s_cbranch_vccnz .LBB93_36
; %bb.31:
	s_add_i32 s30, s35, 1
	s_and_b32 s37, s30, 30
	s_add_u32 s30, s12, 0xffffffe8
	s_addc_u32 s31, s13, -1
	v_mov_b32_e32 v2, 0
	v_mov_b32_e32 v4, 0
	;; [unrolled: 1-line block ×4, first 2 shown]
.LBB93_32:                              ; =>This Inner Loop Header: Depth=1
	s_load_dwordx4 s[40:43], s[30:31], 0x1c
	s_load_dwordx2 s[38:39], s[30:31], 0x2c
	s_load_dwordx2 s[48:49], s[30:31], 0xec
	s_load_dwordx4 s[44:47], s[30:31], 0xdc
	s_add_u32 s30, s30, 24
	s_waitcnt lgkmcnt(0)
	v_mul_hi_u32 v3, s41, v1
	s_addc_u32 s31, s31, 0
	s_add_i32 s37, s37, -2
	s_cmp_eq_u32 s37, 0
	v_add_u32_e32 v3, v1, v3
	v_lshrrev_b32_e32 v3, s42, v3
	v_mul_lo_u32 v5, v3, s40
	v_mul_hi_u32 v6, s38, v3
	v_sub_u32_e32 v5, v1, v5
	v_add_u32_e32 v1, v3, v6
	v_lshrrev_b32_e32 v1, s39, v1
	v_mul_lo_u32 v8, v1, s43
	v_mul_lo_u32 v6, v5, s44
	;; [unrolled: 1-line block ×4, first 2 shown]
	v_sub_u32_e32 v3, v3, v8
	v_mul_lo_u32 v8, v3, s47
	v_mul_lo_u32 v9, v3, s48
	;; [unrolled: 1-line block ×3, first 2 shown]
	v_add3_u32 v0, v6, v0, v8
	v_add3_u32 v4, v7, v4, v9
	;; [unrolled: 1-line block ×3, first 2 shown]
	s_cbranch_scc0 .LBB93_32
; %bb.33:
	s_bitcmp1_b32 s35, 0
	s_cselect_b64 s[38:39], -1, 0
	s_and_b64 vcc, exec, s[38:39]
	s_cbranch_vccnz .LBB93_37
; %bb.34:
	s_load_dwordx2 s[38:39], s[30:31], 0x1c
	s_load_dword s37, s[30:31], 0x24
	s_load_dwordx2 s[40:41], s[30:31], 0xdc
	s_waitcnt lgkmcnt(0)
	v_mul_hi_u32 v3, s39, v1
	v_add_u32_e32 v3, v1, v3
	v_lshrrev_b32_e32 v3, s37, v3
	v_mul_lo_u32 v3, v3, s38
	s_load_dword s37, s[30:31], 0xe4
	v_sub_u32_e32 v3, v1, v3
	v_mad_u64_u32 v[0:1], s[30:31], v3, s40, v[0:1]
	v_mad_u64_u32 v[4:5], s[30:31], v3, s41, v[4:5]
	s_waitcnt lgkmcnt(0)
	v_mad_u64_u32 v[2:3], s[30:31], v3, s37, v[2:3]
	s_branch .LBB93_37
.LBB93_35:
                                        ; implicit-def: $vgpr0
                                        ; implicit-def: $vgpr4
                                        ; implicit-def: $vgpr2
	s_branch .LBB93_38
.LBB93_36:
	v_mov_b32_e32 v0, 0
	v_mov_b32_e32 v4, 0
	;; [unrolled: 1-line block ×3, first 2 shown]
.LBB93_37:
	s_cbranch_execnz .LBB93_40
.LBB93_38:
	s_waitcnt lgkmcnt(0)
	v_mul_hi_u32 v0, s9, v11
	s_andn2_b64 vcc, exec, s[24:25]
	v_add_u32_e32 v0, v11, v0
	v_lshrrev_b32_e32 v1, s10, v0
	v_mul_lo_u32 v0, v1, s8
	v_sub_u32_e32 v2, v11, v0
	v_mul_lo_u32 v0, v2, s4
	v_mul_lo_u32 v4, v2, s5
	;; [unrolled: 1-line block ×3, first 2 shown]
	s_cbranch_vccnz .LBB93_40
; %bb.39:
	v_mul_hi_u32 v3, s22, v1
	v_add_u32_e32 v3, v1, v3
	v_lshrrev_b32_e32 v3, s23, v3
	v_mul_lo_u32 v3, v3, s11
	v_sub_u32_e32 v3, v1, v3
	v_mad_u64_u32 v[0:1], s[30:31], v3, s7, v[0:1]
	v_mad_u64_u32 v[4:5], s[30:31], v3, s20, v[4:5]
	;; [unrolled: 1-line block ×3, first 2 shown]
.LBB93_40:
	s_waitcnt lgkmcnt(0)
	global_load_dwordx2 v[5:6], v4, s[2:3]
	global_load_dwordx2 v[7:8], v2, s[18:19]
	v_add_u32_e32 v11, 0x80, v11
	s_waitcnt vmcnt(0)
	v_lshlrev_b64 v[1:2], v7, v[5:6]
	v_cmp_gt_u64_e32 vcc, 64, v[7:8]
	v_cndmask_b32_e32 v2, 0, v2, vcc
	v_cndmask_b32_e32 v1, 0, v1, vcc
	global_store_dwordx2 v0, v[1:2], s[0:1]
	s_or_b64 exec, exec, s[28:29]
	v_cmp_gt_i32_e32 vcc, s36, v11
	s_and_saveexec_b64 s[28:29], vcc
	s_cbranch_execz .LBB93_53
.LBB93_41:
	s_andn2_b64 vcc, exec, s[14:15]
	s_cbranch_vccnz .LBB93_47
; %bb.42:
	s_andn2_b64 vcc, exec, s[26:27]
	s_cbranch_vccnz .LBB93_48
; %bb.43:
	s_add_i32 s26, s35, 1
	s_and_b32 s30, s26, 30
	s_add_u32 s26, s12, 0xffffffe8
	s_addc_u32 s27, s13, -1
	v_mov_b32_e32 v4, 0
	v_mov_b32_e32 v2, 0
	;; [unrolled: 1-line block ×4, first 2 shown]
.LBB93_44:                              ; =>This Inner Loop Header: Depth=1
	s_load_dwordx4 s[36:39], s[26:27], 0x1c
	s_load_dwordx2 s[44:45], s[26:27], 0x2c
	s_load_dwordx2 s[46:47], s[26:27], 0xec
	s_load_dwordx4 s[40:43], s[26:27], 0xdc
	s_add_u32 s26, s26, 24
	s_waitcnt lgkmcnt(0)
	v_mul_hi_u32 v3, s37, v1
	s_addc_u32 s27, s27, 0
	s_add_i32 s30, s30, -2
	s_cmp_eq_u32 s30, 0
	v_add_u32_e32 v3, v1, v3
	v_lshrrev_b32_e32 v3, s38, v3
	v_mul_lo_u32 v5, v3, s36
	v_mul_hi_u32 v6, s44, v3
	v_sub_u32_e32 v5, v1, v5
	v_add_u32_e32 v1, v3, v6
	v_lshrrev_b32_e32 v1, s45, v1
	v_mul_lo_u32 v8, v1, s39
	v_mul_lo_u32 v6, v5, s40
	;; [unrolled: 1-line block ×4, first 2 shown]
	v_sub_u32_e32 v3, v3, v8
	v_mul_lo_u32 v8, v3, s43
	v_mul_lo_u32 v9, v3, s46
	;; [unrolled: 1-line block ×3, first 2 shown]
	v_add3_u32 v0, v6, v0, v8
	v_add3_u32 v2, v7, v2, v9
	;; [unrolled: 1-line block ×3, first 2 shown]
	s_cbranch_scc0 .LBB93_44
; %bb.45:
	s_bitcmp1_b32 s35, 0
	s_cselect_b64 s[30:31], -1, 0
	s_and_b64 vcc, exec, s[30:31]
	s_cbranch_vccnz .LBB93_49
; %bb.46:
	s_load_dwordx2 s[30:31], s[26:27], 0x1c
	s_load_dword s35, s[26:27], 0x24
	s_load_dwordx2 s[36:37], s[26:27], 0xdc
	s_waitcnt lgkmcnt(0)
	v_mul_hi_u32 v3, s31, v1
	v_add_u32_e32 v3, v1, v3
	v_lshrrev_b32_e32 v3, s35, v3
	v_mul_lo_u32 v3, v3, s30
	s_load_dword s30, s[26:27], 0xe4
	v_sub_u32_e32 v5, v1, v3
	v_mad_u64_u32 v[0:1], s[26:27], v5, s36, v[0:1]
	v_mad_u64_u32 v[2:3], s[26:27], v5, s37, v[2:3]
	s_waitcnt lgkmcnt(0)
	v_mad_u64_u32 v[4:5], s[26:27], v5, s30, v[4:5]
	s_branch .LBB93_49
.LBB93_47:
                                        ; implicit-def: $vgpr0
                                        ; implicit-def: $vgpr2
                                        ; implicit-def: $vgpr4
	s_branch .LBB93_50
.LBB93_48:
	v_mov_b32_e32 v0, 0
	v_mov_b32_e32 v2, 0
	;; [unrolled: 1-line block ×3, first 2 shown]
.LBB93_49:
	s_cbranch_execnz .LBB93_52
.LBB93_50:
	s_waitcnt lgkmcnt(0)
	v_mul_hi_u32 v0, s9, v11
	s_andn2_b64 vcc, exec, s[24:25]
	v_add_u32_e32 v0, v11, v0
	v_lshrrev_b32_e32 v1, s10, v0
	v_mul_lo_u32 v0, v1, s8
	v_sub_u32_e32 v3, v11, v0
	v_mul_lo_u32 v0, v3, s4
	v_mul_lo_u32 v2, v3, s5
	;; [unrolled: 1-line block ×3, first 2 shown]
	s_cbranch_vccnz .LBB93_52
; %bb.51:
	v_mul_hi_u32 v3, s22, v1
	v_add_u32_e32 v3, v1, v3
	v_lshrrev_b32_e32 v3, s23, v3
	v_mul_lo_u32 v3, v3, s11
	v_sub_u32_e32 v5, v1, v3
	v_mad_u64_u32 v[0:1], s[4:5], v5, s7, v[0:1]
	v_mad_u64_u32 v[2:3], s[4:5], v5, s20, v[2:3]
	;; [unrolled: 1-line block ×3, first 2 shown]
.LBB93_52:
	s_waitcnt lgkmcnt(0)
	global_load_dwordx2 v[5:6], v2, s[2:3]
	global_load_dwordx2 v[7:8], v4, s[18:19]
	s_waitcnt vmcnt(0)
	v_lshlrev_b64 v[1:2], v7, v[5:6]
	v_cmp_gt_u64_e32 vcc, 64, v[7:8]
	v_cndmask_b32_e32 v2, 0, v2, vcc
	v_cndmask_b32_e32 v1, 0, v1, vcc
	global_store_dwordx2 v0, v[1:2], s[0:1]
.LBB93_53:
	s_or_b64 exec, exec, s[28:29]
                                        ; implicit-def: $vgpr21
                                        ; implicit-def: $vgpr11
.LBB93_54:
	s_waitcnt lgkmcnt(0)
	s_andn2_saveexec_b64 s[0:1], s[16:17]
	s_cbranch_execz .LBB93_61
; %bb.55:
	v_cndmask_b32_e64 v0, 0, 1, s[14:15]
	v_cmp_ne_u32_e64 s[0:1], 1, v0
	s_andn2_b64 vcc, exec, s[14:15]
	s_cbranch_vccnz .LBB93_62
; %bb.56:
	s_cmp_lg_u32 s33, 0
	s_cbranch_scc0 .LBB93_63
; %bb.57:
	s_min_u32 s4, s34, 15
	s_add_i32 s2, s4, 1
	s_and_b32 s5, s2, 30
	s_add_u32 s2, s12, 0xffffffe8
	s_addc_u32 s3, s13, -1
	v_mov_b32_e32 v2, 0
	v_mov_b32_e32 v4, 0
	v_mov_b32_e32 v0, 0
	v_mov_b32_e32 v1, v11
.LBB93_58:                              ; =>This Inner Loop Header: Depth=1
	s_load_dwordx4 s[8:11], s[2:3], 0x1c
	s_load_dwordx2 s[6:7], s[2:3], 0x2c
	s_load_dwordx2 s[14:15], s[2:3], 0xec
	s_load_dwordx4 s[16:19], s[2:3], 0xdc
	s_add_u32 s2, s2, 24
	s_waitcnt lgkmcnt(0)
	v_mul_hi_u32 v3, s9, v1
	s_addc_u32 s3, s3, 0
	s_add_i32 s5, s5, -2
	s_cmp_lg_u32 s5, 0
	v_add_u32_e32 v3, v1, v3
	v_lshrrev_b32_e32 v3, s10, v3
	v_mul_lo_u32 v5, v3, s8
	v_mul_hi_u32 v6, s6, v3
	v_sub_u32_e32 v5, v1, v5
	v_add_u32_e32 v1, v3, v6
	v_lshrrev_b32_e32 v1, s7, v1
	v_mul_lo_u32 v8, v1, s11
	v_mul_lo_u32 v6, v5, s16
	;; [unrolled: 1-line block ×4, first 2 shown]
	v_sub_u32_e32 v3, v3, v8
	v_mul_lo_u32 v8, v3, s19
	v_mul_lo_u32 v9, v3, s14
	;; [unrolled: 1-line block ×3, first 2 shown]
	v_add3_u32 v0, v6, v0, v8
	v_add3_u32 v4, v7, v4, v9
	;; [unrolled: 1-line block ×3, first 2 shown]
	s_cbranch_scc1 .LBB93_58
; %bb.59:
	s_bitcmp1_b32 s4, 0
	s_cselect_b64 s[4:5], -1, 0
	s_and_b64 vcc, exec, s[4:5]
	s_cbranch_vccnz .LBB93_64
; %bb.60:
	s_load_dwordx2 s[4:5], s[2:3], 0x1c
	s_load_dword s8, s[2:3], 0x24
	s_load_dwordx2 s[6:7], s[2:3], 0xdc
	s_waitcnt lgkmcnt(0)
	v_mul_hi_u32 v3, s5, v1
	v_add_u32_e32 v3, v1, v3
	v_lshrrev_b32_e32 v3, s8, v3
	v_mul_lo_u32 v3, v3, s4
	s_load_dword s4, s[2:3], 0xe4
	v_sub_u32_e32 v3, v1, v3
	v_mad_u64_u32 v[0:1], s[2:3], v3, s6, v[0:1]
	v_mad_u64_u32 v[4:5], s[2:3], v3, s7, v[4:5]
	s_waitcnt lgkmcnt(0)
	v_mad_u64_u32 v[2:3], s[2:3], v3, s4, v[2:3]
	s_cbranch_execz .LBB93_65
	s_branch .LBB93_67
.LBB93_61:
	s_endpgm
.LBB93_62:
                                        ; implicit-def: $vgpr0
                                        ; implicit-def: $vgpr4
                                        ; implicit-def: $vgpr2
	s_branch .LBB93_65
.LBB93_63:
	v_mov_b32_e32 v0, 0
	v_mov_b32_e32 v4, 0
	;; [unrolled: 1-line block ×3, first 2 shown]
.LBB93_64:
	s_cbranch_execnz .LBB93_67
.LBB93_65:
	s_load_dwordx4 s[4:7], s[12:13], 0x4
	s_load_dwordx4 s[8:11], s[12:13], 0xc4
	s_cmp_lt_u32 s33, 2
	s_waitcnt lgkmcnt(0)
	v_mul_hi_u32 v0, s5, v11
	v_add_u32_e32 v0, v11, v0
	v_lshrrev_b32_e32 v1, s6, v0
	v_mul_lo_u32 v0, v1, s4
	v_sub_u32_e32 v2, v11, v0
	v_mul_lo_u32 v0, v2, s8
	v_mul_lo_u32 v4, v2, s9
	;; [unrolled: 1-line block ×3, first 2 shown]
	s_cbranch_scc1 .LBB93_67
; %bb.66:
	s_load_dwordx4 s[4:7], s[12:13], 0x10
	s_load_dwordx4 s[8:11], s[12:13], 0xd0
	s_waitcnt lgkmcnt(0)
	v_mul_hi_u32 v3, s5, v1
	v_add_u32_e32 v3, v1, v3
	v_lshrrev_b32_e32 v3, s6, v3
	v_mul_lo_u32 v3, v3, s4
	v_sub_u32_e32 v3, v1, v3
	v_mad_u64_u32 v[0:1], s[2:3], v3, s8, v[0:1]
	v_mad_u64_u32 v[4:5], s[2:3], v3, s9, v[4:5]
	;; [unrolled: 1-line block ×3, first 2 shown]
.LBB93_67:
	s_and_b64 vcc, exec, s[0:1]
	v_add_u32_e32 v1, 0x80, v11
	s_cbranch_vccnz .LBB93_73
; %bb.68:
	s_cmp_lg_u32 s33, 0
	s_cbranch_scc0 .LBB93_74
; %bb.69:
	s_min_u32 s4, s34, 15
	s_add_i32 s2, s4, 1
	s_and_b32 s5, s2, 30
	s_add_u32 s2, s12, 0xffffffe8
	s_addc_u32 s3, s13, -1
	v_mov_b32_e32 v7, 0
	v_mov_b32_e32 v9, 0
	;; [unrolled: 1-line block ×4, first 2 shown]
.LBB93_70:                              ; =>This Inner Loop Header: Depth=1
	s_load_dwordx4 s[8:11], s[2:3], 0x1c
	s_load_dwordx2 s[6:7], s[2:3], 0x2c
	s_load_dwordx2 s[14:15], s[2:3], 0xec
	s_load_dwordx4 s[16:19], s[2:3], 0xdc
	s_add_u32 s2, s2, 24
	s_waitcnt lgkmcnt(0)
	v_mul_hi_u32 v6, s9, v3
	s_addc_u32 s3, s3, 0
	s_add_i32 s5, s5, -2
	s_cmp_lg_u32 s5, 0
	v_add_u32_e32 v6, v3, v6
	v_lshrrev_b32_e32 v6, s10, v6
	v_mul_lo_u32 v8, v6, s8
	v_mul_hi_u32 v10, s6, v6
	v_sub_u32_e32 v8, v3, v8
	v_add_u32_e32 v3, v6, v10
	v_lshrrev_b32_e32 v3, s7, v3
	v_mul_lo_u32 v13, v3, s11
	v_mul_lo_u32 v10, v8, s16
	;; [unrolled: 1-line block ×4, first 2 shown]
	v_sub_u32_e32 v6, v6, v13
	v_mul_lo_u32 v13, v6, s19
	v_mul_lo_u32 v14, v6, s14
	;; [unrolled: 1-line block ×3, first 2 shown]
	v_add3_u32 v5, v10, v5, v13
	v_add3_u32 v9, v12, v9, v14
	;; [unrolled: 1-line block ×3, first 2 shown]
	s_cbranch_scc1 .LBB93_70
; %bb.71:
	s_bitcmp1_b32 s4, 0
	s_cselect_b64 s[4:5], -1, 0
	s_and_b64 vcc, exec, s[4:5]
	s_cbranch_vccnz .LBB93_75
; %bb.72:
	s_load_dwordx2 s[4:5], s[2:3], 0x1c
	s_load_dword s8, s[2:3], 0x24
	s_load_dwordx2 s[6:7], s[2:3], 0xdc
	s_waitcnt lgkmcnt(0)
	v_mul_hi_u32 v6, s5, v3
	v_add_u32_e32 v6, v3, v6
	v_lshrrev_b32_e32 v6, s8, v6
	v_mul_lo_u32 v6, v6, s4
	s_load_dword s4, s[2:3], 0xe4
	v_sub_u32_e32 v3, v3, v6
	v_mad_u64_u32 v[5:6], s[2:3], v3, s6, v[5:6]
	v_mad_u64_u32 v[9:10], s[2:3], v3, s7, v[9:10]
	s_waitcnt lgkmcnt(0)
	v_mad_u64_u32 v[7:8], s[2:3], v3, s4, v[7:8]
	s_cbranch_execz .LBB93_76
	s_branch .LBB93_78
.LBB93_73:
                                        ; implicit-def: $vgpr5
                                        ; implicit-def: $vgpr9
                                        ; implicit-def: $vgpr7
	s_branch .LBB93_76
.LBB93_74:
	v_mov_b32_e32 v5, 0
	v_mov_b32_e32 v9, 0
	;; [unrolled: 1-line block ×3, first 2 shown]
.LBB93_75:
	s_cbranch_execnz .LBB93_78
.LBB93_76:
	s_load_dwordx4 s[4:7], s[12:13], 0x4
	s_load_dwordx4 s[8:11], s[12:13], 0xc4
	s_cmp_lt_u32 s33, 2
	s_waitcnt lgkmcnt(0)
	v_mul_hi_u32 v3, s5, v1
	v_add_u32_e32 v3, v1, v3
	v_lshrrev_b32_e32 v3, s6, v3
	v_mul_lo_u32 v5, v3, s4
	v_sub_u32_e32 v1, v1, v5
	v_mul_lo_u32 v5, v1, s8
	v_mul_lo_u32 v9, v1, s9
	;; [unrolled: 1-line block ×3, first 2 shown]
	s_cbranch_scc1 .LBB93_78
; %bb.77:
	s_load_dwordx4 s[4:7], s[12:13], 0x10
	s_load_dwordx4 s[8:11], s[12:13], 0xd0
	s_waitcnt lgkmcnt(0)
	v_mul_hi_u32 v1, s5, v3
	v_add_u32_e32 v1, v3, v1
	v_lshrrev_b32_e32 v1, s6, v1
	v_mul_lo_u32 v1, v1, s4
	v_sub_u32_e32 v1, v3, v1
	v_mad_u64_u32 v[5:6], s[2:3], v1, s8, v[5:6]
	v_mad_u64_u32 v[9:10], s[2:3], v1, s9, v[9:10]
	;; [unrolled: 1-line block ×3, first 2 shown]
.LBB93_78:
	s_and_b64 vcc, exec, s[0:1]
	v_add_u32_e32 v1, 0x100, v11
	s_cbranch_vccnz .LBB93_84
; %bb.79:
	s_cmp_lg_u32 s33, 0
	s_cbranch_scc0 .LBB93_85
; %bb.80:
	s_min_u32 s4, s34, 15
	s_add_i32 s2, s4, 1
	s_and_b32 s5, s2, 30
	s_add_u32 s2, s12, 0xffffffe8
	s_addc_u32 s3, s13, -1
	v_mov_b32_e32 v12, 0
	v_mov_b32_e32 v14, 0
	;; [unrolled: 1-line block ×4, first 2 shown]
.LBB93_81:                              ; =>This Inner Loop Header: Depth=1
	s_load_dwordx4 s[8:11], s[2:3], 0x1c
	s_load_dwordx2 s[6:7], s[2:3], 0x2c
	s_load_dwordx2 s[14:15], s[2:3], 0xec
	s_load_dwordx4 s[16:19], s[2:3], 0xdc
	s_add_u32 s2, s2, 24
	s_waitcnt lgkmcnt(0)
	v_mul_hi_u32 v6, s9, v3
	s_addc_u32 s3, s3, 0
	s_add_i32 s5, s5, -2
	s_cmp_lg_u32 s5, 0
	v_add_u32_e32 v6, v3, v6
	v_lshrrev_b32_e32 v6, s10, v6
	v_mul_lo_u32 v8, v6, s8
	v_mul_hi_u32 v11, s6, v6
	v_sub_u32_e32 v8, v3, v8
	v_add_u32_e32 v3, v6, v11
	v_lshrrev_b32_e32 v3, s7, v3
	v_mul_lo_u32 v15, v3, s11
	v_mul_lo_u32 v11, v8, s16
	;; [unrolled: 1-line block ×4, first 2 shown]
	v_sub_u32_e32 v6, v6, v15
	v_mul_lo_u32 v15, v6, s19
	v_mul_lo_u32 v16, v6, s14
	;; [unrolled: 1-line block ×3, first 2 shown]
	v_add3_u32 v10, v11, v10, v15
	v_add3_u32 v14, v13, v14, v16
	;; [unrolled: 1-line block ×3, first 2 shown]
	s_cbranch_scc1 .LBB93_81
; %bb.82:
	s_bitcmp1_b32 s4, 0
	s_cselect_b64 s[4:5], -1, 0
	s_and_b64 vcc, exec, s[4:5]
	s_cbranch_vccnz .LBB93_86
; %bb.83:
	s_load_dwordx2 s[4:5], s[2:3], 0x1c
	s_load_dword s8, s[2:3], 0x24
	s_load_dwordx2 s[6:7], s[2:3], 0xdc
	s_waitcnt lgkmcnt(0)
	v_mul_hi_u32 v6, s5, v3
	v_add_u32_e32 v6, v3, v6
	v_lshrrev_b32_e32 v6, s8, v6
	v_mul_lo_u32 v6, v6, s4
	s_load_dword s4, s[2:3], 0xe4
	v_sub_u32_e32 v3, v3, v6
	v_mad_u64_u32 v[10:11], s[2:3], v3, s6, v[10:11]
	v_mad_u64_u32 v[14:15], s[2:3], v3, s7, v[14:15]
	s_waitcnt lgkmcnt(0)
	v_mad_u64_u32 v[12:13], s[2:3], v3, s4, v[12:13]
	s_cbranch_execz .LBB93_87
	s_branch .LBB93_89
.LBB93_84:
                                        ; implicit-def: $vgpr10
                                        ; implicit-def: $vgpr14
                                        ; implicit-def: $vgpr12
	s_branch .LBB93_87
.LBB93_85:
	v_mov_b32_e32 v10, 0
	v_mov_b32_e32 v14, 0
	;; [unrolled: 1-line block ×3, first 2 shown]
.LBB93_86:
	s_cbranch_execnz .LBB93_89
.LBB93_87:
	s_load_dwordx4 s[4:7], s[12:13], 0x4
	s_load_dwordx4 s[8:11], s[12:13], 0xc4
	s_cmp_lt_u32 s33, 2
	s_waitcnt lgkmcnt(0)
	v_mul_hi_u32 v3, s5, v1
	v_add_u32_e32 v3, v1, v3
	v_lshrrev_b32_e32 v3, s6, v3
	v_mul_lo_u32 v6, v3, s4
	v_sub_u32_e32 v1, v1, v6
	v_mul_lo_u32 v10, v1, s8
	v_mul_lo_u32 v14, v1, s9
	v_mul_lo_u32 v12, v1, s10
	s_cbranch_scc1 .LBB93_89
; %bb.88:
	s_load_dwordx4 s[4:7], s[12:13], 0x10
	s_load_dwordx4 s[8:11], s[12:13], 0xd0
	s_waitcnt lgkmcnt(0)
	v_mul_hi_u32 v1, s5, v3
	v_add_u32_e32 v1, v3, v1
	v_lshrrev_b32_e32 v1, s6, v1
	v_mul_lo_u32 v1, v1, s4
	v_sub_u32_e32 v1, v3, v1
	v_mad_u64_u32 v[10:11], s[2:3], v1, s8, v[10:11]
	v_mad_u64_u32 v[14:15], s[2:3], v1, s9, v[14:15]
	;; [unrolled: 1-line block ×3, first 2 shown]
.LBB93_89:
	s_and_b64 vcc, exec, s[0:1]
	s_cbranch_vccnz .LBB93_95
; %bb.90:
	s_cmp_lg_u32 s33, 0
	s_cbranch_scc0 .LBB93_96
; %bb.91:
	s_min_u32 s2, s34, 15
	s_add_i32 s0, s2, 1
	s_and_b32 s3, s0, 30
	s_add_u32 s0, s12, 0xffffffe8
	s_addc_u32 s1, s13, -1
	v_mov_b32_e32 v17, 0
	v_mov_b32_e32 v19, 0
	;; [unrolled: 1-line block ×4, first 2 shown]
.LBB93_92:                              ; =>This Inner Loop Header: Depth=1
	s_load_dwordx4 s[4:7], s[0:1], 0x1c
	s_load_dwordx2 s[14:15], s[0:1], 0x2c
	s_load_dwordx2 s[16:17], s[0:1], 0xec
	s_load_dwordx4 s[8:11], s[0:1], 0xdc
	s_add_u32 s0, s0, 24
	s_waitcnt lgkmcnt(0)
	v_mul_hi_u32 v3, s5, v1
	s_addc_u32 s1, s1, 0
	s_add_i32 s3, s3, -2
	s_cmp_lg_u32 s3, 0
	v_add_u32_e32 v3, v1, v3
	v_lshrrev_b32_e32 v3, s6, v3
	v_mul_lo_u32 v6, v3, s4
	v_mul_hi_u32 v8, s14, v3
	v_sub_u32_e32 v6, v1, v6
	v_add_u32_e32 v1, v3, v8
	v_lshrrev_b32_e32 v1, s15, v1
	v_mul_lo_u32 v13, v1, s7
	v_mul_lo_u32 v8, v6, s8
	;; [unrolled: 1-line block ×4, first 2 shown]
	v_sub_u32_e32 v3, v3, v13
	v_mul_lo_u32 v13, v3, s11
	v_mul_lo_u32 v16, v3, s16
	;; [unrolled: 1-line block ×3, first 2 shown]
	v_add3_u32 v15, v8, v15, v13
	v_add3_u32 v19, v11, v19, v16
	;; [unrolled: 1-line block ×3, first 2 shown]
	s_cbranch_scc1 .LBB93_92
; %bb.93:
	s_bitcmp1_b32 s2, 0
	s_cselect_b64 s[2:3], -1, 0
	s_and_b64 vcc, exec, s[2:3]
	s_cbranch_vccnz .LBB93_97
; %bb.94:
	s_load_dwordx2 s[2:3], s[0:1], 0x1c
	s_load_dword s6, s[0:1], 0x24
	s_load_dwordx2 s[4:5], s[0:1], 0xdc
	s_waitcnt lgkmcnt(0)
	v_mul_hi_u32 v3, s3, v1
	v_add_u32_e32 v3, v1, v3
	v_lshrrev_b32_e32 v3, s6, v3
	v_mul_lo_u32 v3, v3, s2
	s_load_dword s2, s[0:1], 0xe4
	v_sub_u32_e32 v1, v1, v3
	v_mad_u64_u32 v[15:16], s[0:1], v1, s4, v[15:16]
	v_mad_u64_u32 v[19:20], s[0:1], v1, s5, v[19:20]
	s_waitcnt lgkmcnt(0)
	v_mad_u64_u32 v[17:18], s[0:1], v1, s2, v[17:18]
	s_cbranch_execz .LBB93_98
	s_branch .LBB93_100
.LBB93_95:
                                        ; implicit-def: $vgpr15
                                        ; implicit-def: $vgpr19
                                        ; implicit-def: $vgpr17
	s_branch .LBB93_98
.LBB93_96:
	v_mov_b32_e32 v15, 0
	v_mov_b32_e32 v19, 0
	;; [unrolled: 1-line block ×3, first 2 shown]
.LBB93_97:
	s_cbranch_execnz .LBB93_100
.LBB93_98:
	s_load_dwordx4 s[0:3], s[12:13], 0x4
	s_load_dwordx4 s[4:7], s[12:13], 0xc4
	s_cmp_lt_u32 s33, 2
	s_waitcnt lgkmcnt(0)
	v_mul_hi_u32 v1, s1, v21
	v_add_u32_e32 v1, v21, v1
	v_lshrrev_b32_e32 v1, s2, v1
	v_mul_lo_u32 v3, v1, s0
	v_sub_u32_e32 v3, v21, v3
	v_mul_lo_u32 v15, v3, s4
	v_mul_lo_u32 v19, v3, s5
	;; [unrolled: 1-line block ×3, first 2 shown]
	s_cbranch_scc1 .LBB93_100
; %bb.99:
	s_load_dwordx4 s[0:3], s[12:13], 0x10
	s_load_dwordx4 s[4:7], s[12:13], 0xd0
	s_waitcnt lgkmcnt(0)
	v_mul_hi_u32 v3, s1, v1
	v_add_u32_e32 v3, v1, v3
	v_lshrrev_b32_e32 v3, s2, v3
	v_mul_lo_u32 v3, v3, s0
	v_sub_u32_e32 v1, v1, v3
	v_mad_u64_u32 v[15:16], s[0:1], v1, s4, v[15:16]
	v_mad_u64_u32 v[19:20], s[0:1], v1, s5, v[19:20]
	;; [unrolled: 1-line block ×3, first 2 shown]
.LBB93_100:
	s_load_dwordx4 s[0:3], s[12:13], 0x188
	s_load_dwordx2 s[4:5], s[12:13], 0x198
	s_waitcnt lgkmcnt(0)
	global_load_dwordx2 v[20:21], v4, s[2:3]
	global_load_dwordx2 v[22:23], v2, s[4:5]
	s_waitcnt vmcnt(0)
	v_lshlrev_b64 v[1:2], v22, v[20:21]
	global_load_dwordx2 v[3:4], v9, s[2:3]
	global_load_dwordx2 v[20:21], v7, s[4:5]
	v_cmp_gt_u64_e32 vcc, 64, v[22:23]
	v_cndmask_b32_e32 v2, 0, v2, vcc
	v_cndmask_b32_e32 v1, 0, v1, vcc
	s_waitcnt vmcnt(0)
	v_lshlrev_b64 v[3:4], v20, v[3:4]
	v_cmp_gt_u64_e32 vcc, 64, v[20:21]
	global_load_dwordx2 v[6:7], v14, s[2:3]
	global_load_dwordx2 v[8:9], v12, s[4:5]
	;; [unrolled: 1-line block ×4, first 2 shown]
	v_cndmask_b32_e32 v4, 0, v4, vcc
	v_cndmask_b32_e32 v3, 0, v3, vcc
	s_waitcnt vmcnt(2)
	v_lshlrev_b64 v[6:7], v8, v[6:7]
	v_cmp_gt_u64_e32 vcc, 64, v[8:9]
	s_waitcnt vmcnt(0)
	v_lshlrev_b64 v[11:12], v22, v[20:21]
	v_cndmask_b32_e32 v7, 0, v7, vcc
	v_cndmask_b32_e32 v6, 0, v6, vcc
	v_cmp_gt_u64_e32 vcc, 64, v[22:23]
	v_cndmask_b32_e32 v9, 0, v12, vcc
	v_cndmask_b32_e32 v8, 0, v11, vcc
	global_store_dwordx2 v0, v[1:2], s[0:1]
	global_store_dwordx2 v5, v[3:4], s[0:1]
	;; [unrolled: 1-line block ×4, first 2 shown]
	s_endpgm
	.section	.rodata,"a",@progbits
	.p2align	6, 0x0
	.amdhsa_kernel _ZN2at6native32elementwise_kernel_manual_unrollILi128ELi4EZNS0_22gpu_kernel_impl_nocastINS0_13BinaryFunctorIlllZZZNS0_18lshift_kernel_cudaERNS_18TensorIteratorBaseEENKUlvE_clEvENKUlvE2_clEvEUlllE_EEEEvS5_RKT_EUlibE_EEviT1_
		.amdhsa_group_segment_fixed_size 0
		.amdhsa_private_segment_fixed_size 0
		.amdhsa_kernarg_size 432
		.amdhsa_user_sgpr_count 6
		.amdhsa_user_sgpr_private_segment_buffer 1
		.amdhsa_user_sgpr_dispatch_ptr 0
		.amdhsa_user_sgpr_queue_ptr 0
		.amdhsa_user_sgpr_kernarg_segment_ptr 1
		.amdhsa_user_sgpr_dispatch_id 0
		.amdhsa_user_sgpr_flat_scratch_init 0
		.amdhsa_user_sgpr_private_segment_size 0
		.amdhsa_uses_dynamic_stack 0
		.amdhsa_system_sgpr_private_segment_wavefront_offset 0
		.amdhsa_system_sgpr_workgroup_id_x 1
		.amdhsa_system_sgpr_workgroup_id_y 0
		.amdhsa_system_sgpr_workgroup_id_z 0
		.amdhsa_system_sgpr_workgroup_info 0
		.amdhsa_system_vgpr_workitem_id 0
		.amdhsa_next_free_vgpr 24
		.amdhsa_next_free_sgpr 50
		.amdhsa_reserve_vcc 1
		.amdhsa_reserve_flat_scratch 0
		.amdhsa_float_round_mode_32 0
		.amdhsa_float_round_mode_16_64 0
		.amdhsa_float_denorm_mode_32 3
		.amdhsa_float_denorm_mode_16_64 3
		.amdhsa_dx10_clamp 1
		.amdhsa_ieee_mode 1
		.amdhsa_fp16_overflow 0
		.amdhsa_exception_fp_ieee_invalid_op 0
		.amdhsa_exception_fp_denorm_src 0
		.amdhsa_exception_fp_ieee_div_zero 0
		.amdhsa_exception_fp_ieee_overflow 0
		.amdhsa_exception_fp_ieee_underflow 0
		.amdhsa_exception_fp_ieee_inexact 0
		.amdhsa_exception_int_div_zero 0
	.end_amdhsa_kernel
	.section	.text._ZN2at6native32elementwise_kernel_manual_unrollILi128ELi4EZNS0_22gpu_kernel_impl_nocastINS0_13BinaryFunctorIlllZZZNS0_18lshift_kernel_cudaERNS_18TensorIteratorBaseEENKUlvE_clEvENKUlvE2_clEvEUlllE_EEEEvS5_RKT_EUlibE_EEviT1_,"axG",@progbits,_ZN2at6native32elementwise_kernel_manual_unrollILi128ELi4EZNS0_22gpu_kernel_impl_nocastINS0_13BinaryFunctorIlllZZZNS0_18lshift_kernel_cudaERNS_18TensorIteratorBaseEENKUlvE_clEvENKUlvE2_clEvEUlllE_EEEEvS5_RKT_EUlibE_EEviT1_,comdat
.Lfunc_end93:
	.size	_ZN2at6native32elementwise_kernel_manual_unrollILi128ELi4EZNS0_22gpu_kernel_impl_nocastINS0_13BinaryFunctorIlllZZZNS0_18lshift_kernel_cudaERNS_18TensorIteratorBaseEENKUlvE_clEvENKUlvE2_clEvEUlllE_EEEEvS5_RKT_EUlibE_EEviT1_, .Lfunc_end93-_ZN2at6native32elementwise_kernel_manual_unrollILi128ELi4EZNS0_22gpu_kernel_impl_nocastINS0_13BinaryFunctorIlllZZZNS0_18lshift_kernel_cudaERNS_18TensorIteratorBaseEENKUlvE_clEvENKUlvE2_clEvEUlllE_EEEEvS5_RKT_EUlibE_EEviT1_
                                        ; -- End function
	.set _ZN2at6native32elementwise_kernel_manual_unrollILi128ELi4EZNS0_22gpu_kernel_impl_nocastINS0_13BinaryFunctorIlllZZZNS0_18lshift_kernel_cudaERNS_18TensorIteratorBaseEENKUlvE_clEvENKUlvE2_clEvEUlllE_EEEEvS5_RKT_EUlibE_EEviT1_.num_vgpr, 24
	.set _ZN2at6native32elementwise_kernel_manual_unrollILi128ELi4EZNS0_22gpu_kernel_impl_nocastINS0_13BinaryFunctorIlllZZZNS0_18lshift_kernel_cudaERNS_18TensorIteratorBaseEENKUlvE_clEvENKUlvE2_clEvEUlllE_EEEEvS5_RKT_EUlibE_EEviT1_.num_agpr, 0
	.set _ZN2at6native32elementwise_kernel_manual_unrollILi128ELi4EZNS0_22gpu_kernel_impl_nocastINS0_13BinaryFunctorIlllZZZNS0_18lshift_kernel_cudaERNS_18TensorIteratorBaseEENKUlvE_clEvENKUlvE2_clEvEUlllE_EEEEvS5_RKT_EUlibE_EEviT1_.numbered_sgpr, 50
	.set _ZN2at6native32elementwise_kernel_manual_unrollILi128ELi4EZNS0_22gpu_kernel_impl_nocastINS0_13BinaryFunctorIlllZZZNS0_18lshift_kernel_cudaERNS_18TensorIteratorBaseEENKUlvE_clEvENKUlvE2_clEvEUlllE_EEEEvS5_RKT_EUlibE_EEviT1_.num_named_barrier, 0
	.set _ZN2at6native32elementwise_kernel_manual_unrollILi128ELi4EZNS0_22gpu_kernel_impl_nocastINS0_13BinaryFunctorIlllZZZNS0_18lshift_kernel_cudaERNS_18TensorIteratorBaseEENKUlvE_clEvENKUlvE2_clEvEUlllE_EEEEvS5_RKT_EUlibE_EEviT1_.private_seg_size, 0
	.set _ZN2at6native32elementwise_kernel_manual_unrollILi128ELi4EZNS0_22gpu_kernel_impl_nocastINS0_13BinaryFunctorIlllZZZNS0_18lshift_kernel_cudaERNS_18TensorIteratorBaseEENKUlvE_clEvENKUlvE2_clEvEUlllE_EEEEvS5_RKT_EUlibE_EEviT1_.uses_vcc, 1
	.set _ZN2at6native32elementwise_kernel_manual_unrollILi128ELi4EZNS0_22gpu_kernel_impl_nocastINS0_13BinaryFunctorIlllZZZNS0_18lshift_kernel_cudaERNS_18TensorIteratorBaseEENKUlvE_clEvENKUlvE2_clEvEUlllE_EEEEvS5_RKT_EUlibE_EEviT1_.uses_flat_scratch, 0
	.set _ZN2at6native32elementwise_kernel_manual_unrollILi128ELi4EZNS0_22gpu_kernel_impl_nocastINS0_13BinaryFunctorIlllZZZNS0_18lshift_kernel_cudaERNS_18TensorIteratorBaseEENKUlvE_clEvENKUlvE2_clEvEUlllE_EEEEvS5_RKT_EUlibE_EEviT1_.has_dyn_sized_stack, 0
	.set _ZN2at6native32elementwise_kernel_manual_unrollILi128ELi4EZNS0_22gpu_kernel_impl_nocastINS0_13BinaryFunctorIlllZZZNS0_18lshift_kernel_cudaERNS_18TensorIteratorBaseEENKUlvE_clEvENKUlvE2_clEvEUlllE_EEEEvS5_RKT_EUlibE_EEviT1_.has_recursion, 0
	.set _ZN2at6native32elementwise_kernel_manual_unrollILi128ELi4EZNS0_22gpu_kernel_impl_nocastINS0_13BinaryFunctorIlllZZZNS0_18lshift_kernel_cudaERNS_18TensorIteratorBaseEENKUlvE_clEvENKUlvE2_clEvEUlllE_EEEEvS5_RKT_EUlibE_EEviT1_.has_indirect_call, 0
	.section	.AMDGPU.csdata,"",@progbits
; Kernel info:
; codeLenInByte = 4804
; TotalNumSgprs: 54
; NumVgprs: 24
; ScratchSize: 0
; MemoryBound: 0
; FloatMode: 240
; IeeeMode: 1
; LDSByteSize: 0 bytes/workgroup (compile time only)
; SGPRBlocks: 6
; VGPRBlocks: 5
; NumSGPRsForWavesPerEU: 54
; NumVGPRsForWavesPerEU: 24
; Occupancy: 10
; WaveLimiterHint : 1
; COMPUTE_PGM_RSRC2:SCRATCH_EN: 0
; COMPUTE_PGM_RSRC2:USER_SGPR: 6
; COMPUTE_PGM_RSRC2:TRAP_HANDLER: 0
; COMPUTE_PGM_RSRC2:TGID_X_EN: 1
; COMPUTE_PGM_RSRC2:TGID_Y_EN: 0
; COMPUTE_PGM_RSRC2:TGID_Z_EN: 0
; COMPUTE_PGM_RSRC2:TIDIG_COMP_CNT: 0
	.section	.text._ZN2at6native32elementwise_kernel_manual_unrollILi128ELi4EZNS0_15gpu_kernel_implINS0_13BinaryFunctorIlllZZZNS0_18lshift_kernel_cudaERNS_18TensorIteratorBaseEENKUlvE_clEvENKUlvE2_clEvEUlllE_EEEEvS5_RKT_EUlibE_EEviT1_,"axG",@progbits,_ZN2at6native32elementwise_kernel_manual_unrollILi128ELi4EZNS0_15gpu_kernel_implINS0_13BinaryFunctorIlllZZZNS0_18lshift_kernel_cudaERNS_18TensorIteratorBaseEENKUlvE_clEvENKUlvE2_clEvEUlllE_EEEEvS5_RKT_EUlibE_EEviT1_,comdat
	.globl	_ZN2at6native32elementwise_kernel_manual_unrollILi128ELi4EZNS0_15gpu_kernel_implINS0_13BinaryFunctorIlllZZZNS0_18lshift_kernel_cudaERNS_18TensorIteratorBaseEENKUlvE_clEvENKUlvE2_clEvEUlllE_EEEEvS5_RKT_EUlibE_EEviT1_ ; -- Begin function _ZN2at6native32elementwise_kernel_manual_unrollILi128ELi4EZNS0_15gpu_kernel_implINS0_13BinaryFunctorIlllZZZNS0_18lshift_kernel_cudaERNS_18TensorIteratorBaseEENKUlvE_clEvENKUlvE2_clEvEUlllE_EEEEvS5_RKT_EUlibE_EEviT1_
	.p2align	8
	.type	_ZN2at6native32elementwise_kernel_manual_unrollILi128ELi4EZNS0_15gpu_kernel_implINS0_13BinaryFunctorIlllZZZNS0_18lshift_kernel_cudaERNS_18TensorIteratorBaseEENKUlvE_clEvENKUlvE2_clEvEUlllE_EEEEvS5_RKT_EUlibE_EEviT1_,@function
_ZN2at6native32elementwise_kernel_manual_unrollILi128ELi4EZNS0_15gpu_kernel_implINS0_13BinaryFunctorIlllZZZNS0_18lshift_kernel_cudaERNS_18TensorIteratorBaseEENKUlvE_clEvENKUlvE2_clEvEUlllE_EEEEvS5_RKT_EUlibE_EEviT1_: ; @_ZN2at6native32elementwise_kernel_manual_unrollILi128ELi4EZNS0_15gpu_kernel_implINS0_13BinaryFunctorIlllZZZNS0_18lshift_kernel_cudaERNS_18TensorIteratorBaseEENKUlvE_clEvENKUlvE2_clEvEUlllE_EEEEvS5_RKT_EUlibE_EEviT1_
; %bb.0:
	v_mov_b32_e32 v1, 0
	global_load_ushort v2, v1, s[4:5] offset:45
	global_load_sbyte v3, v1, s[4:5] offset:47
	s_load_dword s48, s[4:5], 0x0
	s_load_dwordx4 s[8:11], s[4:5], 0x8
	s_load_dwordx2 s[2:3], s[4:5], 0x18
	s_load_dwordx4 s[12:15], s[4:5], 0x20
	v_lshl_or_b32 v18, s6, 9, v0
	v_or_b32_e32 v0, 0x180, v18
	s_mov_b64 s[16:17], 0
	s_waitcnt lgkmcnt(0)
	v_cmp_le_i32_e32 vcc, s48, v0
	s_mov_b64 s[6:7], 0
	s_waitcnt vmcnt(1)
	v_readfirstlane_b32 s33, v2
	s_waitcnt vmcnt(0)
	v_readfirstlane_b32 s15, v3
	s_lshr_b32 s54, s33, 8
	s_and_saveexec_b64 s[0:1], vcc
	s_xor_b64 s[4:5], exec, s[0:1]
	s_cbranch_execz .LBB94_1512
; %bb.1:
	v_cmp_gt_i32_e32 vcc, s48, v18
	s_mov_b64 s[0:1], -1
	s_mov_b64 s[26:27], 0
	s_mov_b64 s[20:21], 0
	;; [unrolled: 1-line block ×3, first 2 shown]
	s_and_saveexec_b64 s[22:23], vcc
	s_cbranch_execz .LBB94_375
; %bb.2:
	v_mul_lo_u32 v0, v18, s13
	v_mov_b32_e32 v1, s11
	s_and_b32 s18, s54, 0xff
	s_cmp_lt_i32 s18, 11
	v_ashrrev_i32_e32 v3, 31, v0
	v_add_co_u32_e32 v2, vcc, s10, v0
	v_addc_co_u32_e32 v3, vcc, v1, v3, vcc
	s_cbranch_scc1 .LBB94_9
; %bb.3:
	s_and_b32 s19, 0xffff, s18
	s_cmp_gt_i32 s19, 25
	s_cbranch_scc0 .LBB94_18
; %bb.4:
	s_cmp_gt_i32 s19, 28
	s_cbranch_scc0 .LBB94_28
; %bb.5:
	;; [unrolled: 3-line block ×4, first 2 shown]
	s_cmp_eq_u32 s19, 46
	s_cbranch_scc0 .LBB94_37
; %bb.8:
	global_load_dword v0, v[2:3], off
	s_mov_b32 s0, 0x2f800000
	s_mov_b32 s1, 0xcf800000
	s_waitcnt vmcnt(0)
	v_lshlrev_b32_e32 v0, 16, v0
	v_trunc_f32_e32 v0, v0
	v_mul_f32_e64 v1, |v0|, s0
	v_floor_f32_e32 v1, v1
	v_fma_f32 v4, v1, s1, |v0|
	v_cvt_u32_f32_e32 v4, v4
	v_cvt_u32_f32_e32 v1, v1
	v_ashrrev_i32_e32 v5, 31, v0
	s_mov_b64 s[0:1], -1
	v_xor_b32_e32 v0, v4, v5
	v_xor_b32_e32 v1, v1, v5
	v_sub_co_u32_e32 v0, vcc, v0, v5
	v_subb_co_u32_e32 v1, vcc, v1, v5, vcc
	s_branch .LBB94_39
.LBB94_9:
                                        ; implicit-def: $vgpr0_vgpr1
	s_mov_b64 s[0:1], 0
	s_cbranch_execnz .LBB94_101
.LBB94_10:
	s_andn2_b64 vcc, exec, s[0:1]
	s_cbranch_vccnz .LBB94_148
.LBB94_11:
	v_mul_lo_u32 v2, v18, s14
	v_mov_b32_e32 v3, s3
	s_and_b32 s24, s15, 0xff
	s_cmp_lt_i32 s24, 11
	v_ashrrev_i32_e32 v4, 31, v2
	v_add_co_u32_e32 v2, vcc, s2, v2
	v_addc_co_u32_e32 v3, vcc, v3, v4, vcc
	s_cbranch_scc1 .LBB94_19
; %bb.12:
	s_and_b32 s25, 0xffff, s24
	s_cmp_gt_i32 s25, 25
	s_cbranch_scc0 .LBB94_29
; %bb.13:
	s_cmp_gt_i32 s25, 28
	s_cbranch_scc0 .LBB94_32
; %bb.14:
	;; [unrolled: 3-line block ×4, first 2 shown]
	s_cmp_eq_u32 s25, 46
	s_mov_b64 s[6:7], 0
	s_cbranch_scc0 .LBB94_149
; %bb.17:
	global_load_dword v4, v[2:3], off
	s_mov_b32 s0, 0x2f800000
	s_mov_b32 s1, 0xcf800000
	s_mov_b64 s[18:19], 0
	s_waitcnt vmcnt(0)
	v_lshlrev_b32_e32 v4, 16, v4
	v_trunc_f32_e32 v4, v4
	v_mul_f32_e64 v5, |v4|, s0
	v_floor_f32_e32 v5, v5
	v_fma_f32 v6, v5, s1, |v4|
	v_cvt_u32_f32_e32 v6, v6
	v_cvt_u32_f32_e32 v5, v5
	v_ashrrev_i32_e32 v7, 31, v4
	s_mov_b64 s[0:1], -1
	v_xor_b32_e32 v4, v6, v7
	v_xor_b32_e32 v5, v5, v7
	v_sub_co_u32_e32 v4, vcc, v4, v7
	v_subb_co_u32_e32 v5, vcc, v5, v7, vcc
	s_branch .LBB94_151
.LBB94_18:
	s_mov_b64 s[0:1], 0
                                        ; implicit-def: $vgpr0_vgpr1
	s_cbranch_execnz .LBB94_70
	s_branch .LBB94_100
.LBB94_19:
	s_mov_b64 s[18:19], 0
                                        ; implicit-def: $vgpr4_vgpr5
	s_mov_b64 s[0:1], 0
	s_cbranch_execnz .LBB94_324
.LBB94_20:
	s_andn2_b64 vcc, exec, s[0:1]
	s_cbranch_vccnz .LBB94_372
.LBB94_21:
	v_mul_lo_u32 v2, v18, s12
	s_waitcnt vmcnt(0)
	v_lshlrev_b64 v[0:1], v4, v[0:1]
	v_cmp_gt_u64_e32 vcc, 64, v[4:5]
	v_mov_b32_e32 v4, s9
	v_cndmask_b32_e32 v1, 0, v1, vcc
	v_cndmask_b32_e32 v0, 0, v0, vcc
	v_ashrrev_i32_e32 v3, 31, v2
	s_and_b32 s30, s33, 0xff
	v_add_co_u32_e32 v2, vcc, s8, v2
	s_cmp_lt_i32 s30, 11
	v_addc_co_u32_e32 v3, vcc, v4, v3, vcc
	s_cbranch_scc1 .LBB94_30
; %bb.22:
	s_and_b32 s31, 0xffff, s30
	s_cmp_gt_i32 s31, 25
	s_cbranch_scc0 .LBB94_33
; %bb.23:
	s_cmp_gt_i32 s31, 28
	s_cbranch_scc0 .LBB94_36
; %bb.24:
	;; [unrolled: 3-line block ×4, first 2 shown]
	s_mov_b64 s[24:25], 0
	s_mov_b64 s[0:1], -1
	s_cmp_eq_u32 s31, 46
	s_mov_b64 s[6:7], 0
	s_cbranch_scc0 .LBB94_155
; %bb.27:
	v_xor_b32_e32 v5, v0, v1
	v_ffbh_i32_e32 v4, v1
	v_ashrrev_i32_e32 v5, 31, v5
	v_add_u32_e32 v4, -1, v4
	v_add_u32_e32 v5, 32, v5
	v_min_u32_e32 v6, v4, v5
	v_lshlrev_b64 v[4:5], v6, v[0:1]
	s_movk_i32 s0, 0x7fff
	v_min_u32_e32 v4, 1, v4
	v_or_b32_e32 v4, v5, v4
	v_cvt_f32_i32_e32 v4, v4
	v_sub_u32_e32 v5, 32, v6
	s_mov_b64 s[6:7], -1
	v_ldexp_f32 v4, v4, v5
	v_bfe_u32 v5, v4, 16, 1
	v_add3_u32 v4, v4, v5, s0
	v_lshrrev_b32_e32 v4, 16, v4
	global_store_dword v[2:3], v4, off
	s_mov_b64 s[0:1], 0
	s_branch .LBB94_155
.LBB94_28:
	s_mov_b64 s[6:7], -1
	s_mov_b64 s[0:1], 0
                                        ; implicit-def: $vgpr0_vgpr1
	s_branch .LBB94_51
.LBB94_29:
	s_mov_b64 s[6:7], -1
	s_mov_b64 s[18:19], 0
	s_mov_b64 s[0:1], 0
                                        ; implicit-def: $vgpr4_vgpr5
	s_branch .LBB94_292
.LBB94_30:
	s_mov_b64 s[24:25], -1
	s_mov_b64 s[0:1], 0
	s_mov_b64 s[6:7], 0
	s_branch .LBB94_224
.LBB94_31:
	s_mov_b64 s[6:7], -1
	s_mov_b64 s[0:1], 0
                                        ; implicit-def: $vgpr0_vgpr1
	s_branch .LBB94_46
.LBB94_32:
	s_mov_b64 s[6:7], -1
	s_mov_b64 s[18:19], 0
	s_mov_b64 s[0:1], 0
                                        ; implicit-def: $vgpr4_vgpr5
	s_branch .LBB94_273
.LBB94_33:
	s_mov_b64 s[24:25], -1
	s_mov_b64 s[0:1], 0
	s_mov_b64 s[6:7], 0
	s_branch .LBB94_182
.LBB94_34:
	s_mov_b64 s[6:7], -1
	s_branch .LBB94_38
.LBB94_35:
	s_mov_b64 s[6:7], -1
	s_mov_b64 s[18:19], 0
	s_mov_b64 s[0:1], 0
                                        ; implicit-def: $vgpr4_vgpr5
	s_branch .LBB94_268
.LBB94_36:
	s_mov_b64 s[24:25], -1
	s_mov_b64 s[0:1], 0
	s_mov_b64 s[6:7], 0
	s_branch .LBB94_165
.LBB94_37:
	s_mov_b64 s[20:21], -1
.LBB94_38:
	s_mov_b64 s[0:1], 0
                                        ; implicit-def: $vgpr0_vgpr1
.LBB94_39:
	s_and_b64 vcc, exec, s[6:7]
	s_cbranch_vccz .LBB94_45
; %bb.40:
	s_cmp_eq_u32 s19, 44
	s_cbranch_scc0 .LBB94_44
; %bb.41:
	global_load_ubyte v0, v[2:3], off
	s_mov_b32 s0, 0x2f800000
	s_mov_b32 s1, 0xcf800000
	s_mov_b64 s[20:21], 0
	s_waitcnt vmcnt(0)
	v_lshlrev_b32_e32 v1, 23, v0
	v_trunc_f32_e32 v1, v1
	v_mul_f32_e64 v4, |v1|, s0
	v_floor_f32_e32 v4, v4
	v_fma_f32 v5, v4, s1, |v1|
	v_cvt_u32_f32_e32 v5, v5
	v_cvt_u32_f32_e32 v4, v4
	v_ashrrev_i32_e32 v1, 31, v1
	s_mov_b64 s[0:1], -1
	v_xor_b32_e32 v5, v5, v1
	v_xor_b32_e32 v4, v4, v1
	v_sub_co_u32_e32 v5, vcc, v5, v1
	v_subb_co_u32_e32 v1, vcc, v4, v1, vcc
	v_cmp_ne_u32_e32 vcc, 0, v0
	v_cndmask_b32_e32 v1, 0, v1, vcc
	v_cndmask_b32_e32 v0, 0, v5, vcc
	s_branch .LBB94_45
.LBB94_42:
	s_mov_b64 s[6:7], -1
	s_mov_b64 s[18:19], 0
	s_branch .LBB94_150
.LBB94_43:
	s_mov_b64 s[24:25], -1
	s_mov_b64 s[0:1], 0
	s_mov_b64 s[6:7], 0
	s_branch .LBB94_161
.LBB94_44:
	s_mov_b64 s[20:21], -1
                                        ; implicit-def: $vgpr0_vgpr1
.LBB94_45:
	s_mov_b64 s[6:7], 0
.LBB94_46:
	s_and_b64 vcc, exec, s[6:7]
	s_cbranch_vccz .LBB94_50
; %bb.47:
	s_cmp_eq_u32 s19, 29
	s_cbranch_scc0 .LBB94_49
; %bb.48:
	global_load_dwordx2 v[0:1], v[2:3], off
	s_mov_b64 s[0:1], -1
	s_mov_b64 s[20:21], 0
	s_branch .LBB94_50
.LBB94_49:
	s_mov_b64 s[20:21], -1
                                        ; implicit-def: $vgpr0_vgpr1
.LBB94_50:
	s_mov_b64 s[6:7], 0
.LBB94_51:
	s_and_b64 vcc, exec, s[6:7]
	s_cbranch_vccz .LBB94_69
; %bb.52:
	s_cmp_lt_i32 s19, 27
	s_cbranch_scc1 .LBB94_55
; %bb.53:
	s_cmp_gt_i32 s19, 27
	s_cbranch_scc0 .LBB94_56
; %bb.54:
	global_load_dword v0, v[2:3], off
	s_waitcnt vmcnt(1)
	v_mov_b32_e32 v1, 0
	s_mov_b64 s[0:1], 0
	s_branch .LBB94_57
.LBB94_55:
	s_mov_b64 s[0:1], -1
                                        ; implicit-def: $vgpr0_vgpr1
	s_branch .LBB94_60
.LBB94_56:
	s_mov_b64 s[0:1], -1
                                        ; implicit-def: $vgpr0_vgpr1
.LBB94_57:
	s_andn2_b64 vcc, exec, s[0:1]
	s_cbranch_vccnz .LBB94_59
; %bb.58:
	global_load_ushort v0, v[2:3], off
	s_mov_b32 s0, 0
	s_waitcnt vmcnt(1)
	v_mov_b32_e32 v1, s0
	s_waitcnt vmcnt(0)
	v_and_b32_e32 v0, 0xffff, v0
.LBB94_59:
	s_mov_b64 s[0:1], 0
.LBB94_60:
	s_andn2_b64 vcc, exec, s[0:1]
	s_cbranch_vccnz .LBB94_68
; %bb.61:
	global_load_ubyte v4, v[2:3], off
	s_movk_i32 s0, 0x7f
	s_mov_b64 s[6:7], 0
	s_waitcnt vmcnt(0)
	v_cmp_lt_i16_e32 vcc, s0, v4
	s_and_saveexec_b64 s[0:1], vcc
	s_xor_b64 s[0:1], exec, s[0:1]
; %bb.62:
	s_movk_i32 s6, 0x80
	v_cmp_ne_u16_e32 vcc, s6, v4
	s_and_b64 s[6:7], vcc, exec
; %bb.63:
	s_andn2_saveexec_b64 s[0:1], s[0:1]
; %bb.64:
	v_cmp_ne_u16_e32 vcc, 0, v4
	s_andn2_b64 s[6:7], s[6:7], exec
	s_and_b64 s[24:25], vcc, exec
	s_or_b64 s[6:7], s[6:7], s[24:25]
; %bb.65:
	s_or_b64 exec, exec, s[0:1]
	v_mov_b32_e32 v0, 0
	v_mov_b32_e32 v1, 0
	s_and_saveexec_b64 s[0:1], s[6:7]
	s_cbranch_execz .LBB94_67
; %bb.66:
	v_and_b32_e32 v1, 0xffff, v4
	v_lshlrev_b32_e32 v0, 24, v4
	v_and_b32_e32 v4, 7, v1
	v_ffbh_u32_e32 v6, v4
	v_min_u32_e32 v6, 32, v6
	v_subrev_u32_e32 v7, 28, v6
	v_bfe_u32 v5, v1, 3, 4
	v_lshlrev_b32_e32 v1, v7, v1
	v_sub_u32_e32 v6, 29, v6
	v_and_b32_e32 v1, 7, v1
	v_cmp_eq_u32_e32 vcc, 0, v5
	v_cndmask_b32_e32 v5, v5, v6, vcc
	v_cndmask_b32_e32 v1, v4, v1, vcc
	v_mov_b32_e32 v4, 0x3b800000
	v_lshlrev_b32_e32 v1, 20, v1
	v_and_b32_e32 v0, 0x80000000, v0
	v_lshl_add_u32 v4, v5, 23, v4
	v_or3_b32 v0, v0, v4, v1
	v_trunc_f32_e32 v0, v0
	s_mov_b32 s6, 0x2f800000
	v_mul_f32_e64 v1, |v0|, s6
	v_floor_f32_e32 v1, v1
	s_mov_b32 s6, 0xcf800000
	v_fma_f32 v4, v1, s6, |v0|
	v_cvt_u32_f32_e32 v4, v4
	v_cvt_u32_f32_e32 v1, v1
	v_ashrrev_i32_e32 v5, 31, v0
	v_xor_b32_e32 v0, v4, v5
	v_xor_b32_e32 v1, v1, v5
	v_sub_co_u32_e32 v0, vcc, v0, v5
	v_subb_co_u32_e32 v1, vcc, v1, v5, vcc
.LBB94_67:
	s_or_b64 exec, exec, s[0:1]
.LBB94_68:
	s_mov_b64 s[0:1], -1
.LBB94_69:
	s_branch .LBB94_100
.LBB94_70:
	s_cmp_gt_i32 s19, 22
	s_cbranch_scc0 .LBB94_80
; %bb.71:
	s_cmp_lt_i32 s19, 24
	s_cbranch_scc1 .LBB94_81
; %bb.72:
	s_cmp_gt_i32 s19, 24
	s_cbranch_scc0 .LBB94_82
; %bb.73:
	global_load_ubyte v4, v[2:3], off
	s_movk_i32 s0, 0x7f
	s_mov_b64 s[6:7], 0
	s_waitcnt vmcnt(0)
	v_cmp_lt_i16_e32 vcc, s0, v4
	s_and_saveexec_b64 s[0:1], vcc
	s_xor_b64 s[0:1], exec, s[0:1]
; %bb.74:
	s_movk_i32 s6, 0x80
	v_cmp_ne_u16_e32 vcc, s6, v4
	s_and_b64 s[6:7], vcc, exec
; %bb.75:
	s_andn2_saveexec_b64 s[0:1], s[0:1]
; %bb.76:
	v_cmp_ne_u16_e32 vcc, 0, v4
	s_andn2_b64 s[6:7], s[6:7], exec
	s_and_b64 s[24:25], vcc, exec
	s_or_b64 s[6:7], s[6:7], s[24:25]
; %bb.77:
	s_or_b64 exec, exec, s[0:1]
	v_mov_b32_e32 v0, 0
	v_mov_b32_e32 v1, 0
	s_and_saveexec_b64 s[0:1], s[6:7]
	s_cbranch_execz .LBB94_79
; %bb.78:
	v_and_b32_e32 v1, 0xffff, v4
	v_lshlrev_b32_e32 v0, 24, v4
	v_and_b32_e32 v4, 3, v1
	v_ffbh_u32_e32 v6, v4
	v_min_u32_e32 v6, 32, v6
	v_subrev_u32_e32 v7, 29, v6
	v_bfe_u32 v5, v1, 2, 5
	v_lshlrev_b32_e32 v1, v7, v1
	v_sub_u32_e32 v6, 30, v6
	v_and_b32_e32 v1, 3, v1
	v_cmp_eq_u32_e32 vcc, 0, v5
	v_cndmask_b32_e32 v5, v5, v6, vcc
	v_cndmask_b32_e32 v1, v4, v1, vcc
	v_mov_b32_e32 v4, 0x37800000
	v_lshlrev_b32_e32 v1, 21, v1
	v_and_b32_e32 v0, 0x80000000, v0
	v_lshl_add_u32 v4, v5, 23, v4
	v_or3_b32 v0, v0, v4, v1
	v_trunc_f32_e32 v0, v0
	s_mov_b32 s6, 0x2f800000
	v_mul_f32_e64 v1, |v0|, s6
	v_floor_f32_e32 v1, v1
	s_mov_b32 s6, 0xcf800000
	v_fma_f32 v4, v1, s6, |v0|
	v_cvt_u32_f32_e32 v4, v4
	v_cvt_u32_f32_e32 v1, v1
	v_ashrrev_i32_e32 v5, 31, v0
	v_xor_b32_e32 v0, v4, v5
	v_xor_b32_e32 v1, v1, v5
	v_sub_co_u32_e32 v0, vcc, v0, v5
	v_subb_co_u32_e32 v1, vcc, v1, v5, vcc
.LBB94_79:
	s_or_b64 exec, exec, s[0:1]
	s_mov_b64 s[0:1], 0
	s_branch .LBB94_83
.LBB94_80:
	s_mov_b64 s[6:7], -1
                                        ; implicit-def: $vgpr0_vgpr1
	s_branch .LBB94_89
.LBB94_81:
	s_mov_b64 s[0:1], -1
                                        ; implicit-def: $vgpr0_vgpr1
	s_branch .LBB94_86
.LBB94_82:
	s_mov_b64 s[0:1], -1
                                        ; implicit-def: $vgpr0_vgpr1
.LBB94_83:
	s_and_b64 vcc, exec, s[0:1]
	s_cbranch_vccz .LBB94_85
; %bb.84:
	global_load_ubyte v0, v[2:3], off
	s_mov_b32 s0, 0x7f800000
	s_brev_b32 s1, 1
	s_mov_b32 s6, 0x2f800000
	s_mov_b32 s7, 0xcf800000
	s_waitcnt vmcnt(0)
	v_lshlrev_b32_e32 v0, 24, v0
	v_and_b32_e32 v1, 0x7f000000, v0
	v_ffbh_u32_e32 v4, v1
	v_min_u32_e32 v4, 32, v4
	v_sub_u32_e64 v4, v4, 4 clamp
	v_lshlrev_b32_e32 v6, v4, v1
	v_lshlrev_b32_e32 v4, 23, v4
	v_lshrrev_b32_e32 v6, 4, v6
	v_add_u32_e32 v5, 0x1000000, v1
	v_sub_u32_e32 v4, v6, v4
	v_ashrrev_i32_e32 v5, 8, v5
	v_add_u32_e32 v4, 0x3c000000, v4
	v_and_or_b32 v4, v5, s0, v4
	v_cmp_ne_u32_e32 vcc, 0, v1
	v_cndmask_b32_e32 v1, 0, v4, vcc
	v_and_or_b32 v0, v0, s1, v1
	v_trunc_f32_e32 v0, v0
	v_mul_f32_e64 v1, |v0|, s6
	v_floor_f32_e32 v1, v1
	v_fma_f32 v4, v1, s7, |v0|
	v_cvt_u32_f32_e32 v4, v4
	v_cvt_u32_f32_e32 v1, v1
	v_ashrrev_i32_e32 v5, 31, v0
	v_xor_b32_e32 v0, v4, v5
	v_xor_b32_e32 v1, v1, v5
	v_sub_co_u32_e32 v0, vcc, v0, v5
	v_subb_co_u32_e32 v1, vcc, v1, v5, vcc
.LBB94_85:
	s_mov_b64 s[0:1], 0
.LBB94_86:
	s_andn2_b64 vcc, exec, s[0:1]
	s_cbranch_vccnz .LBB94_88
; %bb.87:
	global_load_ubyte v0, v[2:3], off
	s_movk_i32 s0, 0x7f00
	s_brev_b32 s1, 16
	s_brev_b32 s6, 1
	s_mov_b32 s7, 0x2f800000
	s_mov_b32 s24, 0xcf800000
	s_waitcnt vmcnt(0)
	v_lshlrev_b16_e32 v1, 8, v0
	v_lshlrev_b32_e32 v0, 25, v0
	v_lshrrev_b32_e32 v4, 4, v0
	v_and_or_b32 v5, v1, s0, 0.5
	v_or_b32_e32 v4, 0x70000000, v4
	v_add_f32_e32 v5, -0.5, v5
	v_mul_f32_e32 v4, 0x7800000, v4
	v_cmp_gt_u32_e32 vcc, s1, v0
	v_bfe_i32 v1, v1, 0, 16
	v_cndmask_b32_e32 v0, v4, v5, vcc
	v_and_or_b32 v0, v1, s6, v0
	v_trunc_f32_e32 v0, v0
	v_mul_f32_e64 v1, |v0|, s7
	v_floor_f32_e32 v1, v1
	v_fma_f32 v4, v1, s24, |v0|
	v_cvt_u32_f32_e32 v4, v4
	v_cvt_u32_f32_e32 v1, v1
	v_ashrrev_i32_e32 v5, 31, v0
	v_xor_b32_e32 v0, v4, v5
	v_xor_b32_e32 v1, v1, v5
	v_sub_co_u32_e32 v0, vcc, v0, v5
	v_subb_co_u32_e32 v1, vcc, v1, v5, vcc
.LBB94_88:
	s_mov_b64 s[6:7], 0
	s_mov_b64 s[0:1], -1
.LBB94_89:
	s_andn2_b64 vcc, exec, s[6:7]
	s_cbranch_vccnz .LBB94_100
; %bb.90:
	s_cmp_gt_i32 s19, 14
	s_cbranch_scc0 .LBB94_93
; %bb.91:
	s_cmp_eq_u32 s19, 15
	s_cbranch_scc0 .LBB94_94
; %bb.92:
	global_load_ushort v0, v[2:3], off
	s_mov_b32 s0, 0x2f800000
	s_mov_b32 s1, 0xcf800000
	s_mov_b64 s[20:21], 0
	s_waitcnt vmcnt(0)
	v_lshlrev_b32_e32 v0, 16, v0
	v_trunc_f32_e32 v0, v0
	v_mul_f32_e64 v1, |v0|, s0
	v_floor_f32_e32 v1, v1
	v_fma_f32 v4, v1, s1, |v0|
	v_cvt_u32_f32_e32 v4, v4
	v_cvt_u32_f32_e32 v1, v1
	v_ashrrev_i32_e32 v5, 31, v0
	s_mov_b64 s[0:1], -1
	v_xor_b32_e32 v0, v4, v5
	v_xor_b32_e32 v1, v1, v5
	v_sub_co_u32_e32 v0, vcc, v0, v5
	v_subb_co_u32_e32 v1, vcc, v1, v5, vcc
	s_branch .LBB94_95
.LBB94_93:
	s_mov_b64 s[6:7], -1
                                        ; implicit-def: $vgpr0_vgpr1
	s_branch .LBB94_96
.LBB94_94:
	s_mov_b64 s[20:21], -1
                                        ; implicit-def: $vgpr0_vgpr1
.LBB94_95:
	s_mov_b64 s[6:7], 0
.LBB94_96:
	s_and_b64 vcc, exec, s[6:7]
	s_cbranch_vccz .LBB94_100
; %bb.97:
	s_cmp_eq_u32 s19, 11
	s_cbranch_scc0 .LBB94_99
; %bb.98:
	global_load_ubyte v0, v[2:3], off
	s_mov_b32 s6, 0
	s_mov_b64 s[0:1], -1
	s_waitcnt vmcnt(1)
	v_mov_b32_e32 v1, s6
	s_mov_b64 s[20:21], 0
	s_waitcnt vmcnt(0)
	v_cmp_ne_u16_e32 vcc, 0, v0
	v_cndmask_b32_e64 v0, 0, 1, vcc
	s_branch .LBB94_100
.LBB94_99:
	s_mov_b64 s[20:21], -1
                                        ; implicit-def: $vgpr0_vgpr1
.LBB94_100:
	s_branch .LBB94_10
.LBB94_101:
	s_and_b32 s6, 0xffff, s18
	s_cmp_lt_i32 s6, 5
	s_cbranch_scc1 .LBB94_106
; %bb.102:
	s_cmp_lt_i32 s6, 8
	s_cbranch_scc1 .LBB94_107
; %bb.103:
	;; [unrolled: 3-line block ×3, first 2 shown]
	s_cmp_gt_i32 s6, 9
	s_cbranch_scc0 .LBB94_109
; %bb.105:
	global_load_dwordx2 v[0:1], v[2:3], off
	s_movk_i32 s0, 0xffe0
	s_waitcnt vmcnt(0)
	v_trunc_f64_e32 v[0:1], v[0:1]
	v_ldexp_f64 v[4:5], v[0:1], s0
	s_mov_b32 s0, 0
	s_mov_b32 s1, 0xc1f00000
	v_floor_f64_e32 v[4:5], v[4:5]
	v_fma_f64 v[6:7], v[4:5], s[0:1], v[0:1]
	v_cvt_i32_f64_e32 v1, v[4:5]
	s_mov_b64 s[0:1], 0
	v_cvt_u32_f64_e32 v0, v[6:7]
	s_branch .LBB94_110
.LBB94_106:
                                        ; implicit-def: $vgpr0_vgpr1
	s_branch .LBB94_128
.LBB94_107:
	s_mov_b64 s[0:1], -1
                                        ; implicit-def: $vgpr0_vgpr1
	s_branch .LBB94_116
.LBB94_108:
	s_mov_b64 s[0:1], -1
                                        ; implicit-def: $vgpr0_vgpr1
	s_branch .LBB94_113
.LBB94_109:
	s_mov_b64 s[0:1], -1
                                        ; implicit-def: $vgpr0_vgpr1
.LBB94_110:
	s_andn2_b64 vcc, exec, s[0:1]
	s_cbranch_vccnz .LBB94_112
; %bb.111:
	global_load_dword v0, v[2:3], off
	s_mov_b32 s0, 0x2f800000
	s_mov_b32 s1, 0xcf800000
	s_waitcnt vmcnt(0)
	v_trunc_f32_e32 v0, v0
	v_mul_f32_e64 v1, |v0|, s0
	v_floor_f32_e32 v1, v1
	v_cvt_u32_f32_e32 v4, v1
	v_fma_f32 v1, v1, s1, |v0|
	v_cvt_u32_f32_e32 v1, v1
	v_ashrrev_i32_e32 v5, 31, v0
	v_xor_b32_e32 v4, v4, v5
	v_xor_b32_e32 v0, v1, v5
	v_sub_co_u32_e32 v0, vcc, v0, v5
	v_subb_co_u32_e32 v1, vcc, v4, v5, vcc
.LBB94_112:
	s_mov_b64 s[0:1], 0
.LBB94_113:
	s_andn2_b64 vcc, exec, s[0:1]
	s_cbranch_vccnz .LBB94_115
; %bb.114:
	global_load_dword v0, v[2:3], off
	s_waitcnt vmcnt(0)
	v_cvt_f32_f16_e32 v0, v0
	v_cvt_i32_f32_e32 v0, v0
	v_ashrrev_i32_e32 v1, 31, v0
.LBB94_115:
	s_mov_b64 s[0:1], 0
.LBB94_116:
	s_andn2_b64 vcc, exec, s[0:1]
	s_cbranch_vccnz .LBB94_127
; %bb.117:
	s_cmp_lt_i32 s6, 6
	s_cbranch_scc1 .LBB94_120
; %bb.118:
	s_cmp_gt_i32 s6, 6
	s_cbranch_scc0 .LBB94_121
; %bb.119:
	global_load_dwordx2 v[0:1], v[2:3], off
	s_movk_i32 s0, 0xffe0
	s_waitcnt vmcnt(0)
	v_trunc_f64_e32 v[0:1], v[0:1]
	v_ldexp_f64 v[4:5], v[0:1], s0
	s_mov_b32 s0, 0
	s_mov_b32 s1, 0xc1f00000
	v_floor_f64_e32 v[4:5], v[4:5]
	v_fma_f64 v[6:7], v[4:5], s[0:1], v[0:1]
	v_cvt_i32_f64_e32 v1, v[4:5]
	s_mov_b64 s[0:1], 0
	v_cvt_u32_f64_e32 v0, v[6:7]
	s_branch .LBB94_122
.LBB94_120:
	s_mov_b64 s[0:1], -1
                                        ; implicit-def: $vgpr0_vgpr1
	s_branch .LBB94_125
.LBB94_121:
	s_mov_b64 s[0:1], -1
                                        ; implicit-def: $vgpr0_vgpr1
.LBB94_122:
	s_andn2_b64 vcc, exec, s[0:1]
	s_cbranch_vccnz .LBB94_124
; %bb.123:
	global_load_dword v0, v[2:3], off
	s_mov_b32 s0, 0x2f800000
	s_mov_b32 s1, 0xcf800000
	s_waitcnt vmcnt(0)
	v_trunc_f32_e32 v0, v0
	v_mul_f32_e64 v1, |v0|, s0
	v_floor_f32_e32 v1, v1
	v_cvt_u32_f32_e32 v4, v1
	v_fma_f32 v1, v1, s1, |v0|
	v_cvt_u32_f32_e32 v1, v1
	v_ashrrev_i32_e32 v5, 31, v0
	v_xor_b32_e32 v4, v4, v5
	v_xor_b32_e32 v0, v1, v5
	v_sub_co_u32_e32 v0, vcc, v0, v5
	v_subb_co_u32_e32 v1, vcc, v4, v5, vcc
.LBB94_124:
	s_mov_b64 s[0:1], 0
.LBB94_125:
	s_andn2_b64 vcc, exec, s[0:1]
	s_cbranch_vccnz .LBB94_127
; %bb.126:
	global_load_ushort v0, v[2:3], off
	s_waitcnt vmcnt(0)
	v_cvt_f32_f16_e32 v0, v0
	v_cvt_i32_f32_e32 v0, v0
	v_ashrrev_i32_e32 v1, 31, v0
.LBB94_127:
	s_cbranch_execnz .LBB94_147
.LBB94_128:
	s_cmp_lt_i32 s6, 2
	s_cbranch_scc1 .LBB94_132
; %bb.129:
	s_cmp_lt_i32 s6, 3
	s_cbranch_scc1 .LBB94_133
; %bb.130:
	s_cmp_gt_i32 s6, 3
	s_cbranch_scc0 .LBB94_134
; %bb.131:
	global_load_dwordx2 v[0:1], v[2:3], off
	s_mov_b64 s[0:1], 0
	s_branch .LBB94_135
.LBB94_132:
	s_mov_b64 s[0:1], -1
                                        ; implicit-def: $vgpr0_vgpr1
	s_branch .LBB94_141
.LBB94_133:
	s_mov_b64 s[0:1], -1
                                        ; implicit-def: $vgpr0_vgpr1
	s_branch .LBB94_138
.LBB94_134:
	s_mov_b64 s[0:1], -1
                                        ; implicit-def: $vgpr0_vgpr1
.LBB94_135:
	s_andn2_b64 vcc, exec, s[0:1]
	s_cbranch_vccnz .LBB94_137
; %bb.136:
	global_load_dword v0, v[2:3], off
	s_waitcnt vmcnt(0)
	v_ashrrev_i32_e32 v1, 31, v0
.LBB94_137:
	s_mov_b64 s[0:1], 0
.LBB94_138:
	s_andn2_b64 vcc, exec, s[0:1]
	s_cbranch_vccnz .LBB94_140
; %bb.139:
	global_load_ushort v0, v[2:3], off
	s_waitcnt vmcnt(0)
	v_bfe_i32 v0, v0, 0, 16
	v_ashrrev_i32_e32 v1, 31, v0
.LBB94_140:
	s_mov_b64 s[0:1], 0
.LBB94_141:
	s_andn2_b64 vcc, exec, s[0:1]
	s_cbranch_vccnz .LBB94_147
; %bb.142:
	s_cmp_gt_i32 s6, 0
	s_cbranch_scc0 .LBB94_144
; %bb.143:
	global_load_sbyte v0, v[2:3], off
	s_mov_b64 s[0:1], 0
	s_waitcnt vmcnt(0)
	v_bfe_i32 v0, v0, 0, 16
	v_ashrrev_i32_e32 v1, 31, v0
	s_branch .LBB94_145
.LBB94_144:
	s_mov_b64 s[0:1], -1
                                        ; implicit-def: $vgpr0_vgpr1
.LBB94_145:
	s_andn2_b64 vcc, exec, s[0:1]
	s_cbranch_vccnz .LBB94_147
; %bb.146:
	global_load_ubyte v0, v[2:3], off
	s_mov_b32 s0, 0
	s_waitcnt vmcnt(1)
	v_mov_b32_e32 v1, s0
	s_waitcnt vmcnt(0)
	v_and_b32_e32 v0, 0xffff, v0
.LBB94_147:
	s_branch .LBB94_11
.LBB94_148:
	s_mov_b64 s[0:1], 0
	s_mov_b64 s[18:19], 0
	s_branch .LBB94_373
.LBB94_149:
	s_mov_b64 s[18:19], -1
.LBB94_150:
	s_mov_b64 s[0:1], 0
                                        ; implicit-def: $vgpr4_vgpr5
.LBB94_151:
	s_and_b64 vcc, exec, s[6:7]
	s_cbranch_vccz .LBB94_267
; %bb.152:
	s_cmp_eq_u32 s25, 44
	s_cbranch_scc0 .LBB94_266
; %bb.153:
	global_load_ubyte v4, v[2:3], off
	s_mov_b32 s0, 0x2f800000
	s_mov_b32 s1, 0xcf800000
	s_mov_b64 s[18:19], 0
	s_waitcnt vmcnt(0)
	v_lshlrev_b32_e32 v5, 23, v4
	v_trunc_f32_e32 v5, v5
	v_mul_f32_e64 v6, |v5|, s0
	v_floor_f32_e32 v6, v6
	v_fma_f32 v7, v6, s1, |v5|
	v_cvt_u32_f32_e32 v7, v7
	v_cvt_u32_f32_e32 v6, v6
	v_ashrrev_i32_e32 v5, 31, v5
	s_mov_b64 s[0:1], -1
	v_xor_b32_e32 v7, v7, v5
	v_xor_b32_e32 v6, v6, v5
	v_sub_co_u32_e32 v7, vcc, v7, v5
	v_subb_co_u32_e32 v5, vcc, v6, v5, vcc
	v_cmp_ne_u32_e32 vcc, 0, v4
	v_cndmask_b32_e32 v5, 0, v5, vcc
	v_cndmask_b32_e32 v4, 0, v7, vcc
	s_branch .LBB94_267
.LBB94_154:
	s_mov_b64 s[24:25], -1
	s_mov_b64 s[0:1], 0
	s_mov_b64 s[6:7], 0
.LBB94_155:
	s_and_b64 vcc, exec, s[24:25]
	s_cbranch_vccz .LBB94_160
; %bb.156:
	s_cmp_eq_u32 s31, 44
	s_mov_b64 s[0:1], -1
	s_cbranch_scc0 .LBB94_160
; %bb.157:
	v_xor_b32_e32 v5, v0, v1
	v_ffbh_i32_e32 v4, v1
	v_ashrrev_i32_e32 v5, 31, v5
	v_add_u32_e32 v4, -1, v4
	v_add_u32_e32 v5, 32, v5
	v_min_u32_e32 v6, v4, v5
	v_lshlrev_b64 v[4:5], v6, v[0:1]
	s_movk_i32 s0, 0xff
	v_min_u32_e32 v4, 1, v4
	v_or_b32_e32 v4, v5, v4
	v_cvt_f32_i32_e32 v4, v4
	v_sub_u32_e32 v5, 32, v6
	v_mov_b32_e32 v6, 0xff
	v_ldexp_f32 v4, v4, v5
	v_bfe_u32 v5, v4, 23, 8
	v_cmp_ne_u32_e32 vcc, s0, v5
	s_and_saveexec_b64 s[6:7], vcc
; %bb.158:
	s_mov_b32 s0, 0x3fffff
	v_lshrrev_b32_e32 v6, 23, v4
	v_and_b32_e32 v7, 0x400000, v4
	v_and_or_b32 v4, v4, s0, v5
	v_cmp_ne_u32_e32 vcc, 0, v7
	v_cmp_ne_u32_e64 s[0:1], 0, v4
	s_and_b64 s[0:1], vcc, s[0:1]
	v_cndmask_b32_e64 v4, 0, 1, s[0:1]
	v_add_u32_e32 v6, v6, v4
; %bb.159:
	s_or_b64 exec, exec, s[6:7]
	s_mov_b64 s[6:7], -1
	s_mov_b64 s[0:1], 0
	global_store_byte v[2:3], v6, off
.LBB94_160:
	s_mov_b64 s[24:25], 0
.LBB94_161:
	s_and_b64 vcc, exec, s[24:25]
	s_cbranch_vccz .LBB94_164
; %bb.162:
	s_cmp_eq_u32 s31, 29
	s_mov_b64 s[0:1], -1
	s_cbranch_scc0 .LBB94_164
; %bb.163:
	global_store_dwordx2 v[2:3], v[0:1], off
	s_mov_b64 s[6:7], -1
	s_mov_b64 s[0:1], 0
.LBB94_164:
	s_mov_b64 s[24:25], 0
.LBB94_165:
	s_and_b64 vcc, exec, s[24:25]
	s_cbranch_vccz .LBB94_181
; %bb.166:
	s_cmp_lt_i32 s31, 27
	s_mov_b64 s[6:7], -1
	s_cbranch_scc1 .LBB94_172
; %bb.167:
	s_cmp_gt_i32 s31, 27
	s_cbranch_scc0 .LBB94_169
; %bb.168:
	s_mov_b64 s[6:7], 0
	global_store_dword v[2:3], v0, off
.LBB94_169:
	s_andn2_b64 vcc, exec, s[6:7]
	s_cbranch_vccnz .LBB94_171
; %bb.170:
	global_store_short v[2:3], v0, off
.LBB94_171:
	s_mov_b64 s[6:7], 0
.LBB94_172:
	s_andn2_b64 vcc, exec, s[6:7]
	s_cbranch_vccnz .LBB94_180
; %bb.173:
	v_xor_b32_e32 v5, v0, v1
	v_ffbh_i32_e32 v4, v1
	v_ashrrev_i32_e32 v5, 31, v5
	v_add_u32_e32 v4, -1, v4
	v_add_u32_e32 v5, 32, v5
	v_min_u32_e32 v6, v4, v5
	v_lshlrev_b64 v[4:5], v6, v[0:1]
	s_mov_b32 s6, 0x43800000
	v_min_u32_e32 v4, 1, v4
	v_or_b32_e32 v4, v5, v4
	v_cvt_f32_i32_e32 v4, v4
	v_sub_u32_e32 v5, 32, v6
	v_mov_b32_e32 v6, 0x80
	v_ldexp_f32 v4, v4, v5
	v_and_b32_e32 v5, 0x7fffffff, v4
	v_cmp_gt_u32_e32 vcc, s6, v5
	s_and_saveexec_b64 s[6:7], vcc
	s_cbranch_execz .LBB94_179
; %bb.174:
	s_mov_b32 s24, 0x3bffffff
	v_cmp_lt_u32_e32 vcc, s24, v5
	s_mov_b64 s[24:25], 0
                                        ; implicit-def: $vgpr5
	s_and_saveexec_b64 s[28:29], vcc
	s_xor_b64 s[28:29], exec, s[28:29]
	s_cbranch_execz .LBB94_404
; %bb.175:
	v_bfe_u32 v5, v4, 20, 1
	s_mov_b32 s34, 0x487ffff
	v_add3_u32 v5, v4, v5, s34
	s_mov_b64 s[24:25], exec
	v_lshrrev_b32_e32 v5, 20, v5
	s_andn2_saveexec_b64 s[28:29], s[28:29]
	s_cbranch_execnz .LBB94_405
.LBB94_176:
	s_or_b64 exec, exec, s[28:29]
	v_mov_b32_e32 v6, 0
	s_and_saveexec_b64 s[28:29], s[24:25]
.LBB94_177:
	v_lshrrev_b32_e32 v4, 24, v4
	s_movk_i32 s24, 0x80
	v_and_or_b32 v6, v4, s24, v5
.LBB94_178:
	s_or_b64 exec, exec, s[28:29]
.LBB94_179:
	s_or_b64 exec, exec, s[6:7]
	global_store_byte v[2:3], v6, off
.LBB94_180:
	s_mov_b64 s[6:7], -1
.LBB94_181:
	s_mov_b64 s[24:25], 0
.LBB94_182:
	s_and_b64 vcc, exec, s[24:25]
	s_cbranch_vccz .LBB94_223
; %bb.183:
	s_cmp_gt_i32 s31, 22
	s_mov_b64 s[24:25], -1
	s_cbranch_scc0 .LBB94_215
; %bb.184:
	s_cmp_lt_i32 s31, 24
	s_mov_b64 s[6:7], -1
	s_cbranch_scc1 .LBB94_204
; %bb.185:
	s_cmp_gt_i32 s31, 24
	s_cbranch_scc0 .LBB94_193
; %bb.186:
	v_xor_b32_e32 v5, v0, v1
	v_ffbh_i32_e32 v4, v1
	v_ashrrev_i32_e32 v5, 31, v5
	v_add_u32_e32 v4, -1, v4
	v_add_u32_e32 v5, 32, v5
	v_min_u32_e32 v6, v4, v5
	v_lshlrev_b64 v[4:5], v6, v[0:1]
	s_mov_b32 s6, 0x47800000
	v_min_u32_e32 v4, 1, v4
	v_or_b32_e32 v4, v5, v4
	v_cvt_f32_i32_e32 v4, v4
	v_sub_u32_e32 v5, 32, v6
	v_mov_b32_e32 v6, 0x80
	v_ldexp_f32 v4, v4, v5
	v_and_b32_e32 v5, 0x7fffffff, v4
	v_cmp_gt_u32_e32 vcc, s6, v5
	s_and_saveexec_b64 s[6:7], vcc
	s_cbranch_execz .LBB94_192
; %bb.187:
	s_mov_b32 s24, 0x37ffffff
	v_cmp_lt_u32_e32 vcc, s24, v5
	s_mov_b64 s[24:25], 0
                                        ; implicit-def: $vgpr5
	s_and_saveexec_b64 s[28:29], vcc
	s_xor_b64 s[28:29], exec, s[28:29]
	s_cbranch_execz .LBB94_519
; %bb.188:
	v_bfe_u32 v5, v4, 21, 1
	s_mov_b32 s34, 0x88fffff
	v_add3_u32 v5, v4, v5, s34
	s_mov_b64 s[24:25], exec
	v_lshrrev_b32_e32 v5, 21, v5
	s_andn2_saveexec_b64 s[28:29], s[28:29]
	s_cbranch_execnz .LBB94_520
.LBB94_189:
	s_or_b64 exec, exec, s[28:29]
	v_mov_b32_e32 v6, 0
	s_and_saveexec_b64 s[28:29], s[24:25]
.LBB94_190:
	v_lshrrev_b32_e32 v4, 24, v4
	s_movk_i32 s24, 0x80
	v_and_or_b32 v6, v4, s24, v5
.LBB94_191:
	s_or_b64 exec, exec, s[28:29]
.LBB94_192:
	s_or_b64 exec, exec, s[6:7]
	s_mov_b64 s[6:7], 0
	global_store_byte v[2:3], v6, off
.LBB94_193:
	s_and_b64 vcc, exec, s[6:7]
	s_cbranch_vccz .LBB94_203
; %bb.194:
	v_xor_b32_e32 v5, v0, v1
	v_ffbh_i32_e32 v4, v1
	v_ashrrev_i32_e32 v5, 31, v5
	v_add_u32_e32 v4, -1, v4
	v_add_u32_e32 v5, 32, v5
	v_min_u32_e32 v6, v4, v5
	v_lshlrev_b64 v[4:5], v6, v[0:1]
	s_mov_b32 s6, 0x43f00000
	v_min_u32_e32 v4, 1, v4
	v_or_b32_e32 v4, v5, v4
	v_cvt_f32_i32_e32 v4, v4
	v_sub_u32_e32 v5, 32, v6
	v_ldexp_f32 v4, v4, v5
	v_and_b32_e32 v6, 0x7fffffff, v4
	v_cmp_gt_u32_e32 vcc, s6, v6
                                        ; implicit-def: $vgpr5
	s_and_saveexec_b64 s[6:7], vcc
	s_xor_b64 s[6:7], exec, s[6:7]
	s_cbranch_execz .LBB94_200
; %bb.195:
	s_mov_b32 s24, 0x3c7fffff
	v_cmp_lt_u32_e32 vcc, s24, v6
                                        ; implicit-def: $vgpr5
	s_and_saveexec_b64 s[24:25], vcc
	s_xor_b64 s[24:25], exec, s[24:25]
; %bb.196:
	v_bfe_u32 v5, v4, 20, 1
	s_mov_b32 s28, 0x407ffff
	v_add3_u32 v5, v4, v5, s28
	v_lshrrev_b32_e32 v6, 20, v5
	v_and_b32_e32 v5, 0xff00000, v5
	s_mov_b32 s28, 0x7f00000
	v_mov_b32_e32 v7, 0x7e
	v_cmp_ne_u32_e32 vcc, s28, v5
	v_cndmask_b32_e32 v5, v7, v6, vcc
; %bb.197:
	s_andn2_saveexec_b64 s[24:25], s[24:25]
; %bb.198:
	s_mov_b32 s28, 0x46800000
	v_add_f32_e64 v5, |v4|, s28
; %bb.199:
	s_or_b64 exec, exec, s[24:25]
                                        ; implicit-def: $vgpr6
.LBB94_200:
	s_andn2_saveexec_b64 s[6:7], s[6:7]
; %bb.201:
	s_mov_b32 s24, 0x7f800000
	v_mov_b32_e32 v5, 0x7e
	v_mov_b32_e32 v7, 0x7f
	v_cmp_lt_u32_e32 vcc, s24, v6
	v_cndmask_b32_e32 v5, v5, v7, vcc
; %bb.202:
	s_or_b64 exec, exec, s[6:7]
	v_lshrrev_b32_e32 v4, 24, v4
	s_movk_i32 s6, 0x80
	v_and_or_b32 v4, v4, s6, v5
	global_store_byte v[2:3], v4, off
.LBB94_203:
	s_mov_b64 s[6:7], 0
.LBB94_204:
	s_andn2_b64 vcc, exec, s[6:7]
	s_cbranch_vccnz .LBB94_214
; %bb.205:
	v_xor_b32_e32 v5, v0, v1
	v_ffbh_i32_e32 v4, v1
	v_ashrrev_i32_e32 v5, 31, v5
	v_add_u32_e32 v4, -1, v4
	v_add_u32_e32 v5, 32, v5
	v_min_u32_e32 v6, v4, v5
	v_lshlrev_b64 v[4:5], v6, v[0:1]
	s_mov_b32 s6, 0x47800000
	v_min_u32_e32 v4, 1, v4
	v_or_b32_e32 v4, v5, v4
	v_cvt_f32_i32_e32 v4, v4
	v_sub_u32_e32 v5, 32, v6
	v_ldexp_f32 v4, v4, v5
	v_and_b32_e32 v6, 0x7fffffff, v4
	v_cmp_gt_u32_e32 vcc, s6, v6
                                        ; implicit-def: $vgpr5
	s_and_saveexec_b64 s[6:7], vcc
	s_xor_b64 s[6:7], exec, s[6:7]
	s_cbranch_execz .LBB94_211
; %bb.206:
	s_mov_b32 s24, 0x387fffff
	v_cmp_lt_u32_e32 vcc, s24, v6
                                        ; implicit-def: $vgpr5
	s_and_saveexec_b64 s[24:25], vcc
	s_xor_b64 s[24:25], exec, s[24:25]
; %bb.207:
	v_bfe_u32 v5, v4, 21, 1
	s_mov_b32 s28, 0x80fffff
	v_add3_u32 v5, v4, v5, s28
	v_lshrrev_b32_e32 v5, 21, v5
; %bb.208:
	s_andn2_saveexec_b64 s[24:25], s[24:25]
; %bb.209:
	s_mov_b32 s28, 0x43000000
	v_add_f32_e64 v5, |v4|, s28
; %bb.210:
	s_or_b64 exec, exec, s[24:25]
                                        ; implicit-def: $vgpr6
.LBB94_211:
	s_andn2_saveexec_b64 s[6:7], s[6:7]
; %bb.212:
	s_mov_b32 s24, 0x7f800000
	v_mov_b32_e32 v5, 0x7c
	v_mov_b32_e32 v7, 0x7f
	v_cmp_lt_u32_e32 vcc, s24, v6
	v_cndmask_b32_e32 v5, v5, v7, vcc
; %bb.213:
	s_or_b64 exec, exec, s[6:7]
	v_lshrrev_b32_e32 v4, 24, v4
	s_movk_i32 s6, 0x80
	v_and_or_b32 v4, v4, s6, v5
	global_store_byte v[2:3], v4, off
.LBB94_214:
	s_mov_b64 s[24:25], 0
	s_mov_b64 s[6:7], -1
.LBB94_215:
	s_andn2_b64 vcc, exec, s[24:25]
	s_cbranch_vccnz .LBB94_223
; %bb.216:
	s_cmp_gt_i32 s31, 14
	s_mov_b64 s[24:25], -1
	s_cbranch_scc0 .LBB94_220
; %bb.217:
	s_cmp_eq_u32 s31, 15
	s_mov_b64 s[0:1], -1
	s_cbranch_scc0 .LBB94_219
; %bb.218:
	v_xor_b32_e32 v5, v0, v1
	v_ffbh_i32_e32 v4, v1
	v_ashrrev_i32_e32 v5, 31, v5
	v_add_u32_e32 v4, -1, v4
	v_add_u32_e32 v5, 32, v5
	v_min_u32_e32 v6, v4, v5
	v_lshlrev_b64 v[4:5], v6, v[0:1]
	s_movk_i32 s0, 0x7fff
	v_min_u32_e32 v4, 1, v4
	v_or_b32_e32 v4, v5, v4
	v_cvt_f32_i32_e32 v4, v4
	v_sub_u32_e32 v5, 32, v6
	s_mov_b64 s[6:7], -1
	v_ldexp_f32 v4, v4, v5
	v_bfe_u32 v5, v4, 16, 1
	v_add3_u32 v4, v4, v5, s0
	global_store_short_d16_hi v[2:3], v4, off
	s_mov_b64 s[0:1], 0
.LBB94_219:
	s_mov_b64 s[24:25], 0
.LBB94_220:
	s_and_b64 vcc, exec, s[24:25]
	s_cbranch_vccz .LBB94_223
; %bb.221:
	s_cmp_eq_u32 s31, 11
	s_mov_b64 s[0:1], -1
	s_cbranch_scc0 .LBB94_223
; %bb.222:
	v_cmp_ne_u64_e32 vcc, 0, v[0:1]
	s_mov_b64 s[0:1], 0
	v_cndmask_b32_e64 v4, 0, 1, vcc
	s_mov_b64 s[6:7], -1
	global_store_byte v[2:3], v4, off
.LBB94_223:
	s_mov_b64 s[24:25], 0
.LBB94_224:
	s_and_b64 vcc, exec, s[24:25]
	s_cbranch_vccz .LBB94_263
; %bb.225:
	s_and_b32 s24, 0xffff, s30
	s_cmp_lt_i32 s24, 5
	s_mov_b64 s[6:7], -1
	s_cbranch_scc1 .LBB94_246
; %bb.226:
	s_cmp_lt_i32 s24, 8
	s_cbranch_scc1 .LBB94_236
; %bb.227:
	s_cmp_lt_i32 s24, 9
	s_cbranch_scc1 .LBB94_233
; %bb.228:
	s_cmp_gt_i32 s24, 9
	s_cbranch_scc0 .LBB94_230
; %bb.229:
	v_cvt_f64_i32_e32 v[4:5], v1
	v_cvt_f64_u32_e32 v[6:7], v0
	s_mov_b64 s[6:7], 0
	v_ldexp_f64 v[4:5], v[4:5], 32
	v_add_f64 v[4:5], v[4:5], v[6:7]
	v_mov_b32_e32 v6, 0
	v_mov_b32_e32 v7, v6
	global_store_dwordx4 v[2:3], v[4:7], off
.LBB94_230:
	s_andn2_b64 vcc, exec, s[6:7]
	s_cbranch_vccnz .LBB94_232
; %bb.231:
	v_xor_b32_e32 v5, v0, v1
	v_ffbh_i32_e32 v4, v1
	v_ashrrev_i32_e32 v5, 31, v5
	v_add_u32_e32 v4, -1, v4
	v_add_u32_e32 v5, 32, v5
	v_min_u32_e32 v6, v4, v5
	v_lshlrev_b64 v[4:5], v6, v[0:1]
	v_min_u32_e32 v4, 1, v4
	v_or_b32_e32 v4, v5, v4
	v_cvt_f32_i32_e32 v4, v4
	v_sub_u32_e32 v5, 32, v6
	v_ldexp_f32 v4, v4, v5
	v_mov_b32_e32 v5, 0
	global_store_dwordx2 v[2:3], v[4:5], off
.LBB94_232:
	s_mov_b64 s[6:7], 0
.LBB94_233:
	s_andn2_b64 vcc, exec, s[6:7]
	s_cbranch_vccnz .LBB94_235
; %bb.234:
	v_xor_b32_e32 v5, v0, v1
	v_ffbh_i32_e32 v4, v1
	v_ashrrev_i32_e32 v5, 31, v5
	v_add_u32_e32 v4, -1, v4
	v_add_u32_e32 v5, 32, v5
	v_min_u32_e32 v6, v4, v5
	v_lshlrev_b64 v[4:5], v6, v[0:1]
	v_min_u32_e32 v4, 1, v4
	v_or_b32_e32 v4, v5, v4
	v_cvt_f32_i32_e32 v4, v4
	v_sub_u32_e32 v5, 32, v6
	v_ldexp_f32 v4, v4, v5
	v_cvt_f16_f32_e32 v4, v4
	global_store_dword v[2:3], v4, off
.LBB94_235:
	s_mov_b64 s[6:7], 0
.LBB94_236:
	s_andn2_b64 vcc, exec, s[6:7]
	s_cbranch_vccnz .LBB94_245
; %bb.237:
	s_cmp_lt_i32 s24, 6
	s_mov_b64 s[6:7], -1
	s_cbranch_scc1 .LBB94_243
; %bb.238:
	s_cmp_gt_i32 s24, 6
	s_cbranch_scc0 .LBB94_240
; %bb.239:
	v_cvt_f64_i32_e32 v[4:5], v1
	v_cvt_f64_u32_e32 v[6:7], v0
	s_mov_b64 s[6:7], 0
	v_ldexp_f64 v[4:5], v[4:5], 32
	v_add_f64 v[4:5], v[4:5], v[6:7]
	global_store_dwordx2 v[2:3], v[4:5], off
.LBB94_240:
	s_andn2_b64 vcc, exec, s[6:7]
	s_cbranch_vccnz .LBB94_242
; %bb.241:
	v_xor_b32_e32 v5, v0, v1
	v_ffbh_i32_e32 v4, v1
	v_ashrrev_i32_e32 v5, 31, v5
	v_add_u32_e32 v4, -1, v4
	v_add_u32_e32 v5, 32, v5
	v_min_u32_e32 v6, v4, v5
	v_lshlrev_b64 v[4:5], v6, v[0:1]
	v_min_u32_e32 v4, 1, v4
	v_or_b32_e32 v4, v5, v4
	v_cvt_f32_i32_e32 v4, v4
	v_sub_u32_e32 v5, 32, v6
	v_ldexp_f32 v4, v4, v5
	global_store_dword v[2:3], v4, off
.LBB94_242:
	s_mov_b64 s[6:7], 0
.LBB94_243:
	s_andn2_b64 vcc, exec, s[6:7]
	s_cbranch_vccnz .LBB94_245
; %bb.244:
	v_xor_b32_e32 v5, v0, v1
	v_ffbh_i32_e32 v4, v1
	v_ashrrev_i32_e32 v5, 31, v5
	v_add_u32_e32 v4, -1, v4
	v_add_u32_e32 v5, 32, v5
	v_min_u32_e32 v6, v4, v5
	v_lshlrev_b64 v[4:5], v6, v[0:1]
	v_min_u32_e32 v4, 1, v4
	v_or_b32_e32 v4, v5, v4
	v_cvt_f32_i32_e32 v4, v4
	v_sub_u32_e32 v5, 32, v6
	v_ldexp_f32 v4, v4, v5
	v_cvt_f16_f32_e32 v4, v4
	global_store_short v[2:3], v4, off
.LBB94_245:
	s_mov_b64 s[6:7], 0
.LBB94_246:
	s_andn2_b64 vcc, exec, s[6:7]
	s_cbranch_vccnz .LBB94_262
; %bb.247:
	s_cmp_lt_i32 s24, 2
	s_mov_b64 s[6:7], -1
	s_cbranch_scc1 .LBB94_257
; %bb.248:
	s_cmp_lt_i32 s24, 3
	s_cbranch_scc1 .LBB94_254
; %bb.249:
	s_cmp_gt_i32 s24, 3
	s_cbranch_scc0 .LBB94_251
; %bb.250:
	global_store_dwordx2 v[2:3], v[0:1], off
	s_mov_b64 s[6:7], 0
.LBB94_251:
	s_andn2_b64 vcc, exec, s[6:7]
	s_cbranch_vccnz .LBB94_253
; %bb.252:
	global_store_dword v[2:3], v0, off
.LBB94_253:
	s_mov_b64 s[6:7], 0
.LBB94_254:
	s_andn2_b64 vcc, exec, s[6:7]
	s_cbranch_vccnz .LBB94_256
; %bb.255:
	global_store_short v[2:3], v0, off
.LBB94_256:
	s_mov_b64 s[6:7], 0
.LBB94_257:
	s_andn2_b64 vcc, exec, s[6:7]
	s_cbranch_vccnz .LBB94_262
; %bb.258:
	s_cmp_gt_i32 s24, 0
	s_mov_b64 s[6:7], -1
	s_cbranch_scc0 .LBB94_260
; %bb.259:
	global_store_byte v[2:3], v0, off
	s_mov_b64 s[6:7], 0
.LBB94_260:
	s_andn2_b64 vcc, exec, s[6:7]
	s_cbranch_vccnz .LBB94_262
; %bb.261:
	global_store_byte v[2:3], v0, off
.LBB94_262:
	s_mov_b64 s[6:7], -1
.LBB94_263:
	s_andn2_b64 vcc, exec, s[6:7]
	s_cbranch_vccnz .LBB94_265
; %bb.264:
	v_add_u32_e32 v18, 0x80, v18
	s_mov_b64 s[24:25], -1
	s_branch .LBB94_374
.LBB94_265:
	s_mov_b64 s[24:25], 0
                                        ; implicit-def: $vgpr18
	s_branch .LBB94_374
.LBB94_266:
	s_mov_b64 s[18:19], -1
                                        ; implicit-def: $vgpr4_vgpr5
.LBB94_267:
	s_mov_b64 s[6:7], 0
.LBB94_268:
	s_and_b64 vcc, exec, s[6:7]
	s_cbranch_vccz .LBB94_272
; %bb.269:
	s_cmp_eq_u32 s25, 29
	s_cbranch_scc0 .LBB94_271
; %bb.270:
	global_load_dwordx2 v[4:5], v[2:3], off
	s_mov_b64 s[0:1], -1
	s_mov_b64 s[18:19], 0
	s_branch .LBB94_272
.LBB94_271:
	s_mov_b64 s[18:19], -1
                                        ; implicit-def: $vgpr4_vgpr5
.LBB94_272:
	s_mov_b64 s[6:7], 0
.LBB94_273:
	s_and_b64 vcc, exec, s[6:7]
	s_cbranch_vccz .LBB94_291
; %bb.274:
	s_cmp_lt_i32 s25, 27
	s_cbranch_scc1 .LBB94_277
; %bb.275:
	s_cmp_gt_i32 s25, 27
	s_cbranch_scc0 .LBB94_278
; %bb.276:
	global_load_dword v4, v[2:3], off
	s_waitcnt vmcnt(1)
	v_mov_b32_e32 v5, 0
	s_mov_b64 s[0:1], 0
	s_branch .LBB94_279
.LBB94_277:
	s_mov_b64 s[0:1], -1
                                        ; implicit-def: $vgpr4_vgpr5
	s_branch .LBB94_282
.LBB94_278:
	s_mov_b64 s[0:1], -1
                                        ; implicit-def: $vgpr4_vgpr5
.LBB94_279:
	s_andn2_b64 vcc, exec, s[0:1]
	s_cbranch_vccnz .LBB94_281
; %bb.280:
	global_load_ushort v4, v[2:3], off
	s_mov_b32 s0, 0
	s_waitcnt vmcnt(1)
	v_mov_b32_e32 v5, s0
	s_waitcnt vmcnt(0)
	v_and_b32_e32 v4, 0xffff, v4
.LBB94_281:
	s_mov_b64 s[0:1], 0
.LBB94_282:
	s_andn2_b64 vcc, exec, s[0:1]
	s_cbranch_vccnz .LBB94_290
; %bb.283:
	global_load_ubyte v6, v[2:3], off
	s_movk_i32 s0, 0x7f
	s_mov_b64 s[6:7], 0
	s_waitcnt vmcnt(0)
	v_cmp_lt_i16_e32 vcc, s0, v6
	s_and_saveexec_b64 s[0:1], vcc
	s_xor_b64 s[0:1], exec, s[0:1]
; %bb.284:
	s_movk_i32 s6, 0x80
	v_cmp_ne_u16_e32 vcc, s6, v6
	s_and_b64 s[6:7], vcc, exec
; %bb.285:
	s_andn2_saveexec_b64 s[0:1], s[0:1]
; %bb.286:
	v_cmp_ne_u16_e32 vcc, 0, v6
	s_andn2_b64 s[6:7], s[6:7], exec
	s_and_b64 s[28:29], vcc, exec
	s_or_b64 s[6:7], s[6:7], s[28:29]
; %bb.287:
	s_or_b64 exec, exec, s[0:1]
	v_mov_b32_e32 v4, 0
	v_mov_b32_e32 v5, 0
	s_and_saveexec_b64 s[0:1], s[6:7]
	s_cbranch_execz .LBB94_289
; %bb.288:
	v_and_b32_e32 v5, 0xffff, v6
	v_lshlrev_b32_e32 v4, 24, v6
	v_and_b32_e32 v6, 7, v5
	v_ffbh_u32_e32 v8, v6
	v_min_u32_e32 v8, 32, v8
	v_subrev_u32_e32 v9, 28, v8
	v_bfe_u32 v7, v5, 3, 4
	v_lshlrev_b32_e32 v5, v9, v5
	v_sub_u32_e32 v8, 29, v8
	v_and_b32_e32 v5, 7, v5
	v_cmp_eq_u32_e32 vcc, 0, v7
	v_cndmask_b32_e32 v7, v7, v8, vcc
	v_cndmask_b32_e32 v5, v6, v5, vcc
	v_mov_b32_e32 v6, 0x3b800000
	v_lshlrev_b32_e32 v5, 20, v5
	v_and_b32_e32 v4, 0x80000000, v4
	v_lshl_add_u32 v6, v7, 23, v6
	v_or3_b32 v4, v4, v6, v5
	v_trunc_f32_e32 v4, v4
	s_mov_b32 s6, 0x2f800000
	v_mul_f32_e64 v5, |v4|, s6
	v_floor_f32_e32 v5, v5
	s_mov_b32 s6, 0xcf800000
	v_fma_f32 v6, v5, s6, |v4|
	v_cvt_u32_f32_e32 v6, v6
	v_cvt_u32_f32_e32 v5, v5
	v_ashrrev_i32_e32 v7, 31, v4
	v_xor_b32_e32 v4, v6, v7
	v_xor_b32_e32 v5, v5, v7
	v_sub_co_u32_e32 v4, vcc, v4, v7
	v_subb_co_u32_e32 v5, vcc, v5, v7, vcc
.LBB94_289:
	s_or_b64 exec, exec, s[0:1]
.LBB94_290:
	s_mov_b64 s[0:1], -1
.LBB94_291:
	s_mov_b64 s[6:7], 0
.LBB94_292:
	s_and_b64 vcc, exec, s[6:7]
	s_cbranch_vccz .LBB94_323
; %bb.293:
	s_cmp_gt_i32 s25, 22
	s_cbranch_scc0 .LBB94_303
; %bb.294:
	s_cmp_lt_i32 s25, 24
	s_cbranch_scc1 .LBB94_304
; %bb.295:
	s_cmp_gt_i32 s25, 24
	s_cbranch_scc0 .LBB94_305
; %bb.296:
	global_load_ubyte v6, v[2:3], off
	s_movk_i32 s0, 0x7f
	s_mov_b64 s[6:7], 0
	s_waitcnt vmcnt(0)
	v_cmp_lt_i16_e32 vcc, s0, v6
	s_and_saveexec_b64 s[0:1], vcc
	s_xor_b64 s[0:1], exec, s[0:1]
; %bb.297:
	s_movk_i32 s6, 0x80
	v_cmp_ne_u16_e32 vcc, s6, v6
	s_and_b64 s[6:7], vcc, exec
; %bb.298:
	s_andn2_saveexec_b64 s[0:1], s[0:1]
; %bb.299:
	v_cmp_ne_u16_e32 vcc, 0, v6
	s_andn2_b64 s[6:7], s[6:7], exec
	s_and_b64 s[28:29], vcc, exec
	s_or_b64 s[6:7], s[6:7], s[28:29]
; %bb.300:
	s_or_b64 exec, exec, s[0:1]
	v_mov_b32_e32 v4, 0
	v_mov_b32_e32 v5, 0
	s_and_saveexec_b64 s[0:1], s[6:7]
	s_cbranch_execz .LBB94_302
; %bb.301:
	v_and_b32_e32 v5, 0xffff, v6
	v_lshlrev_b32_e32 v4, 24, v6
	v_and_b32_e32 v6, 3, v5
	v_ffbh_u32_e32 v8, v6
	v_min_u32_e32 v8, 32, v8
	v_subrev_u32_e32 v9, 29, v8
	v_bfe_u32 v7, v5, 2, 5
	v_lshlrev_b32_e32 v5, v9, v5
	v_sub_u32_e32 v8, 30, v8
	v_and_b32_e32 v5, 3, v5
	v_cmp_eq_u32_e32 vcc, 0, v7
	v_cndmask_b32_e32 v7, v7, v8, vcc
	v_cndmask_b32_e32 v5, v6, v5, vcc
	v_mov_b32_e32 v6, 0x37800000
	v_lshlrev_b32_e32 v5, 21, v5
	v_and_b32_e32 v4, 0x80000000, v4
	v_lshl_add_u32 v6, v7, 23, v6
	v_or3_b32 v4, v4, v6, v5
	v_trunc_f32_e32 v4, v4
	s_mov_b32 s6, 0x2f800000
	v_mul_f32_e64 v5, |v4|, s6
	v_floor_f32_e32 v5, v5
	s_mov_b32 s6, 0xcf800000
	v_fma_f32 v6, v5, s6, |v4|
	v_cvt_u32_f32_e32 v6, v6
	v_cvt_u32_f32_e32 v5, v5
	v_ashrrev_i32_e32 v7, 31, v4
	v_xor_b32_e32 v4, v6, v7
	v_xor_b32_e32 v5, v5, v7
	v_sub_co_u32_e32 v4, vcc, v4, v7
	v_subb_co_u32_e32 v5, vcc, v5, v7, vcc
.LBB94_302:
	s_or_b64 exec, exec, s[0:1]
	s_mov_b64 s[0:1], 0
	s_branch .LBB94_306
.LBB94_303:
	s_mov_b64 s[6:7], -1
                                        ; implicit-def: $vgpr4_vgpr5
	s_branch .LBB94_312
.LBB94_304:
	s_mov_b64 s[0:1], -1
                                        ; implicit-def: $vgpr4_vgpr5
	s_branch .LBB94_309
.LBB94_305:
	s_mov_b64 s[0:1], -1
                                        ; implicit-def: $vgpr4_vgpr5
.LBB94_306:
	s_and_b64 vcc, exec, s[0:1]
	s_cbranch_vccz .LBB94_308
; %bb.307:
	global_load_ubyte v4, v[2:3], off
	s_mov_b32 s0, 0x7f800000
	s_brev_b32 s1, 1
	s_mov_b32 s6, 0x2f800000
	s_mov_b32 s7, 0xcf800000
	s_waitcnt vmcnt(0)
	v_lshlrev_b32_e32 v4, 24, v4
	v_and_b32_e32 v5, 0x7f000000, v4
	v_ffbh_u32_e32 v6, v5
	v_min_u32_e32 v6, 32, v6
	v_sub_u32_e64 v6, v6, 4 clamp
	v_lshlrev_b32_e32 v8, v6, v5
	v_lshlrev_b32_e32 v6, 23, v6
	v_lshrrev_b32_e32 v8, 4, v8
	v_add_u32_e32 v7, 0x1000000, v5
	v_sub_u32_e32 v6, v8, v6
	v_ashrrev_i32_e32 v7, 8, v7
	v_add_u32_e32 v6, 0x3c000000, v6
	v_and_or_b32 v6, v7, s0, v6
	v_cmp_ne_u32_e32 vcc, 0, v5
	v_cndmask_b32_e32 v5, 0, v6, vcc
	v_and_or_b32 v4, v4, s1, v5
	v_trunc_f32_e32 v4, v4
	v_mul_f32_e64 v5, |v4|, s6
	v_floor_f32_e32 v5, v5
	v_fma_f32 v6, v5, s7, |v4|
	v_cvt_u32_f32_e32 v6, v6
	v_cvt_u32_f32_e32 v5, v5
	v_ashrrev_i32_e32 v7, 31, v4
	v_xor_b32_e32 v4, v6, v7
	v_xor_b32_e32 v5, v5, v7
	v_sub_co_u32_e32 v4, vcc, v4, v7
	v_subb_co_u32_e32 v5, vcc, v5, v7, vcc
.LBB94_308:
	s_mov_b64 s[0:1], 0
.LBB94_309:
	s_andn2_b64 vcc, exec, s[0:1]
	s_cbranch_vccnz .LBB94_311
; %bb.310:
	global_load_ubyte v4, v[2:3], off
	s_movk_i32 s0, 0x7f00
	s_brev_b32 s1, 16
	s_brev_b32 s6, 1
	s_mov_b32 s7, 0x2f800000
	s_mov_b32 s28, 0xcf800000
	s_waitcnt vmcnt(0)
	v_lshlrev_b16_e32 v5, 8, v4
	v_lshlrev_b32_e32 v4, 25, v4
	v_lshrrev_b32_e32 v6, 4, v4
	v_and_or_b32 v7, v5, s0, 0.5
	v_or_b32_e32 v6, 0x70000000, v6
	v_add_f32_e32 v7, -0.5, v7
	v_mul_f32_e32 v6, 0x7800000, v6
	v_cmp_gt_u32_e32 vcc, s1, v4
	v_bfe_i32 v5, v5, 0, 16
	v_cndmask_b32_e32 v4, v6, v7, vcc
	v_and_or_b32 v4, v5, s6, v4
	v_trunc_f32_e32 v4, v4
	v_mul_f32_e64 v5, |v4|, s7
	v_floor_f32_e32 v5, v5
	v_fma_f32 v6, v5, s28, |v4|
	v_cvt_u32_f32_e32 v6, v6
	v_cvt_u32_f32_e32 v5, v5
	v_ashrrev_i32_e32 v7, 31, v4
	v_xor_b32_e32 v4, v6, v7
	v_xor_b32_e32 v5, v5, v7
	v_sub_co_u32_e32 v4, vcc, v4, v7
	v_subb_co_u32_e32 v5, vcc, v5, v7, vcc
.LBB94_311:
	s_mov_b64 s[6:7], 0
	s_mov_b64 s[0:1], -1
.LBB94_312:
	s_andn2_b64 vcc, exec, s[6:7]
	s_cbranch_vccnz .LBB94_323
; %bb.313:
	s_cmp_gt_i32 s25, 14
	s_cbranch_scc0 .LBB94_316
; %bb.314:
	s_cmp_eq_u32 s25, 15
	s_cbranch_scc0 .LBB94_317
; %bb.315:
	global_load_ushort v4, v[2:3], off
	s_mov_b32 s0, 0x2f800000
	s_mov_b32 s1, 0xcf800000
	s_mov_b64 s[18:19], 0
	s_waitcnt vmcnt(0)
	v_lshlrev_b32_e32 v4, 16, v4
	v_trunc_f32_e32 v4, v4
	v_mul_f32_e64 v5, |v4|, s0
	v_floor_f32_e32 v5, v5
	v_fma_f32 v6, v5, s1, |v4|
	v_cvt_u32_f32_e32 v6, v6
	v_cvt_u32_f32_e32 v5, v5
	v_ashrrev_i32_e32 v7, 31, v4
	s_mov_b64 s[0:1], -1
	v_xor_b32_e32 v4, v6, v7
	v_xor_b32_e32 v5, v5, v7
	v_sub_co_u32_e32 v4, vcc, v4, v7
	v_subb_co_u32_e32 v5, vcc, v5, v7, vcc
	s_branch .LBB94_318
.LBB94_316:
	s_mov_b64 s[6:7], -1
                                        ; implicit-def: $vgpr4_vgpr5
	s_branch .LBB94_319
.LBB94_317:
	s_mov_b64 s[18:19], -1
                                        ; implicit-def: $vgpr4_vgpr5
.LBB94_318:
	s_mov_b64 s[6:7], 0
.LBB94_319:
	s_and_b64 vcc, exec, s[6:7]
	s_cbranch_vccz .LBB94_323
; %bb.320:
	s_cmp_eq_u32 s25, 11
	s_cbranch_scc0 .LBB94_322
; %bb.321:
	global_load_ubyte v4, v[2:3], off
	s_mov_b32 s6, 0
	s_mov_b64 s[0:1], -1
	s_waitcnt vmcnt(1)
	v_mov_b32_e32 v5, s6
	s_mov_b64 s[18:19], 0
	s_waitcnt vmcnt(0)
	v_cmp_ne_u16_e32 vcc, 0, v4
	v_cndmask_b32_e64 v4, 0, 1, vcc
	s_branch .LBB94_323
.LBB94_322:
	s_mov_b64 s[18:19], -1
                                        ; implicit-def: $vgpr4_vgpr5
.LBB94_323:
	s_branch .LBB94_20
.LBB94_324:
	s_and_b32 s6, 0xffff, s24
	s_cmp_lt_i32 s6, 5
	s_cbranch_scc1 .LBB94_329
; %bb.325:
	s_cmp_lt_i32 s6, 8
	s_cbranch_scc1 .LBB94_330
; %bb.326:
	;; [unrolled: 3-line block ×3, first 2 shown]
	s_cmp_gt_i32 s6, 9
	s_cbranch_scc0 .LBB94_332
; %bb.328:
	global_load_dwordx2 v[4:5], v[2:3], off
	s_movk_i32 s0, 0xffe0
	s_waitcnt vmcnt(0)
	v_trunc_f64_e32 v[4:5], v[4:5]
	v_ldexp_f64 v[6:7], v[4:5], s0
	s_mov_b32 s0, 0
	s_mov_b32 s1, 0xc1f00000
	v_floor_f64_e32 v[6:7], v[6:7]
	v_fma_f64 v[8:9], v[6:7], s[0:1], v[4:5]
	v_cvt_i32_f64_e32 v5, v[6:7]
	s_mov_b64 s[0:1], 0
	v_cvt_u32_f64_e32 v4, v[8:9]
	s_branch .LBB94_333
.LBB94_329:
	s_mov_b64 s[0:1], -1
                                        ; implicit-def: $vgpr4_vgpr5
	s_branch .LBB94_351
.LBB94_330:
	s_mov_b64 s[0:1], -1
                                        ; implicit-def: $vgpr4_vgpr5
	s_branch .LBB94_339
.LBB94_331:
	s_mov_b64 s[0:1], -1
                                        ; implicit-def: $vgpr4_vgpr5
	s_branch .LBB94_336
.LBB94_332:
	s_mov_b64 s[0:1], -1
                                        ; implicit-def: $vgpr4_vgpr5
.LBB94_333:
	s_andn2_b64 vcc, exec, s[0:1]
	s_cbranch_vccnz .LBB94_335
; %bb.334:
	global_load_dword v4, v[2:3], off
	s_mov_b32 s0, 0x2f800000
	s_mov_b32 s1, 0xcf800000
	s_waitcnt vmcnt(0)
	v_trunc_f32_e32 v4, v4
	v_mul_f32_e64 v5, |v4|, s0
	v_floor_f32_e32 v5, v5
	v_cvt_u32_f32_e32 v6, v5
	v_fma_f32 v5, v5, s1, |v4|
	v_cvt_u32_f32_e32 v5, v5
	v_ashrrev_i32_e32 v7, 31, v4
	v_xor_b32_e32 v6, v6, v7
	v_xor_b32_e32 v4, v5, v7
	v_sub_co_u32_e32 v4, vcc, v4, v7
	v_subb_co_u32_e32 v5, vcc, v6, v7, vcc
.LBB94_335:
	s_mov_b64 s[0:1], 0
.LBB94_336:
	s_andn2_b64 vcc, exec, s[0:1]
	s_cbranch_vccnz .LBB94_338
; %bb.337:
	global_load_dword v4, v[2:3], off
	s_waitcnt vmcnt(0)
	v_cvt_f32_f16_e32 v4, v4
	v_cvt_i32_f32_e32 v4, v4
	v_ashrrev_i32_e32 v5, 31, v4
.LBB94_338:
	s_mov_b64 s[0:1], 0
.LBB94_339:
	s_andn2_b64 vcc, exec, s[0:1]
	s_cbranch_vccnz .LBB94_350
; %bb.340:
	s_cmp_lt_i32 s6, 6
	s_cbranch_scc1 .LBB94_343
; %bb.341:
	s_cmp_gt_i32 s6, 6
	s_cbranch_scc0 .LBB94_344
; %bb.342:
	global_load_dwordx2 v[4:5], v[2:3], off
	s_movk_i32 s0, 0xffe0
	s_waitcnt vmcnt(0)
	v_trunc_f64_e32 v[4:5], v[4:5]
	v_ldexp_f64 v[6:7], v[4:5], s0
	s_mov_b32 s0, 0
	s_mov_b32 s1, 0xc1f00000
	v_floor_f64_e32 v[6:7], v[6:7]
	v_fma_f64 v[8:9], v[6:7], s[0:1], v[4:5]
	v_cvt_i32_f64_e32 v5, v[6:7]
	s_mov_b64 s[0:1], 0
	v_cvt_u32_f64_e32 v4, v[8:9]
	s_branch .LBB94_345
.LBB94_343:
	s_mov_b64 s[0:1], -1
                                        ; implicit-def: $vgpr4_vgpr5
	s_branch .LBB94_348
.LBB94_344:
	s_mov_b64 s[0:1], -1
                                        ; implicit-def: $vgpr4_vgpr5
.LBB94_345:
	s_andn2_b64 vcc, exec, s[0:1]
	s_cbranch_vccnz .LBB94_347
; %bb.346:
	global_load_dword v4, v[2:3], off
	s_mov_b32 s0, 0x2f800000
	s_mov_b32 s1, 0xcf800000
	s_waitcnt vmcnt(0)
	v_trunc_f32_e32 v4, v4
	v_mul_f32_e64 v5, |v4|, s0
	v_floor_f32_e32 v5, v5
	v_cvt_u32_f32_e32 v6, v5
	v_fma_f32 v5, v5, s1, |v4|
	v_cvt_u32_f32_e32 v5, v5
	v_ashrrev_i32_e32 v7, 31, v4
	v_xor_b32_e32 v6, v6, v7
	v_xor_b32_e32 v4, v5, v7
	v_sub_co_u32_e32 v4, vcc, v4, v7
	v_subb_co_u32_e32 v5, vcc, v6, v7, vcc
.LBB94_347:
	s_mov_b64 s[0:1], 0
.LBB94_348:
	s_andn2_b64 vcc, exec, s[0:1]
	s_cbranch_vccnz .LBB94_350
; %bb.349:
	global_load_ushort v4, v[2:3], off
	s_waitcnt vmcnt(0)
	v_cvt_f32_f16_e32 v4, v4
	v_cvt_i32_f32_e32 v4, v4
	v_ashrrev_i32_e32 v5, 31, v4
.LBB94_350:
	s_mov_b64 s[0:1], 0
.LBB94_351:
	s_andn2_b64 vcc, exec, s[0:1]
	s_cbranch_vccnz .LBB94_371
; %bb.352:
	s_cmp_lt_i32 s6, 2
	s_cbranch_scc1 .LBB94_356
; %bb.353:
	s_cmp_lt_i32 s6, 3
	s_cbranch_scc1 .LBB94_357
; %bb.354:
	s_cmp_gt_i32 s6, 3
	s_cbranch_scc0 .LBB94_358
; %bb.355:
	global_load_dwordx2 v[4:5], v[2:3], off
	s_mov_b64 s[0:1], 0
	s_branch .LBB94_359
.LBB94_356:
	s_mov_b64 s[0:1], -1
                                        ; implicit-def: $vgpr4_vgpr5
	s_branch .LBB94_365
.LBB94_357:
	s_mov_b64 s[0:1], -1
                                        ; implicit-def: $vgpr4_vgpr5
	s_branch .LBB94_362
.LBB94_358:
	s_mov_b64 s[0:1], -1
                                        ; implicit-def: $vgpr4_vgpr5
.LBB94_359:
	s_andn2_b64 vcc, exec, s[0:1]
	s_cbranch_vccnz .LBB94_361
; %bb.360:
	global_load_dword v4, v[2:3], off
	s_waitcnt vmcnt(0)
	v_ashrrev_i32_e32 v5, 31, v4
.LBB94_361:
	s_mov_b64 s[0:1], 0
.LBB94_362:
	s_andn2_b64 vcc, exec, s[0:1]
	s_cbranch_vccnz .LBB94_364
; %bb.363:
	global_load_ushort v4, v[2:3], off
	s_waitcnt vmcnt(0)
	v_bfe_i32 v4, v4, 0, 16
	v_ashrrev_i32_e32 v5, 31, v4
.LBB94_364:
	s_mov_b64 s[0:1], 0
.LBB94_365:
	s_andn2_b64 vcc, exec, s[0:1]
	s_cbranch_vccnz .LBB94_371
; %bb.366:
	s_cmp_gt_i32 s6, 0
	s_cbranch_scc0 .LBB94_368
; %bb.367:
	global_load_sbyte v4, v[2:3], off
	s_mov_b64 s[0:1], 0
	s_waitcnt vmcnt(0)
	v_bfe_i32 v4, v4, 0, 16
	v_ashrrev_i32_e32 v5, 31, v4
	s_branch .LBB94_369
.LBB94_368:
	s_mov_b64 s[0:1], -1
                                        ; implicit-def: $vgpr4_vgpr5
.LBB94_369:
	s_andn2_b64 vcc, exec, s[0:1]
	s_cbranch_vccnz .LBB94_371
; %bb.370:
	global_load_ubyte v2, v[2:3], off
	s_mov_b32 s0, 0
	s_waitcnt vmcnt(1)
	v_mov_b32_e32 v5, s0
	s_waitcnt vmcnt(0)
	v_and_b32_e32 v4, 0xffff, v2
.LBB94_371:
	s_branch .LBB94_21
.LBB94_372:
	s_mov_b64 s[0:1], 0
.LBB94_373:
                                        ; implicit-def: $vgpr18
	s_mov_b64 s[24:25], 0
.LBB94_374:
	s_and_b64 s[6:7], s[0:1], exec
	s_and_b64 s[18:19], s[18:19], exec
	;; [unrolled: 1-line block ×3, first 2 shown]
	s_orn2_b64 s[0:1], s[24:25], exec
.LBB94_375:
	s_or_b64 exec, exec, s[22:23]
	s_mov_b64 s[30:31], 0
	s_mov_b64 s[28:29], 0
                                        ; implicit-def: $sgpr55
                                        ; implicit-def: $vgpr2_vgpr3
                                        ; implicit-def: $vgpr0_vgpr1
	s_and_saveexec_b64 s[22:23], s[0:1]
	s_cbranch_execz .LBB94_384
; %bb.376:
	v_cmp_gt_i32_e32 vcc, s48, v18
	s_mov_b64 s[0:1], -1
	s_mov_b64 s[24:25], s[20:21]
	s_mov_b64 s[26:27], s[18:19]
	;; [unrolled: 1-line block ×3, first 2 shown]
	s_and_saveexec_b64 s[30:31], vcc
	s_cbranch_execz .LBB94_757
; %bb.377:
	s_waitcnt vmcnt(0)
	v_mul_lo_u32 v0, v18, s13
	v_mov_b32_e32 v1, s11
	s_and_b32 s28, s54, 0xff
	s_cmp_lt_i32 s28, 11
	v_ashrrev_i32_e32 v3, 31, v0
	v_add_co_u32_e32 v2, vcc, s10, v0
	v_addc_co_u32_e32 v3, vcc, v1, v3, vcc
	s_cbranch_scc1 .LBB94_387
; %bb.378:
	s_and_b32 s29, 0xffff, s28
	s_cmp_gt_i32 s29, 25
	s_cbranch_scc0 .LBB94_396
; %bb.379:
	s_cmp_gt_i32 s29, 28
	s_cbranch_scc0 .LBB94_398
; %bb.380:
	;; [unrolled: 3-line block ×4, first 2 shown]
	s_cmp_eq_u32 s29, 46
	s_mov_b64 s[26:27], 0
	s_cbranch_scc0 .LBB94_406
; %bb.383:
	global_load_dword v0, v[2:3], off
	s_mov_b32 s0, 0x2f800000
	s_mov_b32 s1, 0xcf800000
	s_mov_b64 s[24:25], 0
	s_waitcnt vmcnt(0)
	v_lshlrev_b32_e32 v0, 16, v0
	v_trunc_f32_e32 v0, v0
	v_mul_f32_e64 v1, |v0|, s0
	v_floor_f32_e32 v1, v1
	v_fma_f32 v4, v1, s1, |v0|
	v_cvt_u32_f32_e32 v4, v4
	v_cvt_u32_f32_e32 v1, v1
	v_ashrrev_i32_e32 v5, 31, v0
	s_mov_b64 s[0:1], -1
	v_xor_b32_e32 v0, v4, v5
	v_xor_b32_e32 v1, v1, v5
	v_sub_co_u32_e32 v0, vcc, v0, v5
	v_subb_co_u32_e32 v1, vcc, v1, v5, vcc
	s_branch .LBB94_407
.LBB94_384:
	s_or_b64 exec, exec, s[22:23]
	s_mov_b64 s[22:23], 0
	s_and_saveexec_b64 s[0:1], s[20:21]
	s_cbranch_execnz .LBB94_1220
.LBB94_385:
	s_or_b64 exec, exec, s[0:1]
	s_and_saveexec_b64 s[0:1], s[26:27]
	s_xor_b64 s[0:1], exec, s[0:1]
	s_cbranch_execz .LBB94_1221
.LBB94_386:
	global_load_ubyte v0, v[2:3], off
	s_mov_b32 s20, 0
	s_waitcnt vmcnt(1)
	v_mov_b32_e32 v1, s20
	s_or_b64 s[28:29], s[28:29], exec
	s_waitcnt vmcnt(0)
	v_cmp_ne_u16_e32 vcc, 0, v0
	v_cndmask_b32_e64 v0, 0, 1, vcc
	s_or_b64 exec, exec, s[0:1]
	s_and_saveexec_b64 s[0:1], s[30:31]
	s_cbranch_execz .LBB94_1267
	s_branch .LBB94_1222
.LBB94_387:
	s_mov_b64 s[0:1], 0
                                        ; implicit-def: $vgpr0_vgpr1
	s_mov_b64 s[24:25], s[20:21]
	s_cbranch_execnz .LBB94_469
.LBB94_388:
	s_andn2_b64 vcc, exec, s[0:1]
	s_cbranch_vccnz .LBB94_517
.LBB94_389:
	v_mul_lo_u32 v2, v18, s14
	v_mov_b32_e32 v3, s3
	s_and_b32 s34, s15, 0xff
	s_cmp_lt_i32 s34, 11
	v_ashrrev_i32_e32 v4, 31, v2
	v_add_co_u32_e32 v2, vcc, s2, v2
	v_addc_co_u32_e32 v3, vcc, v3, v4, vcc
	s_cbranch_scc1 .LBB94_397
; %bb.390:
	s_and_b32 s35, 0xffff, s34
	s_cmp_gt_i32 s35, 25
	s_cbranch_scc0 .LBB94_399
; %bb.391:
	s_cmp_gt_i32 s35, 28
	s_cbranch_scc0 .LBB94_401
; %bb.392:
	;; [unrolled: 3-line block ×4, first 2 shown]
	s_cmp_eq_u32 s35, 46
	s_mov_b64 s[28:29], 0
	s_cbranch_scc0 .LBB94_521
; %bb.395:
	global_load_dword v4, v[2:3], off
	s_mov_b32 s0, 0x2f800000
	s_mov_b32 s1, 0xcf800000
	s_mov_b64 s[26:27], 0
	s_waitcnt vmcnt(0)
	v_lshlrev_b32_e32 v4, 16, v4
	v_trunc_f32_e32 v4, v4
	v_mul_f32_e64 v5, |v4|, s0
	v_floor_f32_e32 v5, v5
	v_fma_f32 v6, v5, s1, |v4|
	v_cvt_u32_f32_e32 v6, v6
	v_cvt_u32_f32_e32 v5, v5
	v_ashrrev_i32_e32 v7, 31, v4
	s_mov_b64 s[0:1], -1
	v_xor_b32_e32 v4, v6, v7
	v_xor_b32_e32 v5, v5, v7
	v_sub_co_u32_e32 v4, vcc, v4, v7
	v_subb_co_u32_e32 v5, vcc, v5, v7, vcc
	s_branch .LBB94_522
.LBB94_396:
	s_mov_b64 s[26:27], -1
	s_mov_b64 s[0:1], 0
	s_mov_b64 s[24:25], s[20:21]
                                        ; implicit-def: $vgpr0_vgpr1
	s_branch .LBB94_437
.LBB94_397:
	s_mov_b64 s[28:29], -1
	s_mov_b64 s[0:1], 0
                                        ; implicit-def: $vgpr4_vgpr5
	s_mov_b64 s[26:27], s[18:19]
	s_branch .LBB94_583
.LBB94_398:
	s_mov_b64 s[26:27], -1
	s_mov_b64 s[0:1], 0
	s_mov_b64 s[24:25], s[20:21]
                                        ; implicit-def: $vgpr0_vgpr1
	s_branch .LBB94_418
.LBB94_399:
	s_mov_b64 s[28:29], -1
	s_mov_b64 s[0:1], 0
	s_mov_b64 s[26:27], s[18:19]
                                        ; implicit-def: $vgpr4_vgpr5
	s_branch .LBB94_551
.LBB94_400:
	s_mov_b64 s[26:27], -1
	s_mov_b64 s[0:1], 0
	s_mov_b64 s[24:25], s[20:21]
                                        ; implicit-def: $vgpr0_vgpr1
	s_branch .LBB94_413
.LBB94_401:
	s_mov_b64 s[28:29], -1
	s_mov_b64 s[0:1], 0
	s_mov_b64 s[26:27], s[18:19]
                                        ; implicit-def: $vgpr4_vgpr5
	s_branch .LBB94_532
.LBB94_402:
	s_mov_b64 s[26:27], -1
	s_mov_b64 s[0:1], 0
	s_mov_b64 s[24:25], s[20:21]
                                        ; implicit-def: $vgpr0_vgpr1
	s_branch .LBB94_407
.LBB94_403:
	s_mov_b64 s[28:29], -1
	s_mov_b64 s[0:1], 0
	s_mov_b64 s[26:27], s[18:19]
                                        ; implicit-def: $vgpr4_vgpr5
	s_branch .LBB94_527
.LBB94_404:
	s_andn2_saveexec_b64 s[28:29], s[28:29]
	s_cbranch_execz .LBB94_176
.LBB94_405:
	s_mov_b32 s34, 0x46000000
	v_add_f32_e64 v5, |v4|, s34
	v_and_b32_e32 v5, 0xff, v5
	v_cmp_ne_u32_e32 vcc, 0, v5
	s_andn2_b64 s[24:25], s[24:25], exec
	s_and_b64 s[34:35], vcc, exec
	s_or_b64 s[24:25], s[24:25], s[34:35]
	s_or_b64 exec, exec, s[28:29]
	v_mov_b32_e32 v6, 0
	s_and_saveexec_b64 s[28:29], s[24:25]
	s_cbranch_execnz .LBB94_177
	s_branch .LBB94_178
.LBB94_406:
	s_mov_b64 s[24:25], -1
                                        ; implicit-def: $vgpr0_vgpr1
	s_mov_b64 s[0:1], 0
.LBB94_407:
	s_and_b64 vcc, exec, s[26:27]
	s_cbranch_vccz .LBB94_412
; %bb.408:
	s_cmp_eq_u32 s29, 44
	s_cbranch_scc0 .LBB94_411
; %bb.409:
	global_load_ubyte v0, v[2:3], off
	s_mov_b32 s0, 0x2f800000
	s_mov_b32 s1, 0xcf800000
	s_mov_b64 s[24:25], 0
	s_waitcnt vmcnt(0)
	v_lshlrev_b32_e32 v1, 23, v0
	v_trunc_f32_e32 v1, v1
	v_mul_f32_e64 v4, |v1|, s0
	v_floor_f32_e32 v4, v4
	v_fma_f32 v5, v4, s1, |v1|
	v_cvt_u32_f32_e32 v5, v5
	v_cvt_u32_f32_e32 v4, v4
	v_ashrrev_i32_e32 v1, 31, v1
	s_mov_b64 s[0:1], -1
	v_xor_b32_e32 v5, v5, v1
	v_xor_b32_e32 v4, v4, v1
	v_sub_co_u32_e32 v5, vcc, v5, v1
	v_subb_co_u32_e32 v1, vcc, v4, v1, vcc
	v_cmp_ne_u32_e32 vcc, 0, v0
	v_cndmask_b32_e32 v1, 0, v1, vcc
	v_cndmask_b32_e32 v0, 0, v5, vcc
	s_branch .LBB94_412
.LBB94_410:
	s_mov_b64 s[28:29], -1
	s_mov_b64 s[0:1], 0
	s_mov_b64 s[26:27], s[18:19]
                                        ; implicit-def: $vgpr4_vgpr5
	s_branch .LBB94_522
.LBB94_411:
	s_mov_b64 s[24:25], -1
                                        ; implicit-def: $vgpr0_vgpr1
.LBB94_412:
	s_mov_b64 s[26:27], 0
.LBB94_413:
	s_and_b64 vcc, exec, s[26:27]
	s_cbranch_vccz .LBB94_417
; %bb.414:
	s_cmp_eq_u32 s29, 29
	s_cbranch_scc0 .LBB94_416
; %bb.415:
	global_load_dwordx2 v[0:1], v[2:3], off
	s_mov_b64 s[0:1], -1
	s_mov_b64 s[24:25], 0
	s_branch .LBB94_417
.LBB94_416:
	s_mov_b64 s[24:25], -1
                                        ; implicit-def: $vgpr0_vgpr1
.LBB94_417:
	s_mov_b64 s[26:27], 0
.LBB94_418:
	s_and_b64 vcc, exec, s[26:27]
	s_cbranch_vccz .LBB94_436
; %bb.419:
	s_cmp_lt_i32 s29, 27
	s_cbranch_scc1 .LBB94_422
; %bb.420:
	s_cmp_gt_i32 s29, 27
	s_cbranch_scc0 .LBB94_423
; %bb.421:
	global_load_dword v0, v[2:3], off
	s_waitcnt vmcnt(1)
	v_mov_b32_e32 v1, 0
	s_mov_b64 s[0:1], 0
	s_branch .LBB94_424
.LBB94_422:
	s_mov_b64 s[0:1], -1
                                        ; implicit-def: $vgpr0_vgpr1
	s_branch .LBB94_427
.LBB94_423:
	s_mov_b64 s[0:1], -1
                                        ; implicit-def: $vgpr0_vgpr1
.LBB94_424:
	s_andn2_b64 vcc, exec, s[0:1]
	s_cbranch_vccnz .LBB94_426
; %bb.425:
	global_load_ushort v0, v[2:3], off
	s_mov_b32 s0, 0
	s_waitcnt vmcnt(1)
	v_mov_b32_e32 v1, s0
	s_waitcnt vmcnt(0)
	v_and_b32_e32 v0, 0xffff, v0
.LBB94_426:
	s_mov_b64 s[0:1], 0
.LBB94_427:
	s_andn2_b64 vcc, exec, s[0:1]
	s_cbranch_vccnz .LBB94_435
; %bb.428:
	global_load_ubyte v4, v[2:3], off
	s_movk_i32 s0, 0x7f
	s_mov_b64 s[26:27], 0
	s_waitcnt vmcnt(0)
	v_cmp_lt_i16_e32 vcc, s0, v4
	s_and_saveexec_b64 s[0:1], vcc
	s_xor_b64 s[0:1], exec, s[0:1]
; %bb.429:
	s_movk_i32 s26, 0x80
	v_cmp_ne_u16_e32 vcc, s26, v4
	s_and_b64 s[26:27], vcc, exec
; %bb.430:
	s_andn2_saveexec_b64 s[0:1], s[0:1]
; %bb.431:
	v_cmp_ne_u16_e32 vcc, 0, v4
	s_andn2_b64 s[26:27], s[26:27], exec
	s_and_b64 s[34:35], vcc, exec
	s_or_b64 s[26:27], s[26:27], s[34:35]
; %bb.432:
	s_or_b64 exec, exec, s[0:1]
	v_mov_b32_e32 v0, 0
	v_mov_b32_e32 v1, 0
	s_and_saveexec_b64 s[0:1], s[26:27]
	s_cbranch_execz .LBB94_434
; %bb.433:
	v_and_b32_e32 v1, 0xffff, v4
	v_lshlrev_b32_e32 v0, 24, v4
	v_and_b32_e32 v4, 7, v1
	v_ffbh_u32_e32 v6, v4
	v_min_u32_e32 v6, 32, v6
	v_subrev_u32_e32 v7, 28, v6
	v_bfe_u32 v5, v1, 3, 4
	v_lshlrev_b32_e32 v1, v7, v1
	v_sub_u32_e32 v6, 29, v6
	v_and_b32_e32 v1, 7, v1
	v_cmp_eq_u32_e32 vcc, 0, v5
	v_cndmask_b32_e32 v5, v5, v6, vcc
	v_cndmask_b32_e32 v1, v4, v1, vcc
	v_mov_b32_e32 v4, 0x3b800000
	v_lshlrev_b32_e32 v1, 20, v1
	v_and_b32_e32 v0, 0x80000000, v0
	v_lshl_add_u32 v4, v5, 23, v4
	v_or3_b32 v0, v0, v4, v1
	v_trunc_f32_e32 v0, v0
	s_mov_b32 s26, 0x2f800000
	v_mul_f32_e64 v1, |v0|, s26
	v_floor_f32_e32 v1, v1
	s_mov_b32 s26, 0xcf800000
	v_fma_f32 v4, v1, s26, |v0|
	v_cvt_u32_f32_e32 v4, v4
	v_cvt_u32_f32_e32 v1, v1
	v_ashrrev_i32_e32 v5, 31, v0
	v_xor_b32_e32 v0, v4, v5
	v_xor_b32_e32 v1, v1, v5
	v_sub_co_u32_e32 v0, vcc, v0, v5
	v_subb_co_u32_e32 v1, vcc, v1, v5, vcc
.LBB94_434:
	s_or_b64 exec, exec, s[0:1]
.LBB94_435:
	s_mov_b64 s[0:1], -1
.LBB94_436:
	s_mov_b64 s[26:27], 0
.LBB94_437:
	s_and_b64 vcc, exec, s[26:27]
	s_cbranch_vccz .LBB94_468
; %bb.438:
	s_cmp_gt_i32 s29, 22
	s_cbranch_scc0 .LBB94_448
; %bb.439:
	s_cmp_lt_i32 s29, 24
	s_cbranch_scc1 .LBB94_449
; %bb.440:
	s_cmp_gt_i32 s29, 24
	s_cbranch_scc0 .LBB94_450
; %bb.441:
	global_load_ubyte v4, v[2:3], off
	s_movk_i32 s0, 0x7f
	s_mov_b64 s[26:27], 0
	s_waitcnt vmcnt(0)
	v_cmp_lt_i16_e32 vcc, s0, v4
	s_and_saveexec_b64 s[0:1], vcc
	s_xor_b64 s[0:1], exec, s[0:1]
; %bb.442:
	s_movk_i32 s26, 0x80
	v_cmp_ne_u16_e32 vcc, s26, v4
	s_and_b64 s[26:27], vcc, exec
; %bb.443:
	s_andn2_saveexec_b64 s[0:1], s[0:1]
; %bb.444:
	v_cmp_ne_u16_e32 vcc, 0, v4
	s_andn2_b64 s[26:27], s[26:27], exec
	s_and_b64 s[34:35], vcc, exec
	s_or_b64 s[26:27], s[26:27], s[34:35]
; %bb.445:
	s_or_b64 exec, exec, s[0:1]
	v_mov_b32_e32 v0, 0
	v_mov_b32_e32 v1, 0
	s_and_saveexec_b64 s[0:1], s[26:27]
	s_cbranch_execz .LBB94_447
; %bb.446:
	v_and_b32_e32 v1, 0xffff, v4
	v_lshlrev_b32_e32 v0, 24, v4
	v_and_b32_e32 v4, 3, v1
	v_ffbh_u32_e32 v6, v4
	v_min_u32_e32 v6, 32, v6
	v_subrev_u32_e32 v7, 29, v6
	v_bfe_u32 v5, v1, 2, 5
	v_lshlrev_b32_e32 v1, v7, v1
	v_sub_u32_e32 v6, 30, v6
	v_and_b32_e32 v1, 3, v1
	v_cmp_eq_u32_e32 vcc, 0, v5
	v_cndmask_b32_e32 v5, v5, v6, vcc
	v_cndmask_b32_e32 v1, v4, v1, vcc
	v_mov_b32_e32 v4, 0x37800000
	v_lshlrev_b32_e32 v1, 21, v1
	v_and_b32_e32 v0, 0x80000000, v0
	v_lshl_add_u32 v4, v5, 23, v4
	v_or3_b32 v0, v0, v4, v1
	v_trunc_f32_e32 v0, v0
	s_mov_b32 s26, 0x2f800000
	v_mul_f32_e64 v1, |v0|, s26
	v_floor_f32_e32 v1, v1
	s_mov_b32 s26, 0xcf800000
	v_fma_f32 v4, v1, s26, |v0|
	v_cvt_u32_f32_e32 v4, v4
	v_cvt_u32_f32_e32 v1, v1
	v_ashrrev_i32_e32 v5, 31, v0
	v_xor_b32_e32 v0, v4, v5
	v_xor_b32_e32 v1, v1, v5
	v_sub_co_u32_e32 v0, vcc, v0, v5
	v_subb_co_u32_e32 v1, vcc, v1, v5, vcc
.LBB94_447:
	s_or_b64 exec, exec, s[0:1]
	s_mov_b64 s[0:1], 0
	s_branch .LBB94_451
.LBB94_448:
	s_mov_b64 s[26:27], -1
                                        ; implicit-def: $vgpr0_vgpr1
	s_branch .LBB94_457
.LBB94_449:
	s_mov_b64 s[0:1], -1
                                        ; implicit-def: $vgpr0_vgpr1
	s_branch .LBB94_454
.LBB94_450:
	s_mov_b64 s[0:1], -1
                                        ; implicit-def: $vgpr0_vgpr1
.LBB94_451:
	s_and_b64 vcc, exec, s[0:1]
	s_cbranch_vccz .LBB94_453
; %bb.452:
	global_load_ubyte v0, v[2:3], off
	s_mov_b32 s0, 0x7f800000
	s_brev_b32 s1, 1
	s_mov_b32 s26, 0x2f800000
	s_mov_b32 s27, 0xcf800000
	s_waitcnt vmcnt(0)
	v_lshlrev_b32_e32 v0, 24, v0
	v_and_b32_e32 v1, 0x7f000000, v0
	v_ffbh_u32_e32 v4, v1
	v_min_u32_e32 v4, 32, v4
	v_sub_u32_e64 v4, v4, 4 clamp
	v_lshlrev_b32_e32 v6, v4, v1
	v_lshlrev_b32_e32 v4, 23, v4
	v_lshrrev_b32_e32 v6, 4, v6
	v_add_u32_e32 v5, 0x1000000, v1
	v_sub_u32_e32 v4, v6, v4
	v_ashrrev_i32_e32 v5, 8, v5
	v_add_u32_e32 v4, 0x3c000000, v4
	v_and_or_b32 v4, v5, s0, v4
	v_cmp_ne_u32_e32 vcc, 0, v1
	v_cndmask_b32_e32 v1, 0, v4, vcc
	v_and_or_b32 v0, v0, s1, v1
	v_trunc_f32_e32 v0, v0
	v_mul_f32_e64 v1, |v0|, s26
	v_floor_f32_e32 v1, v1
	v_fma_f32 v4, v1, s27, |v0|
	v_cvt_u32_f32_e32 v4, v4
	v_cvt_u32_f32_e32 v1, v1
	v_ashrrev_i32_e32 v5, 31, v0
	v_xor_b32_e32 v0, v4, v5
	v_xor_b32_e32 v1, v1, v5
	v_sub_co_u32_e32 v0, vcc, v0, v5
	v_subb_co_u32_e32 v1, vcc, v1, v5, vcc
.LBB94_453:
	s_mov_b64 s[0:1], 0
.LBB94_454:
	s_andn2_b64 vcc, exec, s[0:1]
	s_cbranch_vccnz .LBB94_456
; %bb.455:
	global_load_ubyte v0, v[2:3], off
	s_movk_i32 s0, 0x7f00
	s_brev_b32 s1, 16
	s_brev_b32 s26, 1
	s_mov_b32 s27, 0x2f800000
	s_mov_b32 s34, 0xcf800000
	s_waitcnt vmcnt(0)
	v_lshlrev_b16_e32 v1, 8, v0
	v_lshlrev_b32_e32 v0, 25, v0
	v_lshrrev_b32_e32 v4, 4, v0
	v_and_or_b32 v5, v1, s0, 0.5
	v_or_b32_e32 v4, 0x70000000, v4
	v_add_f32_e32 v5, -0.5, v5
	v_mul_f32_e32 v4, 0x7800000, v4
	v_cmp_gt_u32_e32 vcc, s1, v0
	v_bfe_i32 v1, v1, 0, 16
	v_cndmask_b32_e32 v0, v4, v5, vcc
	v_and_or_b32 v0, v1, s26, v0
	v_trunc_f32_e32 v0, v0
	v_mul_f32_e64 v1, |v0|, s27
	v_floor_f32_e32 v1, v1
	v_fma_f32 v4, v1, s34, |v0|
	v_cvt_u32_f32_e32 v4, v4
	v_cvt_u32_f32_e32 v1, v1
	v_ashrrev_i32_e32 v5, 31, v0
	v_xor_b32_e32 v0, v4, v5
	v_xor_b32_e32 v1, v1, v5
	v_sub_co_u32_e32 v0, vcc, v0, v5
	v_subb_co_u32_e32 v1, vcc, v1, v5, vcc
.LBB94_456:
	s_mov_b64 s[26:27], 0
	s_mov_b64 s[0:1], -1
.LBB94_457:
	s_andn2_b64 vcc, exec, s[26:27]
	s_cbranch_vccnz .LBB94_468
; %bb.458:
	s_cmp_gt_i32 s29, 14
	s_cbranch_scc0 .LBB94_461
; %bb.459:
	s_cmp_eq_u32 s29, 15
	s_cbranch_scc0 .LBB94_462
; %bb.460:
	global_load_ushort v0, v[2:3], off
	s_mov_b32 s0, 0x2f800000
	s_mov_b32 s1, 0xcf800000
	s_mov_b64 s[24:25], 0
	s_waitcnt vmcnt(0)
	v_lshlrev_b32_e32 v0, 16, v0
	v_trunc_f32_e32 v0, v0
	v_mul_f32_e64 v1, |v0|, s0
	v_floor_f32_e32 v1, v1
	v_fma_f32 v4, v1, s1, |v0|
	v_cvt_u32_f32_e32 v4, v4
	v_cvt_u32_f32_e32 v1, v1
	v_ashrrev_i32_e32 v5, 31, v0
	s_mov_b64 s[0:1], -1
	v_xor_b32_e32 v0, v4, v5
	v_xor_b32_e32 v1, v1, v5
	v_sub_co_u32_e32 v0, vcc, v0, v5
	v_subb_co_u32_e32 v1, vcc, v1, v5, vcc
	s_branch .LBB94_463
.LBB94_461:
	s_mov_b64 s[26:27], -1
                                        ; implicit-def: $vgpr0_vgpr1
	s_branch .LBB94_464
.LBB94_462:
	s_mov_b64 s[24:25], -1
                                        ; implicit-def: $vgpr0_vgpr1
.LBB94_463:
	s_mov_b64 s[26:27], 0
.LBB94_464:
	s_and_b64 vcc, exec, s[26:27]
	s_cbranch_vccz .LBB94_468
; %bb.465:
	s_cmp_eq_u32 s29, 11
	s_cbranch_scc0 .LBB94_467
; %bb.466:
	global_load_ubyte v0, v[2:3], off
	s_mov_b32 s24, 0
	s_mov_b64 s[0:1], -1
	s_waitcnt vmcnt(1)
	v_mov_b32_e32 v1, s24
	s_mov_b64 s[24:25], 0
	s_waitcnt vmcnt(0)
	v_cmp_ne_u16_e32 vcc, 0, v0
	v_cndmask_b32_e64 v0, 0, 1, vcc
	s_branch .LBB94_468
.LBB94_467:
	s_mov_b64 s[24:25], -1
                                        ; implicit-def: $vgpr0_vgpr1
.LBB94_468:
	s_branch .LBB94_388
.LBB94_469:
	s_and_b32 s26, 0xffff, s28
	s_cmp_lt_i32 s26, 5
	s_cbranch_scc1 .LBB94_474
; %bb.470:
	s_cmp_lt_i32 s26, 8
	s_cbranch_scc1 .LBB94_475
; %bb.471:
	;; [unrolled: 3-line block ×3, first 2 shown]
	s_cmp_gt_i32 s26, 9
	s_cbranch_scc0 .LBB94_477
; %bb.473:
	global_load_dwordx2 v[0:1], v[2:3], off
	s_movk_i32 s0, 0xffe0
	s_waitcnt vmcnt(0)
	v_trunc_f64_e32 v[0:1], v[0:1]
	v_ldexp_f64 v[4:5], v[0:1], s0
	s_mov_b32 s0, 0
	s_mov_b32 s1, 0xc1f00000
	v_floor_f64_e32 v[4:5], v[4:5]
	v_fma_f64 v[6:7], v[4:5], s[0:1], v[0:1]
	v_cvt_i32_f64_e32 v1, v[4:5]
	s_mov_b64 s[0:1], 0
	v_cvt_u32_f64_e32 v0, v[6:7]
	s_branch .LBB94_478
.LBB94_474:
	s_mov_b64 s[0:1], -1
                                        ; implicit-def: $vgpr0_vgpr1
	s_branch .LBB94_496
.LBB94_475:
	s_mov_b64 s[0:1], -1
                                        ; implicit-def: $vgpr0_vgpr1
	s_branch .LBB94_484
.LBB94_476:
	s_mov_b64 s[0:1], -1
                                        ; implicit-def: $vgpr0_vgpr1
	s_branch .LBB94_481
.LBB94_477:
	s_mov_b64 s[0:1], -1
                                        ; implicit-def: $vgpr0_vgpr1
.LBB94_478:
	s_andn2_b64 vcc, exec, s[0:1]
	s_cbranch_vccnz .LBB94_480
; %bb.479:
	global_load_dword v0, v[2:3], off
	s_mov_b32 s0, 0x2f800000
	s_mov_b32 s1, 0xcf800000
	s_waitcnt vmcnt(0)
	v_trunc_f32_e32 v0, v0
	v_mul_f32_e64 v1, |v0|, s0
	v_floor_f32_e32 v1, v1
	v_cvt_u32_f32_e32 v4, v1
	v_fma_f32 v1, v1, s1, |v0|
	v_cvt_u32_f32_e32 v1, v1
	v_ashrrev_i32_e32 v5, 31, v0
	v_xor_b32_e32 v4, v4, v5
	v_xor_b32_e32 v0, v1, v5
	v_sub_co_u32_e32 v0, vcc, v0, v5
	v_subb_co_u32_e32 v1, vcc, v4, v5, vcc
.LBB94_480:
	s_mov_b64 s[0:1], 0
.LBB94_481:
	s_andn2_b64 vcc, exec, s[0:1]
	s_cbranch_vccnz .LBB94_483
; %bb.482:
	global_load_dword v0, v[2:3], off
	s_waitcnt vmcnt(0)
	v_cvt_f32_f16_e32 v0, v0
	v_cvt_i32_f32_e32 v0, v0
	v_ashrrev_i32_e32 v1, 31, v0
.LBB94_483:
	s_mov_b64 s[0:1], 0
.LBB94_484:
	s_andn2_b64 vcc, exec, s[0:1]
	s_cbranch_vccnz .LBB94_495
; %bb.485:
	s_cmp_lt_i32 s26, 6
	s_cbranch_scc1 .LBB94_488
; %bb.486:
	s_cmp_gt_i32 s26, 6
	s_cbranch_scc0 .LBB94_489
; %bb.487:
	global_load_dwordx2 v[0:1], v[2:3], off
	s_movk_i32 s0, 0xffe0
	s_waitcnt vmcnt(0)
	v_trunc_f64_e32 v[0:1], v[0:1]
	v_ldexp_f64 v[4:5], v[0:1], s0
	s_mov_b32 s0, 0
	s_mov_b32 s1, 0xc1f00000
	v_floor_f64_e32 v[4:5], v[4:5]
	v_fma_f64 v[6:7], v[4:5], s[0:1], v[0:1]
	v_cvt_i32_f64_e32 v1, v[4:5]
	s_mov_b64 s[0:1], 0
	v_cvt_u32_f64_e32 v0, v[6:7]
	s_branch .LBB94_490
.LBB94_488:
	s_mov_b64 s[0:1], -1
                                        ; implicit-def: $vgpr0_vgpr1
	s_branch .LBB94_493
.LBB94_489:
	s_mov_b64 s[0:1], -1
                                        ; implicit-def: $vgpr0_vgpr1
.LBB94_490:
	s_andn2_b64 vcc, exec, s[0:1]
	s_cbranch_vccnz .LBB94_492
; %bb.491:
	global_load_dword v0, v[2:3], off
	s_mov_b32 s0, 0x2f800000
	s_mov_b32 s1, 0xcf800000
	s_waitcnt vmcnt(0)
	v_trunc_f32_e32 v0, v0
	v_mul_f32_e64 v1, |v0|, s0
	v_floor_f32_e32 v1, v1
	v_cvt_u32_f32_e32 v4, v1
	v_fma_f32 v1, v1, s1, |v0|
	v_cvt_u32_f32_e32 v1, v1
	v_ashrrev_i32_e32 v5, 31, v0
	v_xor_b32_e32 v4, v4, v5
	v_xor_b32_e32 v0, v1, v5
	v_sub_co_u32_e32 v0, vcc, v0, v5
	v_subb_co_u32_e32 v1, vcc, v4, v5, vcc
.LBB94_492:
	s_mov_b64 s[0:1], 0
.LBB94_493:
	s_andn2_b64 vcc, exec, s[0:1]
	s_cbranch_vccnz .LBB94_495
; %bb.494:
	global_load_ushort v0, v[2:3], off
	s_waitcnt vmcnt(0)
	v_cvt_f32_f16_e32 v0, v0
	v_cvt_i32_f32_e32 v0, v0
	v_ashrrev_i32_e32 v1, 31, v0
.LBB94_495:
	s_mov_b64 s[0:1], 0
.LBB94_496:
	s_andn2_b64 vcc, exec, s[0:1]
	s_cbranch_vccnz .LBB94_516
; %bb.497:
	s_cmp_lt_i32 s26, 2
	s_cbranch_scc1 .LBB94_501
; %bb.498:
	s_cmp_lt_i32 s26, 3
	s_cbranch_scc1 .LBB94_502
; %bb.499:
	s_cmp_gt_i32 s26, 3
	s_cbranch_scc0 .LBB94_503
; %bb.500:
	global_load_dwordx2 v[0:1], v[2:3], off
	s_mov_b64 s[0:1], 0
	s_branch .LBB94_504
.LBB94_501:
	s_mov_b64 s[0:1], -1
                                        ; implicit-def: $vgpr0_vgpr1
	s_branch .LBB94_510
.LBB94_502:
	s_mov_b64 s[0:1], -1
                                        ; implicit-def: $vgpr0_vgpr1
	s_branch .LBB94_507
.LBB94_503:
	s_mov_b64 s[0:1], -1
                                        ; implicit-def: $vgpr0_vgpr1
.LBB94_504:
	s_andn2_b64 vcc, exec, s[0:1]
	s_cbranch_vccnz .LBB94_506
; %bb.505:
	global_load_dword v0, v[2:3], off
	s_waitcnt vmcnt(0)
	v_ashrrev_i32_e32 v1, 31, v0
.LBB94_506:
	s_mov_b64 s[0:1], 0
.LBB94_507:
	s_andn2_b64 vcc, exec, s[0:1]
	s_cbranch_vccnz .LBB94_509
; %bb.508:
	global_load_ushort v0, v[2:3], off
	s_waitcnt vmcnt(0)
	v_bfe_i32 v0, v0, 0, 16
	v_ashrrev_i32_e32 v1, 31, v0
.LBB94_509:
	s_mov_b64 s[0:1], 0
.LBB94_510:
	s_andn2_b64 vcc, exec, s[0:1]
	s_cbranch_vccnz .LBB94_516
; %bb.511:
	s_cmp_gt_i32 s26, 0
	s_cbranch_scc0 .LBB94_513
; %bb.512:
	global_load_sbyte v0, v[2:3], off
	s_mov_b64 s[0:1], 0
	s_waitcnt vmcnt(0)
	v_bfe_i32 v0, v0, 0, 16
	v_ashrrev_i32_e32 v1, 31, v0
	s_branch .LBB94_514
.LBB94_513:
	s_mov_b64 s[0:1], -1
                                        ; implicit-def: $vgpr0_vgpr1
.LBB94_514:
	s_andn2_b64 vcc, exec, s[0:1]
	s_cbranch_vccnz .LBB94_516
; %bb.515:
	global_load_ubyte v0, v[2:3], off
	s_mov_b32 s0, 0
	s_waitcnt vmcnt(1)
	v_mov_b32_e32 v1, s0
	s_waitcnt vmcnt(0)
	v_and_b32_e32 v0, 0xffff, v0
.LBB94_516:
	s_branch .LBB94_389
.LBB94_517:
	s_mov_b64 s[34:35], 0
	s_mov_b64 s[0:1], s[6:7]
	;; [unrolled: 1-line block ×3, first 2 shown]
.LBB94_518:
                                        ; implicit-def: $vgpr18
	s_branch .LBB94_756
.LBB94_519:
	s_andn2_saveexec_b64 s[28:29], s[28:29]
	s_cbranch_execz .LBB94_189
.LBB94_520:
	s_mov_b32 s34, 0x42800000
	v_add_f32_e64 v5, |v4|, s34
	v_and_b32_e32 v5, 0xff, v5
	v_cmp_ne_u32_e32 vcc, 0, v5
	s_andn2_b64 s[24:25], s[24:25], exec
	s_and_b64 s[34:35], vcc, exec
	s_or_b64 s[24:25], s[24:25], s[34:35]
	s_or_b64 exec, exec, s[28:29]
	v_mov_b32_e32 v6, 0
	s_and_saveexec_b64 s[28:29], s[24:25]
	s_cbranch_execnz .LBB94_190
	s_branch .LBB94_191
.LBB94_521:
	s_mov_b64 s[26:27], -1
                                        ; implicit-def: $vgpr4_vgpr5
	s_mov_b64 s[0:1], 0
.LBB94_522:
	s_and_b64 vcc, exec, s[28:29]
	s_cbranch_vccz .LBB94_526
; %bb.523:
	s_cmp_eq_u32 s35, 44
	s_cbranch_scc0 .LBB94_525
; %bb.524:
	global_load_ubyte v4, v[2:3], off
	s_mov_b32 s0, 0x2f800000
	s_mov_b32 s1, 0xcf800000
	s_mov_b64 s[26:27], 0
	s_waitcnt vmcnt(0)
	v_lshlrev_b32_e32 v5, 23, v4
	v_trunc_f32_e32 v5, v5
	v_mul_f32_e64 v6, |v5|, s0
	v_floor_f32_e32 v6, v6
	v_fma_f32 v7, v6, s1, |v5|
	v_cvt_u32_f32_e32 v7, v7
	v_cvt_u32_f32_e32 v6, v6
	v_ashrrev_i32_e32 v5, 31, v5
	s_mov_b64 s[0:1], -1
	v_xor_b32_e32 v7, v7, v5
	v_xor_b32_e32 v6, v6, v5
	v_sub_co_u32_e32 v7, vcc, v7, v5
	v_subb_co_u32_e32 v5, vcc, v6, v5, vcc
	v_cmp_ne_u32_e32 vcc, 0, v4
	v_cndmask_b32_e32 v5, 0, v5, vcc
	v_cndmask_b32_e32 v4, 0, v7, vcc
	s_branch .LBB94_526
.LBB94_525:
	s_mov_b64 s[26:27], -1
                                        ; implicit-def: $vgpr4_vgpr5
.LBB94_526:
	s_mov_b64 s[28:29], 0
.LBB94_527:
	s_and_b64 vcc, exec, s[28:29]
	s_cbranch_vccz .LBB94_531
; %bb.528:
	s_cmp_eq_u32 s35, 29
	s_cbranch_scc0 .LBB94_530
; %bb.529:
	global_load_dwordx2 v[4:5], v[2:3], off
	s_mov_b64 s[0:1], -1
	s_mov_b64 s[26:27], 0
	s_branch .LBB94_531
.LBB94_530:
	s_mov_b64 s[26:27], -1
                                        ; implicit-def: $vgpr4_vgpr5
.LBB94_531:
	s_mov_b64 s[28:29], 0
.LBB94_532:
	s_and_b64 vcc, exec, s[28:29]
	s_cbranch_vccz .LBB94_550
; %bb.533:
	s_cmp_lt_i32 s35, 27
	s_cbranch_scc1 .LBB94_536
; %bb.534:
	s_cmp_gt_i32 s35, 27
	s_cbranch_scc0 .LBB94_537
; %bb.535:
	global_load_dword v4, v[2:3], off
	s_waitcnt vmcnt(1)
	v_mov_b32_e32 v5, 0
	s_mov_b64 s[0:1], 0
	s_branch .LBB94_538
.LBB94_536:
	s_mov_b64 s[0:1], -1
                                        ; implicit-def: $vgpr4_vgpr5
	s_branch .LBB94_541
.LBB94_537:
	s_mov_b64 s[0:1], -1
                                        ; implicit-def: $vgpr4_vgpr5
.LBB94_538:
	s_andn2_b64 vcc, exec, s[0:1]
	s_cbranch_vccnz .LBB94_540
; %bb.539:
	global_load_ushort v4, v[2:3], off
	s_mov_b32 s0, 0
	s_waitcnt vmcnt(1)
	v_mov_b32_e32 v5, s0
	s_waitcnt vmcnt(0)
	v_and_b32_e32 v4, 0xffff, v4
.LBB94_540:
	s_mov_b64 s[0:1], 0
.LBB94_541:
	s_andn2_b64 vcc, exec, s[0:1]
	s_cbranch_vccnz .LBB94_549
; %bb.542:
	global_load_ubyte v6, v[2:3], off
	s_movk_i32 s0, 0x7f
	s_mov_b64 s[28:29], 0
	s_waitcnt vmcnt(0)
	v_cmp_lt_i16_e32 vcc, s0, v6
	s_and_saveexec_b64 s[0:1], vcc
	s_xor_b64 s[0:1], exec, s[0:1]
; %bb.543:
	s_movk_i32 s28, 0x80
	v_cmp_ne_u16_e32 vcc, s28, v6
	s_and_b64 s[28:29], vcc, exec
; %bb.544:
	s_andn2_saveexec_b64 s[0:1], s[0:1]
; %bb.545:
	v_cmp_ne_u16_e32 vcc, 0, v6
	s_andn2_b64 s[28:29], s[28:29], exec
	s_and_b64 s[36:37], vcc, exec
	s_or_b64 s[28:29], s[28:29], s[36:37]
; %bb.546:
	s_or_b64 exec, exec, s[0:1]
	v_mov_b32_e32 v4, 0
	v_mov_b32_e32 v5, 0
	s_and_saveexec_b64 s[0:1], s[28:29]
	s_cbranch_execz .LBB94_548
; %bb.547:
	v_and_b32_e32 v5, 0xffff, v6
	v_lshlrev_b32_e32 v4, 24, v6
	v_and_b32_e32 v6, 7, v5
	v_ffbh_u32_e32 v8, v6
	v_min_u32_e32 v8, 32, v8
	v_subrev_u32_e32 v9, 28, v8
	v_bfe_u32 v7, v5, 3, 4
	v_lshlrev_b32_e32 v5, v9, v5
	v_sub_u32_e32 v8, 29, v8
	v_and_b32_e32 v5, 7, v5
	v_cmp_eq_u32_e32 vcc, 0, v7
	v_cndmask_b32_e32 v7, v7, v8, vcc
	v_cndmask_b32_e32 v5, v6, v5, vcc
	v_mov_b32_e32 v6, 0x3b800000
	v_lshlrev_b32_e32 v5, 20, v5
	v_and_b32_e32 v4, 0x80000000, v4
	v_lshl_add_u32 v6, v7, 23, v6
	v_or3_b32 v4, v4, v6, v5
	v_trunc_f32_e32 v4, v4
	s_mov_b32 s28, 0x2f800000
	v_mul_f32_e64 v5, |v4|, s28
	v_floor_f32_e32 v5, v5
	s_mov_b32 s28, 0xcf800000
	v_fma_f32 v6, v5, s28, |v4|
	v_cvt_u32_f32_e32 v6, v6
	v_cvt_u32_f32_e32 v5, v5
	v_ashrrev_i32_e32 v7, 31, v4
	v_xor_b32_e32 v4, v6, v7
	v_xor_b32_e32 v5, v5, v7
	v_sub_co_u32_e32 v4, vcc, v4, v7
	v_subb_co_u32_e32 v5, vcc, v5, v7, vcc
.LBB94_548:
	s_or_b64 exec, exec, s[0:1]
.LBB94_549:
	s_mov_b64 s[0:1], -1
.LBB94_550:
	s_mov_b64 s[28:29], 0
.LBB94_551:
	s_and_b64 vcc, exec, s[28:29]
	s_cbranch_vccz .LBB94_582
; %bb.552:
	s_cmp_gt_i32 s35, 22
	s_cbranch_scc0 .LBB94_562
; %bb.553:
	s_cmp_lt_i32 s35, 24
	s_cbranch_scc1 .LBB94_563
; %bb.554:
	s_cmp_gt_i32 s35, 24
	s_cbranch_scc0 .LBB94_564
; %bb.555:
	global_load_ubyte v6, v[2:3], off
	s_movk_i32 s0, 0x7f
	s_mov_b64 s[28:29], 0
	s_waitcnt vmcnt(0)
	v_cmp_lt_i16_e32 vcc, s0, v6
	s_and_saveexec_b64 s[0:1], vcc
	s_xor_b64 s[0:1], exec, s[0:1]
; %bb.556:
	s_movk_i32 s28, 0x80
	v_cmp_ne_u16_e32 vcc, s28, v6
	s_and_b64 s[28:29], vcc, exec
; %bb.557:
	s_andn2_saveexec_b64 s[0:1], s[0:1]
; %bb.558:
	v_cmp_ne_u16_e32 vcc, 0, v6
	s_andn2_b64 s[28:29], s[28:29], exec
	s_and_b64 s[36:37], vcc, exec
	s_or_b64 s[28:29], s[28:29], s[36:37]
; %bb.559:
	s_or_b64 exec, exec, s[0:1]
	v_mov_b32_e32 v4, 0
	v_mov_b32_e32 v5, 0
	s_and_saveexec_b64 s[0:1], s[28:29]
	s_cbranch_execz .LBB94_561
; %bb.560:
	v_and_b32_e32 v5, 0xffff, v6
	v_lshlrev_b32_e32 v4, 24, v6
	v_and_b32_e32 v6, 3, v5
	v_ffbh_u32_e32 v8, v6
	v_min_u32_e32 v8, 32, v8
	v_subrev_u32_e32 v9, 29, v8
	v_bfe_u32 v7, v5, 2, 5
	v_lshlrev_b32_e32 v5, v9, v5
	v_sub_u32_e32 v8, 30, v8
	v_and_b32_e32 v5, 3, v5
	v_cmp_eq_u32_e32 vcc, 0, v7
	v_cndmask_b32_e32 v7, v7, v8, vcc
	v_cndmask_b32_e32 v5, v6, v5, vcc
	v_mov_b32_e32 v6, 0x37800000
	v_lshlrev_b32_e32 v5, 21, v5
	v_and_b32_e32 v4, 0x80000000, v4
	v_lshl_add_u32 v6, v7, 23, v6
	v_or3_b32 v4, v4, v6, v5
	v_trunc_f32_e32 v4, v4
	s_mov_b32 s28, 0x2f800000
	v_mul_f32_e64 v5, |v4|, s28
	v_floor_f32_e32 v5, v5
	s_mov_b32 s28, 0xcf800000
	v_fma_f32 v6, v5, s28, |v4|
	v_cvt_u32_f32_e32 v6, v6
	v_cvt_u32_f32_e32 v5, v5
	v_ashrrev_i32_e32 v7, 31, v4
	v_xor_b32_e32 v4, v6, v7
	v_xor_b32_e32 v5, v5, v7
	v_sub_co_u32_e32 v4, vcc, v4, v7
	v_subb_co_u32_e32 v5, vcc, v5, v7, vcc
.LBB94_561:
	s_or_b64 exec, exec, s[0:1]
	s_mov_b64 s[0:1], 0
	s_branch .LBB94_565
.LBB94_562:
	s_mov_b64 s[28:29], -1
                                        ; implicit-def: $vgpr4_vgpr5
	s_branch .LBB94_571
.LBB94_563:
	s_mov_b64 s[0:1], -1
                                        ; implicit-def: $vgpr4_vgpr5
	s_branch .LBB94_568
.LBB94_564:
	s_mov_b64 s[0:1], -1
                                        ; implicit-def: $vgpr4_vgpr5
.LBB94_565:
	s_and_b64 vcc, exec, s[0:1]
	s_cbranch_vccz .LBB94_567
; %bb.566:
	global_load_ubyte v4, v[2:3], off
	s_mov_b32 s0, 0x7f800000
	s_brev_b32 s1, 1
	s_mov_b32 s28, 0x2f800000
	s_mov_b32 s29, 0xcf800000
	s_waitcnt vmcnt(0)
	v_lshlrev_b32_e32 v4, 24, v4
	v_and_b32_e32 v5, 0x7f000000, v4
	v_ffbh_u32_e32 v6, v5
	v_min_u32_e32 v6, 32, v6
	v_sub_u32_e64 v6, v6, 4 clamp
	v_lshlrev_b32_e32 v8, v6, v5
	v_lshlrev_b32_e32 v6, 23, v6
	v_lshrrev_b32_e32 v8, 4, v8
	v_add_u32_e32 v7, 0x1000000, v5
	v_sub_u32_e32 v6, v8, v6
	v_ashrrev_i32_e32 v7, 8, v7
	v_add_u32_e32 v6, 0x3c000000, v6
	v_and_or_b32 v6, v7, s0, v6
	v_cmp_ne_u32_e32 vcc, 0, v5
	v_cndmask_b32_e32 v5, 0, v6, vcc
	v_and_or_b32 v4, v4, s1, v5
	v_trunc_f32_e32 v4, v4
	v_mul_f32_e64 v5, |v4|, s28
	v_floor_f32_e32 v5, v5
	v_fma_f32 v6, v5, s29, |v4|
	v_cvt_u32_f32_e32 v6, v6
	v_cvt_u32_f32_e32 v5, v5
	v_ashrrev_i32_e32 v7, 31, v4
	v_xor_b32_e32 v4, v6, v7
	v_xor_b32_e32 v5, v5, v7
	v_sub_co_u32_e32 v4, vcc, v4, v7
	v_subb_co_u32_e32 v5, vcc, v5, v7, vcc
.LBB94_567:
	s_mov_b64 s[0:1], 0
.LBB94_568:
	s_andn2_b64 vcc, exec, s[0:1]
	s_cbranch_vccnz .LBB94_570
; %bb.569:
	global_load_ubyte v4, v[2:3], off
	s_movk_i32 s0, 0x7f00
	s_brev_b32 s1, 16
	s_brev_b32 s28, 1
	s_mov_b32 s29, 0x2f800000
	s_mov_b32 s36, 0xcf800000
	s_waitcnt vmcnt(0)
	v_lshlrev_b16_e32 v5, 8, v4
	v_lshlrev_b32_e32 v4, 25, v4
	v_lshrrev_b32_e32 v6, 4, v4
	v_and_or_b32 v7, v5, s0, 0.5
	v_or_b32_e32 v6, 0x70000000, v6
	v_add_f32_e32 v7, -0.5, v7
	v_mul_f32_e32 v6, 0x7800000, v6
	v_cmp_gt_u32_e32 vcc, s1, v4
	v_bfe_i32 v5, v5, 0, 16
	v_cndmask_b32_e32 v4, v6, v7, vcc
	v_and_or_b32 v4, v5, s28, v4
	v_trunc_f32_e32 v4, v4
	v_mul_f32_e64 v5, |v4|, s29
	v_floor_f32_e32 v5, v5
	v_fma_f32 v6, v5, s36, |v4|
	v_cvt_u32_f32_e32 v6, v6
	v_cvt_u32_f32_e32 v5, v5
	v_ashrrev_i32_e32 v7, 31, v4
	v_xor_b32_e32 v4, v6, v7
	v_xor_b32_e32 v5, v5, v7
	v_sub_co_u32_e32 v4, vcc, v4, v7
	v_subb_co_u32_e32 v5, vcc, v5, v7, vcc
.LBB94_570:
	s_mov_b64 s[28:29], 0
	s_mov_b64 s[0:1], -1
.LBB94_571:
	s_andn2_b64 vcc, exec, s[28:29]
	s_cbranch_vccnz .LBB94_582
; %bb.572:
	s_cmp_gt_i32 s35, 14
	s_cbranch_scc0 .LBB94_575
; %bb.573:
	s_cmp_eq_u32 s35, 15
	s_cbranch_scc0 .LBB94_576
; %bb.574:
	global_load_ushort v4, v[2:3], off
	s_mov_b32 s0, 0x2f800000
	s_mov_b32 s1, 0xcf800000
	s_mov_b64 s[26:27], 0
	s_waitcnt vmcnt(0)
	v_lshlrev_b32_e32 v4, 16, v4
	v_trunc_f32_e32 v4, v4
	v_mul_f32_e64 v5, |v4|, s0
	v_floor_f32_e32 v5, v5
	v_fma_f32 v6, v5, s1, |v4|
	v_cvt_u32_f32_e32 v6, v6
	v_cvt_u32_f32_e32 v5, v5
	v_ashrrev_i32_e32 v7, 31, v4
	s_mov_b64 s[0:1], -1
	v_xor_b32_e32 v4, v6, v7
	v_xor_b32_e32 v5, v5, v7
	v_sub_co_u32_e32 v4, vcc, v4, v7
	v_subb_co_u32_e32 v5, vcc, v5, v7, vcc
	s_branch .LBB94_577
.LBB94_575:
	s_mov_b64 s[28:29], -1
                                        ; implicit-def: $vgpr4_vgpr5
	s_branch .LBB94_578
.LBB94_576:
	s_mov_b64 s[26:27], -1
                                        ; implicit-def: $vgpr4_vgpr5
.LBB94_577:
	s_mov_b64 s[28:29], 0
.LBB94_578:
	s_and_b64 vcc, exec, s[28:29]
	s_cbranch_vccz .LBB94_582
; %bb.579:
	s_cmp_eq_u32 s35, 11
	s_cbranch_scc0 .LBB94_581
; %bb.580:
	global_load_ubyte v4, v[2:3], off
	s_mov_b32 s26, 0
	s_mov_b64 s[0:1], -1
	s_waitcnt vmcnt(1)
	v_mov_b32_e32 v5, s26
	s_mov_b64 s[26:27], 0
	s_waitcnt vmcnt(0)
	v_cmp_ne_u16_e32 vcc, 0, v4
	v_cndmask_b32_e64 v4, 0, 1, vcc
	s_branch .LBB94_582
.LBB94_581:
	s_mov_b64 s[26:27], -1
                                        ; implicit-def: $vgpr4_vgpr5
.LBB94_582:
	s_mov_b64 s[28:29], 0
.LBB94_583:
	s_and_b64 vcc, exec, s[28:29]
	s_cbranch_vccz .LBB94_632
; %bb.584:
	s_and_b32 s28, 0xffff, s34
	s_cmp_lt_i32 s28, 5
	s_cbranch_scc1 .LBB94_589
; %bb.585:
	s_cmp_lt_i32 s28, 8
	s_cbranch_scc1 .LBB94_590
; %bb.586:
	s_cmp_lt_i32 s28, 9
	s_cbranch_scc1 .LBB94_591
; %bb.587:
	s_cmp_gt_i32 s28, 9
	s_cbranch_scc0 .LBB94_592
; %bb.588:
	global_load_dwordx2 v[4:5], v[2:3], off
	s_movk_i32 s0, 0xffe0
	s_waitcnt vmcnt(0)
	v_trunc_f64_e32 v[4:5], v[4:5]
	v_ldexp_f64 v[6:7], v[4:5], s0
	s_mov_b32 s0, 0
	s_mov_b32 s1, 0xc1f00000
	v_floor_f64_e32 v[6:7], v[6:7]
	v_fma_f64 v[8:9], v[6:7], s[0:1], v[4:5]
	v_cvt_i32_f64_e32 v5, v[6:7]
	s_mov_b64 s[0:1], 0
	v_cvt_u32_f64_e32 v4, v[8:9]
	s_branch .LBB94_593
.LBB94_589:
	s_mov_b64 s[0:1], -1
                                        ; implicit-def: $vgpr4_vgpr5
	s_branch .LBB94_611
.LBB94_590:
	s_mov_b64 s[0:1], -1
                                        ; implicit-def: $vgpr4_vgpr5
	s_branch .LBB94_599
.LBB94_591:
	s_mov_b64 s[0:1], -1
                                        ; implicit-def: $vgpr4_vgpr5
	s_branch .LBB94_596
.LBB94_592:
	s_mov_b64 s[0:1], -1
                                        ; implicit-def: $vgpr4_vgpr5
.LBB94_593:
	s_andn2_b64 vcc, exec, s[0:1]
	s_cbranch_vccnz .LBB94_595
; %bb.594:
	global_load_dword v4, v[2:3], off
	s_mov_b32 s0, 0x2f800000
	s_mov_b32 s1, 0xcf800000
	s_waitcnt vmcnt(0)
	v_trunc_f32_e32 v4, v4
	v_mul_f32_e64 v5, |v4|, s0
	v_floor_f32_e32 v5, v5
	v_cvt_u32_f32_e32 v6, v5
	v_fma_f32 v5, v5, s1, |v4|
	v_cvt_u32_f32_e32 v5, v5
	v_ashrrev_i32_e32 v7, 31, v4
	v_xor_b32_e32 v6, v6, v7
	v_xor_b32_e32 v4, v5, v7
	v_sub_co_u32_e32 v4, vcc, v4, v7
	v_subb_co_u32_e32 v5, vcc, v6, v7, vcc
.LBB94_595:
	s_mov_b64 s[0:1], 0
.LBB94_596:
	s_andn2_b64 vcc, exec, s[0:1]
	s_cbranch_vccnz .LBB94_598
; %bb.597:
	global_load_dword v4, v[2:3], off
	s_waitcnt vmcnt(0)
	v_cvt_f32_f16_e32 v4, v4
	v_cvt_i32_f32_e32 v4, v4
	v_ashrrev_i32_e32 v5, 31, v4
.LBB94_598:
	s_mov_b64 s[0:1], 0
.LBB94_599:
	s_andn2_b64 vcc, exec, s[0:1]
	s_cbranch_vccnz .LBB94_610
; %bb.600:
	s_cmp_lt_i32 s28, 6
	s_cbranch_scc1 .LBB94_603
; %bb.601:
	s_cmp_gt_i32 s28, 6
	s_cbranch_scc0 .LBB94_604
; %bb.602:
	global_load_dwordx2 v[4:5], v[2:3], off
	s_movk_i32 s0, 0xffe0
	s_waitcnt vmcnt(0)
	v_trunc_f64_e32 v[4:5], v[4:5]
	v_ldexp_f64 v[6:7], v[4:5], s0
	s_mov_b32 s0, 0
	s_mov_b32 s1, 0xc1f00000
	v_floor_f64_e32 v[6:7], v[6:7]
	v_fma_f64 v[8:9], v[6:7], s[0:1], v[4:5]
	v_cvt_i32_f64_e32 v5, v[6:7]
	s_mov_b64 s[0:1], 0
	v_cvt_u32_f64_e32 v4, v[8:9]
	s_branch .LBB94_605
.LBB94_603:
	s_mov_b64 s[0:1], -1
                                        ; implicit-def: $vgpr4_vgpr5
	s_branch .LBB94_608
.LBB94_604:
	s_mov_b64 s[0:1], -1
                                        ; implicit-def: $vgpr4_vgpr5
.LBB94_605:
	s_andn2_b64 vcc, exec, s[0:1]
	s_cbranch_vccnz .LBB94_607
; %bb.606:
	global_load_dword v4, v[2:3], off
	s_mov_b32 s0, 0x2f800000
	s_mov_b32 s1, 0xcf800000
	s_waitcnt vmcnt(0)
	v_trunc_f32_e32 v4, v4
	v_mul_f32_e64 v5, |v4|, s0
	v_floor_f32_e32 v5, v5
	v_cvt_u32_f32_e32 v6, v5
	v_fma_f32 v5, v5, s1, |v4|
	v_cvt_u32_f32_e32 v5, v5
	v_ashrrev_i32_e32 v7, 31, v4
	v_xor_b32_e32 v6, v6, v7
	v_xor_b32_e32 v4, v5, v7
	v_sub_co_u32_e32 v4, vcc, v4, v7
	v_subb_co_u32_e32 v5, vcc, v6, v7, vcc
.LBB94_607:
	s_mov_b64 s[0:1], 0
.LBB94_608:
	s_andn2_b64 vcc, exec, s[0:1]
	s_cbranch_vccnz .LBB94_610
; %bb.609:
	global_load_ushort v4, v[2:3], off
	s_waitcnt vmcnt(0)
	v_cvt_f32_f16_e32 v4, v4
	v_cvt_i32_f32_e32 v4, v4
	v_ashrrev_i32_e32 v5, 31, v4
.LBB94_610:
	s_mov_b64 s[0:1], 0
.LBB94_611:
	s_andn2_b64 vcc, exec, s[0:1]
	s_cbranch_vccnz .LBB94_631
; %bb.612:
	s_cmp_lt_i32 s28, 2
	s_cbranch_scc1 .LBB94_616
; %bb.613:
	s_cmp_lt_i32 s28, 3
	s_cbranch_scc1 .LBB94_617
; %bb.614:
	s_cmp_gt_i32 s28, 3
	s_cbranch_scc0 .LBB94_618
; %bb.615:
	global_load_dwordx2 v[4:5], v[2:3], off
	s_mov_b64 s[0:1], 0
	s_branch .LBB94_619
.LBB94_616:
	s_mov_b64 s[0:1], -1
                                        ; implicit-def: $vgpr4_vgpr5
	s_branch .LBB94_625
.LBB94_617:
	s_mov_b64 s[0:1], -1
                                        ; implicit-def: $vgpr4_vgpr5
	s_branch .LBB94_622
.LBB94_618:
	s_mov_b64 s[0:1], -1
                                        ; implicit-def: $vgpr4_vgpr5
.LBB94_619:
	s_andn2_b64 vcc, exec, s[0:1]
	s_cbranch_vccnz .LBB94_621
; %bb.620:
	global_load_dword v4, v[2:3], off
	s_waitcnt vmcnt(0)
	v_ashrrev_i32_e32 v5, 31, v4
.LBB94_621:
	s_mov_b64 s[0:1], 0
.LBB94_622:
	s_andn2_b64 vcc, exec, s[0:1]
	s_cbranch_vccnz .LBB94_624
; %bb.623:
	global_load_ushort v4, v[2:3], off
	s_waitcnt vmcnt(0)
	v_bfe_i32 v4, v4, 0, 16
	v_ashrrev_i32_e32 v5, 31, v4
.LBB94_624:
	s_mov_b64 s[0:1], 0
.LBB94_625:
	s_andn2_b64 vcc, exec, s[0:1]
	s_cbranch_vccnz .LBB94_631
; %bb.626:
	s_cmp_gt_i32 s28, 0
	s_cbranch_scc0 .LBB94_628
; %bb.627:
	global_load_sbyte v4, v[2:3], off
	s_mov_b64 s[0:1], 0
	s_waitcnt vmcnt(0)
	v_bfe_i32 v4, v4, 0, 16
	v_ashrrev_i32_e32 v5, 31, v4
	s_branch .LBB94_629
.LBB94_628:
	s_mov_b64 s[0:1], -1
                                        ; implicit-def: $vgpr4_vgpr5
.LBB94_629:
	s_andn2_b64 vcc, exec, s[0:1]
	s_cbranch_vccnz .LBB94_631
; %bb.630:
	global_load_ubyte v2, v[2:3], off
	s_mov_b32 s0, 0
	s_waitcnt vmcnt(1)
	v_mov_b32_e32 v5, s0
	s_waitcnt vmcnt(0)
	v_and_b32_e32 v4, 0xffff, v2
.LBB94_631:
	s_mov_b64 s[0:1], -1
.LBB94_632:
	s_andn2_b64 vcc, exec, s[0:1]
	s_cbranch_vccnz .LBB94_640
; %bb.633:
	v_mul_lo_u32 v2, v18, s12
	s_waitcnt vmcnt(0)
	v_lshlrev_b64 v[0:1], v4, v[0:1]
	v_cmp_gt_u64_e32 vcc, 64, v[4:5]
	v_mov_b32_e32 v4, s9
	v_cndmask_b32_e32 v1, 0, v1, vcc
	v_cndmask_b32_e32 v0, 0, v0, vcc
	v_ashrrev_i32_e32 v3, 31, v2
	s_and_b32 s38, s33, 0xff
	v_add_co_u32_e32 v2, vcc, s8, v2
	s_cmp_lt_i32 s38, 11
	v_addc_co_u32_e32 v3, vcc, v4, v3, vcc
	s_cbranch_scc1 .LBB94_641
; %bb.634:
	s_and_b32 s39, 0xffff, s38
	s_cmp_gt_i32 s39, 25
	s_cbranch_scc0 .LBB94_642
; %bb.635:
	s_cmp_gt_i32 s39, 28
	s_cbranch_scc0 .LBB94_643
; %bb.636:
	;; [unrolled: 3-line block ×4, first 2 shown]
	s_mov_b64 s[34:35], 0
	s_mov_b64 s[0:1], -1
	s_cmp_eq_u32 s39, 46
	s_mov_b64 s[28:29], 0
	s_cbranch_scc0 .LBB94_646
; %bb.639:
	v_xor_b32_e32 v5, v0, v1
	v_ffbh_i32_e32 v4, v1
	v_ashrrev_i32_e32 v5, 31, v5
	v_add_u32_e32 v4, -1, v4
	v_add_u32_e32 v5, 32, v5
	v_min_u32_e32 v6, v4, v5
	v_lshlrev_b64 v[4:5], v6, v[0:1]
	s_movk_i32 s0, 0x7fff
	v_min_u32_e32 v4, 1, v4
	v_or_b32_e32 v4, v5, v4
	v_cvt_f32_i32_e32 v4, v4
	v_sub_u32_e32 v5, 32, v6
	s_mov_b64 s[28:29], -1
	v_ldexp_f32 v4, v4, v5
	v_bfe_u32 v5, v4, 16, 1
	v_add3_u32 v4, v4, v5, s0
	v_lshrrev_b32_e32 v4, 16, v4
	global_store_dword v[2:3], v4, off
	s_mov_b64 s[0:1], 0
	s_branch .LBB94_646
.LBB94_640:
	s_mov_b64 s[34:35], 0
                                        ; implicit-def: $vgpr18
	s_mov_b64 s[0:1], s[6:7]
	s_branch .LBB94_756
.LBB94_641:
	s_mov_b64 s[34:35], -1
	s_mov_b64 s[28:29], 0
	s_mov_b64 s[0:1], s[6:7]
	s_branch .LBB94_715
.LBB94_642:
	s_mov_b64 s[34:35], -1
	s_mov_b64 s[28:29], 0
	s_mov_b64 s[0:1], s[6:7]
	s_branch .LBB94_673
.LBB94_643:
	s_mov_b64 s[34:35], -1
	s_mov_b64 s[28:29], 0
	s_mov_b64 s[0:1], s[6:7]
	s_branch .LBB94_656
.LBB94_644:
	s_mov_b64 s[34:35], -1
	s_mov_b64 s[28:29], 0
	s_mov_b64 s[0:1], s[6:7]
	s_branch .LBB94_652
.LBB94_645:
	s_mov_b64 s[34:35], -1
	s_mov_b64 s[28:29], 0
	s_mov_b64 s[0:1], s[6:7]
.LBB94_646:
	s_and_b64 vcc, exec, s[34:35]
	s_cbranch_vccz .LBB94_651
; %bb.647:
	s_cmp_eq_u32 s39, 44
	s_mov_b64 s[0:1], -1
	s_cbranch_scc0 .LBB94_651
; %bb.648:
	v_xor_b32_e32 v5, v0, v1
	v_ffbh_i32_e32 v4, v1
	v_ashrrev_i32_e32 v5, 31, v5
	v_add_u32_e32 v4, -1, v4
	v_add_u32_e32 v5, 32, v5
	v_min_u32_e32 v6, v4, v5
	v_lshlrev_b64 v[4:5], v6, v[0:1]
	s_movk_i32 s0, 0xff
	v_min_u32_e32 v4, 1, v4
	v_or_b32_e32 v4, v5, v4
	v_cvt_f32_i32_e32 v4, v4
	v_sub_u32_e32 v5, 32, v6
	v_mov_b32_e32 v6, 0xff
	v_ldexp_f32 v4, v4, v5
	v_bfe_u32 v5, v4, 23, 8
	v_cmp_ne_u32_e32 vcc, s0, v5
	s_and_saveexec_b64 s[28:29], vcc
; %bb.649:
	s_mov_b32 s0, 0x3fffff
	v_lshrrev_b32_e32 v6, 23, v4
	v_and_b32_e32 v7, 0x400000, v4
	v_and_or_b32 v4, v4, s0, v5
	v_cmp_ne_u32_e32 vcc, 0, v7
	v_cmp_ne_u32_e64 s[0:1], 0, v4
	s_and_b64 s[0:1], vcc, s[0:1]
	v_cndmask_b32_e64 v4, 0, 1, s[0:1]
	v_add_u32_e32 v6, v6, v4
; %bb.650:
	s_or_b64 exec, exec, s[28:29]
	s_mov_b64 s[28:29], -1
	s_mov_b64 s[0:1], 0
	global_store_byte v[2:3], v6, off
.LBB94_651:
	s_mov_b64 s[34:35], 0
.LBB94_652:
	s_and_b64 vcc, exec, s[34:35]
	s_cbranch_vccz .LBB94_655
; %bb.653:
	s_cmp_eq_u32 s39, 29
	s_mov_b64 s[0:1], -1
	s_cbranch_scc0 .LBB94_655
; %bb.654:
	global_store_dwordx2 v[2:3], v[0:1], off
	s_mov_b64 s[28:29], -1
	s_mov_b64 s[0:1], 0
.LBB94_655:
	s_mov_b64 s[34:35], 0
.LBB94_656:
	s_and_b64 vcc, exec, s[34:35]
	s_cbranch_vccz .LBB94_672
; %bb.657:
	s_cmp_lt_i32 s39, 27
	s_mov_b64 s[28:29], -1
	s_cbranch_scc1 .LBB94_663
; %bb.658:
	s_cmp_gt_i32 s39, 27
	s_cbranch_scc0 .LBB94_660
; %bb.659:
	s_mov_b64 s[28:29], 0
	global_store_dword v[2:3], v0, off
.LBB94_660:
	s_andn2_b64 vcc, exec, s[28:29]
	s_cbranch_vccnz .LBB94_662
; %bb.661:
	global_store_short v[2:3], v0, off
.LBB94_662:
	s_mov_b64 s[28:29], 0
.LBB94_663:
	s_andn2_b64 vcc, exec, s[28:29]
	s_cbranch_vccnz .LBB94_671
; %bb.664:
	v_xor_b32_e32 v5, v0, v1
	v_ffbh_i32_e32 v4, v1
	v_ashrrev_i32_e32 v5, 31, v5
	v_add_u32_e32 v4, -1, v4
	v_add_u32_e32 v5, 32, v5
	v_min_u32_e32 v6, v4, v5
	v_lshlrev_b64 v[4:5], v6, v[0:1]
	s_mov_b32 s28, 0x43800000
	v_min_u32_e32 v4, 1, v4
	v_or_b32_e32 v4, v5, v4
	v_cvt_f32_i32_e32 v4, v4
	v_sub_u32_e32 v5, 32, v6
	v_mov_b32_e32 v6, 0x80
	v_ldexp_f32 v4, v4, v5
	v_and_b32_e32 v5, 0x7fffffff, v4
	v_cmp_gt_u32_e32 vcc, s28, v5
	s_and_saveexec_b64 s[28:29], vcc
	s_cbranch_execz .LBB94_670
; %bb.665:
	s_mov_b32 s34, 0x3bffffff
	v_cmp_lt_u32_e32 vcc, s34, v5
	s_mov_b64 s[34:35], 0
                                        ; implicit-def: $vgpr5
	s_and_saveexec_b64 s[36:37], vcc
	s_xor_b64 s[36:37], exec, s[36:37]
	s_cbranch_execz .LBB94_772
; %bb.666:
	v_bfe_u32 v5, v4, 20, 1
	s_mov_b32 s40, 0x487ffff
	v_add3_u32 v5, v4, v5, s40
	s_mov_b64 s[34:35], exec
	v_lshrrev_b32_e32 v5, 20, v5
	s_andn2_saveexec_b64 s[36:37], s[36:37]
	s_cbranch_execnz .LBB94_773
.LBB94_667:
	s_or_b64 exec, exec, s[36:37]
	v_mov_b32_e32 v6, 0
	s_and_saveexec_b64 s[36:37], s[34:35]
.LBB94_668:
	v_lshrrev_b32_e32 v4, 24, v4
	s_movk_i32 s34, 0x80
	v_and_or_b32 v6, v4, s34, v5
.LBB94_669:
	s_or_b64 exec, exec, s[36:37]
.LBB94_670:
	s_or_b64 exec, exec, s[28:29]
	global_store_byte v[2:3], v6, off
.LBB94_671:
	s_mov_b64 s[28:29], -1
.LBB94_672:
	s_mov_b64 s[34:35], 0
.LBB94_673:
	s_and_b64 vcc, exec, s[34:35]
	s_cbranch_vccz .LBB94_714
; %bb.674:
	s_cmp_gt_i32 s39, 22
	s_mov_b64 s[34:35], -1
	s_cbranch_scc0 .LBB94_706
; %bb.675:
	s_cmp_lt_i32 s39, 24
	s_mov_b64 s[28:29], -1
	s_cbranch_scc1 .LBB94_695
; %bb.676:
	s_cmp_gt_i32 s39, 24
	s_cbranch_scc0 .LBB94_684
; %bb.677:
	v_xor_b32_e32 v5, v0, v1
	v_ffbh_i32_e32 v4, v1
	v_ashrrev_i32_e32 v5, 31, v5
	v_add_u32_e32 v4, -1, v4
	v_add_u32_e32 v5, 32, v5
	v_min_u32_e32 v6, v4, v5
	v_lshlrev_b64 v[4:5], v6, v[0:1]
	s_mov_b32 s28, 0x47800000
	v_min_u32_e32 v4, 1, v4
	v_or_b32_e32 v4, v5, v4
	v_cvt_f32_i32_e32 v4, v4
	v_sub_u32_e32 v5, 32, v6
	v_mov_b32_e32 v6, 0x80
	v_ldexp_f32 v4, v4, v5
	v_and_b32_e32 v5, 0x7fffffff, v4
	v_cmp_gt_u32_e32 vcc, s28, v5
	s_and_saveexec_b64 s[28:29], vcc
	s_cbranch_execz .LBB94_683
; %bb.678:
	s_mov_b32 s34, 0x37ffffff
	v_cmp_lt_u32_e32 vcc, s34, v5
	s_mov_b64 s[34:35], 0
                                        ; implicit-def: $vgpr5
	s_and_saveexec_b64 s[36:37], vcc
	s_xor_b64 s[36:37], exec, s[36:37]
	s_cbranch_execz .LBB94_900
; %bb.679:
	v_bfe_u32 v5, v4, 21, 1
	s_mov_b32 s40, 0x88fffff
	v_add3_u32 v5, v4, v5, s40
	s_mov_b64 s[34:35], exec
	v_lshrrev_b32_e32 v5, 21, v5
	s_andn2_saveexec_b64 s[36:37], s[36:37]
	s_cbranch_execnz .LBB94_901
.LBB94_680:
	s_or_b64 exec, exec, s[36:37]
	v_mov_b32_e32 v6, 0
	s_and_saveexec_b64 s[36:37], s[34:35]
.LBB94_681:
	v_lshrrev_b32_e32 v4, 24, v4
	s_movk_i32 s34, 0x80
	v_and_or_b32 v6, v4, s34, v5
.LBB94_682:
	s_or_b64 exec, exec, s[36:37]
.LBB94_683:
	s_or_b64 exec, exec, s[28:29]
	s_mov_b64 s[28:29], 0
	global_store_byte v[2:3], v6, off
.LBB94_684:
	s_and_b64 vcc, exec, s[28:29]
	s_cbranch_vccz .LBB94_694
; %bb.685:
	v_xor_b32_e32 v5, v0, v1
	v_ffbh_i32_e32 v4, v1
	v_ashrrev_i32_e32 v5, 31, v5
	v_add_u32_e32 v4, -1, v4
	v_add_u32_e32 v5, 32, v5
	v_min_u32_e32 v6, v4, v5
	v_lshlrev_b64 v[4:5], v6, v[0:1]
	s_mov_b32 s28, 0x43f00000
	v_min_u32_e32 v4, 1, v4
	v_or_b32_e32 v4, v5, v4
	v_cvt_f32_i32_e32 v4, v4
	v_sub_u32_e32 v5, 32, v6
	v_ldexp_f32 v4, v4, v5
	v_and_b32_e32 v6, 0x7fffffff, v4
	v_cmp_gt_u32_e32 vcc, s28, v6
                                        ; implicit-def: $vgpr5
	s_and_saveexec_b64 s[28:29], vcc
	s_xor_b64 s[28:29], exec, s[28:29]
	s_cbranch_execz .LBB94_691
; %bb.686:
	s_mov_b32 s34, 0x3c7fffff
	v_cmp_lt_u32_e32 vcc, s34, v6
                                        ; implicit-def: $vgpr5
	s_and_saveexec_b64 s[34:35], vcc
	s_xor_b64 s[34:35], exec, s[34:35]
; %bb.687:
	v_bfe_u32 v5, v4, 20, 1
	s_mov_b32 s36, 0x407ffff
	v_add3_u32 v5, v4, v5, s36
	v_lshrrev_b32_e32 v6, 20, v5
	v_and_b32_e32 v5, 0xff00000, v5
	s_mov_b32 s36, 0x7f00000
	v_mov_b32_e32 v7, 0x7e
	v_cmp_ne_u32_e32 vcc, s36, v5
	v_cndmask_b32_e32 v5, v7, v6, vcc
; %bb.688:
	s_andn2_saveexec_b64 s[34:35], s[34:35]
; %bb.689:
	s_mov_b32 s36, 0x46800000
	v_add_f32_e64 v5, |v4|, s36
; %bb.690:
	s_or_b64 exec, exec, s[34:35]
                                        ; implicit-def: $vgpr6
.LBB94_691:
	s_andn2_saveexec_b64 s[28:29], s[28:29]
; %bb.692:
	s_mov_b32 s34, 0x7f800000
	v_mov_b32_e32 v5, 0x7e
	v_mov_b32_e32 v7, 0x7f
	v_cmp_lt_u32_e32 vcc, s34, v6
	v_cndmask_b32_e32 v5, v5, v7, vcc
; %bb.693:
	s_or_b64 exec, exec, s[28:29]
	v_lshrrev_b32_e32 v4, 24, v4
	s_movk_i32 s28, 0x80
	v_and_or_b32 v4, v4, s28, v5
	global_store_byte v[2:3], v4, off
.LBB94_694:
	s_mov_b64 s[28:29], 0
.LBB94_695:
	s_andn2_b64 vcc, exec, s[28:29]
	s_cbranch_vccnz .LBB94_705
; %bb.696:
	v_xor_b32_e32 v5, v0, v1
	v_ffbh_i32_e32 v4, v1
	v_ashrrev_i32_e32 v5, 31, v5
	v_add_u32_e32 v4, -1, v4
	v_add_u32_e32 v5, 32, v5
	v_min_u32_e32 v6, v4, v5
	v_lshlrev_b64 v[4:5], v6, v[0:1]
	s_mov_b32 s28, 0x47800000
	v_min_u32_e32 v4, 1, v4
	v_or_b32_e32 v4, v5, v4
	v_cvt_f32_i32_e32 v4, v4
	v_sub_u32_e32 v5, 32, v6
	v_ldexp_f32 v4, v4, v5
	v_and_b32_e32 v6, 0x7fffffff, v4
	v_cmp_gt_u32_e32 vcc, s28, v6
                                        ; implicit-def: $vgpr5
	s_and_saveexec_b64 s[28:29], vcc
	s_xor_b64 s[28:29], exec, s[28:29]
	s_cbranch_execz .LBB94_702
; %bb.697:
	s_mov_b32 s34, 0x387fffff
	v_cmp_lt_u32_e32 vcc, s34, v6
                                        ; implicit-def: $vgpr5
	s_and_saveexec_b64 s[34:35], vcc
	s_xor_b64 s[34:35], exec, s[34:35]
; %bb.698:
	v_bfe_u32 v5, v4, 21, 1
	s_mov_b32 s36, 0x80fffff
	v_add3_u32 v5, v4, v5, s36
	v_lshrrev_b32_e32 v5, 21, v5
; %bb.699:
	s_andn2_saveexec_b64 s[34:35], s[34:35]
; %bb.700:
	s_mov_b32 s36, 0x43000000
	v_add_f32_e64 v5, |v4|, s36
; %bb.701:
	s_or_b64 exec, exec, s[34:35]
                                        ; implicit-def: $vgpr6
.LBB94_702:
	s_andn2_saveexec_b64 s[28:29], s[28:29]
; %bb.703:
	s_mov_b32 s34, 0x7f800000
	v_mov_b32_e32 v5, 0x7c
	v_mov_b32_e32 v7, 0x7f
	v_cmp_lt_u32_e32 vcc, s34, v6
	v_cndmask_b32_e32 v5, v5, v7, vcc
; %bb.704:
	s_or_b64 exec, exec, s[28:29]
	v_lshrrev_b32_e32 v4, 24, v4
	s_movk_i32 s28, 0x80
	v_and_or_b32 v4, v4, s28, v5
	global_store_byte v[2:3], v4, off
.LBB94_705:
	s_mov_b64 s[34:35], 0
	s_mov_b64 s[28:29], -1
.LBB94_706:
	s_andn2_b64 vcc, exec, s[34:35]
	s_cbranch_vccnz .LBB94_714
; %bb.707:
	s_cmp_gt_i32 s39, 14
	s_mov_b64 s[34:35], -1
	s_cbranch_scc0 .LBB94_711
; %bb.708:
	s_cmp_eq_u32 s39, 15
	s_mov_b64 s[0:1], -1
	s_cbranch_scc0 .LBB94_710
; %bb.709:
	v_xor_b32_e32 v5, v0, v1
	v_ffbh_i32_e32 v4, v1
	v_ashrrev_i32_e32 v5, 31, v5
	v_add_u32_e32 v4, -1, v4
	v_add_u32_e32 v5, 32, v5
	v_min_u32_e32 v6, v4, v5
	v_lshlrev_b64 v[4:5], v6, v[0:1]
	s_movk_i32 s0, 0x7fff
	v_min_u32_e32 v4, 1, v4
	v_or_b32_e32 v4, v5, v4
	v_cvt_f32_i32_e32 v4, v4
	v_sub_u32_e32 v5, 32, v6
	s_mov_b64 s[28:29], -1
	v_ldexp_f32 v4, v4, v5
	v_bfe_u32 v5, v4, 16, 1
	v_add3_u32 v4, v4, v5, s0
	global_store_short_d16_hi v[2:3], v4, off
	s_mov_b64 s[0:1], 0
.LBB94_710:
	s_mov_b64 s[34:35], 0
.LBB94_711:
	s_and_b64 vcc, exec, s[34:35]
	s_cbranch_vccz .LBB94_714
; %bb.712:
	s_cmp_eq_u32 s39, 11
	s_mov_b64 s[0:1], -1
	s_cbranch_scc0 .LBB94_714
; %bb.713:
	v_cmp_ne_u64_e32 vcc, 0, v[0:1]
	s_mov_b64 s[0:1], 0
	v_cndmask_b32_e64 v4, 0, 1, vcc
	s_mov_b64 s[28:29], -1
	global_store_byte v[2:3], v4, off
.LBB94_714:
	s_mov_b64 s[34:35], 0
.LBB94_715:
	s_and_b64 vcc, exec, s[34:35]
	s_cbranch_vccz .LBB94_754
; %bb.716:
	s_and_b32 s34, 0xffff, s38
	s_cmp_lt_i32 s34, 5
	s_mov_b64 s[28:29], -1
	s_cbranch_scc1 .LBB94_737
; %bb.717:
	s_cmp_lt_i32 s34, 8
	s_cbranch_scc1 .LBB94_727
; %bb.718:
	s_cmp_lt_i32 s34, 9
	s_cbranch_scc1 .LBB94_724
; %bb.719:
	s_cmp_gt_i32 s34, 9
	s_cbranch_scc0 .LBB94_721
; %bb.720:
	v_cvt_f64_i32_e32 v[4:5], v1
	v_cvt_f64_u32_e32 v[6:7], v0
	s_mov_b64 s[28:29], 0
	v_ldexp_f64 v[4:5], v[4:5], 32
	v_add_f64 v[4:5], v[4:5], v[6:7]
	v_mov_b32_e32 v6, 0
	v_mov_b32_e32 v7, v6
	global_store_dwordx4 v[2:3], v[4:7], off
.LBB94_721:
	s_andn2_b64 vcc, exec, s[28:29]
	s_cbranch_vccnz .LBB94_723
; %bb.722:
	v_xor_b32_e32 v5, v0, v1
	v_ffbh_i32_e32 v4, v1
	v_ashrrev_i32_e32 v5, 31, v5
	v_add_u32_e32 v4, -1, v4
	v_add_u32_e32 v5, 32, v5
	v_min_u32_e32 v6, v4, v5
	v_lshlrev_b64 v[4:5], v6, v[0:1]
	v_min_u32_e32 v4, 1, v4
	v_or_b32_e32 v4, v5, v4
	v_cvt_f32_i32_e32 v4, v4
	v_sub_u32_e32 v5, 32, v6
	v_ldexp_f32 v4, v4, v5
	v_mov_b32_e32 v5, 0
	global_store_dwordx2 v[2:3], v[4:5], off
.LBB94_723:
	s_mov_b64 s[28:29], 0
.LBB94_724:
	s_andn2_b64 vcc, exec, s[28:29]
	s_cbranch_vccnz .LBB94_726
; %bb.725:
	v_xor_b32_e32 v5, v0, v1
	v_ffbh_i32_e32 v4, v1
	v_ashrrev_i32_e32 v5, 31, v5
	v_add_u32_e32 v4, -1, v4
	v_add_u32_e32 v5, 32, v5
	v_min_u32_e32 v6, v4, v5
	v_lshlrev_b64 v[4:5], v6, v[0:1]
	v_min_u32_e32 v4, 1, v4
	v_or_b32_e32 v4, v5, v4
	v_cvt_f32_i32_e32 v4, v4
	v_sub_u32_e32 v5, 32, v6
	v_ldexp_f32 v4, v4, v5
	v_cvt_f16_f32_e32 v4, v4
	global_store_dword v[2:3], v4, off
.LBB94_726:
	s_mov_b64 s[28:29], 0
.LBB94_727:
	s_andn2_b64 vcc, exec, s[28:29]
	s_cbranch_vccnz .LBB94_736
; %bb.728:
	s_cmp_lt_i32 s34, 6
	s_mov_b64 s[28:29], -1
	s_cbranch_scc1 .LBB94_734
; %bb.729:
	s_cmp_gt_i32 s34, 6
	s_cbranch_scc0 .LBB94_731
; %bb.730:
	v_cvt_f64_i32_e32 v[4:5], v1
	v_cvt_f64_u32_e32 v[6:7], v0
	s_mov_b64 s[28:29], 0
	v_ldexp_f64 v[4:5], v[4:5], 32
	v_add_f64 v[4:5], v[4:5], v[6:7]
	global_store_dwordx2 v[2:3], v[4:5], off
.LBB94_731:
	s_andn2_b64 vcc, exec, s[28:29]
	s_cbranch_vccnz .LBB94_733
; %bb.732:
	v_xor_b32_e32 v5, v0, v1
	v_ffbh_i32_e32 v4, v1
	v_ashrrev_i32_e32 v5, 31, v5
	v_add_u32_e32 v4, -1, v4
	v_add_u32_e32 v5, 32, v5
	v_min_u32_e32 v6, v4, v5
	v_lshlrev_b64 v[4:5], v6, v[0:1]
	v_min_u32_e32 v4, 1, v4
	v_or_b32_e32 v4, v5, v4
	v_cvt_f32_i32_e32 v4, v4
	v_sub_u32_e32 v5, 32, v6
	v_ldexp_f32 v4, v4, v5
	global_store_dword v[2:3], v4, off
.LBB94_733:
	s_mov_b64 s[28:29], 0
.LBB94_734:
	s_andn2_b64 vcc, exec, s[28:29]
	s_cbranch_vccnz .LBB94_736
; %bb.735:
	v_xor_b32_e32 v5, v0, v1
	v_ffbh_i32_e32 v4, v1
	v_ashrrev_i32_e32 v5, 31, v5
	v_add_u32_e32 v4, -1, v4
	v_add_u32_e32 v5, 32, v5
	v_min_u32_e32 v6, v4, v5
	v_lshlrev_b64 v[4:5], v6, v[0:1]
	v_min_u32_e32 v4, 1, v4
	v_or_b32_e32 v4, v5, v4
	v_cvt_f32_i32_e32 v4, v4
	v_sub_u32_e32 v5, 32, v6
	v_ldexp_f32 v4, v4, v5
	v_cvt_f16_f32_e32 v4, v4
	global_store_short v[2:3], v4, off
.LBB94_736:
	s_mov_b64 s[28:29], 0
.LBB94_737:
	s_andn2_b64 vcc, exec, s[28:29]
	s_cbranch_vccnz .LBB94_753
; %bb.738:
	s_cmp_lt_i32 s34, 2
	s_mov_b64 s[28:29], -1
	s_cbranch_scc1 .LBB94_748
; %bb.739:
	s_cmp_lt_i32 s34, 3
	s_cbranch_scc1 .LBB94_745
; %bb.740:
	s_cmp_gt_i32 s34, 3
	s_cbranch_scc0 .LBB94_742
; %bb.741:
	s_mov_b64 s[28:29], 0
	global_store_dwordx2 v[2:3], v[0:1], off
.LBB94_742:
	s_andn2_b64 vcc, exec, s[28:29]
	s_cbranch_vccnz .LBB94_744
; %bb.743:
	global_store_dword v[2:3], v0, off
.LBB94_744:
	s_mov_b64 s[28:29], 0
.LBB94_745:
	s_andn2_b64 vcc, exec, s[28:29]
	s_cbranch_vccnz .LBB94_747
; %bb.746:
	global_store_short v[2:3], v0, off
.LBB94_747:
	s_mov_b64 s[28:29], 0
.LBB94_748:
	s_andn2_b64 vcc, exec, s[28:29]
	s_cbranch_vccnz .LBB94_753
; %bb.749:
	s_cmp_gt_i32 s34, 0
	s_mov_b64 s[28:29], -1
	s_cbranch_scc0 .LBB94_751
; %bb.750:
	s_mov_b64 s[28:29], 0
	global_store_byte v[2:3], v0, off
.LBB94_751:
	s_andn2_b64 vcc, exec, s[28:29]
	s_cbranch_vccnz .LBB94_753
; %bb.752:
	global_store_byte v[2:3], v0, off
.LBB94_753:
	s_mov_b64 s[28:29], -1
.LBB94_754:
	s_andn2_b64 vcc, exec, s[28:29]
	s_cbranch_vccnz .LBB94_767
; %bb.755:
	v_add_u32_e32 v18, 0x80, v18
	s_mov_b64 s[34:35], -1
.LBB94_756:
	s_andn2_b64 s[28:29], s[6:7], exec
	s_and_b64 s[0:1], s[0:1], exec
	s_or_b64 s[28:29], s[28:29], s[0:1]
	s_andn2_b64 s[0:1], s[18:19], exec
	s_and_b64 s[26:27], s[26:27], exec
	s_or_b64 s[26:27], s[0:1], s[26:27]
	;; [unrolled: 3-line block ×3, first 2 shown]
	s_orn2_b64 s[0:1], s[34:35], exec
.LBB94_757:
	s_or_b64 exec, exec, s[30:31]
	s_mov_b64 s[34:35], 0
	s_mov_b64 s[36:37], 0
	;; [unrolled: 1-line block ×3, first 2 shown]
                                        ; implicit-def: $sgpr55
                                        ; implicit-def: $vgpr2_vgpr3
                                        ; implicit-def: $vgpr0_vgpr1
	s_and_saveexec_b64 s[30:31], s[0:1]
	s_cbranch_execz .LBB94_1219
; %bb.758:
	v_cmp_gt_i32_e32 vcc, s48, v18
	s_mov_b64 s[46:47], -1
	s_mov_b64 s[0:1], s[24:25]
	s_mov_b64 s[38:39], s[26:27]
	s_mov_b64 s[40:41], s[28:29]
	s_and_saveexec_b64 s[34:35], vcc
	s_cbranch_execz .LBB94_1138
; %bb.759:
	s_waitcnt vmcnt(0)
	v_mul_lo_u32 v0, v18, s13
	v_mov_b32_e32 v1, s11
	s_and_b32 s40, s54, 0xff
	s_cmp_lt_i32 s40, 11
	v_ashrrev_i32_e32 v3, 31, v0
	v_add_co_u32_e32 v2, vcc, s10, v0
	v_addc_co_u32_e32 v3, vcc, v1, v3, vcc
	s_cbranch_scc1 .LBB94_766
; %bb.760:
	s_and_b32 s41, 0xffff, s40
	s_cmp_gt_i32 s41, 25
	s_cbranch_scc0 .LBB94_768
; %bb.761:
	s_cmp_gt_i32 s41, 28
	s_cbranch_scc0 .LBB94_769
; %bb.762:
	;; [unrolled: 3-line block ×4, first 2 shown]
	s_cmp_eq_u32 s41, 46
	s_mov_b64 s[38:39], 0
	s_cbranch_scc0 .LBB94_774
; %bb.765:
	global_load_dword v0, v[2:3], off
	s_mov_b32 s0, 0x2f800000
	s_mov_b32 s1, 0xcf800000
	s_waitcnt vmcnt(0)
	v_lshlrev_b32_e32 v0, 16, v0
	v_trunc_f32_e32 v0, v0
	v_mul_f32_e64 v1, |v0|, s0
	v_floor_f32_e32 v1, v1
	v_fma_f32 v4, v1, s1, |v0|
	v_cvt_u32_f32_e32 v4, v4
	v_cvt_u32_f32_e32 v1, v1
	v_ashrrev_i32_e32 v5, 31, v0
	s_mov_b64 s[0:1], -1
	v_xor_b32_e32 v0, v4, v5
	v_xor_b32_e32 v1, v1, v5
	v_sub_co_u32_e32 v0, vcc, v0, v5
	v_subb_co_u32_e32 v1, vcc, v1, v5, vcc
	s_branch .LBB94_775
.LBB94_766:
	s_mov_b64 s[38:39], -1
	s_mov_b64 s[0:1], 0
                                        ; implicit-def: $vgpr0_vgpr1
	s_mov_b64 s[36:37], s[24:25]
	s_branch .LBB94_836
.LBB94_767:
	s_mov_b64 s[34:35], 0
	s_branch .LBB94_518
.LBB94_768:
	s_mov_b64 s[38:39], -1
	s_mov_b64 s[0:1], 0
	s_mov_b64 s[36:37], s[24:25]
                                        ; implicit-def: $vgpr0_vgpr1
	s_branch .LBB94_804
.LBB94_769:
	s_mov_b64 s[38:39], -1
	s_mov_b64 s[0:1], 0
	s_mov_b64 s[36:37], s[24:25]
                                        ; implicit-def: $vgpr0_vgpr1
	s_branch .LBB94_785
.LBB94_770:
	s_mov_b64 s[38:39], -1
	s_mov_b64 s[0:1], 0
	s_mov_b64 s[36:37], s[24:25]
                                        ; implicit-def: $vgpr0_vgpr1
	s_branch .LBB94_780
.LBB94_771:
	s_mov_b64 s[38:39], -1
	s_mov_b64 s[0:1], 0
	s_mov_b64 s[36:37], s[24:25]
                                        ; implicit-def: $vgpr0_vgpr1
	s_branch .LBB94_775
.LBB94_772:
	s_andn2_saveexec_b64 s[36:37], s[36:37]
	s_cbranch_execz .LBB94_667
.LBB94_773:
	s_mov_b32 s40, 0x46000000
	v_add_f32_e64 v5, |v4|, s40
	v_and_b32_e32 v5, 0xff, v5
	v_cmp_ne_u32_e32 vcc, 0, v5
	s_andn2_b64 s[34:35], s[34:35], exec
	s_and_b64 s[40:41], vcc, exec
	s_or_b64 s[34:35], s[34:35], s[40:41]
	s_or_b64 exec, exec, s[36:37]
	v_mov_b32_e32 v6, 0
	s_and_saveexec_b64 s[36:37], s[34:35]
	s_cbranch_execnz .LBB94_668
	s_branch .LBB94_669
.LBB94_774:
	s_mov_b64 s[36:37], -1
                                        ; implicit-def: $vgpr0_vgpr1
	s_mov_b64 s[0:1], 0
.LBB94_775:
	s_and_b64 vcc, exec, s[38:39]
	s_cbranch_vccz .LBB94_779
; %bb.776:
	s_cmp_eq_u32 s41, 44
	s_cbranch_scc0 .LBB94_778
; %bb.777:
	global_load_ubyte v0, v[2:3], off
	s_mov_b32 s0, 0x2f800000
	s_mov_b32 s1, 0xcf800000
	s_mov_b64 s[36:37], 0
	s_waitcnt vmcnt(0)
	v_lshlrev_b32_e32 v1, 23, v0
	v_trunc_f32_e32 v1, v1
	v_mul_f32_e64 v4, |v1|, s0
	v_floor_f32_e32 v4, v4
	v_fma_f32 v5, v4, s1, |v1|
	v_cvt_u32_f32_e32 v5, v5
	v_cvt_u32_f32_e32 v4, v4
	v_ashrrev_i32_e32 v1, 31, v1
	s_mov_b64 s[0:1], -1
	v_xor_b32_e32 v5, v5, v1
	v_xor_b32_e32 v4, v4, v1
	v_sub_co_u32_e32 v5, vcc, v5, v1
	v_subb_co_u32_e32 v1, vcc, v4, v1, vcc
	v_cmp_ne_u32_e32 vcc, 0, v0
	v_cndmask_b32_e32 v1, 0, v1, vcc
	v_cndmask_b32_e32 v0, 0, v5, vcc
	s_branch .LBB94_779
.LBB94_778:
	s_mov_b64 s[36:37], -1
                                        ; implicit-def: $vgpr0_vgpr1
.LBB94_779:
	s_mov_b64 s[38:39], 0
.LBB94_780:
	s_and_b64 vcc, exec, s[38:39]
	s_cbranch_vccz .LBB94_784
; %bb.781:
	s_cmp_eq_u32 s41, 29
	s_cbranch_scc0 .LBB94_783
; %bb.782:
	global_load_dwordx2 v[0:1], v[2:3], off
	s_mov_b64 s[0:1], -1
	s_mov_b64 s[36:37], 0
	s_branch .LBB94_784
.LBB94_783:
	s_mov_b64 s[36:37], -1
                                        ; implicit-def: $vgpr0_vgpr1
.LBB94_784:
	s_mov_b64 s[38:39], 0
.LBB94_785:
	s_and_b64 vcc, exec, s[38:39]
	s_cbranch_vccz .LBB94_803
; %bb.786:
	s_cmp_lt_i32 s41, 27
	s_cbranch_scc1 .LBB94_789
; %bb.787:
	s_cmp_gt_i32 s41, 27
	s_cbranch_scc0 .LBB94_790
; %bb.788:
	global_load_dword v0, v[2:3], off
	s_waitcnt vmcnt(1)
	v_mov_b32_e32 v1, 0
	s_mov_b64 s[0:1], 0
	s_branch .LBB94_791
.LBB94_789:
	s_mov_b64 s[0:1], -1
                                        ; implicit-def: $vgpr0_vgpr1
	s_branch .LBB94_794
.LBB94_790:
	s_mov_b64 s[0:1], -1
                                        ; implicit-def: $vgpr0_vgpr1
.LBB94_791:
	s_andn2_b64 vcc, exec, s[0:1]
	s_cbranch_vccnz .LBB94_793
; %bb.792:
	global_load_ushort v0, v[2:3], off
	s_mov_b32 s0, 0
	s_waitcnt vmcnt(1)
	v_mov_b32_e32 v1, s0
	s_waitcnt vmcnt(0)
	v_and_b32_e32 v0, 0xffff, v0
.LBB94_793:
	s_mov_b64 s[0:1], 0
.LBB94_794:
	s_andn2_b64 vcc, exec, s[0:1]
	s_cbranch_vccnz .LBB94_802
; %bb.795:
	global_load_ubyte v4, v[2:3], off
	s_movk_i32 s0, 0x7f
	s_mov_b64 s[38:39], 0
	s_waitcnt vmcnt(0)
	v_cmp_lt_i16_e32 vcc, s0, v4
	s_and_saveexec_b64 s[0:1], vcc
	s_xor_b64 s[0:1], exec, s[0:1]
; %bb.796:
	s_movk_i32 s38, 0x80
	v_cmp_ne_u16_e32 vcc, s38, v4
	s_and_b64 s[38:39], vcc, exec
; %bb.797:
	s_andn2_saveexec_b64 s[0:1], s[0:1]
; %bb.798:
	v_cmp_ne_u16_e32 vcc, 0, v4
	s_andn2_b64 s[38:39], s[38:39], exec
	s_and_b64 s[42:43], vcc, exec
	s_or_b64 s[38:39], s[38:39], s[42:43]
; %bb.799:
	s_or_b64 exec, exec, s[0:1]
	v_mov_b32_e32 v0, 0
	v_mov_b32_e32 v1, 0
	s_and_saveexec_b64 s[0:1], s[38:39]
	s_cbranch_execz .LBB94_801
; %bb.800:
	v_and_b32_e32 v1, 0xffff, v4
	v_lshlrev_b32_e32 v0, 24, v4
	v_and_b32_e32 v4, 7, v1
	v_ffbh_u32_e32 v6, v4
	v_min_u32_e32 v6, 32, v6
	v_subrev_u32_e32 v7, 28, v6
	v_bfe_u32 v5, v1, 3, 4
	v_lshlrev_b32_e32 v1, v7, v1
	v_sub_u32_e32 v6, 29, v6
	v_and_b32_e32 v1, 7, v1
	v_cmp_eq_u32_e32 vcc, 0, v5
	v_cndmask_b32_e32 v5, v5, v6, vcc
	v_cndmask_b32_e32 v1, v4, v1, vcc
	v_mov_b32_e32 v4, 0x3b800000
	v_lshlrev_b32_e32 v1, 20, v1
	v_and_b32_e32 v0, 0x80000000, v0
	v_lshl_add_u32 v4, v5, 23, v4
	v_or3_b32 v0, v0, v4, v1
	v_trunc_f32_e32 v0, v0
	s_mov_b32 s38, 0x2f800000
	v_mul_f32_e64 v1, |v0|, s38
	v_floor_f32_e32 v1, v1
	s_mov_b32 s38, 0xcf800000
	v_fma_f32 v4, v1, s38, |v0|
	v_cvt_u32_f32_e32 v4, v4
	v_cvt_u32_f32_e32 v1, v1
	v_ashrrev_i32_e32 v5, 31, v0
	v_xor_b32_e32 v0, v4, v5
	v_xor_b32_e32 v1, v1, v5
	v_sub_co_u32_e32 v0, vcc, v0, v5
	v_subb_co_u32_e32 v1, vcc, v1, v5, vcc
.LBB94_801:
	s_or_b64 exec, exec, s[0:1]
.LBB94_802:
	s_mov_b64 s[0:1], -1
.LBB94_803:
	s_mov_b64 s[38:39], 0
.LBB94_804:
	s_and_b64 vcc, exec, s[38:39]
	s_cbranch_vccz .LBB94_835
; %bb.805:
	s_cmp_gt_i32 s41, 22
	s_cbranch_scc0 .LBB94_815
; %bb.806:
	s_cmp_lt_i32 s41, 24
	s_cbranch_scc1 .LBB94_816
; %bb.807:
	s_cmp_gt_i32 s41, 24
	s_cbranch_scc0 .LBB94_817
; %bb.808:
	global_load_ubyte v4, v[2:3], off
	s_movk_i32 s0, 0x7f
	s_mov_b64 s[38:39], 0
	s_waitcnt vmcnt(0)
	v_cmp_lt_i16_e32 vcc, s0, v4
	s_and_saveexec_b64 s[0:1], vcc
	s_xor_b64 s[0:1], exec, s[0:1]
; %bb.809:
	s_movk_i32 s38, 0x80
	v_cmp_ne_u16_e32 vcc, s38, v4
	s_and_b64 s[38:39], vcc, exec
; %bb.810:
	s_andn2_saveexec_b64 s[0:1], s[0:1]
; %bb.811:
	v_cmp_ne_u16_e32 vcc, 0, v4
	s_andn2_b64 s[38:39], s[38:39], exec
	s_and_b64 s[42:43], vcc, exec
	s_or_b64 s[38:39], s[38:39], s[42:43]
; %bb.812:
	s_or_b64 exec, exec, s[0:1]
	v_mov_b32_e32 v0, 0
	v_mov_b32_e32 v1, 0
	s_and_saveexec_b64 s[0:1], s[38:39]
	s_cbranch_execz .LBB94_814
; %bb.813:
	v_and_b32_e32 v1, 0xffff, v4
	v_lshlrev_b32_e32 v0, 24, v4
	v_and_b32_e32 v4, 3, v1
	v_ffbh_u32_e32 v6, v4
	v_min_u32_e32 v6, 32, v6
	v_subrev_u32_e32 v7, 29, v6
	v_bfe_u32 v5, v1, 2, 5
	v_lshlrev_b32_e32 v1, v7, v1
	v_sub_u32_e32 v6, 30, v6
	v_and_b32_e32 v1, 3, v1
	v_cmp_eq_u32_e32 vcc, 0, v5
	v_cndmask_b32_e32 v5, v5, v6, vcc
	v_cndmask_b32_e32 v1, v4, v1, vcc
	v_mov_b32_e32 v4, 0x37800000
	v_lshlrev_b32_e32 v1, 21, v1
	v_and_b32_e32 v0, 0x80000000, v0
	v_lshl_add_u32 v4, v5, 23, v4
	v_or3_b32 v0, v0, v4, v1
	v_trunc_f32_e32 v0, v0
	s_mov_b32 s38, 0x2f800000
	v_mul_f32_e64 v1, |v0|, s38
	v_floor_f32_e32 v1, v1
	s_mov_b32 s38, 0xcf800000
	v_fma_f32 v4, v1, s38, |v0|
	v_cvt_u32_f32_e32 v4, v4
	v_cvt_u32_f32_e32 v1, v1
	v_ashrrev_i32_e32 v5, 31, v0
	v_xor_b32_e32 v0, v4, v5
	v_xor_b32_e32 v1, v1, v5
	v_sub_co_u32_e32 v0, vcc, v0, v5
	v_subb_co_u32_e32 v1, vcc, v1, v5, vcc
.LBB94_814:
	s_or_b64 exec, exec, s[0:1]
	s_mov_b64 s[0:1], 0
	s_branch .LBB94_818
.LBB94_815:
	s_mov_b64 s[38:39], -1
                                        ; implicit-def: $vgpr0_vgpr1
	s_branch .LBB94_824
.LBB94_816:
	s_mov_b64 s[0:1], -1
                                        ; implicit-def: $vgpr0_vgpr1
	s_branch .LBB94_821
.LBB94_817:
	s_mov_b64 s[0:1], -1
                                        ; implicit-def: $vgpr0_vgpr1
.LBB94_818:
	s_and_b64 vcc, exec, s[0:1]
	s_cbranch_vccz .LBB94_820
; %bb.819:
	global_load_ubyte v0, v[2:3], off
	s_mov_b32 s0, 0x7f800000
	s_brev_b32 s1, 1
	s_mov_b32 s38, 0x2f800000
	s_mov_b32 s39, 0xcf800000
	s_waitcnt vmcnt(0)
	v_lshlrev_b32_e32 v0, 24, v0
	v_and_b32_e32 v1, 0x7f000000, v0
	v_ffbh_u32_e32 v4, v1
	v_min_u32_e32 v4, 32, v4
	v_sub_u32_e64 v4, v4, 4 clamp
	v_lshlrev_b32_e32 v6, v4, v1
	v_lshlrev_b32_e32 v4, 23, v4
	v_lshrrev_b32_e32 v6, 4, v6
	v_add_u32_e32 v5, 0x1000000, v1
	v_sub_u32_e32 v4, v6, v4
	v_ashrrev_i32_e32 v5, 8, v5
	v_add_u32_e32 v4, 0x3c000000, v4
	v_and_or_b32 v4, v5, s0, v4
	v_cmp_ne_u32_e32 vcc, 0, v1
	v_cndmask_b32_e32 v1, 0, v4, vcc
	v_and_or_b32 v0, v0, s1, v1
	v_trunc_f32_e32 v0, v0
	v_mul_f32_e64 v1, |v0|, s38
	v_floor_f32_e32 v1, v1
	v_fma_f32 v4, v1, s39, |v0|
	v_cvt_u32_f32_e32 v4, v4
	v_cvt_u32_f32_e32 v1, v1
	v_ashrrev_i32_e32 v5, 31, v0
	v_xor_b32_e32 v0, v4, v5
	v_xor_b32_e32 v1, v1, v5
	v_sub_co_u32_e32 v0, vcc, v0, v5
	v_subb_co_u32_e32 v1, vcc, v1, v5, vcc
.LBB94_820:
	s_mov_b64 s[0:1], 0
.LBB94_821:
	s_andn2_b64 vcc, exec, s[0:1]
	s_cbranch_vccnz .LBB94_823
; %bb.822:
	global_load_ubyte v0, v[2:3], off
	s_movk_i32 s0, 0x7f00
	s_brev_b32 s1, 16
	s_brev_b32 s38, 1
	s_mov_b32 s39, 0x2f800000
	s_mov_b32 s42, 0xcf800000
	s_waitcnt vmcnt(0)
	v_lshlrev_b16_e32 v1, 8, v0
	v_lshlrev_b32_e32 v0, 25, v0
	v_lshrrev_b32_e32 v4, 4, v0
	v_and_or_b32 v5, v1, s0, 0.5
	v_or_b32_e32 v4, 0x70000000, v4
	v_add_f32_e32 v5, -0.5, v5
	v_mul_f32_e32 v4, 0x7800000, v4
	v_cmp_gt_u32_e32 vcc, s1, v0
	v_bfe_i32 v1, v1, 0, 16
	v_cndmask_b32_e32 v0, v4, v5, vcc
	v_and_or_b32 v0, v1, s38, v0
	v_trunc_f32_e32 v0, v0
	v_mul_f32_e64 v1, |v0|, s39
	v_floor_f32_e32 v1, v1
	v_fma_f32 v4, v1, s42, |v0|
	v_cvt_u32_f32_e32 v4, v4
	v_cvt_u32_f32_e32 v1, v1
	v_ashrrev_i32_e32 v5, 31, v0
	v_xor_b32_e32 v0, v4, v5
	v_xor_b32_e32 v1, v1, v5
	v_sub_co_u32_e32 v0, vcc, v0, v5
	v_subb_co_u32_e32 v1, vcc, v1, v5, vcc
.LBB94_823:
	s_mov_b64 s[38:39], 0
	s_mov_b64 s[0:1], -1
.LBB94_824:
	s_andn2_b64 vcc, exec, s[38:39]
	s_cbranch_vccnz .LBB94_835
; %bb.825:
	s_cmp_gt_i32 s41, 14
	s_cbranch_scc0 .LBB94_828
; %bb.826:
	s_cmp_eq_u32 s41, 15
	s_cbranch_scc0 .LBB94_829
; %bb.827:
	global_load_ushort v0, v[2:3], off
	s_mov_b32 s0, 0x2f800000
	s_mov_b32 s1, 0xcf800000
	s_mov_b64 s[36:37], 0
	s_waitcnt vmcnt(0)
	v_lshlrev_b32_e32 v0, 16, v0
	v_trunc_f32_e32 v0, v0
	v_mul_f32_e64 v1, |v0|, s0
	v_floor_f32_e32 v1, v1
	v_fma_f32 v4, v1, s1, |v0|
	v_cvt_u32_f32_e32 v4, v4
	v_cvt_u32_f32_e32 v1, v1
	v_ashrrev_i32_e32 v5, 31, v0
	s_mov_b64 s[0:1], -1
	v_xor_b32_e32 v0, v4, v5
	v_xor_b32_e32 v1, v1, v5
	v_sub_co_u32_e32 v0, vcc, v0, v5
	v_subb_co_u32_e32 v1, vcc, v1, v5, vcc
	s_branch .LBB94_830
.LBB94_828:
	s_mov_b64 s[38:39], -1
                                        ; implicit-def: $vgpr0_vgpr1
	s_branch .LBB94_831
.LBB94_829:
	s_mov_b64 s[36:37], -1
                                        ; implicit-def: $vgpr0_vgpr1
.LBB94_830:
	s_mov_b64 s[38:39], 0
.LBB94_831:
	s_and_b64 vcc, exec, s[38:39]
	s_cbranch_vccz .LBB94_835
; %bb.832:
	s_cmp_eq_u32 s41, 11
	s_cbranch_scc0 .LBB94_834
; %bb.833:
	global_load_ubyte v0, v[2:3], off
	s_mov_b32 s36, 0
	s_mov_b64 s[0:1], -1
	s_waitcnt vmcnt(1)
	v_mov_b32_e32 v1, s36
	s_mov_b64 s[36:37], 0
	s_waitcnt vmcnt(0)
	v_cmp_ne_u16_e32 vcc, 0, v0
	v_cndmask_b32_e64 v0, 0, 1, vcc
	s_branch .LBB94_835
.LBB94_834:
	s_mov_b64 s[36:37], -1
                                        ; implicit-def: $vgpr0_vgpr1
.LBB94_835:
	s_mov_b64 s[38:39], 0
.LBB94_836:
	s_and_b64 vcc, exec, s[38:39]
	s_cbranch_vccz .LBB94_885
; %bb.837:
	s_and_b32 s38, 0xffff, s40
	s_cmp_lt_i32 s38, 5
	s_cbranch_scc1 .LBB94_842
; %bb.838:
	s_cmp_lt_i32 s38, 8
	s_cbranch_scc1 .LBB94_843
; %bb.839:
	;; [unrolled: 3-line block ×3, first 2 shown]
	s_cmp_gt_i32 s38, 9
	s_cbranch_scc0 .LBB94_845
; %bb.841:
	global_load_dwordx2 v[0:1], v[2:3], off
	s_movk_i32 s0, 0xffe0
	s_waitcnt vmcnt(0)
	v_trunc_f64_e32 v[0:1], v[0:1]
	v_ldexp_f64 v[4:5], v[0:1], s0
	s_mov_b32 s0, 0
	s_mov_b32 s1, 0xc1f00000
	v_floor_f64_e32 v[4:5], v[4:5]
	v_fma_f64 v[6:7], v[4:5], s[0:1], v[0:1]
	v_cvt_i32_f64_e32 v1, v[4:5]
	s_mov_b64 s[0:1], 0
	v_cvt_u32_f64_e32 v0, v[6:7]
	s_branch .LBB94_846
.LBB94_842:
	s_mov_b64 s[0:1], -1
                                        ; implicit-def: $vgpr0_vgpr1
	s_branch .LBB94_864
.LBB94_843:
	s_mov_b64 s[0:1], -1
                                        ; implicit-def: $vgpr0_vgpr1
	s_branch .LBB94_852
.LBB94_844:
	s_mov_b64 s[0:1], -1
                                        ; implicit-def: $vgpr0_vgpr1
	s_branch .LBB94_849
.LBB94_845:
	s_mov_b64 s[0:1], -1
                                        ; implicit-def: $vgpr0_vgpr1
.LBB94_846:
	s_andn2_b64 vcc, exec, s[0:1]
	s_cbranch_vccnz .LBB94_848
; %bb.847:
	global_load_dword v0, v[2:3], off
	s_mov_b32 s0, 0x2f800000
	s_mov_b32 s1, 0xcf800000
	s_waitcnt vmcnt(0)
	v_trunc_f32_e32 v0, v0
	v_mul_f32_e64 v1, |v0|, s0
	v_floor_f32_e32 v1, v1
	v_cvt_u32_f32_e32 v4, v1
	v_fma_f32 v1, v1, s1, |v0|
	v_cvt_u32_f32_e32 v1, v1
	v_ashrrev_i32_e32 v5, 31, v0
	v_xor_b32_e32 v4, v4, v5
	v_xor_b32_e32 v0, v1, v5
	v_sub_co_u32_e32 v0, vcc, v0, v5
	v_subb_co_u32_e32 v1, vcc, v4, v5, vcc
.LBB94_848:
	s_mov_b64 s[0:1], 0
.LBB94_849:
	s_andn2_b64 vcc, exec, s[0:1]
	s_cbranch_vccnz .LBB94_851
; %bb.850:
	global_load_dword v0, v[2:3], off
	s_waitcnt vmcnt(0)
	v_cvt_f32_f16_e32 v0, v0
	v_cvt_i32_f32_e32 v0, v0
	v_ashrrev_i32_e32 v1, 31, v0
.LBB94_851:
	s_mov_b64 s[0:1], 0
.LBB94_852:
	s_andn2_b64 vcc, exec, s[0:1]
	s_cbranch_vccnz .LBB94_863
; %bb.853:
	s_cmp_lt_i32 s38, 6
	s_cbranch_scc1 .LBB94_856
; %bb.854:
	s_cmp_gt_i32 s38, 6
	s_cbranch_scc0 .LBB94_857
; %bb.855:
	global_load_dwordx2 v[0:1], v[2:3], off
	s_movk_i32 s0, 0xffe0
	s_waitcnt vmcnt(0)
	v_trunc_f64_e32 v[0:1], v[0:1]
	v_ldexp_f64 v[4:5], v[0:1], s0
	s_mov_b32 s0, 0
	s_mov_b32 s1, 0xc1f00000
	v_floor_f64_e32 v[4:5], v[4:5]
	v_fma_f64 v[6:7], v[4:5], s[0:1], v[0:1]
	v_cvt_i32_f64_e32 v1, v[4:5]
	s_mov_b64 s[0:1], 0
	v_cvt_u32_f64_e32 v0, v[6:7]
	s_branch .LBB94_858
.LBB94_856:
	s_mov_b64 s[0:1], -1
                                        ; implicit-def: $vgpr0_vgpr1
	s_branch .LBB94_861
.LBB94_857:
	s_mov_b64 s[0:1], -1
                                        ; implicit-def: $vgpr0_vgpr1
.LBB94_858:
	s_andn2_b64 vcc, exec, s[0:1]
	s_cbranch_vccnz .LBB94_860
; %bb.859:
	global_load_dword v0, v[2:3], off
	s_mov_b32 s0, 0x2f800000
	s_mov_b32 s1, 0xcf800000
	s_waitcnt vmcnt(0)
	v_trunc_f32_e32 v0, v0
	v_mul_f32_e64 v1, |v0|, s0
	v_floor_f32_e32 v1, v1
	v_cvt_u32_f32_e32 v4, v1
	v_fma_f32 v1, v1, s1, |v0|
	v_cvt_u32_f32_e32 v1, v1
	v_ashrrev_i32_e32 v5, 31, v0
	v_xor_b32_e32 v4, v4, v5
	v_xor_b32_e32 v0, v1, v5
	v_sub_co_u32_e32 v0, vcc, v0, v5
	v_subb_co_u32_e32 v1, vcc, v4, v5, vcc
.LBB94_860:
	s_mov_b64 s[0:1], 0
.LBB94_861:
	s_andn2_b64 vcc, exec, s[0:1]
	s_cbranch_vccnz .LBB94_863
; %bb.862:
	global_load_ushort v0, v[2:3], off
	s_waitcnt vmcnt(0)
	v_cvt_f32_f16_e32 v0, v0
	v_cvt_i32_f32_e32 v0, v0
	v_ashrrev_i32_e32 v1, 31, v0
.LBB94_863:
	s_mov_b64 s[0:1], 0
.LBB94_864:
	s_andn2_b64 vcc, exec, s[0:1]
	s_cbranch_vccnz .LBB94_884
; %bb.865:
	s_cmp_lt_i32 s38, 2
	s_cbranch_scc1 .LBB94_869
; %bb.866:
	s_cmp_lt_i32 s38, 3
	s_cbranch_scc1 .LBB94_870
; %bb.867:
	s_cmp_gt_i32 s38, 3
	s_cbranch_scc0 .LBB94_871
; %bb.868:
	global_load_dwordx2 v[0:1], v[2:3], off
	s_mov_b64 s[0:1], 0
	s_branch .LBB94_872
.LBB94_869:
	s_mov_b64 s[0:1], -1
                                        ; implicit-def: $vgpr0_vgpr1
	s_branch .LBB94_878
.LBB94_870:
	s_mov_b64 s[0:1], -1
                                        ; implicit-def: $vgpr0_vgpr1
	s_branch .LBB94_875
.LBB94_871:
	s_mov_b64 s[0:1], -1
                                        ; implicit-def: $vgpr0_vgpr1
.LBB94_872:
	s_andn2_b64 vcc, exec, s[0:1]
	s_cbranch_vccnz .LBB94_874
; %bb.873:
	global_load_dword v0, v[2:3], off
	s_waitcnt vmcnt(0)
	v_ashrrev_i32_e32 v1, 31, v0
.LBB94_874:
	s_mov_b64 s[0:1], 0
.LBB94_875:
	s_andn2_b64 vcc, exec, s[0:1]
	s_cbranch_vccnz .LBB94_877
; %bb.876:
	global_load_ushort v0, v[2:3], off
	s_waitcnt vmcnt(0)
	v_bfe_i32 v0, v0, 0, 16
	v_ashrrev_i32_e32 v1, 31, v0
.LBB94_877:
	s_mov_b64 s[0:1], 0
.LBB94_878:
	s_andn2_b64 vcc, exec, s[0:1]
	s_cbranch_vccnz .LBB94_884
; %bb.879:
	s_cmp_gt_i32 s38, 0
	s_cbranch_scc0 .LBB94_881
; %bb.880:
	global_load_sbyte v0, v[2:3], off
	s_mov_b64 s[0:1], 0
	s_waitcnt vmcnt(0)
	v_bfe_i32 v0, v0, 0, 16
	v_ashrrev_i32_e32 v1, 31, v0
	s_branch .LBB94_882
.LBB94_881:
	s_mov_b64 s[0:1], -1
                                        ; implicit-def: $vgpr0_vgpr1
.LBB94_882:
	s_andn2_b64 vcc, exec, s[0:1]
	s_cbranch_vccnz .LBB94_884
; %bb.883:
	global_load_ubyte v0, v[2:3], off
	s_mov_b32 s0, 0
	s_waitcnt vmcnt(1)
	v_mov_b32_e32 v1, s0
	s_waitcnt vmcnt(0)
	v_and_b32_e32 v0, 0xffff, v0
.LBB94_884:
	s_mov_b64 s[0:1], -1
.LBB94_885:
	s_andn2_b64 vcc, exec, s[0:1]
	s_cbranch_vccnz .LBB94_893
; %bb.886:
	v_mul_lo_u32 v2, v18, s14
	v_mov_b32_e32 v3, s3
	s_and_b32 s42, s15, 0xff
	s_cmp_lt_i32 s42, 11
	v_ashrrev_i32_e32 v4, 31, v2
	v_add_co_u32_e32 v2, vcc, s2, v2
	v_addc_co_u32_e32 v3, vcc, v3, v4, vcc
	s_cbranch_scc1 .LBB94_895
; %bb.887:
	s_and_b32 s43, 0xffff, s42
	s_cmp_gt_i32 s43, 25
	s_cbranch_scc0 .LBB94_896
; %bb.888:
	s_cmp_gt_i32 s43, 28
	s_cbranch_scc0 .LBB94_897
; %bb.889:
	;; [unrolled: 3-line block ×4, first 2 shown]
	s_cmp_eq_u32 s43, 46
	s_mov_b64 s[40:41], 0
	s_cbranch_scc0 .LBB94_902
; %bb.892:
	global_load_dword v4, v[2:3], off
	s_mov_b32 s0, 0x2f800000
	s_mov_b32 s1, 0xcf800000
	s_mov_b64 s[38:39], 0
	s_waitcnt vmcnt(0)
	v_lshlrev_b32_e32 v4, 16, v4
	v_trunc_f32_e32 v4, v4
	v_mul_f32_e64 v5, |v4|, s0
	v_floor_f32_e32 v5, v5
	v_fma_f32 v6, v5, s1, |v4|
	v_cvt_u32_f32_e32 v6, v6
	v_cvt_u32_f32_e32 v5, v5
	v_ashrrev_i32_e32 v7, 31, v4
	s_mov_b64 s[0:1], -1
	v_xor_b32_e32 v4, v6, v7
	v_xor_b32_e32 v5, v5, v7
	v_sub_co_u32_e32 v4, vcc, v4, v7
	v_subb_co_u32_e32 v5, vcc, v5, v7, vcc
	s_branch .LBB94_903
.LBB94_893:
	s_mov_b64 s[42:43], 0
	s_mov_b64 s[0:1], s[28:29]
	;; [unrolled: 1-line block ×3, first 2 shown]
.LBB94_894:
                                        ; implicit-def: $vgpr18
	s_branch .LBB94_1137
.LBB94_895:
	s_mov_b64 s[40:41], -1
	s_mov_b64 s[0:1], 0
                                        ; implicit-def: $vgpr4_vgpr5
	s_mov_b64 s[38:39], s[26:27]
	s_branch .LBB94_964
.LBB94_896:
	s_mov_b64 s[40:41], -1
	s_mov_b64 s[0:1], 0
	s_mov_b64 s[38:39], s[26:27]
                                        ; implicit-def: $vgpr4_vgpr5
	s_branch .LBB94_932
.LBB94_897:
	s_mov_b64 s[40:41], -1
	s_mov_b64 s[0:1], 0
	s_mov_b64 s[38:39], s[26:27]
                                        ; implicit-def: $vgpr4_vgpr5
	s_branch .LBB94_913
.LBB94_898:
	s_mov_b64 s[40:41], -1
	s_mov_b64 s[0:1], 0
	s_mov_b64 s[38:39], s[26:27]
                                        ; implicit-def: $vgpr4_vgpr5
	s_branch .LBB94_908
.LBB94_899:
	s_mov_b64 s[40:41], -1
	s_mov_b64 s[0:1], 0
	s_mov_b64 s[38:39], s[26:27]
                                        ; implicit-def: $vgpr4_vgpr5
	s_branch .LBB94_903
.LBB94_900:
	s_andn2_saveexec_b64 s[36:37], s[36:37]
	s_cbranch_execz .LBB94_680
.LBB94_901:
	s_mov_b32 s40, 0x42800000
	v_add_f32_e64 v5, |v4|, s40
	v_and_b32_e32 v5, 0xff, v5
	v_cmp_ne_u32_e32 vcc, 0, v5
	s_andn2_b64 s[34:35], s[34:35], exec
	s_and_b64 s[40:41], vcc, exec
	s_or_b64 s[34:35], s[34:35], s[40:41]
	s_or_b64 exec, exec, s[36:37]
	v_mov_b32_e32 v6, 0
	s_and_saveexec_b64 s[36:37], s[34:35]
	s_cbranch_execnz .LBB94_681
	s_branch .LBB94_682
.LBB94_902:
	s_mov_b64 s[38:39], -1
                                        ; implicit-def: $vgpr4_vgpr5
	s_mov_b64 s[0:1], 0
.LBB94_903:
	s_and_b64 vcc, exec, s[40:41]
	s_cbranch_vccz .LBB94_907
; %bb.904:
	s_cmp_eq_u32 s43, 44
	s_cbranch_scc0 .LBB94_906
; %bb.905:
	global_load_ubyte v4, v[2:3], off
	s_mov_b32 s0, 0x2f800000
	s_mov_b32 s1, 0xcf800000
	s_mov_b64 s[38:39], 0
	s_waitcnt vmcnt(0)
	v_lshlrev_b32_e32 v5, 23, v4
	v_trunc_f32_e32 v5, v5
	v_mul_f32_e64 v6, |v5|, s0
	v_floor_f32_e32 v6, v6
	v_fma_f32 v7, v6, s1, |v5|
	v_cvt_u32_f32_e32 v7, v7
	v_cvt_u32_f32_e32 v6, v6
	v_ashrrev_i32_e32 v5, 31, v5
	s_mov_b64 s[0:1], -1
	v_xor_b32_e32 v7, v7, v5
	v_xor_b32_e32 v6, v6, v5
	v_sub_co_u32_e32 v7, vcc, v7, v5
	v_subb_co_u32_e32 v5, vcc, v6, v5, vcc
	v_cmp_ne_u32_e32 vcc, 0, v4
	v_cndmask_b32_e32 v5, 0, v5, vcc
	v_cndmask_b32_e32 v4, 0, v7, vcc
	s_branch .LBB94_907
.LBB94_906:
	s_mov_b64 s[38:39], -1
                                        ; implicit-def: $vgpr4_vgpr5
.LBB94_907:
	s_mov_b64 s[40:41], 0
.LBB94_908:
	s_and_b64 vcc, exec, s[40:41]
	s_cbranch_vccz .LBB94_912
; %bb.909:
	s_cmp_eq_u32 s43, 29
	s_cbranch_scc0 .LBB94_911
; %bb.910:
	global_load_dwordx2 v[4:5], v[2:3], off
	s_mov_b64 s[0:1], -1
	s_mov_b64 s[38:39], 0
	s_branch .LBB94_912
.LBB94_911:
	s_mov_b64 s[38:39], -1
                                        ; implicit-def: $vgpr4_vgpr5
.LBB94_912:
	s_mov_b64 s[40:41], 0
.LBB94_913:
	s_and_b64 vcc, exec, s[40:41]
	s_cbranch_vccz .LBB94_931
; %bb.914:
	s_cmp_lt_i32 s43, 27
	s_cbranch_scc1 .LBB94_917
; %bb.915:
	s_cmp_gt_i32 s43, 27
	s_cbranch_scc0 .LBB94_918
; %bb.916:
	global_load_dword v4, v[2:3], off
	s_waitcnt vmcnt(1)
	v_mov_b32_e32 v5, 0
	s_mov_b64 s[0:1], 0
	s_branch .LBB94_919
.LBB94_917:
	s_mov_b64 s[0:1], -1
                                        ; implicit-def: $vgpr4_vgpr5
	s_branch .LBB94_922
.LBB94_918:
	s_mov_b64 s[0:1], -1
                                        ; implicit-def: $vgpr4_vgpr5
.LBB94_919:
	s_andn2_b64 vcc, exec, s[0:1]
	s_cbranch_vccnz .LBB94_921
; %bb.920:
	global_load_ushort v4, v[2:3], off
	s_mov_b32 s0, 0
	s_waitcnt vmcnt(1)
	v_mov_b32_e32 v5, s0
	s_waitcnt vmcnt(0)
	v_and_b32_e32 v4, 0xffff, v4
.LBB94_921:
	s_mov_b64 s[0:1], 0
.LBB94_922:
	s_andn2_b64 vcc, exec, s[0:1]
	s_cbranch_vccnz .LBB94_930
; %bb.923:
	global_load_ubyte v6, v[2:3], off
	s_movk_i32 s0, 0x7f
	s_mov_b64 s[40:41], 0
	s_waitcnt vmcnt(0)
	v_cmp_lt_i16_e32 vcc, s0, v6
	s_and_saveexec_b64 s[0:1], vcc
	s_xor_b64 s[0:1], exec, s[0:1]
; %bb.924:
	s_movk_i32 s40, 0x80
	v_cmp_ne_u16_e32 vcc, s40, v6
	s_and_b64 s[40:41], vcc, exec
; %bb.925:
	s_andn2_saveexec_b64 s[0:1], s[0:1]
; %bb.926:
	v_cmp_ne_u16_e32 vcc, 0, v6
	s_andn2_b64 s[40:41], s[40:41], exec
	s_and_b64 s[44:45], vcc, exec
	s_or_b64 s[40:41], s[40:41], s[44:45]
; %bb.927:
	s_or_b64 exec, exec, s[0:1]
	v_mov_b32_e32 v4, 0
	v_mov_b32_e32 v5, 0
	s_and_saveexec_b64 s[0:1], s[40:41]
	s_cbranch_execz .LBB94_929
; %bb.928:
	v_and_b32_e32 v5, 0xffff, v6
	v_lshlrev_b32_e32 v4, 24, v6
	v_and_b32_e32 v6, 7, v5
	v_ffbh_u32_e32 v8, v6
	v_min_u32_e32 v8, 32, v8
	v_subrev_u32_e32 v9, 28, v8
	v_bfe_u32 v7, v5, 3, 4
	v_lshlrev_b32_e32 v5, v9, v5
	v_sub_u32_e32 v8, 29, v8
	v_and_b32_e32 v5, 7, v5
	v_cmp_eq_u32_e32 vcc, 0, v7
	v_cndmask_b32_e32 v7, v7, v8, vcc
	v_cndmask_b32_e32 v5, v6, v5, vcc
	v_mov_b32_e32 v6, 0x3b800000
	v_lshlrev_b32_e32 v5, 20, v5
	v_and_b32_e32 v4, 0x80000000, v4
	v_lshl_add_u32 v6, v7, 23, v6
	v_or3_b32 v4, v4, v6, v5
	v_trunc_f32_e32 v4, v4
	s_mov_b32 s40, 0x2f800000
	v_mul_f32_e64 v5, |v4|, s40
	v_floor_f32_e32 v5, v5
	s_mov_b32 s40, 0xcf800000
	v_fma_f32 v6, v5, s40, |v4|
	v_cvt_u32_f32_e32 v6, v6
	v_cvt_u32_f32_e32 v5, v5
	v_ashrrev_i32_e32 v7, 31, v4
	v_xor_b32_e32 v4, v6, v7
	v_xor_b32_e32 v5, v5, v7
	v_sub_co_u32_e32 v4, vcc, v4, v7
	v_subb_co_u32_e32 v5, vcc, v5, v7, vcc
.LBB94_929:
	s_or_b64 exec, exec, s[0:1]
.LBB94_930:
	s_mov_b64 s[0:1], -1
.LBB94_931:
	s_mov_b64 s[40:41], 0
.LBB94_932:
	s_and_b64 vcc, exec, s[40:41]
	s_cbranch_vccz .LBB94_963
; %bb.933:
	s_cmp_gt_i32 s43, 22
	s_cbranch_scc0 .LBB94_943
; %bb.934:
	s_cmp_lt_i32 s43, 24
	s_cbranch_scc1 .LBB94_944
; %bb.935:
	s_cmp_gt_i32 s43, 24
	s_cbranch_scc0 .LBB94_945
; %bb.936:
	global_load_ubyte v6, v[2:3], off
	s_movk_i32 s0, 0x7f
	s_mov_b64 s[40:41], 0
	s_waitcnt vmcnt(0)
	v_cmp_lt_i16_e32 vcc, s0, v6
	s_and_saveexec_b64 s[0:1], vcc
	s_xor_b64 s[0:1], exec, s[0:1]
; %bb.937:
	s_movk_i32 s40, 0x80
	v_cmp_ne_u16_e32 vcc, s40, v6
	s_and_b64 s[40:41], vcc, exec
; %bb.938:
	s_andn2_saveexec_b64 s[0:1], s[0:1]
; %bb.939:
	v_cmp_ne_u16_e32 vcc, 0, v6
	s_andn2_b64 s[40:41], s[40:41], exec
	s_and_b64 s[44:45], vcc, exec
	s_or_b64 s[40:41], s[40:41], s[44:45]
; %bb.940:
	s_or_b64 exec, exec, s[0:1]
	v_mov_b32_e32 v4, 0
	v_mov_b32_e32 v5, 0
	s_and_saveexec_b64 s[0:1], s[40:41]
	s_cbranch_execz .LBB94_942
; %bb.941:
	v_and_b32_e32 v5, 0xffff, v6
	v_lshlrev_b32_e32 v4, 24, v6
	v_and_b32_e32 v6, 3, v5
	v_ffbh_u32_e32 v8, v6
	v_min_u32_e32 v8, 32, v8
	v_subrev_u32_e32 v9, 29, v8
	v_bfe_u32 v7, v5, 2, 5
	v_lshlrev_b32_e32 v5, v9, v5
	v_sub_u32_e32 v8, 30, v8
	v_and_b32_e32 v5, 3, v5
	v_cmp_eq_u32_e32 vcc, 0, v7
	v_cndmask_b32_e32 v7, v7, v8, vcc
	v_cndmask_b32_e32 v5, v6, v5, vcc
	v_mov_b32_e32 v6, 0x37800000
	v_lshlrev_b32_e32 v5, 21, v5
	v_and_b32_e32 v4, 0x80000000, v4
	v_lshl_add_u32 v6, v7, 23, v6
	v_or3_b32 v4, v4, v6, v5
	v_trunc_f32_e32 v4, v4
	s_mov_b32 s40, 0x2f800000
	v_mul_f32_e64 v5, |v4|, s40
	v_floor_f32_e32 v5, v5
	s_mov_b32 s40, 0xcf800000
	v_fma_f32 v6, v5, s40, |v4|
	v_cvt_u32_f32_e32 v6, v6
	v_cvt_u32_f32_e32 v5, v5
	v_ashrrev_i32_e32 v7, 31, v4
	v_xor_b32_e32 v4, v6, v7
	v_xor_b32_e32 v5, v5, v7
	v_sub_co_u32_e32 v4, vcc, v4, v7
	v_subb_co_u32_e32 v5, vcc, v5, v7, vcc
.LBB94_942:
	s_or_b64 exec, exec, s[0:1]
	s_mov_b64 s[0:1], 0
	s_branch .LBB94_946
.LBB94_943:
	s_mov_b64 s[40:41], -1
                                        ; implicit-def: $vgpr4_vgpr5
	s_branch .LBB94_952
.LBB94_944:
	s_mov_b64 s[0:1], -1
                                        ; implicit-def: $vgpr4_vgpr5
	s_branch .LBB94_949
.LBB94_945:
	s_mov_b64 s[0:1], -1
                                        ; implicit-def: $vgpr4_vgpr5
.LBB94_946:
	s_and_b64 vcc, exec, s[0:1]
	s_cbranch_vccz .LBB94_948
; %bb.947:
	global_load_ubyte v4, v[2:3], off
	s_mov_b32 s0, 0x7f800000
	s_brev_b32 s1, 1
	s_mov_b32 s40, 0x2f800000
	s_mov_b32 s41, 0xcf800000
	s_waitcnt vmcnt(0)
	v_lshlrev_b32_e32 v4, 24, v4
	v_and_b32_e32 v5, 0x7f000000, v4
	v_ffbh_u32_e32 v6, v5
	v_min_u32_e32 v6, 32, v6
	v_sub_u32_e64 v6, v6, 4 clamp
	v_lshlrev_b32_e32 v8, v6, v5
	v_lshlrev_b32_e32 v6, 23, v6
	v_lshrrev_b32_e32 v8, 4, v8
	v_add_u32_e32 v7, 0x1000000, v5
	v_sub_u32_e32 v6, v8, v6
	v_ashrrev_i32_e32 v7, 8, v7
	v_add_u32_e32 v6, 0x3c000000, v6
	v_and_or_b32 v6, v7, s0, v6
	v_cmp_ne_u32_e32 vcc, 0, v5
	v_cndmask_b32_e32 v5, 0, v6, vcc
	v_and_or_b32 v4, v4, s1, v5
	v_trunc_f32_e32 v4, v4
	v_mul_f32_e64 v5, |v4|, s40
	v_floor_f32_e32 v5, v5
	v_fma_f32 v6, v5, s41, |v4|
	v_cvt_u32_f32_e32 v6, v6
	v_cvt_u32_f32_e32 v5, v5
	v_ashrrev_i32_e32 v7, 31, v4
	v_xor_b32_e32 v4, v6, v7
	v_xor_b32_e32 v5, v5, v7
	v_sub_co_u32_e32 v4, vcc, v4, v7
	v_subb_co_u32_e32 v5, vcc, v5, v7, vcc
.LBB94_948:
	s_mov_b64 s[0:1], 0
.LBB94_949:
	s_andn2_b64 vcc, exec, s[0:1]
	s_cbranch_vccnz .LBB94_951
; %bb.950:
	global_load_ubyte v4, v[2:3], off
	s_movk_i32 s0, 0x7f00
	s_brev_b32 s1, 16
	s_brev_b32 s40, 1
	s_mov_b32 s41, 0x2f800000
	s_mov_b32 s44, 0xcf800000
	s_waitcnt vmcnt(0)
	v_lshlrev_b16_e32 v5, 8, v4
	v_lshlrev_b32_e32 v4, 25, v4
	v_lshrrev_b32_e32 v6, 4, v4
	v_and_or_b32 v7, v5, s0, 0.5
	v_or_b32_e32 v6, 0x70000000, v6
	v_add_f32_e32 v7, -0.5, v7
	v_mul_f32_e32 v6, 0x7800000, v6
	v_cmp_gt_u32_e32 vcc, s1, v4
	v_bfe_i32 v5, v5, 0, 16
	v_cndmask_b32_e32 v4, v6, v7, vcc
	v_and_or_b32 v4, v5, s40, v4
	v_trunc_f32_e32 v4, v4
	v_mul_f32_e64 v5, |v4|, s41
	v_floor_f32_e32 v5, v5
	v_fma_f32 v6, v5, s44, |v4|
	v_cvt_u32_f32_e32 v6, v6
	v_cvt_u32_f32_e32 v5, v5
	v_ashrrev_i32_e32 v7, 31, v4
	v_xor_b32_e32 v4, v6, v7
	v_xor_b32_e32 v5, v5, v7
	v_sub_co_u32_e32 v4, vcc, v4, v7
	v_subb_co_u32_e32 v5, vcc, v5, v7, vcc
.LBB94_951:
	s_mov_b64 s[40:41], 0
	s_mov_b64 s[0:1], -1
.LBB94_952:
	s_andn2_b64 vcc, exec, s[40:41]
	s_cbranch_vccnz .LBB94_963
; %bb.953:
	s_cmp_gt_i32 s43, 14
	s_cbranch_scc0 .LBB94_956
; %bb.954:
	s_cmp_eq_u32 s43, 15
	s_cbranch_scc0 .LBB94_957
; %bb.955:
	global_load_ushort v4, v[2:3], off
	s_mov_b32 s0, 0x2f800000
	s_mov_b32 s1, 0xcf800000
	s_mov_b64 s[38:39], 0
	s_waitcnt vmcnt(0)
	v_lshlrev_b32_e32 v4, 16, v4
	v_trunc_f32_e32 v4, v4
	v_mul_f32_e64 v5, |v4|, s0
	v_floor_f32_e32 v5, v5
	v_fma_f32 v6, v5, s1, |v4|
	v_cvt_u32_f32_e32 v6, v6
	v_cvt_u32_f32_e32 v5, v5
	v_ashrrev_i32_e32 v7, 31, v4
	s_mov_b64 s[0:1], -1
	v_xor_b32_e32 v4, v6, v7
	v_xor_b32_e32 v5, v5, v7
	v_sub_co_u32_e32 v4, vcc, v4, v7
	v_subb_co_u32_e32 v5, vcc, v5, v7, vcc
	s_branch .LBB94_958
.LBB94_956:
	s_mov_b64 s[40:41], -1
                                        ; implicit-def: $vgpr4_vgpr5
	s_branch .LBB94_959
.LBB94_957:
	s_mov_b64 s[38:39], -1
                                        ; implicit-def: $vgpr4_vgpr5
.LBB94_958:
	s_mov_b64 s[40:41], 0
.LBB94_959:
	s_and_b64 vcc, exec, s[40:41]
	s_cbranch_vccz .LBB94_963
; %bb.960:
	s_cmp_eq_u32 s43, 11
	s_cbranch_scc0 .LBB94_962
; %bb.961:
	global_load_ubyte v4, v[2:3], off
	s_mov_b32 s38, 0
	s_mov_b64 s[0:1], -1
	s_waitcnt vmcnt(1)
	v_mov_b32_e32 v5, s38
	s_mov_b64 s[38:39], 0
	s_waitcnt vmcnt(0)
	v_cmp_ne_u16_e32 vcc, 0, v4
	v_cndmask_b32_e64 v4, 0, 1, vcc
	s_branch .LBB94_963
.LBB94_962:
	s_mov_b64 s[38:39], -1
                                        ; implicit-def: $vgpr4_vgpr5
.LBB94_963:
	s_mov_b64 s[40:41], 0
.LBB94_964:
	s_and_b64 vcc, exec, s[40:41]
	s_cbranch_vccz .LBB94_1013
; %bb.965:
	s_and_b32 s40, 0xffff, s42
	s_cmp_lt_i32 s40, 5
	s_cbranch_scc1 .LBB94_970
; %bb.966:
	s_cmp_lt_i32 s40, 8
	s_cbranch_scc1 .LBB94_971
; %bb.967:
	;; [unrolled: 3-line block ×3, first 2 shown]
	s_cmp_gt_i32 s40, 9
	s_cbranch_scc0 .LBB94_973
; %bb.969:
	global_load_dwordx2 v[4:5], v[2:3], off
	s_movk_i32 s0, 0xffe0
	s_waitcnt vmcnt(0)
	v_trunc_f64_e32 v[4:5], v[4:5]
	v_ldexp_f64 v[6:7], v[4:5], s0
	s_mov_b32 s0, 0
	s_mov_b32 s1, 0xc1f00000
	v_floor_f64_e32 v[6:7], v[6:7]
	v_fma_f64 v[8:9], v[6:7], s[0:1], v[4:5]
	v_cvt_i32_f64_e32 v5, v[6:7]
	s_mov_b64 s[0:1], 0
	v_cvt_u32_f64_e32 v4, v[8:9]
	s_branch .LBB94_974
.LBB94_970:
	s_mov_b64 s[0:1], -1
                                        ; implicit-def: $vgpr4_vgpr5
	s_branch .LBB94_992
.LBB94_971:
	s_mov_b64 s[0:1], -1
                                        ; implicit-def: $vgpr4_vgpr5
	s_branch .LBB94_980
.LBB94_972:
	s_mov_b64 s[0:1], -1
                                        ; implicit-def: $vgpr4_vgpr5
	s_branch .LBB94_977
.LBB94_973:
	s_mov_b64 s[0:1], -1
                                        ; implicit-def: $vgpr4_vgpr5
.LBB94_974:
	s_andn2_b64 vcc, exec, s[0:1]
	s_cbranch_vccnz .LBB94_976
; %bb.975:
	global_load_dword v4, v[2:3], off
	s_mov_b32 s0, 0x2f800000
	s_mov_b32 s1, 0xcf800000
	s_waitcnt vmcnt(0)
	v_trunc_f32_e32 v4, v4
	v_mul_f32_e64 v5, |v4|, s0
	v_floor_f32_e32 v5, v5
	v_cvt_u32_f32_e32 v6, v5
	v_fma_f32 v5, v5, s1, |v4|
	v_cvt_u32_f32_e32 v5, v5
	v_ashrrev_i32_e32 v7, 31, v4
	v_xor_b32_e32 v6, v6, v7
	v_xor_b32_e32 v4, v5, v7
	v_sub_co_u32_e32 v4, vcc, v4, v7
	v_subb_co_u32_e32 v5, vcc, v6, v7, vcc
.LBB94_976:
	s_mov_b64 s[0:1], 0
.LBB94_977:
	s_andn2_b64 vcc, exec, s[0:1]
	s_cbranch_vccnz .LBB94_979
; %bb.978:
	global_load_dword v4, v[2:3], off
	s_waitcnt vmcnt(0)
	v_cvt_f32_f16_e32 v4, v4
	v_cvt_i32_f32_e32 v4, v4
	v_ashrrev_i32_e32 v5, 31, v4
.LBB94_979:
	s_mov_b64 s[0:1], 0
.LBB94_980:
	s_andn2_b64 vcc, exec, s[0:1]
	s_cbranch_vccnz .LBB94_991
; %bb.981:
	s_cmp_lt_i32 s40, 6
	s_cbranch_scc1 .LBB94_984
; %bb.982:
	s_cmp_gt_i32 s40, 6
	s_cbranch_scc0 .LBB94_985
; %bb.983:
	global_load_dwordx2 v[4:5], v[2:3], off
	s_movk_i32 s0, 0xffe0
	s_waitcnt vmcnt(0)
	v_trunc_f64_e32 v[4:5], v[4:5]
	v_ldexp_f64 v[6:7], v[4:5], s0
	s_mov_b32 s0, 0
	s_mov_b32 s1, 0xc1f00000
	v_floor_f64_e32 v[6:7], v[6:7]
	v_fma_f64 v[8:9], v[6:7], s[0:1], v[4:5]
	v_cvt_i32_f64_e32 v5, v[6:7]
	s_mov_b64 s[0:1], 0
	v_cvt_u32_f64_e32 v4, v[8:9]
	s_branch .LBB94_986
.LBB94_984:
	s_mov_b64 s[0:1], -1
                                        ; implicit-def: $vgpr4_vgpr5
	s_branch .LBB94_989
.LBB94_985:
	s_mov_b64 s[0:1], -1
                                        ; implicit-def: $vgpr4_vgpr5
.LBB94_986:
	s_andn2_b64 vcc, exec, s[0:1]
	s_cbranch_vccnz .LBB94_988
; %bb.987:
	global_load_dword v4, v[2:3], off
	s_mov_b32 s0, 0x2f800000
	s_mov_b32 s1, 0xcf800000
	s_waitcnt vmcnt(0)
	v_trunc_f32_e32 v4, v4
	v_mul_f32_e64 v5, |v4|, s0
	v_floor_f32_e32 v5, v5
	v_cvt_u32_f32_e32 v6, v5
	v_fma_f32 v5, v5, s1, |v4|
	v_cvt_u32_f32_e32 v5, v5
	v_ashrrev_i32_e32 v7, 31, v4
	v_xor_b32_e32 v6, v6, v7
	v_xor_b32_e32 v4, v5, v7
	v_sub_co_u32_e32 v4, vcc, v4, v7
	v_subb_co_u32_e32 v5, vcc, v6, v7, vcc
.LBB94_988:
	s_mov_b64 s[0:1], 0
.LBB94_989:
	s_andn2_b64 vcc, exec, s[0:1]
	s_cbranch_vccnz .LBB94_991
; %bb.990:
	global_load_ushort v4, v[2:3], off
	s_waitcnt vmcnt(0)
	v_cvt_f32_f16_e32 v4, v4
	v_cvt_i32_f32_e32 v4, v4
	v_ashrrev_i32_e32 v5, 31, v4
.LBB94_991:
	s_mov_b64 s[0:1], 0
.LBB94_992:
	s_andn2_b64 vcc, exec, s[0:1]
	s_cbranch_vccnz .LBB94_1012
; %bb.993:
	s_cmp_lt_i32 s40, 2
	s_cbranch_scc1 .LBB94_997
; %bb.994:
	s_cmp_lt_i32 s40, 3
	s_cbranch_scc1 .LBB94_998
; %bb.995:
	s_cmp_gt_i32 s40, 3
	s_cbranch_scc0 .LBB94_999
; %bb.996:
	global_load_dwordx2 v[4:5], v[2:3], off
	s_mov_b64 s[0:1], 0
	s_branch .LBB94_1000
.LBB94_997:
	s_mov_b64 s[0:1], -1
                                        ; implicit-def: $vgpr4_vgpr5
	s_branch .LBB94_1006
.LBB94_998:
	s_mov_b64 s[0:1], -1
                                        ; implicit-def: $vgpr4_vgpr5
	s_branch .LBB94_1003
.LBB94_999:
	s_mov_b64 s[0:1], -1
                                        ; implicit-def: $vgpr4_vgpr5
.LBB94_1000:
	s_andn2_b64 vcc, exec, s[0:1]
	s_cbranch_vccnz .LBB94_1002
; %bb.1001:
	global_load_dword v4, v[2:3], off
	s_waitcnt vmcnt(0)
	v_ashrrev_i32_e32 v5, 31, v4
.LBB94_1002:
	s_mov_b64 s[0:1], 0
.LBB94_1003:
	s_andn2_b64 vcc, exec, s[0:1]
	s_cbranch_vccnz .LBB94_1005
; %bb.1004:
	global_load_ushort v4, v[2:3], off
	s_waitcnt vmcnt(0)
	v_bfe_i32 v4, v4, 0, 16
	v_ashrrev_i32_e32 v5, 31, v4
.LBB94_1005:
	s_mov_b64 s[0:1], 0
.LBB94_1006:
	s_andn2_b64 vcc, exec, s[0:1]
	s_cbranch_vccnz .LBB94_1012
; %bb.1007:
	s_cmp_gt_i32 s40, 0
	s_cbranch_scc0 .LBB94_1009
; %bb.1008:
	global_load_sbyte v4, v[2:3], off
	s_mov_b64 s[0:1], 0
	s_waitcnt vmcnt(0)
	v_bfe_i32 v4, v4, 0, 16
	v_ashrrev_i32_e32 v5, 31, v4
	s_branch .LBB94_1010
.LBB94_1009:
	s_mov_b64 s[0:1], -1
                                        ; implicit-def: $vgpr4_vgpr5
.LBB94_1010:
	s_andn2_b64 vcc, exec, s[0:1]
	s_cbranch_vccnz .LBB94_1012
; %bb.1011:
	global_load_ubyte v2, v[2:3], off
	s_mov_b32 s0, 0
	s_waitcnt vmcnt(1)
	v_mov_b32_e32 v5, s0
	s_waitcnt vmcnt(0)
	v_and_b32_e32 v4, 0xffff, v2
.LBB94_1012:
	s_mov_b64 s[0:1], -1
.LBB94_1013:
	s_andn2_b64 vcc, exec, s[0:1]
	s_cbranch_vccnz .LBB94_1021
; %bb.1014:
	v_mul_lo_u32 v2, v18, s12
	s_waitcnt vmcnt(0)
	v_lshlrev_b64 v[0:1], v4, v[0:1]
	v_cmp_gt_u64_e32 vcc, 64, v[4:5]
	v_mov_b32_e32 v4, s9
	v_cndmask_b32_e32 v1, 0, v1, vcc
	v_cndmask_b32_e32 v0, 0, v0, vcc
	v_ashrrev_i32_e32 v3, 31, v2
	s_and_b32 s46, s33, 0xff
	v_add_co_u32_e32 v2, vcc, s8, v2
	s_cmp_lt_i32 s46, 11
	v_addc_co_u32_e32 v3, vcc, v4, v3, vcc
	s_cbranch_scc1 .LBB94_1022
; %bb.1015:
	s_and_b32 s47, 0xffff, s46
	s_cmp_gt_i32 s47, 25
	s_cbranch_scc0 .LBB94_1023
; %bb.1016:
	s_cmp_gt_i32 s47, 28
	s_cbranch_scc0 .LBB94_1024
; %bb.1017:
	;; [unrolled: 3-line block ×4, first 2 shown]
	s_mov_b64 s[42:43], 0
	s_mov_b64 s[0:1], -1
	s_cmp_eq_u32 s47, 46
	s_mov_b64 s[40:41], 0
	s_cbranch_scc0 .LBB94_1027
; %bb.1020:
	v_xor_b32_e32 v5, v0, v1
	v_ffbh_i32_e32 v4, v1
	v_ashrrev_i32_e32 v5, 31, v5
	v_add_u32_e32 v4, -1, v4
	v_add_u32_e32 v5, 32, v5
	v_min_u32_e32 v6, v4, v5
	v_lshlrev_b64 v[4:5], v6, v[0:1]
	s_movk_i32 s0, 0x7fff
	v_min_u32_e32 v4, 1, v4
	v_or_b32_e32 v4, v5, v4
	v_cvt_f32_i32_e32 v4, v4
	v_sub_u32_e32 v5, 32, v6
	s_mov_b64 s[40:41], -1
	v_ldexp_f32 v4, v4, v5
	v_bfe_u32 v5, v4, 16, 1
	v_add3_u32 v4, v4, v5, s0
	v_lshrrev_b32_e32 v4, 16, v4
	global_store_dword v[2:3], v4, off
	s_mov_b64 s[0:1], 0
	s_branch .LBB94_1027
.LBB94_1021:
	s_mov_b64 s[42:43], 0
                                        ; implicit-def: $vgpr18
	s_mov_b64 s[0:1], s[28:29]
	s_branch .LBB94_1137
.LBB94_1022:
	s_mov_b64 s[42:43], -1
	s_mov_b64 s[40:41], 0
	s_mov_b64 s[0:1], s[28:29]
	s_branch .LBB94_1096
.LBB94_1023:
	s_mov_b64 s[42:43], -1
	s_mov_b64 s[40:41], 0
	s_mov_b64 s[0:1], s[28:29]
	s_branch .LBB94_1054
.LBB94_1024:
	s_mov_b64 s[42:43], -1
	s_mov_b64 s[40:41], 0
	s_mov_b64 s[0:1], s[28:29]
	s_branch .LBB94_1037
.LBB94_1025:
	s_mov_b64 s[42:43], -1
	s_mov_b64 s[40:41], 0
	s_mov_b64 s[0:1], s[28:29]
	s_branch .LBB94_1033
.LBB94_1026:
	s_mov_b64 s[42:43], -1
	s_mov_b64 s[40:41], 0
	s_mov_b64 s[0:1], s[28:29]
.LBB94_1027:
	s_and_b64 vcc, exec, s[42:43]
	s_cbranch_vccz .LBB94_1032
; %bb.1028:
	s_cmp_eq_u32 s47, 44
	s_mov_b64 s[0:1], -1
	s_cbranch_scc0 .LBB94_1032
; %bb.1029:
	v_xor_b32_e32 v5, v0, v1
	v_ffbh_i32_e32 v4, v1
	v_ashrrev_i32_e32 v5, 31, v5
	v_add_u32_e32 v4, -1, v4
	v_add_u32_e32 v5, 32, v5
	v_min_u32_e32 v6, v4, v5
	v_lshlrev_b64 v[4:5], v6, v[0:1]
	s_movk_i32 s0, 0xff
	v_min_u32_e32 v4, 1, v4
	v_or_b32_e32 v4, v5, v4
	v_cvt_f32_i32_e32 v4, v4
	v_sub_u32_e32 v5, 32, v6
	v_mov_b32_e32 v6, 0xff
	v_ldexp_f32 v4, v4, v5
	v_bfe_u32 v5, v4, 23, 8
	v_cmp_ne_u32_e32 vcc, s0, v5
	s_and_saveexec_b64 s[40:41], vcc
; %bb.1030:
	s_mov_b32 s0, 0x3fffff
	v_lshrrev_b32_e32 v6, 23, v4
	v_and_b32_e32 v7, 0x400000, v4
	v_and_or_b32 v4, v4, s0, v5
	v_cmp_ne_u32_e32 vcc, 0, v7
	v_cmp_ne_u32_e64 s[0:1], 0, v4
	s_and_b64 s[0:1], vcc, s[0:1]
	v_cndmask_b32_e64 v4, 0, 1, s[0:1]
	v_add_u32_e32 v6, v6, v4
; %bb.1031:
	s_or_b64 exec, exec, s[40:41]
	s_mov_b64 s[40:41], -1
	s_mov_b64 s[0:1], 0
	global_store_byte v[2:3], v6, off
.LBB94_1032:
	s_mov_b64 s[42:43], 0
.LBB94_1033:
	s_and_b64 vcc, exec, s[42:43]
	s_cbranch_vccz .LBB94_1036
; %bb.1034:
	s_cmp_eq_u32 s47, 29
	s_mov_b64 s[0:1], -1
	s_cbranch_scc0 .LBB94_1036
; %bb.1035:
	global_store_dwordx2 v[2:3], v[0:1], off
	s_mov_b64 s[40:41], -1
	s_mov_b64 s[0:1], 0
.LBB94_1036:
	s_mov_b64 s[42:43], 0
.LBB94_1037:
	s_and_b64 vcc, exec, s[42:43]
	s_cbranch_vccz .LBB94_1053
; %bb.1038:
	s_cmp_lt_i32 s47, 27
	s_mov_b64 s[40:41], -1
	s_cbranch_scc1 .LBB94_1044
; %bb.1039:
	s_cmp_gt_i32 s47, 27
	s_cbranch_scc0 .LBB94_1041
; %bb.1040:
	s_mov_b64 s[40:41], 0
	global_store_dword v[2:3], v0, off
.LBB94_1041:
	s_andn2_b64 vcc, exec, s[40:41]
	s_cbranch_vccnz .LBB94_1043
; %bb.1042:
	global_store_short v[2:3], v0, off
.LBB94_1043:
	s_mov_b64 s[40:41], 0
.LBB94_1044:
	s_andn2_b64 vcc, exec, s[40:41]
	s_cbranch_vccnz .LBB94_1052
; %bb.1045:
	v_xor_b32_e32 v5, v0, v1
	v_ffbh_i32_e32 v4, v1
	v_ashrrev_i32_e32 v5, 31, v5
	v_add_u32_e32 v4, -1, v4
	v_add_u32_e32 v5, 32, v5
	v_min_u32_e32 v6, v4, v5
	v_lshlrev_b64 v[4:5], v6, v[0:1]
	s_mov_b32 s40, 0x43800000
	v_min_u32_e32 v4, 1, v4
	v_or_b32_e32 v4, v5, v4
	v_cvt_f32_i32_e32 v4, v4
	v_sub_u32_e32 v5, 32, v6
	v_mov_b32_e32 v6, 0x80
	v_ldexp_f32 v4, v4, v5
	v_and_b32_e32 v5, 0x7fffffff, v4
	v_cmp_gt_u32_e32 vcc, s40, v5
	s_and_saveexec_b64 s[40:41], vcc
	s_cbranch_execz .LBB94_1051
; %bb.1046:
	s_mov_b32 s42, 0x3bffffff
	v_cmp_lt_u32_e32 vcc, s42, v5
	s_mov_b64 s[42:43], 0
                                        ; implicit-def: $vgpr5
	s_and_saveexec_b64 s[44:45], vcc
	s_xor_b64 s[44:45], exec, s[44:45]
	s_cbranch_execz .LBB94_1153
; %bb.1047:
	v_bfe_u32 v5, v4, 20, 1
	s_mov_b32 s49, 0x487ffff
	v_add3_u32 v5, v4, v5, s49
	s_mov_b64 s[42:43], exec
	v_lshrrev_b32_e32 v5, 20, v5
	s_andn2_saveexec_b64 s[44:45], s[44:45]
	s_cbranch_execnz .LBB94_1154
.LBB94_1048:
	s_or_b64 exec, exec, s[44:45]
	v_mov_b32_e32 v6, 0
	s_and_saveexec_b64 s[44:45], s[42:43]
.LBB94_1049:
	v_lshrrev_b32_e32 v4, 24, v4
	s_movk_i32 s42, 0x80
	v_and_or_b32 v6, v4, s42, v5
.LBB94_1050:
	s_or_b64 exec, exec, s[44:45]
.LBB94_1051:
	s_or_b64 exec, exec, s[40:41]
	global_store_byte v[2:3], v6, off
.LBB94_1052:
	s_mov_b64 s[40:41], -1
.LBB94_1053:
	s_mov_b64 s[42:43], 0
.LBB94_1054:
	s_and_b64 vcc, exec, s[42:43]
	s_cbranch_vccz .LBB94_1095
; %bb.1055:
	s_cmp_gt_i32 s47, 22
	s_mov_b64 s[42:43], -1
	s_cbranch_scc0 .LBB94_1087
; %bb.1056:
	s_cmp_lt_i32 s47, 24
	s_mov_b64 s[40:41], -1
	s_cbranch_scc1 .LBB94_1076
; %bb.1057:
	s_cmp_gt_i32 s47, 24
	s_cbranch_scc0 .LBB94_1065
; %bb.1058:
	v_xor_b32_e32 v5, v0, v1
	v_ffbh_i32_e32 v4, v1
	v_ashrrev_i32_e32 v5, 31, v5
	v_add_u32_e32 v4, -1, v4
	v_add_u32_e32 v5, 32, v5
	v_min_u32_e32 v6, v4, v5
	v_lshlrev_b64 v[4:5], v6, v[0:1]
	s_mov_b32 s40, 0x47800000
	v_min_u32_e32 v4, 1, v4
	v_or_b32_e32 v4, v5, v4
	v_cvt_f32_i32_e32 v4, v4
	v_sub_u32_e32 v5, 32, v6
	v_mov_b32_e32 v6, 0x80
	v_ldexp_f32 v4, v4, v5
	v_and_b32_e32 v5, 0x7fffffff, v4
	v_cmp_gt_u32_e32 vcc, s40, v5
	s_and_saveexec_b64 s[40:41], vcc
	s_cbranch_execz .LBB94_1064
; %bb.1059:
	s_mov_b32 s42, 0x37ffffff
	v_cmp_lt_u32_e32 vcc, s42, v5
	s_mov_b64 s[42:43], 0
                                        ; implicit-def: $vgpr5
	s_and_saveexec_b64 s[44:45], vcc
	s_xor_b64 s[44:45], exec, s[44:45]
	s_cbranch_execz .LBB94_2147
; %bb.1060:
	v_bfe_u32 v5, v4, 21, 1
	s_mov_b32 s49, 0x88fffff
	v_add3_u32 v5, v4, v5, s49
	s_mov_b64 s[42:43], exec
	v_lshrrev_b32_e32 v5, 21, v5
	s_andn2_saveexec_b64 s[44:45], s[44:45]
	s_cbranch_execnz .LBB94_2148
.LBB94_1061:
	s_or_b64 exec, exec, s[44:45]
	v_mov_b32_e32 v6, 0
	s_and_saveexec_b64 s[44:45], s[42:43]
.LBB94_1062:
	v_lshrrev_b32_e32 v4, 24, v4
	s_movk_i32 s42, 0x80
	v_and_or_b32 v6, v4, s42, v5
.LBB94_1063:
	s_or_b64 exec, exec, s[44:45]
.LBB94_1064:
	s_or_b64 exec, exec, s[40:41]
	s_mov_b64 s[40:41], 0
	global_store_byte v[2:3], v6, off
.LBB94_1065:
	s_and_b64 vcc, exec, s[40:41]
	s_cbranch_vccz .LBB94_1075
; %bb.1066:
	v_xor_b32_e32 v5, v0, v1
	v_ffbh_i32_e32 v4, v1
	v_ashrrev_i32_e32 v5, 31, v5
	v_add_u32_e32 v4, -1, v4
	v_add_u32_e32 v5, 32, v5
	v_min_u32_e32 v6, v4, v5
	v_lshlrev_b64 v[4:5], v6, v[0:1]
	s_mov_b32 s40, 0x43f00000
	v_min_u32_e32 v4, 1, v4
	v_or_b32_e32 v4, v5, v4
	v_cvt_f32_i32_e32 v4, v4
	v_sub_u32_e32 v5, 32, v6
	v_ldexp_f32 v4, v4, v5
	v_and_b32_e32 v6, 0x7fffffff, v4
	v_cmp_gt_u32_e32 vcc, s40, v6
                                        ; implicit-def: $vgpr5
	s_and_saveexec_b64 s[40:41], vcc
	s_xor_b64 s[40:41], exec, s[40:41]
	s_cbranch_execz .LBB94_1072
; %bb.1067:
	s_mov_b32 s42, 0x3c7fffff
	v_cmp_lt_u32_e32 vcc, s42, v6
                                        ; implicit-def: $vgpr5
	s_and_saveexec_b64 s[42:43], vcc
	s_xor_b64 s[42:43], exec, s[42:43]
; %bb.1068:
	v_bfe_u32 v5, v4, 20, 1
	s_mov_b32 s44, 0x407ffff
	v_add3_u32 v5, v4, v5, s44
	v_lshrrev_b32_e32 v6, 20, v5
	v_and_b32_e32 v5, 0xff00000, v5
	s_mov_b32 s44, 0x7f00000
	v_mov_b32_e32 v7, 0x7e
	v_cmp_ne_u32_e32 vcc, s44, v5
	v_cndmask_b32_e32 v5, v7, v6, vcc
; %bb.1069:
	s_andn2_saveexec_b64 s[42:43], s[42:43]
; %bb.1070:
	s_mov_b32 s44, 0x46800000
	v_add_f32_e64 v5, |v4|, s44
; %bb.1071:
	s_or_b64 exec, exec, s[42:43]
                                        ; implicit-def: $vgpr6
.LBB94_1072:
	s_andn2_saveexec_b64 s[40:41], s[40:41]
; %bb.1073:
	s_mov_b32 s42, 0x7f800000
	v_mov_b32_e32 v5, 0x7e
	v_mov_b32_e32 v7, 0x7f
	v_cmp_lt_u32_e32 vcc, s42, v6
	v_cndmask_b32_e32 v5, v5, v7, vcc
; %bb.1074:
	s_or_b64 exec, exec, s[40:41]
	v_lshrrev_b32_e32 v4, 24, v4
	s_movk_i32 s40, 0x80
	v_and_or_b32 v4, v4, s40, v5
	global_store_byte v[2:3], v4, off
.LBB94_1075:
	s_mov_b64 s[40:41], 0
.LBB94_1076:
	s_andn2_b64 vcc, exec, s[40:41]
	s_cbranch_vccnz .LBB94_1086
; %bb.1077:
	v_xor_b32_e32 v5, v0, v1
	v_ffbh_i32_e32 v4, v1
	v_ashrrev_i32_e32 v5, 31, v5
	v_add_u32_e32 v4, -1, v4
	v_add_u32_e32 v5, 32, v5
	v_min_u32_e32 v6, v4, v5
	v_lshlrev_b64 v[4:5], v6, v[0:1]
	s_mov_b32 s40, 0x47800000
	v_min_u32_e32 v4, 1, v4
	v_or_b32_e32 v4, v5, v4
	v_cvt_f32_i32_e32 v4, v4
	v_sub_u32_e32 v5, 32, v6
	v_ldexp_f32 v4, v4, v5
	v_and_b32_e32 v6, 0x7fffffff, v4
	v_cmp_gt_u32_e32 vcc, s40, v6
                                        ; implicit-def: $vgpr5
	s_and_saveexec_b64 s[40:41], vcc
	s_xor_b64 s[40:41], exec, s[40:41]
	s_cbranch_execz .LBB94_1083
; %bb.1078:
	s_mov_b32 s42, 0x387fffff
	v_cmp_lt_u32_e32 vcc, s42, v6
                                        ; implicit-def: $vgpr5
	s_and_saveexec_b64 s[42:43], vcc
	s_xor_b64 s[42:43], exec, s[42:43]
; %bb.1079:
	v_bfe_u32 v5, v4, 21, 1
	s_mov_b32 s44, 0x80fffff
	v_add3_u32 v5, v4, v5, s44
	v_lshrrev_b32_e32 v5, 21, v5
; %bb.1080:
	s_andn2_saveexec_b64 s[42:43], s[42:43]
; %bb.1081:
	s_mov_b32 s44, 0x43000000
	v_add_f32_e64 v5, |v4|, s44
; %bb.1082:
	s_or_b64 exec, exec, s[42:43]
                                        ; implicit-def: $vgpr6
.LBB94_1083:
	s_andn2_saveexec_b64 s[40:41], s[40:41]
; %bb.1084:
	s_mov_b32 s42, 0x7f800000
	v_mov_b32_e32 v5, 0x7c
	v_mov_b32_e32 v7, 0x7f
	v_cmp_lt_u32_e32 vcc, s42, v6
	v_cndmask_b32_e32 v5, v5, v7, vcc
; %bb.1085:
	s_or_b64 exec, exec, s[40:41]
	v_lshrrev_b32_e32 v4, 24, v4
	s_movk_i32 s40, 0x80
	v_and_or_b32 v4, v4, s40, v5
	global_store_byte v[2:3], v4, off
.LBB94_1086:
	s_mov_b64 s[42:43], 0
	s_mov_b64 s[40:41], -1
.LBB94_1087:
	s_andn2_b64 vcc, exec, s[42:43]
	s_cbranch_vccnz .LBB94_1095
; %bb.1088:
	s_cmp_gt_i32 s47, 14
	s_mov_b64 s[42:43], -1
	s_cbranch_scc0 .LBB94_1092
; %bb.1089:
	s_cmp_eq_u32 s47, 15
	s_mov_b64 s[0:1], -1
	s_cbranch_scc0 .LBB94_1091
; %bb.1090:
	v_xor_b32_e32 v5, v0, v1
	v_ffbh_i32_e32 v4, v1
	v_ashrrev_i32_e32 v5, 31, v5
	v_add_u32_e32 v4, -1, v4
	v_add_u32_e32 v5, 32, v5
	v_min_u32_e32 v6, v4, v5
	v_lshlrev_b64 v[4:5], v6, v[0:1]
	s_movk_i32 s0, 0x7fff
	v_min_u32_e32 v4, 1, v4
	v_or_b32_e32 v4, v5, v4
	v_cvt_f32_i32_e32 v4, v4
	v_sub_u32_e32 v5, 32, v6
	s_mov_b64 s[40:41], -1
	v_ldexp_f32 v4, v4, v5
	v_bfe_u32 v5, v4, 16, 1
	v_add3_u32 v4, v4, v5, s0
	global_store_short_d16_hi v[2:3], v4, off
	s_mov_b64 s[0:1], 0
.LBB94_1091:
	s_mov_b64 s[42:43], 0
.LBB94_1092:
	s_and_b64 vcc, exec, s[42:43]
	s_cbranch_vccz .LBB94_1095
; %bb.1093:
	s_cmp_eq_u32 s47, 11
	s_mov_b64 s[0:1], -1
	s_cbranch_scc0 .LBB94_1095
; %bb.1094:
	v_cmp_ne_u64_e32 vcc, 0, v[0:1]
	s_mov_b64 s[0:1], 0
	v_cndmask_b32_e64 v4, 0, 1, vcc
	s_mov_b64 s[40:41], -1
	global_store_byte v[2:3], v4, off
.LBB94_1095:
	s_mov_b64 s[42:43], 0
.LBB94_1096:
	s_and_b64 vcc, exec, s[42:43]
	s_cbranch_vccz .LBB94_1135
; %bb.1097:
	s_and_b32 s42, 0xffff, s46
	s_cmp_lt_i32 s42, 5
	s_mov_b64 s[40:41], -1
	s_cbranch_scc1 .LBB94_1118
; %bb.1098:
	s_cmp_lt_i32 s42, 8
	s_cbranch_scc1 .LBB94_1108
; %bb.1099:
	s_cmp_lt_i32 s42, 9
	s_cbranch_scc1 .LBB94_1105
; %bb.1100:
	s_cmp_gt_i32 s42, 9
	s_cbranch_scc0 .LBB94_1102
; %bb.1101:
	v_cvt_f64_i32_e32 v[4:5], v1
	v_cvt_f64_u32_e32 v[6:7], v0
	s_mov_b64 s[40:41], 0
	v_ldexp_f64 v[4:5], v[4:5], 32
	v_add_f64 v[4:5], v[4:5], v[6:7]
	v_mov_b32_e32 v6, 0
	v_mov_b32_e32 v7, v6
	global_store_dwordx4 v[2:3], v[4:7], off
.LBB94_1102:
	s_andn2_b64 vcc, exec, s[40:41]
	s_cbranch_vccnz .LBB94_1104
; %bb.1103:
	v_xor_b32_e32 v5, v0, v1
	v_ffbh_i32_e32 v4, v1
	v_ashrrev_i32_e32 v5, 31, v5
	v_add_u32_e32 v4, -1, v4
	v_add_u32_e32 v5, 32, v5
	v_min_u32_e32 v6, v4, v5
	v_lshlrev_b64 v[4:5], v6, v[0:1]
	v_min_u32_e32 v4, 1, v4
	v_or_b32_e32 v4, v5, v4
	v_cvt_f32_i32_e32 v4, v4
	v_sub_u32_e32 v5, 32, v6
	v_ldexp_f32 v4, v4, v5
	v_mov_b32_e32 v5, 0
	global_store_dwordx2 v[2:3], v[4:5], off
.LBB94_1104:
	s_mov_b64 s[40:41], 0
.LBB94_1105:
	s_andn2_b64 vcc, exec, s[40:41]
	s_cbranch_vccnz .LBB94_1107
; %bb.1106:
	v_xor_b32_e32 v5, v0, v1
	v_ffbh_i32_e32 v4, v1
	v_ashrrev_i32_e32 v5, 31, v5
	v_add_u32_e32 v4, -1, v4
	v_add_u32_e32 v5, 32, v5
	v_min_u32_e32 v6, v4, v5
	v_lshlrev_b64 v[4:5], v6, v[0:1]
	v_min_u32_e32 v4, 1, v4
	v_or_b32_e32 v4, v5, v4
	v_cvt_f32_i32_e32 v4, v4
	v_sub_u32_e32 v5, 32, v6
	v_ldexp_f32 v4, v4, v5
	v_cvt_f16_f32_e32 v4, v4
	global_store_dword v[2:3], v4, off
.LBB94_1107:
	s_mov_b64 s[40:41], 0
.LBB94_1108:
	s_andn2_b64 vcc, exec, s[40:41]
	s_cbranch_vccnz .LBB94_1117
; %bb.1109:
	s_cmp_lt_i32 s42, 6
	s_mov_b64 s[40:41], -1
	s_cbranch_scc1 .LBB94_1115
; %bb.1110:
	s_cmp_gt_i32 s42, 6
	s_cbranch_scc0 .LBB94_1112
; %bb.1111:
	v_cvt_f64_i32_e32 v[4:5], v1
	v_cvt_f64_u32_e32 v[6:7], v0
	s_mov_b64 s[40:41], 0
	v_ldexp_f64 v[4:5], v[4:5], 32
	v_add_f64 v[4:5], v[4:5], v[6:7]
	global_store_dwordx2 v[2:3], v[4:5], off
.LBB94_1112:
	s_andn2_b64 vcc, exec, s[40:41]
	s_cbranch_vccnz .LBB94_1114
; %bb.1113:
	v_xor_b32_e32 v5, v0, v1
	v_ffbh_i32_e32 v4, v1
	v_ashrrev_i32_e32 v5, 31, v5
	v_add_u32_e32 v4, -1, v4
	v_add_u32_e32 v5, 32, v5
	v_min_u32_e32 v6, v4, v5
	v_lshlrev_b64 v[4:5], v6, v[0:1]
	v_min_u32_e32 v4, 1, v4
	v_or_b32_e32 v4, v5, v4
	v_cvt_f32_i32_e32 v4, v4
	v_sub_u32_e32 v5, 32, v6
	v_ldexp_f32 v4, v4, v5
	global_store_dword v[2:3], v4, off
.LBB94_1114:
	s_mov_b64 s[40:41], 0
.LBB94_1115:
	s_andn2_b64 vcc, exec, s[40:41]
	s_cbranch_vccnz .LBB94_1117
; %bb.1116:
	v_xor_b32_e32 v5, v0, v1
	v_ffbh_i32_e32 v4, v1
	v_ashrrev_i32_e32 v5, 31, v5
	v_add_u32_e32 v4, -1, v4
	v_add_u32_e32 v5, 32, v5
	v_min_u32_e32 v6, v4, v5
	v_lshlrev_b64 v[4:5], v6, v[0:1]
	v_min_u32_e32 v4, 1, v4
	v_or_b32_e32 v4, v5, v4
	v_cvt_f32_i32_e32 v4, v4
	v_sub_u32_e32 v5, 32, v6
	v_ldexp_f32 v4, v4, v5
	v_cvt_f16_f32_e32 v4, v4
	global_store_short v[2:3], v4, off
.LBB94_1117:
	s_mov_b64 s[40:41], 0
.LBB94_1118:
	s_andn2_b64 vcc, exec, s[40:41]
	s_cbranch_vccnz .LBB94_1134
; %bb.1119:
	s_cmp_lt_i32 s42, 2
	s_mov_b64 s[40:41], -1
	s_cbranch_scc1 .LBB94_1129
; %bb.1120:
	s_cmp_lt_i32 s42, 3
	s_cbranch_scc1 .LBB94_1126
; %bb.1121:
	s_cmp_gt_i32 s42, 3
	s_cbranch_scc0 .LBB94_1123
; %bb.1122:
	s_mov_b64 s[40:41], 0
	global_store_dwordx2 v[2:3], v[0:1], off
.LBB94_1123:
	s_andn2_b64 vcc, exec, s[40:41]
	s_cbranch_vccnz .LBB94_1125
; %bb.1124:
	global_store_dword v[2:3], v0, off
.LBB94_1125:
	s_mov_b64 s[40:41], 0
.LBB94_1126:
	s_andn2_b64 vcc, exec, s[40:41]
	s_cbranch_vccnz .LBB94_1128
; %bb.1127:
	global_store_short v[2:3], v0, off
.LBB94_1128:
	s_mov_b64 s[40:41], 0
.LBB94_1129:
	s_andn2_b64 vcc, exec, s[40:41]
	s_cbranch_vccnz .LBB94_1134
; %bb.1130:
	s_cmp_gt_i32 s42, 0
	s_mov_b64 s[40:41], -1
	s_cbranch_scc0 .LBB94_1132
; %bb.1131:
	s_mov_b64 s[40:41], 0
	global_store_byte v[2:3], v0, off
.LBB94_1132:
	s_andn2_b64 vcc, exec, s[40:41]
	s_cbranch_vccnz .LBB94_1134
; %bb.1133:
	global_store_byte v[2:3], v0, off
.LBB94_1134:
	s_mov_b64 s[40:41], -1
.LBB94_1135:
	s_andn2_b64 vcc, exec, s[40:41]
	s_cbranch_vccnz .LBB94_1148
; %bb.1136:
	v_add_u32_e32 v18, 0x80, v18
	s_mov_b64 s[42:43], -1
.LBB94_1137:
	s_andn2_b64 s[40:41], s[28:29], exec
	s_and_b64 s[0:1], s[0:1], exec
	s_or_b64 s[40:41], s[40:41], s[0:1]
	s_andn2_b64 s[0:1], s[26:27], exec
	s_and_b64 s[38:39], s[38:39], exec
	s_or_b64 s[38:39], s[0:1], s[38:39]
	;; [unrolled: 3-line block ×3, first 2 shown]
	s_orn2_b64 s[46:47], s[42:43], exec
.LBB94_1138:
	s_or_b64 exec, exec, s[34:35]
	s_mov_b64 s[42:43], 0
	s_mov_b64 s[36:37], 0
	s_mov_b64 s[44:45], 0
                                        ; implicit-def: $sgpr55
                                        ; implicit-def: $vgpr2_vgpr3
                                        ; implicit-def: $vgpr0_vgpr1
	s_and_saveexec_b64 s[34:35], s[46:47]
	s_cbranch_execz .LBB94_1218
; %bb.1139:
	v_cmp_gt_i32_e32 vcc, s48, v18
	s_mov_b64 s[46:47], 0
	s_mov_b64 s[48:49], s[0:1]
	;; [unrolled: 1-line block ×4, first 2 shown]
                                        ; implicit-def: $sgpr55
                                        ; implicit-def: $vgpr2_vgpr3
                                        ; implicit-def: $vgpr0_vgpr1
	s_and_saveexec_b64 s[36:37], vcc
	s_cbranch_execz .LBB94_1217
; %bb.1140:
	s_waitcnt vmcnt(0)
	v_mul_lo_u32 v0, v18, s13
	v_mov_b32_e32 v1, s11
	s_and_b32 s55, s54, 0xff
	s_cmp_lt_i32 s55, 11
	v_ashrrev_i32_e32 v3, 31, v0
	v_add_co_u32_e32 v2, vcc, s10, v0
	v_addc_co_u32_e32 v3, vcc, v1, v3, vcc
	s_cbranch_scc1 .LBB94_1147
; %bb.1141:
	s_and_b32 s50, 0xffff, s55
	s_cmp_gt_i32 s50, 25
	s_cbranch_scc0 .LBB94_1149
; %bb.1142:
	s_cmp_gt_i32 s50, 28
	s_cbranch_scc0 .LBB94_1150
; %bb.1143:
	;; [unrolled: 3-line block ×4, first 2 shown]
	s_cmp_eq_u32 s50, 46
	s_mov_b64 s[48:49], 0
	s_cbranch_scc0 .LBB94_1155
; %bb.1146:
	global_load_dword v0, v[2:3], off
	s_mov_b32 s42, 0x2f800000
	s_mov_b32 s43, 0xcf800000
	s_mov_b64 s[46:47], -1
	s_waitcnt vmcnt(0)
	v_lshlrev_b32_e32 v0, 16, v0
	v_trunc_f32_e32 v0, v0
	v_mul_f32_e64 v1, |v0|, s42
	v_floor_f32_e32 v1, v1
	v_fma_f32 v4, v1, s43, |v0|
	v_cvt_u32_f32_e32 v4, v4
	v_cvt_u32_f32_e32 v1, v1
	v_ashrrev_i32_e32 v5, 31, v0
	s_mov_b64 s[42:43], 0
	v_xor_b32_e32 v0, v4, v5
	v_xor_b32_e32 v1, v1, v5
	v_sub_co_u32_e32 v0, vcc, v0, v5
	v_subb_co_u32_e32 v1, vcc, v1, v5, vcc
	s_branch .LBB94_1157
.LBB94_1147:
	s_mov_b64 s[48:49], -1
                                        ; implicit-def: $vgpr0_vgpr1
	s_mov_b64 s[42:43], s[0:1]
	s_branch .LBB94_1216
.LBB94_1148:
	s_mov_b64 s[42:43], 0
	s_branch .LBB94_894
.LBB94_1149:
	s_mov_b64 s[48:49], -1
	s_mov_b64 s[42:43], s[0:1]
                                        ; implicit-def: $vgpr0_vgpr1
	s_branch .LBB94_1186
.LBB94_1150:
	s_mov_b64 s[48:49], -1
	s_mov_b64 s[42:43], s[0:1]
                                        ; implicit-def: $vgpr0_vgpr1
	s_branch .LBB94_1167
.LBB94_1151:
	s_mov_b64 s[48:49], -1
	s_mov_b64 s[42:43], s[0:1]
                                        ; implicit-def: $vgpr0_vgpr1
	s_branch .LBB94_1162
.LBB94_1152:
	s_mov_b64 s[48:49], -1
	s_mov_b64 s[42:43], s[0:1]
	s_branch .LBB94_1156
.LBB94_1153:
	s_andn2_saveexec_b64 s[44:45], s[44:45]
	s_cbranch_execz .LBB94_1048
.LBB94_1154:
	s_mov_b32 s49, 0x46000000
	v_add_f32_e64 v5, |v4|, s49
	v_and_b32_e32 v5, 0xff, v5
	v_cmp_ne_u32_e32 vcc, 0, v5
	s_andn2_b64 s[42:43], s[42:43], exec
	s_and_b64 s[50:51], vcc, exec
	s_or_b64 s[42:43], s[42:43], s[50:51]
	s_or_b64 exec, exec, s[44:45]
	v_mov_b32_e32 v6, 0
	s_and_saveexec_b64 s[44:45], s[42:43]
	s_cbranch_execnz .LBB94_1049
	s_branch .LBB94_1050
.LBB94_1155:
	s_mov_b64 s[42:43], -1
.LBB94_1156:
                                        ; implicit-def: $vgpr0_vgpr1
.LBB94_1157:
	s_and_b64 vcc, exec, s[48:49]
	s_cbranch_vccz .LBB94_1161
; %bb.1158:
	s_cmp_eq_u32 s50, 44
	s_cbranch_scc0 .LBB94_1160
; %bb.1159:
	global_load_ubyte v0, v[2:3], off
	s_mov_b32 s42, 0x2f800000
	s_mov_b32 s43, 0xcf800000
	s_mov_b64 s[46:47], -1
	s_waitcnt vmcnt(0)
	v_lshlrev_b32_e32 v1, 23, v0
	v_trunc_f32_e32 v1, v1
	v_mul_f32_e64 v4, |v1|, s42
	v_floor_f32_e32 v4, v4
	v_fma_f32 v5, v4, s43, |v1|
	v_cvt_u32_f32_e32 v5, v5
	v_cvt_u32_f32_e32 v4, v4
	v_ashrrev_i32_e32 v1, 31, v1
	s_mov_b64 s[42:43], 0
	v_xor_b32_e32 v5, v5, v1
	v_xor_b32_e32 v4, v4, v1
	v_sub_co_u32_e32 v5, vcc, v5, v1
	v_subb_co_u32_e32 v1, vcc, v4, v1, vcc
	v_cmp_ne_u32_e32 vcc, 0, v0
	v_cndmask_b32_e32 v1, 0, v1, vcc
	v_cndmask_b32_e32 v0, 0, v5, vcc
	s_branch .LBB94_1161
.LBB94_1160:
	s_mov_b64 s[42:43], -1
                                        ; implicit-def: $vgpr0_vgpr1
.LBB94_1161:
	s_mov_b64 s[48:49], 0
.LBB94_1162:
	s_and_b64 vcc, exec, s[48:49]
	s_cbranch_vccz .LBB94_1166
; %bb.1163:
	s_cmp_eq_u32 s50, 29
	s_cbranch_scc0 .LBB94_1165
; %bb.1164:
	global_load_dwordx2 v[0:1], v[2:3], off
	s_mov_b64 s[42:43], 0
	s_mov_b64 s[46:47], -1
	s_branch .LBB94_1166
.LBB94_1165:
	s_mov_b64 s[42:43], -1
                                        ; implicit-def: $vgpr0_vgpr1
.LBB94_1166:
	s_mov_b64 s[48:49], 0
.LBB94_1167:
	s_and_b64 vcc, exec, s[48:49]
	s_cbranch_vccz .LBB94_1185
; %bb.1168:
	s_cmp_lt_i32 s50, 27
	s_cbranch_scc1 .LBB94_1171
; %bb.1169:
	s_cmp_gt_i32 s50, 27
	s_cbranch_scc0 .LBB94_1172
; %bb.1170:
	global_load_dword v0, v[2:3], off
	s_waitcnt vmcnt(1)
	v_mov_b32_e32 v1, 0
	s_mov_b64 s[46:47], 0
	s_branch .LBB94_1173
.LBB94_1171:
	s_mov_b64 s[46:47], -1
                                        ; implicit-def: $vgpr0_vgpr1
	s_branch .LBB94_1176
.LBB94_1172:
	s_mov_b64 s[46:47], -1
                                        ; implicit-def: $vgpr0_vgpr1
.LBB94_1173:
	s_andn2_b64 vcc, exec, s[46:47]
	s_cbranch_vccnz .LBB94_1175
; %bb.1174:
	global_load_ushort v0, v[2:3], off
	s_mov_b32 s46, 0
	s_waitcnt vmcnt(1)
	v_mov_b32_e32 v1, s46
	s_waitcnt vmcnt(0)
	v_and_b32_e32 v0, 0xffff, v0
.LBB94_1175:
	s_mov_b64 s[46:47], 0
.LBB94_1176:
	s_andn2_b64 vcc, exec, s[46:47]
	s_cbranch_vccnz .LBB94_1184
; %bb.1177:
	global_load_ubyte v4, v[2:3], off
	s_movk_i32 s46, 0x7f
	s_mov_b64 s[48:49], 0
	s_waitcnt vmcnt(0)
	v_cmp_lt_i16_e32 vcc, s46, v4
	s_and_saveexec_b64 s[46:47], vcc
	s_xor_b64 s[46:47], exec, s[46:47]
; %bb.1178:
	s_movk_i32 s48, 0x80
	v_cmp_ne_u16_e32 vcc, s48, v4
	s_and_b64 s[48:49], vcc, exec
; %bb.1179:
	s_andn2_saveexec_b64 s[46:47], s[46:47]
; %bb.1180:
	v_cmp_ne_u16_e32 vcc, 0, v4
	s_andn2_b64 s[48:49], s[48:49], exec
	s_and_b64 s[52:53], vcc, exec
	s_or_b64 s[48:49], s[48:49], s[52:53]
; %bb.1181:
	s_or_b64 exec, exec, s[46:47]
	v_mov_b32_e32 v0, 0
	v_mov_b32_e32 v1, 0
	s_and_saveexec_b64 s[46:47], s[48:49]
	s_cbranch_execz .LBB94_1183
; %bb.1182:
	v_and_b32_e32 v1, 0xffff, v4
	v_lshlrev_b32_e32 v0, 24, v4
	v_and_b32_e32 v4, 7, v1
	v_ffbh_u32_e32 v6, v4
	v_min_u32_e32 v6, 32, v6
	v_subrev_u32_e32 v7, 28, v6
	v_bfe_u32 v5, v1, 3, 4
	v_lshlrev_b32_e32 v1, v7, v1
	v_sub_u32_e32 v6, 29, v6
	v_and_b32_e32 v1, 7, v1
	v_cmp_eq_u32_e32 vcc, 0, v5
	v_cndmask_b32_e32 v5, v5, v6, vcc
	v_cndmask_b32_e32 v1, v4, v1, vcc
	v_mov_b32_e32 v4, 0x3b800000
	v_lshlrev_b32_e32 v1, 20, v1
	v_and_b32_e32 v0, 0x80000000, v0
	v_lshl_add_u32 v4, v5, 23, v4
	v_or3_b32 v0, v0, v4, v1
	v_trunc_f32_e32 v0, v0
	s_mov_b32 s48, 0x2f800000
	v_mul_f32_e64 v1, |v0|, s48
	v_floor_f32_e32 v1, v1
	s_mov_b32 s48, 0xcf800000
	v_fma_f32 v4, v1, s48, |v0|
	v_cvt_u32_f32_e32 v4, v4
	v_cvt_u32_f32_e32 v1, v1
	v_ashrrev_i32_e32 v5, 31, v0
	v_xor_b32_e32 v0, v4, v5
	v_xor_b32_e32 v1, v1, v5
	v_sub_co_u32_e32 v0, vcc, v0, v5
	v_subb_co_u32_e32 v1, vcc, v1, v5, vcc
.LBB94_1183:
	s_or_b64 exec, exec, s[46:47]
.LBB94_1184:
	s_mov_b64 s[46:47], -1
.LBB94_1185:
	s_mov_b64 s[48:49], 0
.LBB94_1186:
	s_and_b64 vcc, exec, s[48:49]
	s_cbranch_vccz .LBB94_1215
; %bb.1187:
	s_cmp_gt_i32 s50, 22
	s_cbranch_scc0 .LBB94_1197
; %bb.1188:
	s_cmp_lt_i32 s50, 24
	s_cbranch_scc1 .LBB94_1198
; %bb.1189:
	s_cmp_gt_i32 s50, 24
	s_cbranch_scc0 .LBB94_1199
; %bb.1190:
	global_load_ubyte v4, v[2:3], off
	s_movk_i32 s44, 0x7f
	s_mov_b64 s[46:47], 0
	s_waitcnt vmcnt(0)
	v_cmp_lt_i16_e32 vcc, s44, v4
	s_and_saveexec_b64 s[44:45], vcc
	s_xor_b64 s[44:45], exec, s[44:45]
; %bb.1191:
	s_movk_i32 s46, 0x80
	v_cmp_ne_u16_e32 vcc, s46, v4
	s_and_b64 s[46:47], vcc, exec
; %bb.1192:
	s_andn2_saveexec_b64 s[44:45], s[44:45]
; %bb.1193:
	v_cmp_ne_u16_e32 vcc, 0, v4
	s_andn2_b64 s[46:47], s[46:47], exec
	s_and_b64 s[48:49], vcc, exec
	s_or_b64 s[46:47], s[46:47], s[48:49]
; %bb.1194:
	s_or_b64 exec, exec, s[44:45]
	v_mov_b32_e32 v0, 0
	v_mov_b32_e32 v1, 0
	s_and_saveexec_b64 s[44:45], s[46:47]
	s_cbranch_execz .LBB94_1196
; %bb.1195:
	v_and_b32_e32 v1, 0xffff, v4
	v_lshlrev_b32_e32 v0, 24, v4
	v_and_b32_e32 v4, 3, v1
	v_ffbh_u32_e32 v6, v4
	v_min_u32_e32 v6, 32, v6
	v_subrev_u32_e32 v7, 29, v6
	v_bfe_u32 v5, v1, 2, 5
	v_lshlrev_b32_e32 v1, v7, v1
	v_sub_u32_e32 v6, 30, v6
	v_and_b32_e32 v1, 3, v1
	v_cmp_eq_u32_e32 vcc, 0, v5
	v_cndmask_b32_e32 v5, v5, v6, vcc
	v_cndmask_b32_e32 v1, v4, v1, vcc
	v_mov_b32_e32 v4, 0x37800000
	v_lshlrev_b32_e32 v1, 21, v1
	v_and_b32_e32 v0, 0x80000000, v0
	v_lshl_add_u32 v4, v5, 23, v4
	v_or3_b32 v0, v0, v4, v1
	v_trunc_f32_e32 v0, v0
	s_mov_b32 s46, 0x2f800000
	v_mul_f32_e64 v1, |v0|, s46
	v_floor_f32_e32 v1, v1
	s_mov_b32 s46, 0xcf800000
	v_fma_f32 v4, v1, s46, |v0|
	v_cvt_u32_f32_e32 v4, v4
	v_cvt_u32_f32_e32 v1, v1
	v_ashrrev_i32_e32 v5, 31, v0
	v_xor_b32_e32 v0, v4, v5
	v_xor_b32_e32 v1, v1, v5
	v_sub_co_u32_e32 v0, vcc, v0, v5
	v_subb_co_u32_e32 v1, vcc, v1, v5, vcc
.LBB94_1196:
	s_or_b64 exec, exec, s[44:45]
	s_mov_b64 s[44:45], 0
	s_branch .LBB94_1200
.LBB94_1197:
	s_mov_b64 s[44:45], -1
                                        ; implicit-def: $vgpr0_vgpr1
	s_branch .LBB94_1206
.LBB94_1198:
	s_mov_b64 s[44:45], -1
                                        ; implicit-def: $vgpr0_vgpr1
	s_branch .LBB94_1203
.LBB94_1199:
	s_mov_b64 s[44:45], -1
                                        ; implicit-def: $vgpr0_vgpr1
.LBB94_1200:
	s_and_b64 vcc, exec, s[44:45]
	s_cbranch_vccz .LBB94_1202
; %bb.1201:
	global_load_ubyte v0, v[2:3], off
	s_mov_b32 s44, 0x7f800000
	s_brev_b32 s45, 1
	s_mov_b32 s46, 0x2f800000
	s_mov_b32 s47, 0xcf800000
	s_waitcnt vmcnt(0)
	v_lshlrev_b32_e32 v0, 24, v0
	v_and_b32_e32 v1, 0x7f000000, v0
	v_ffbh_u32_e32 v4, v1
	v_min_u32_e32 v4, 32, v4
	v_sub_u32_e64 v4, v4, 4 clamp
	v_lshlrev_b32_e32 v6, v4, v1
	v_lshlrev_b32_e32 v4, 23, v4
	v_lshrrev_b32_e32 v6, 4, v6
	v_add_u32_e32 v5, 0x1000000, v1
	v_sub_u32_e32 v4, v6, v4
	v_ashrrev_i32_e32 v5, 8, v5
	v_add_u32_e32 v4, 0x3c000000, v4
	v_and_or_b32 v4, v5, s44, v4
	v_cmp_ne_u32_e32 vcc, 0, v1
	v_cndmask_b32_e32 v1, 0, v4, vcc
	v_and_or_b32 v0, v0, s45, v1
	v_trunc_f32_e32 v0, v0
	v_mul_f32_e64 v1, |v0|, s46
	v_floor_f32_e32 v1, v1
	v_fma_f32 v4, v1, s47, |v0|
	v_cvt_u32_f32_e32 v4, v4
	v_cvt_u32_f32_e32 v1, v1
	v_ashrrev_i32_e32 v5, 31, v0
	v_xor_b32_e32 v0, v4, v5
	v_xor_b32_e32 v1, v1, v5
	v_sub_co_u32_e32 v0, vcc, v0, v5
	v_subb_co_u32_e32 v1, vcc, v1, v5, vcc
.LBB94_1202:
	s_mov_b64 s[44:45], 0
.LBB94_1203:
	s_andn2_b64 vcc, exec, s[44:45]
	s_cbranch_vccnz .LBB94_1205
; %bb.1204:
	global_load_ubyte v0, v[2:3], off
	s_movk_i32 s44, 0x7f00
	s_brev_b32 s45, 16
	s_brev_b32 s46, 1
	s_mov_b32 s47, 0x2f800000
	s_mov_b32 s48, 0xcf800000
	s_waitcnt vmcnt(0)
	v_lshlrev_b16_e32 v1, 8, v0
	v_lshlrev_b32_e32 v0, 25, v0
	v_lshrrev_b32_e32 v4, 4, v0
	v_and_or_b32 v5, v1, s44, 0.5
	v_or_b32_e32 v4, 0x70000000, v4
	v_add_f32_e32 v5, -0.5, v5
	v_mul_f32_e32 v4, 0x7800000, v4
	v_cmp_gt_u32_e32 vcc, s45, v0
	v_bfe_i32 v1, v1, 0, 16
	v_cndmask_b32_e32 v0, v4, v5, vcc
	v_and_or_b32 v0, v1, s46, v0
	v_trunc_f32_e32 v0, v0
	v_mul_f32_e64 v1, |v0|, s47
	v_floor_f32_e32 v1, v1
	v_fma_f32 v4, v1, s48, |v0|
	v_cvt_u32_f32_e32 v4, v4
	v_cvt_u32_f32_e32 v1, v1
	v_ashrrev_i32_e32 v5, 31, v0
	v_xor_b32_e32 v0, v4, v5
	v_xor_b32_e32 v1, v1, v5
	v_sub_co_u32_e32 v0, vcc, v0, v5
	v_subb_co_u32_e32 v1, vcc, v1, v5, vcc
.LBB94_1205:
	s_mov_b64 s[44:45], 0
	s_mov_b64 s[46:47], -1
.LBB94_1206:
	s_andn2_b64 vcc, exec, s[44:45]
	s_mov_b64 s[44:45], 0
	s_cbranch_vccnz .LBB94_1215
; %bb.1207:
	s_cmp_gt_i32 s50, 14
	s_cbranch_scc0 .LBB94_1210
; %bb.1208:
	s_cmp_eq_u32 s50, 15
	s_cbranch_scc0 .LBB94_1211
; %bb.1209:
	global_load_ushort v0, v[2:3], off
	s_mov_b32 s42, 0x2f800000
	s_mov_b32 s43, 0xcf800000
	s_mov_b64 s[46:47], -1
	s_waitcnt vmcnt(0)
	v_lshlrev_b32_e32 v0, 16, v0
	v_trunc_f32_e32 v0, v0
	v_mul_f32_e64 v1, |v0|, s42
	v_floor_f32_e32 v1, v1
	v_fma_f32 v4, v1, s43, |v0|
	v_cvt_u32_f32_e32 v4, v4
	v_cvt_u32_f32_e32 v1, v1
	v_ashrrev_i32_e32 v5, 31, v0
	s_mov_b64 s[42:43], 0
	v_xor_b32_e32 v0, v4, v5
	v_xor_b32_e32 v1, v1, v5
	v_sub_co_u32_e32 v0, vcc, v0, v5
	v_subb_co_u32_e32 v1, vcc, v1, v5, vcc
	s_branch .LBB94_1212
.LBB94_1210:
	s_mov_b64 s[48:49], -1
                                        ; implicit-def: $vgpr0_vgpr1
	s_branch .LBB94_1213
.LBB94_1211:
	s_mov_b64 s[42:43], -1
                                        ; implicit-def: $vgpr0_vgpr1
.LBB94_1212:
	s_mov_b64 s[48:49], 0
.LBB94_1213:
	s_and_b64 vcc, exec, s[48:49]
	s_cbranch_vccz .LBB94_1215
; %bb.1214:
	s_cmp_lg_u32 s50, 11
	s_cselect_b64 s[48:49], -1, 0
	s_andn2_b64 s[42:43], s[42:43], exec
	s_and_b64 s[48:49], s[48:49], exec
	s_mov_b64 s[44:45], -1
	s_or_b64 s[42:43], s[42:43], s[48:49]
.LBB94_1215:
	s_mov_b64 s[48:49], 0
.LBB94_1216:
	s_and_b64 s[52:53], s[46:47], exec
	s_and_b64 s[46:47], s[44:45], exec
	s_andn2_b64 s[44:45], s[0:1], exec
	s_and_b64 s[42:43], s[42:43], exec
	s_and_b64 s[50:51], s[48:49], exec
	s_or_b64 s[48:49], s[44:45], s[42:43]
.LBB94_1217:
	s_or_b64 exec, exec, s[36:37]
	s_and_b64 s[42:43], s[46:47], exec
	s_andn2_b64 s[0:1], s[0:1], exec
	s_and_b64 s[46:47], s[48:49], exec
	s_and_b64 s[44:45], s[52:53], exec
	;; [unrolled: 1-line block ×3, first 2 shown]
	s_or_b64 s[0:1], s[0:1], s[46:47]
.LBB94_1218:
	s_or_b64 exec, exec, s[34:35]
	s_andn2_b64 s[28:29], s[28:29], exec
	s_and_b64 s[34:35], s[40:41], exec
	s_or_b64 s[28:29], s[28:29], s[34:35]
	s_andn2_b64 s[26:27], s[26:27], exec
	s_and_b64 s[34:35], s[38:39], exec
	s_andn2_b64 s[24:25], s[24:25], exec
	s_and_b64 s[0:1], s[0:1], exec
	s_or_b64 s[26:27], s[26:27], s[34:35]
	s_and_b64 s[38:39], s[44:45], exec
	s_and_b64 s[36:37], s[36:37], exec
	;; [unrolled: 1-line block ×3, first 2 shown]
	s_or_b64 s[24:25], s[24:25], s[0:1]
.LBB94_1219:
	s_or_b64 exec, exec, s[30:31]
	s_andn2_b64 s[0:1], s[6:7], exec
	s_and_b64 s[6:7], s[28:29], exec
	s_or_b64 s[6:7], s[0:1], s[6:7]
	s_andn2_b64 s[0:1], s[18:19], exec
	s_and_b64 s[18:19], s[26:27], exec
	s_or_b64 s[18:19], s[0:1], s[18:19]
	s_andn2_b64 s[0:1], s[20:21], exec
	s_and_b64 s[20:21], s[24:25], exec
	s_and_b64 s[28:29], s[38:39], exec
	;; [unrolled: 1-line block ×4, first 2 shown]
	s_or_b64 s[20:21], s[0:1], s[20:21]
	s_or_b64 exec, exec, s[22:23]
	s_mov_b64 s[22:23], 0
	s_and_saveexec_b64 s[0:1], s[20:21]
	s_cbranch_execz .LBB94_385
.LBB94_1220:
	s_mov_b64 s[22:23], exec
	s_andn2_b64 s[26:27], s[26:27], exec
	s_trap 2
	s_or_b64 exec, exec, s[0:1]
	s_and_saveexec_b64 s[0:1], s[26:27]
	s_xor_b64 s[0:1], exec, s[0:1]
	s_cbranch_execnz .LBB94_386
.LBB94_1221:
	s_or_b64 exec, exec, s[0:1]
	s_and_saveexec_b64 s[0:1], s[30:31]
	s_cbranch_execz .LBB94_1267
.LBB94_1222:
	s_sext_i32_i16 s20, s55
	s_cmp_lt_i32 s20, 5
	s_cbranch_scc1 .LBB94_1227
; %bb.1223:
	s_cmp_lt_i32 s20, 8
	s_cbranch_scc1 .LBB94_1228
; %bb.1224:
	;; [unrolled: 3-line block ×3, first 2 shown]
	s_cmp_gt_i32 s20, 9
	s_cbranch_scc0 .LBB94_1230
; %bb.1226:
	global_load_dwordx2 v[0:1], v[2:3], off
	s_movk_i32 s20, 0xffe0
	s_waitcnt vmcnt(0)
	v_trunc_f64_e32 v[0:1], v[0:1]
	v_ldexp_f64 v[4:5], v[0:1], s20
	s_mov_b32 s20, 0
	s_mov_b32 s21, 0xc1f00000
	v_floor_f64_e32 v[4:5], v[4:5]
	v_fma_f64 v[6:7], v[4:5], s[20:21], v[0:1]
	v_cvt_i32_f64_e32 v1, v[4:5]
	s_mov_b64 s[20:21], 0
	v_cvt_u32_f64_e32 v0, v[6:7]
	s_branch .LBB94_1231
.LBB94_1227:
                                        ; implicit-def: $vgpr0_vgpr1
	s_branch .LBB94_1248
.LBB94_1228:
                                        ; implicit-def: $vgpr0_vgpr1
	s_branch .LBB94_1237
.LBB94_1229:
	s_mov_b64 s[20:21], -1
                                        ; implicit-def: $vgpr0_vgpr1
	s_branch .LBB94_1234
.LBB94_1230:
	s_mov_b64 s[20:21], -1
                                        ; implicit-def: $vgpr0_vgpr1
.LBB94_1231:
	s_andn2_b64 vcc, exec, s[20:21]
	s_cbranch_vccnz .LBB94_1233
; %bb.1232:
	global_load_dword v0, v[2:3], off
	s_mov_b32 s20, 0x2f800000
	s_mov_b32 s21, 0xcf800000
	s_waitcnt vmcnt(0)
	v_trunc_f32_e32 v0, v0
	v_mul_f32_e64 v1, |v0|, s20
	v_floor_f32_e32 v1, v1
	v_cvt_u32_f32_e32 v4, v1
	v_fma_f32 v1, v1, s21, |v0|
	v_cvt_u32_f32_e32 v1, v1
	v_ashrrev_i32_e32 v5, 31, v0
	v_xor_b32_e32 v4, v4, v5
	v_xor_b32_e32 v0, v1, v5
	v_sub_co_u32_e32 v0, vcc, v0, v5
	v_subb_co_u32_e32 v1, vcc, v4, v5, vcc
.LBB94_1233:
	s_mov_b64 s[20:21], 0
.LBB94_1234:
	s_andn2_b64 vcc, exec, s[20:21]
	s_cbranch_vccnz .LBB94_1236
; %bb.1235:
	global_load_dword v0, v[2:3], off
	s_waitcnt vmcnt(0)
	v_cvt_f32_f16_e32 v0, v0
	v_cvt_i32_f32_e32 v0, v0
	v_ashrrev_i32_e32 v1, 31, v0
.LBB94_1236:
	s_cbranch_execnz .LBB94_1247
.LBB94_1237:
	s_sext_i32_i16 s20, s55
	s_cmp_lt_i32 s20, 6
	s_cbranch_scc1 .LBB94_1240
; %bb.1238:
	s_cmp_gt_i32 s20, 6
	s_cbranch_scc0 .LBB94_1241
; %bb.1239:
	global_load_dwordx2 v[0:1], v[2:3], off
	s_movk_i32 s20, 0xffe0
	s_waitcnt vmcnt(0)
	v_trunc_f64_e32 v[0:1], v[0:1]
	v_ldexp_f64 v[4:5], v[0:1], s20
	s_mov_b32 s20, 0
	s_mov_b32 s21, 0xc1f00000
	v_floor_f64_e32 v[4:5], v[4:5]
	v_fma_f64 v[6:7], v[4:5], s[20:21], v[0:1]
	v_cvt_i32_f64_e32 v1, v[4:5]
	s_mov_b64 s[20:21], 0
	v_cvt_u32_f64_e32 v0, v[6:7]
	s_branch .LBB94_1242
.LBB94_1240:
	s_mov_b64 s[20:21], -1
                                        ; implicit-def: $vgpr0_vgpr1
	s_branch .LBB94_1245
.LBB94_1241:
	s_mov_b64 s[20:21], -1
                                        ; implicit-def: $vgpr0_vgpr1
.LBB94_1242:
	s_andn2_b64 vcc, exec, s[20:21]
	s_cbranch_vccnz .LBB94_1244
; %bb.1243:
	global_load_dword v0, v[2:3], off
	s_mov_b32 s20, 0x2f800000
	s_mov_b32 s21, 0xcf800000
	s_waitcnt vmcnt(0)
	v_trunc_f32_e32 v0, v0
	v_mul_f32_e64 v1, |v0|, s20
	v_floor_f32_e32 v1, v1
	v_cvt_u32_f32_e32 v4, v1
	v_fma_f32 v1, v1, s21, |v0|
	v_cvt_u32_f32_e32 v1, v1
	v_ashrrev_i32_e32 v5, 31, v0
	v_xor_b32_e32 v4, v4, v5
	v_xor_b32_e32 v0, v1, v5
	v_sub_co_u32_e32 v0, vcc, v0, v5
	v_subb_co_u32_e32 v1, vcc, v4, v5, vcc
.LBB94_1244:
	s_mov_b64 s[20:21], 0
.LBB94_1245:
	s_andn2_b64 vcc, exec, s[20:21]
	s_cbranch_vccnz .LBB94_1247
; %bb.1246:
	global_load_ushort v0, v[2:3], off
	s_waitcnt vmcnt(0)
	v_cvt_f32_f16_e32 v0, v0
	v_cvt_i32_f32_e32 v0, v0
	v_ashrrev_i32_e32 v1, 31, v0
.LBB94_1247:
	s_cbranch_execnz .LBB94_1266
.LBB94_1248:
	s_sext_i32_i16 s20, s55
	s_cmp_lt_i32 s20, 2
	s_cbranch_scc1 .LBB94_1252
; %bb.1249:
	s_cmp_lt_i32 s20, 3
	s_cbranch_scc1 .LBB94_1253
; %bb.1250:
	s_cmp_gt_i32 s20, 3
	s_cbranch_scc0 .LBB94_1254
; %bb.1251:
	global_load_dwordx2 v[0:1], v[2:3], off
	s_mov_b64 s[20:21], 0
	s_branch .LBB94_1255
.LBB94_1252:
                                        ; implicit-def: $vgpr0_vgpr1
	s_branch .LBB94_1261
.LBB94_1253:
	s_mov_b64 s[20:21], -1
                                        ; implicit-def: $vgpr0_vgpr1
	s_branch .LBB94_1258
.LBB94_1254:
	s_mov_b64 s[20:21], -1
                                        ; implicit-def: $vgpr0_vgpr1
.LBB94_1255:
	s_andn2_b64 vcc, exec, s[20:21]
	s_cbranch_vccnz .LBB94_1257
; %bb.1256:
	global_load_dword v0, v[2:3], off
	s_waitcnt vmcnt(0)
	v_ashrrev_i32_e32 v1, 31, v0
.LBB94_1257:
	s_mov_b64 s[20:21], 0
.LBB94_1258:
	s_andn2_b64 vcc, exec, s[20:21]
	s_cbranch_vccnz .LBB94_1260
; %bb.1259:
	global_load_ushort v0, v[2:3], off
	s_waitcnt vmcnt(0)
	v_bfe_i32 v0, v0, 0, 16
	v_ashrrev_i32_e32 v1, 31, v0
.LBB94_1260:
	s_cbranch_execnz .LBB94_1266
.LBB94_1261:
	s_sext_i32_i16 s20, s55
	s_cmp_gt_i32 s20, 0
	s_cbranch_scc0 .LBB94_1263
; %bb.1262:
	global_load_sbyte v0, v[2:3], off
	s_mov_b64 s[20:21], 0
	s_waitcnt vmcnt(0)
	v_bfe_i32 v0, v0, 0, 16
	v_ashrrev_i32_e32 v1, 31, v0
	s_branch .LBB94_1264
.LBB94_1263:
	s_mov_b64 s[20:21], -1
                                        ; implicit-def: $vgpr0_vgpr1
.LBB94_1264:
	s_andn2_b64 vcc, exec, s[20:21]
	s_cbranch_vccnz .LBB94_1266
; %bb.1265:
	global_load_ubyte v0, v[2:3], off
	s_mov_b32 s20, 0
	s_waitcnt vmcnt(1)
	v_mov_b32_e32 v1, s20
	s_waitcnt vmcnt(0)
	v_and_b32_e32 v0, 0xffff, v0
.LBB94_1266:
	s_or_b64 s[28:29], s[28:29], exec
.LBB94_1267:
	s_or_b64 exec, exec, s[0:1]
	s_mov_b64 s[26:27], 0
	s_mov_b64 s[30:31], 0
	;; [unrolled: 1-line block ×3, first 2 shown]
                                        ; implicit-def: $sgpr34
                                        ; implicit-def: $vgpr2_vgpr3
                                        ; implicit-def: $vgpr6_vgpr7
	s_and_saveexec_b64 s[0:1], s[28:29]
	s_cbranch_execz .LBB94_1275
; %bb.1268:
	v_mul_lo_u32 v2, v18, s14
	v_mov_b32_e32 v3, s3
	s_and_b32 s34, s15, 0xff
	s_cmp_lt_i32 s34, 11
	s_waitcnt vmcnt(0)
	v_ashrrev_i32_e32 v4, 31, v2
	v_add_co_u32_e32 v2, vcc, s2, v2
	v_addc_co_u32_e32 v3, vcc, v3, v4, vcc
	s_cbranch_scc1 .LBB94_1278
; %bb.1269:
	s_and_b32 s30, 0xffff, s34
	s_cmp_gt_i32 s30, 25
	s_cbranch_scc0 .LBB94_1279
; %bb.1270:
	s_cmp_gt_i32 s30, 28
	s_cbranch_scc0 .LBB94_1280
; %bb.1271:
	;; [unrolled: 3-line block ×4, first 2 shown]
	s_cmp_eq_u32 s30, 46
	s_mov_b64 s[28:29], 0
	s_cbranch_scc0 .LBB94_1283
; %bb.1274:
	global_load_dword v4, v[2:3], off
	s_mov_b32 s20, 0x2f800000
	s_mov_b32 s21, 0xcf800000
	s_mov_b64 s[24:25], -1
	s_waitcnt vmcnt(0)
	v_lshlrev_b32_e32 v4, 16, v4
	v_trunc_f32_e32 v4, v4
	v_mul_f32_e64 v5, |v4|, s20
	v_floor_f32_e32 v5, v5
	v_fma_f32 v6, v5, s21, |v4|
	v_cvt_u32_f32_e32 v6, v6
	v_cvt_u32_f32_e32 v5, v5
	v_ashrrev_i32_e32 v4, 31, v4
	s_mov_b64 s[20:21], 0
	v_xor_b32_e32 v6, v6, v4
	v_xor_b32_e32 v5, v5, v4
	v_sub_co_u32_e32 v6, vcc, v6, v4
	v_subb_co_u32_e32 v7, vcc, v5, v4, vcc
	s_branch .LBB94_1285
.LBB94_1275:
	s_or_b64 exec, exec, s[0:1]
	s_and_saveexec_b64 s[0:1], s[18:19]
	s_cbranch_execnz .LBB94_1344
.LBB94_1276:
	s_or_b64 exec, exec, s[0:1]
	s_and_saveexec_b64 s[0:1], s[26:27]
	s_xor_b64 s[0:1], exec, s[0:1]
	s_cbranch_execz .LBB94_1345
.LBB94_1277:
	global_load_ubyte v4, v[2:3], off
	s_mov_b32 s18, 0
	s_waitcnt vmcnt(1)
	v_mov_b32_e32 v7, s18
	s_or_b64 s[24:25], s[24:25], exec
	s_waitcnt vmcnt(0)
	v_cmp_ne_u16_e32 vcc, 0, v4
	v_cndmask_b32_e64 v6, 0, 1, vcc
	s_or_b64 exec, exec, s[0:1]
	s_and_saveexec_b64 s[0:1], s[30:31]
	s_cbranch_execz .LBB94_1391
	s_branch .LBB94_1346
.LBB94_1278:
	s_mov_b64 s[28:29], -1
                                        ; implicit-def: $vgpr6_vgpr7
	s_mov_b64 s[20:21], s[18:19]
	s_branch .LBB94_1343
.LBB94_1279:
	s_mov_b64 s[20:21], s[18:19]
                                        ; implicit-def: $vgpr6_vgpr7
	s_cbranch_execnz .LBB94_1314
	s_branch .LBB94_1342
.LBB94_1280:
	s_mov_b64 s[28:29], -1
	s_mov_b64 s[20:21], s[18:19]
                                        ; implicit-def: $vgpr6_vgpr7
	s_branch .LBB94_1295
.LBB94_1281:
	s_mov_b64 s[28:29], -1
	s_mov_b64 s[20:21], s[18:19]
                                        ; implicit-def: $vgpr6_vgpr7
	s_branch .LBB94_1290
.LBB94_1282:
	s_mov_b64 s[28:29], -1
	s_mov_b64 s[20:21], s[18:19]
	s_branch .LBB94_1284
.LBB94_1283:
	s_mov_b64 s[20:21], -1
.LBB94_1284:
                                        ; implicit-def: $vgpr6_vgpr7
.LBB94_1285:
	s_and_b64 vcc, exec, s[28:29]
	s_cbranch_vccz .LBB94_1289
; %bb.1286:
	s_cmp_eq_u32 s30, 44
	s_cbranch_scc0 .LBB94_1288
; %bb.1287:
	global_load_ubyte v4, v[2:3], off
	s_mov_b32 s20, 0x2f800000
	s_mov_b32 s21, 0xcf800000
	s_mov_b64 s[24:25], -1
	s_waitcnt vmcnt(0)
	v_lshlrev_b32_e32 v5, 23, v4
	v_trunc_f32_e32 v5, v5
	v_mul_f32_e64 v6, |v5|, s20
	v_floor_f32_e32 v6, v6
	v_fma_f32 v7, v6, s21, |v5|
	v_cvt_u32_f32_e32 v7, v7
	v_cvt_u32_f32_e32 v6, v6
	v_ashrrev_i32_e32 v5, 31, v5
	s_mov_b64 s[20:21], 0
	v_xor_b32_e32 v7, v7, v5
	v_xor_b32_e32 v6, v6, v5
	v_sub_co_u32_e32 v8, vcc, v7, v5
	v_subb_co_u32_e32 v5, vcc, v6, v5, vcc
	v_cmp_ne_u32_e32 vcc, 0, v4
	v_cndmask_b32_e32 v7, 0, v5, vcc
	v_cndmask_b32_e32 v6, 0, v8, vcc
	s_branch .LBB94_1289
.LBB94_1288:
	s_mov_b64 s[20:21], -1
                                        ; implicit-def: $vgpr6_vgpr7
.LBB94_1289:
	s_mov_b64 s[28:29], 0
.LBB94_1290:
	s_and_b64 vcc, exec, s[28:29]
	s_cbranch_vccz .LBB94_1294
; %bb.1291:
	s_cmp_eq_u32 s30, 29
	s_cbranch_scc0 .LBB94_1293
; %bb.1292:
	global_load_dwordx2 v[6:7], v[2:3], off
	s_mov_b64 s[20:21], 0
	s_mov_b64 s[24:25], -1
	s_branch .LBB94_1294
.LBB94_1293:
	s_mov_b64 s[20:21], -1
                                        ; implicit-def: $vgpr6_vgpr7
.LBB94_1294:
	s_mov_b64 s[28:29], 0
.LBB94_1295:
	s_and_b64 vcc, exec, s[28:29]
	s_cbranch_vccz .LBB94_1313
; %bb.1296:
	s_cmp_lt_i32 s30, 27
	s_cbranch_scc1 .LBB94_1299
; %bb.1297:
	s_cmp_gt_i32 s30, 27
	s_cbranch_scc0 .LBB94_1300
; %bb.1298:
	global_load_dword v6, v[2:3], off
	s_waitcnt vmcnt(1)
	v_mov_b32_e32 v7, 0
	s_mov_b64 s[24:25], 0
	s_branch .LBB94_1301
.LBB94_1299:
	s_mov_b64 s[24:25], -1
                                        ; implicit-def: $vgpr6_vgpr7
	s_branch .LBB94_1304
.LBB94_1300:
	s_mov_b64 s[24:25], -1
                                        ; implicit-def: $vgpr6_vgpr7
.LBB94_1301:
	s_andn2_b64 vcc, exec, s[24:25]
	s_cbranch_vccnz .LBB94_1303
; %bb.1302:
	global_load_ushort v4, v[2:3], off
	s_mov_b32 s24, 0
	s_waitcnt vmcnt(1)
	v_mov_b32_e32 v7, s24
	s_waitcnt vmcnt(0)
	v_and_b32_e32 v6, 0xffff, v4
.LBB94_1303:
	s_mov_b64 s[24:25], 0
.LBB94_1304:
	s_andn2_b64 vcc, exec, s[24:25]
	s_cbranch_vccnz .LBB94_1312
; %bb.1305:
	global_load_ubyte v4, v[2:3], off
	s_movk_i32 s24, 0x7f
	s_mov_b64 s[28:29], 0
	s_waitcnt vmcnt(0)
	v_cmp_lt_i16_e32 vcc, s24, v4
	s_and_saveexec_b64 s[24:25], vcc
	s_xor_b64 s[24:25], exec, s[24:25]
; %bb.1306:
	s_movk_i32 s28, 0x80
	v_cmp_ne_u16_e32 vcc, s28, v4
	s_and_b64 s[28:29], vcc, exec
; %bb.1307:
	s_andn2_saveexec_b64 s[24:25], s[24:25]
; %bb.1308:
	v_cmp_ne_u16_e32 vcc, 0, v4
	s_andn2_b64 s[28:29], s[28:29], exec
	s_and_b64 s[36:37], vcc, exec
	s_or_b64 s[28:29], s[28:29], s[36:37]
; %bb.1309:
	s_or_b64 exec, exec, s[24:25]
	v_mov_b32_e32 v6, 0
	v_mov_b32_e32 v7, 0
	s_and_saveexec_b64 s[24:25], s[28:29]
	s_cbranch_execz .LBB94_1311
; %bb.1310:
	v_lshlrev_b32_e32 v5, 24, v4
	v_and_b32_e32 v4, 0xffff, v4
	v_and_b32_e32 v6, 7, v4
	v_ffbh_u32_e32 v8, v6
	v_min_u32_e32 v8, 32, v8
	v_subrev_u32_e32 v9, 28, v8
	v_bfe_u32 v7, v4, 3, 4
	v_lshlrev_b32_e32 v4, v9, v4
	v_sub_u32_e32 v8, 29, v8
	v_and_b32_e32 v4, 7, v4
	v_cmp_eq_u32_e32 vcc, 0, v7
	v_cndmask_b32_e32 v7, v7, v8, vcc
	v_cndmask_b32_e32 v4, v6, v4, vcc
	v_mov_b32_e32 v6, 0x3b800000
	v_lshlrev_b32_e32 v4, 20, v4
	v_and_b32_e32 v5, 0x80000000, v5
	v_lshl_add_u32 v6, v7, 23, v6
	v_or3_b32 v4, v5, v6, v4
	v_trunc_f32_e32 v4, v4
	s_mov_b32 s28, 0x2f800000
	v_mul_f32_e64 v5, |v4|, s28
	v_floor_f32_e32 v5, v5
	s_mov_b32 s28, 0xcf800000
	v_fma_f32 v6, v5, s28, |v4|
	v_cvt_u32_f32_e32 v6, v6
	v_cvt_u32_f32_e32 v5, v5
	v_ashrrev_i32_e32 v4, 31, v4
	v_xor_b32_e32 v6, v6, v4
	v_xor_b32_e32 v5, v5, v4
	v_sub_co_u32_e32 v6, vcc, v6, v4
	v_subb_co_u32_e32 v7, vcc, v5, v4, vcc
.LBB94_1311:
	s_or_b64 exec, exec, s[24:25]
.LBB94_1312:
	s_mov_b64 s[24:25], -1
.LBB94_1313:
	s_branch .LBB94_1342
.LBB94_1314:
	s_cmp_gt_i32 s30, 22
	s_cbranch_scc0 .LBB94_1324
; %bb.1315:
	s_cmp_lt_i32 s30, 24
	s_cbranch_scc1 .LBB94_1325
; %bb.1316:
	s_cmp_gt_i32 s30, 24
	s_cbranch_scc0 .LBB94_1326
; %bb.1317:
	global_load_ubyte v4, v[2:3], off
	s_movk_i32 s24, 0x7f
	s_waitcnt vmcnt(0)
	v_cmp_lt_i16_e32 vcc, s24, v4
	s_and_saveexec_b64 s[24:25], vcc
	s_xor_b64 s[24:25], exec, s[24:25]
; %bb.1318:
	s_movk_i32 s26, 0x80
	v_cmp_ne_u16_e32 vcc, s26, v4
	s_and_b64 s[26:27], vcc, exec
; %bb.1319:
	s_andn2_saveexec_b64 s[24:25], s[24:25]
; %bb.1320:
	v_cmp_ne_u16_e32 vcc, 0, v4
	s_andn2_b64 s[26:27], s[26:27], exec
	s_and_b64 s[28:29], vcc, exec
	s_or_b64 s[26:27], s[26:27], s[28:29]
; %bb.1321:
	s_or_b64 exec, exec, s[24:25]
	v_mov_b32_e32 v6, 0
	v_mov_b32_e32 v7, 0
	s_and_saveexec_b64 s[24:25], s[26:27]
	s_cbranch_execz .LBB94_1323
; %bb.1322:
	v_lshlrev_b32_e32 v5, 24, v4
	v_and_b32_e32 v4, 0xffff, v4
	v_and_b32_e32 v6, 3, v4
	v_ffbh_u32_e32 v8, v6
	v_min_u32_e32 v8, 32, v8
	v_subrev_u32_e32 v9, 29, v8
	v_bfe_u32 v7, v4, 2, 5
	v_lshlrev_b32_e32 v4, v9, v4
	v_sub_u32_e32 v8, 30, v8
	v_and_b32_e32 v4, 3, v4
	v_cmp_eq_u32_e32 vcc, 0, v7
	v_cndmask_b32_e32 v7, v7, v8, vcc
	v_cndmask_b32_e32 v4, v6, v4, vcc
	v_mov_b32_e32 v6, 0x37800000
	v_lshlrev_b32_e32 v4, 21, v4
	v_and_b32_e32 v5, 0x80000000, v5
	v_lshl_add_u32 v6, v7, 23, v6
	v_or3_b32 v4, v5, v6, v4
	v_trunc_f32_e32 v4, v4
	s_mov_b32 s26, 0x2f800000
	v_mul_f32_e64 v5, |v4|, s26
	v_floor_f32_e32 v5, v5
	s_mov_b32 s26, 0xcf800000
	v_fma_f32 v6, v5, s26, |v4|
	v_cvt_u32_f32_e32 v6, v6
	v_cvt_u32_f32_e32 v5, v5
	v_ashrrev_i32_e32 v4, 31, v4
	v_xor_b32_e32 v6, v6, v4
	v_xor_b32_e32 v5, v5, v4
	v_sub_co_u32_e32 v6, vcc, v6, v4
	v_subb_co_u32_e32 v7, vcc, v5, v4, vcc
.LBB94_1323:
	s_or_b64 exec, exec, s[24:25]
	s_mov_b64 s[24:25], 0
	s_branch .LBB94_1327
.LBB94_1324:
	s_mov_b64 s[26:27], -1
                                        ; implicit-def: $vgpr6_vgpr7
	s_branch .LBB94_1333
.LBB94_1325:
	s_mov_b64 s[24:25], -1
                                        ; implicit-def: $vgpr6_vgpr7
	s_branch .LBB94_1330
.LBB94_1326:
	s_mov_b64 s[24:25], -1
                                        ; implicit-def: $vgpr6_vgpr7
.LBB94_1327:
	s_and_b64 vcc, exec, s[24:25]
	s_cbranch_vccz .LBB94_1329
; %bb.1328:
	global_load_ubyte v4, v[2:3], off
	s_mov_b32 s24, 0x7f800000
	s_brev_b32 s25, 1
	s_mov_b32 s26, 0x2f800000
	s_mov_b32 s27, 0xcf800000
	s_waitcnt vmcnt(0)
	v_lshlrev_b32_e32 v4, 24, v4
	v_and_b32_e32 v5, 0x7f000000, v4
	v_ffbh_u32_e32 v6, v5
	v_min_u32_e32 v6, 32, v6
	v_sub_u32_e64 v6, v6, 4 clamp
	v_lshlrev_b32_e32 v8, v6, v5
	v_lshlrev_b32_e32 v6, 23, v6
	v_lshrrev_b32_e32 v8, 4, v8
	v_add_u32_e32 v7, 0x1000000, v5
	v_sub_u32_e32 v6, v8, v6
	v_ashrrev_i32_e32 v7, 8, v7
	v_add_u32_e32 v6, 0x3c000000, v6
	v_and_or_b32 v6, v7, s24, v6
	v_cmp_ne_u32_e32 vcc, 0, v5
	v_cndmask_b32_e32 v5, 0, v6, vcc
	v_and_or_b32 v4, v4, s25, v5
	v_trunc_f32_e32 v4, v4
	v_mul_f32_e64 v5, |v4|, s26
	v_floor_f32_e32 v5, v5
	v_fma_f32 v6, v5, s27, |v4|
	v_cvt_u32_f32_e32 v6, v6
	v_cvt_u32_f32_e32 v5, v5
	v_ashrrev_i32_e32 v4, 31, v4
	v_xor_b32_e32 v6, v6, v4
	v_xor_b32_e32 v5, v5, v4
	v_sub_co_u32_e32 v6, vcc, v6, v4
	v_subb_co_u32_e32 v7, vcc, v5, v4, vcc
.LBB94_1329:
	s_mov_b64 s[24:25], 0
.LBB94_1330:
	s_andn2_b64 vcc, exec, s[24:25]
	s_cbranch_vccnz .LBB94_1332
; %bb.1331:
	global_load_ubyte v4, v[2:3], off
	s_movk_i32 s24, 0x7f00
	s_brev_b32 s25, 16
	s_brev_b32 s26, 1
	s_mov_b32 s27, 0x2f800000
	s_mov_b32 s28, 0xcf800000
	s_waitcnt vmcnt(0)
	v_lshlrev_b16_e32 v5, 8, v4
	v_lshlrev_b32_e32 v4, 25, v4
	v_lshrrev_b32_e32 v6, 4, v4
	v_and_or_b32 v7, v5, s24, 0.5
	v_or_b32_e32 v6, 0x70000000, v6
	v_add_f32_e32 v7, -0.5, v7
	v_mul_f32_e32 v6, 0x7800000, v6
	v_cmp_gt_u32_e32 vcc, s25, v4
	v_bfe_i32 v5, v5, 0, 16
	v_cndmask_b32_e32 v4, v6, v7, vcc
	v_and_or_b32 v4, v5, s26, v4
	v_trunc_f32_e32 v4, v4
	v_mul_f32_e64 v5, |v4|, s27
	v_floor_f32_e32 v5, v5
	v_fma_f32 v6, v5, s28, |v4|
	v_cvt_u32_f32_e32 v6, v6
	v_cvt_u32_f32_e32 v5, v5
	v_ashrrev_i32_e32 v4, 31, v4
	v_xor_b32_e32 v6, v6, v4
	v_xor_b32_e32 v5, v5, v4
	v_sub_co_u32_e32 v6, vcc, v6, v4
	v_subb_co_u32_e32 v7, vcc, v5, v4, vcc
.LBB94_1332:
	s_mov_b64 s[26:27], 0
	s_mov_b64 s[24:25], -1
.LBB94_1333:
	s_andn2_b64 vcc, exec, s[26:27]
	s_mov_b64 s[26:27], 0
	s_cbranch_vccnz .LBB94_1342
; %bb.1334:
	s_cmp_gt_i32 s30, 14
	s_cbranch_scc0 .LBB94_1337
; %bb.1335:
	s_cmp_eq_u32 s30, 15
	s_cbranch_scc0 .LBB94_1338
; %bb.1336:
	global_load_ushort v4, v[2:3], off
	s_mov_b32 s20, 0x2f800000
	s_mov_b32 s21, 0xcf800000
	s_mov_b64 s[24:25], -1
	s_waitcnt vmcnt(0)
	v_lshlrev_b32_e32 v4, 16, v4
	v_trunc_f32_e32 v4, v4
	v_mul_f32_e64 v5, |v4|, s20
	v_floor_f32_e32 v5, v5
	v_fma_f32 v6, v5, s21, |v4|
	v_cvt_u32_f32_e32 v6, v6
	v_cvt_u32_f32_e32 v5, v5
	v_ashrrev_i32_e32 v4, 31, v4
	s_mov_b64 s[20:21], 0
	v_xor_b32_e32 v6, v6, v4
	v_xor_b32_e32 v5, v5, v4
	v_sub_co_u32_e32 v6, vcc, v6, v4
	v_subb_co_u32_e32 v7, vcc, v5, v4, vcc
	s_branch .LBB94_1339
.LBB94_1337:
	s_mov_b64 s[28:29], -1
                                        ; implicit-def: $vgpr6_vgpr7
	s_branch .LBB94_1340
.LBB94_1338:
	s_mov_b64 s[20:21], -1
                                        ; implicit-def: $vgpr6_vgpr7
.LBB94_1339:
	s_mov_b64 s[28:29], 0
.LBB94_1340:
	s_and_b64 vcc, exec, s[28:29]
	s_cbranch_vccz .LBB94_1342
; %bb.1341:
	s_cmp_lg_u32 s30, 11
	s_cselect_b64 s[28:29], -1, 0
	s_andn2_b64 s[20:21], s[20:21], exec
	s_and_b64 s[28:29], s[28:29], exec
	s_mov_b64 s[26:27], -1
	s_or_b64 s[20:21], s[20:21], s[28:29]
.LBB94_1342:
	s_mov_b64 s[28:29], 0
.LBB94_1343:
	s_andn2_b64 s[18:19], s[18:19], exec
	s_and_b64 s[20:21], s[20:21], exec
	s_and_b64 s[24:25], s[24:25], exec
	;; [unrolled: 1-line block ×4, first 2 shown]
	s_or_b64 s[18:19], s[18:19], s[20:21]
	s_or_b64 exec, exec, s[0:1]
	s_and_saveexec_b64 s[0:1], s[18:19]
	s_cbranch_execz .LBB94_1276
.LBB94_1344:
	s_or_b64 s[22:23], s[22:23], exec
	s_andn2_b64 s[26:27], s[26:27], exec
	s_trap 2
	s_or_b64 exec, exec, s[0:1]
	s_and_saveexec_b64 s[0:1], s[26:27]
	s_xor_b64 s[0:1], exec, s[0:1]
	s_cbranch_execnz .LBB94_1277
.LBB94_1345:
	s_or_b64 exec, exec, s[0:1]
	s_and_saveexec_b64 s[0:1], s[30:31]
	s_cbranch_execz .LBB94_1391
.LBB94_1346:
	s_sext_i32_i16 s18, s34
	s_cmp_lt_i32 s18, 5
	s_cbranch_scc1 .LBB94_1351
; %bb.1347:
	s_cmp_lt_i32 s18, 8
	s_cbranch_scc1 .LBB94_1352
; %bb.1348:
	;; [unrolled: 3-line block ×3, first 2 shown]
	s_cmp_gt_i32 s18, 9
	s_cbranch_scc0 .LBB94_1354
; %bb.1350:
	global_load_dwordx2 v[4:5], v[2:3], off
	s_movk_i32 s18, 0xffe0
	s_waitcnt vmcnt(0)
	v_trunc_f64_e32 v[4:5], v[4:5]
	v_ldexp_f64 v[6:7], v[4:5], s18
	s_mov_b32 s18, 0
	s_mov_b32 s19, 0xc1f00000
	v_floor_f64_e32 v[6:7], v[6:7]
	v_fma_f64 v[4:5], v[6:7], s[18:19], v[4:5]
	v_cvt_i32_f64_e32 v7, v[6:7]
	s_mov_b64 s[18:19], 0
	v_cvt_u32_f64_e32 v6, v[4:5]
	s_branch .LBB94_1355
.LBB94_1351:
                                        ; implicit-def: $vgpr6_vgpr7
	s_branch .LBB94_1372
.LBB94_1352:
                                        ; implicit-def: $vgpr6_vgpr7
	s_branch .LBB94_1361
.LBB94_1353:
	s_mov_b64 s[18:19], -1
                                        ; implicit-def: $vgpr6_vgpr7
	s_branch .LBB94_1358
.LBB94_1354:
	s_mov_b64 s[18:19], -1
                                        ; implicit-def: $vgpr6_vgpr7
.LBB94_1355:
	s_andn2_b64 vcc, exec, s[18:19]
	s_cbranch_vccnz .LBB94_1357
; %bb.1356:
	global_load_dword v4, v[2:3], off
	s_mov_b32 s18, 0x2f800000
	s_mov_b32 s19, 0xcf800000
	s_waitcnt vmcnt(0)
	v_trunc_f32_e32 v4, v4
	v_mul_f32_e64 v5, |v4|, s18
	v_floor_f32_e32 v5, v5
	v_cvt_u32_f32_e32 v6, v5
	v_fma_f32 v5, v5, s19, |v4|
	v_cvt_u32_f32_e32 v5, v5
	v_ashrrev_i32_e32 v4, 31, v4
	v_xor_b32_e32 v7, v6, v4
	v_xor_b32_e32 v5, v5, v4
	v_sub_co_u32_e32 v6, vcc, v5, v4
	v_subb_co_u32_e32 v7, vcc, v7, v4, vcc
.LBB94_1357:
	s_mov_b64 s[18:19], 0
.LBB94_1358:
	s_andn2_b64 vcc, exec, s[18:19]
	s_cbranch_vccnz .LBB94_1360
; %bb.1359:
	global_load_dword v4, v[2:3], off
	s_waitcnt vmcnt(0)
	v_cvt_f32_f16_e32 v4, v4
	v_cvt_i32_f32_e32 v6, v4
	v_ashrrev_i32_e32 v7, 31, v6
.LBB94_1360:
	s_cbranch_execnz .LBB94_1371
.LBB94_1361:
	s_sext_i32_i16 s18, s34
	s_cmp_lt_i32 s18, 6
	s_cbranch_scc1 .LBB94_1364
; %bb.1362:
	s_cmp_gt_i32 s18, 6
	s_cbranch_scc0 .LBB94_1365
; %bb.1363:
	global_load_dwordx2 v[4:5], v[2:3], off
	s_movk_i32 s18, 0xffe0
	s_waitcnt vmcnt(0)
	v_trunc_f64_e32 v[4:5], v[4:5]
	v_ldexp_f64 v[6:7], v[4:5], s18
	s_mov_b32 s18, 0
	s_mov_b32 s19, 0xc1f00000
	v_floor_f64_e32 v[6:7], v[6:7]
	v_fma_f64 v[4:5], v[6:7], s[18:19], v[4:5]
	v_cvt_i32_f64_e32 v7, v[6:7]
	s_mov_b64 s[18:19], 0
	v_cvt_u32_f64_e32 v6, v[4:5]
	s_branch .LBB94_1366
.LBB94_1364:
	s_mov_b64 s[18:19], -1
                                        ; implicit-def: $vgpr6_vgpr7
	s_branch .LBB94_1369
.LBB94_1365:
	s_mov_b64 s[18:19], -1
                                        ; implicit-def: $vgpr6_vgpr7
.LBB94_1366:
	s_andn2_b64 vcc, exec, s[18:19]
	s_cbranch_vccnz .LBB94_1368
; %bb.1367:
	global_load_dword v4, v[2:3], off
	s_mov_b32 s18, 0x2f800000
	s_mov_b32 s19, 0xcf800000
	s_waitcnt vmcnt(0)
	v_trunc_f32_e32 v4, v4
	v_mul_f32_e64 v5, |v4|, s18
	v_floor_f32_e32 v5, v5
	v_cvt_u32_f32_e32 v6, v5
	v_fma_f32 v5, v5, s19, |v4|
	v_cvt_u32_f32_e32 v5, v5
	v_ashrrev_i32_e32 v4, 31, v4
	v_xor_b32_e32 v7, v6, v4
	v_xor_b32_e32 v5, v5, v4
	v_sub_co_u32_e32 v6, vcc, v5, v4
	v_subb_co_u32_e32 v7, vcc, v7, v4, vcc
.LBB94_1368:
	s_mov_b64 s[18:19], 0
.LBB94_1369:
	s_andn2_b64 vcc, exec, s[18:19]
	s_cbranch_vccnz .LBB94_1371
; %bb.1370:
	global_load_ushort v4, v[2:3], off
	s_waitcnt vmcnt(0)
	v_cvt_f32_f16_e32 v4, v4
	v_cvt_i32_f32_e32 v6, v4
	v_ashrrev_i32_e32 v7, 31, v6
.LBB94_1371:
	s_cbranch_execnz .LBB94_1390
.LBB94_1372:
	s_sext_i32_i16 s18, s34
	s_cmp_lt_i32 s18, 2
	s_cbranch_scc1 .LBB94_1376
; %bb.1373:
	s_cmp_lt_i32 s18, 3
	s_cbranch_scc1 .LBB94_1377
; %bb.1374:
	s_cmp_gt_i32 s18, 3
	s_cbranch_scc0 .LBB94_1378
; %bb.1375:
	global_load_dwordx2 v[6:7], v[2:3], off
	s_mov_b64 s[18:19], 0
	s_branch .LBB94_1379
.LBB94_1376:
                                        ; implicit-def: $vgpr6_vgpr7
	s_branch .LBB94_1385
.LBB94_1377:
	s_mov_b64 s[18:19], -1
                                        ; implicit-def: $vgpr6_vgpr7
	s_branch .LBB94_1382
.LBB94_1378:
	s_mov_b64 s[18:19], -1
                                        ; implicit-def: $vgpr6_vgpr7
.LBB94_1379:
	s_andn2_b64 vcc, exec, s[18:19]
	s_cbranch_vccnz .LBB94_1381
; %bb.1380:
	global_load_dword v6, v[2:3], off
	s_waitcnt vmcnt(0)
	v_ashrrev_i32_e32 v7, 31, v6
.LBB94_1381:
	s_mov_b64 s[18:19], 0
.LBB94_1382:
	s_andn2_b64 vcc, exec, s[18:19]
	s_cbranch_vccnz .LBB94_1384
; %bb.1383:
	global_load_ushort v4, v[2:3], off
	s_waitcnt vmcnt(0)
	v_bfe_i32 v6, v4, 0, 16
	v_ashrrev_i32_e32 v7, 31, v6
.LBB94_1384:
	s_cbranch_execnz .LBB94_1390
.LBB94_1385:
	s_sext_i32_i16 s18, s34
	s_cmp_gt_i32 s18, 0
	s_cbranch_scc0 .LBB94_1387
; %bb.1386:
	global_load_sbyte v4, v[2:3], off
	s_mov_b64 s[18:19], 0
	s_waitcnt vmcnt(0)
	v_bfe_i32 v6, v4, 0, 16
	v_ashrrev_i32_e32 v7, 31, v6
	s_branch .LBB94_1388
.LBB94_1387:
	s_mov_b64 s[18:19], -1
                                        ; implicit-def: $vgpr6_vgpr7
.LBB94_1388:
	s_andn2_b64 vcc, exec, s[18:19]
	s_cbranch_vccnz .LBB94_1390
; %bb.1389:
	global_load_ubyte v2, v[2:3], off
	s_mov_b32 s18, 0
	s_waitcnt vmcnt(1)
	v_mov_b32_e32 v7, s18
	s_waitcnt vmcnt(0)
	v_and_b32_e32 v6, 0xffff, v2
.LBB94_1390:
	s_or_b64 s[24:25], s[24:25], exec
.LBB94_1391:
	s_or_b64 exec, exec, s[0:1]
	s_mov_b64 s[26:27], 0
	s_mov_b64 s[20:21], 0
                                        ; implicit-def: $sgpr30
                                        ; implicit-def: $vgpr4_vgpr5
                                        ; implicit-def: $vgpr2_vgpr3
	s_and_saveexec_b64 s[18:19], s[24:25]
	s_cbranch_execz .LBB94_1399
; %bb.1392:
	s_waitcnt vmcnt(0)
	v_mul_lo_u32 v4, v18, s12
	v_lshlrev_b64 v[0:1], v6, v[0:1]
	v_cmp_gt_u64_e32 vcc, 64, v[6:7]
	s_and_b32 s30, s33, 0xff
	v_cndmask_b32_e32 v3, 0, v1, vcc
	v_cndmask_b32_e32 v2, 0, v0, vcc
	v_ashrrev_i32_e32 v0, 31, v4
	v_mov_b32_e32 v1, s9
	v_add_co_u32_e32 v4, vcc, s8, v4
	s_cmp_lt_i32 s30, 11
	v_addc_co_u32_e32 v5, vcc, v1, v0, vcc
	s_cbranch_scc1 .LBB94_1402
; %bb.1393:
	s_and_b32 s31, 0xffff, s30
	s_mov_b64 s[24:25], -1
	s_cmp_gt_i32 s31, 25
	s_mov_b64 s[0:1], s[6:7]
	s_cbranch_scc0 .LBB94_1430
; %bb.1394:
	s_mov_b64 s[20:21], -1
	s_cmp_gt_i32 s31, 28
	s_mov_b64 s[0:1], s[6:7]
	s_cbranch_scc0 .LBB94_1414
; %bb.1395:
	s_cmp_gt_i32 s31, 43
	s_mov_b64 s[0:1], s[6:7]
	s_cbranch_scc0 .LBB94_1410
; %bb.1396:
	;; [unrolled: 4-line block ×3, first 2 shown]
	s_cmp_eq_u32 s31, 46
	s_mov_b64 s[0:1], -1
	s_cbranch_scc0 .LBB94_1403
; %bb.1398:
	v_xor_b32_e32 v1, v2, v3
	v_ffbh_i32_e32 v0, v3
	v_ashrrev_i32_e32 v1, 31, v1
	v_add_u32_e32 v0, -1, v0
	v_add_u32_e32 v1, 32, v1
	v_min_u32_e32 v6, v0, v1
	v_lshlrev_b64 v[0:1], v6, v[2:3]
	s_movk_i32 s0, 0x7fff
	v_min_u32_e32 v0, 1, v0
	v_or_b32_e32 v0, v1, v0
	v_cvt_f32_i32_e32 v0, v0
	v_sub_u32_e32 v1, 32, v6
	s_mov_b64 s[20:21], 0
	v_ldexp_f32 v0, v0, v1
	v_bfe_u32 v1, v0, 16, 1
	v_add3_u32 v0, v0, v1, s0
	v_lshrrev_b32_e32 v0, 16, v0
	global_store_dword v[4:5], v0, off
	s_mov_b64 s[0:1], 0
	s_branch .LBB94_1404
.LBB94_1399:
	s_or_b64 exec, exec, s[18:19]
	s_and_saveexec_b64 s[0:1], s[6:7]
	s_cbranch_execnz .LBB94_1472
.LBB94_1400:
	s_or_b64 exec, exec, s[0:1]
	s_and_saveexec_b64 s[0:1], s[26:27]
	s_xor_b64 s[0:1], exec, s[0:1]
	s_cbranch_execz .LBB94_1473
.LBB94_1401:
	v_cmp_ne_u64_e32 vcc, 0, v[2:3]
	s_waitcnt vmcnt(0)
	v_cndmask_b32_e64 v0, 0, 1, vcc
	global_store_byte v[4:5], v0, off
	s_or_b64 exec, exec, s[0:1]
	s_and_saveexec_b64 s[0:1], s[20:21]
	s_xor_b64 s[0:1], exec, s[0:1]
	s_cbranch_execz .LBB94_1511
	s_branch .LBB94_1474
.LBB94_1402:
	s_mov_b64 s[24:25], 0
	s_mov_b64 s[20:21], -1
	s_mov_b64 s[0:1], s[6:7]
	s_branch .LBB94_1471
.LBB94_1403:
	s_mov_b64 s[20:21], 0
.LBB94_1404:
	s_and_b64 vcc, exec, s[20:21]
	s_cbranch_vccz .LBB94_1409
; %bb.1405:
	s_cmp_eq_u32 s31, 44
	s_mov_b64 s[0:1], -1
	s_cbranch_scc0 .LBB94_1409
; %bb.1406:
	v_xor_b32_e32 v1, v2, v3
	v_ffbh_i32_e32 v0, v3
	v_ashrrev_i32_e32 v1, 31, v1
	v_add_u32_e32 v0, -1, v0
	v_add_u32_e32 v1, 32, v1
	v_min_u32_e32 v6, v0, v1
	v_lshlrev_b64 v[0:1], v6, v[2:3]
	s_movk_i32 s0, 0xff
	v_min_u32_e32 v0, 1, v0
	v_or_b32_e32 v0, v1, v0
	v_cvt_f32_i32_e32 v0, v0
	v_sub_u32_e32 v1, 32, v6
	v_mov_b32_e32 v6, 0xff
	v_ldexp_f32 v0, v0, v1
	v_bfe_u32 v1, v0, 23, 8
	v_cmp_ne_u32_e32 vcc, s0, v1
	s_and_saveexec_b64 s[20:21], vcc
; %bb.1407:
	s_mov_b32 s0, 0x3fffff
	v_lshrrev_b32_e32 v6, 23, v0
	v_and_b32_e32 v7, 0x400000, v0
	v_and_or_b32 v0, v0, s0, v1
	v_cmp_ne_u32_e32 vcc, 0, v7
	v_cmp_ne_u32_e64 s[0:1], 0, v0
	s_and_b64 s[0:1], vcc, s[0:1]
	v_cndmask_b32_e64 v0, 0, 1, s[0:1]
	v_add_u32_e32 v6, v6, v0
; %bb.1408:
	s_or_b64 exec, exec, s[20:21]
	s_mov_b64 s[0:1], 0
	global_store_byte v[4:5], v6, off
.LBB94_1409:
	s_mov_b64 s[20:21], 0
.LBB94_1410:
	s_and_b64 vcc, exec, s[20:21]
	s_cbranch_vccz .LBB94_1413
; %bb.1411:
	s_cmp_eq_u32 s31, 29
	s_mov_b64 s[0:1], -1
	s_cbranch_scc0 .LBB94_1413
; %bb.1412:
	global_store_dwordx2 v[4:5], v[2:3], off
	s_mov_b64 s[0:1], 0
.LBB94_1413:
	s_mov_b64 s[20:21], 0
.LBB94_1414:
	s_and_b64 vcc, exec, s[20:21]
	s_cbranch_vccz .LBB94_1429
; %bb.1415:
	s_cmp_lt_i32 s31, 27
	s_mov_b64 s[20:21], -1
	s_cbranch_scc1 .LBB94_1421
; %bb.1416:
	s_cmp_gt_i32 s31, 27
	s_cbranch_scc0 .LBB94_1418
; %bb.1417:
	s_mov_b64 s[20:21], 0
	global_store_dword v[4:5], v2, off
.LBB94_1418:
	s_andn2_b64 vcc, exec, s[20:21]
	s_cbranch_vccnz .LBB94_1420
; %bb.1419:
	global_store_short v[4:5], v2, off
.LBB94_1420:
	s_mov_b64 s[20:21], 0
.LBB94_1421:
	s_andn2_b64 vcc, exec, s[20:21]
	s_cbranch_vccnz .LBB94_1429
; %bb.1422:
	v_xor_b32_e32 v1, v2, v3
	v_ffbh_i32_e32 v0, v3
	v_ashrrev_i32_e32 v1, 31, v1
	v_add_u32_e32 v0, -1, v0
	v_add_u32_e32 v1, 32, v1
	v_min_u32_e32 v6, v0, v1
	v_lshlrev_b64 v[0:1], v6, v[2:3]
	s_mov_b32 s20, 0x43800000
	v_min_u32_e32 v0, 1, v0
	v_or_b32_e32 v0, v1, v0
	v_cvt_f32_i32_e32 v0, v0
	v_sub_u32_e32 v1, 32, v6
	v_mov_b32_e32 v6, 0x80
	v_ldexp_f32 v0, v0, v1
	v_and_b32_e32 v1, 0x7fffffff, v0
	v_cmp_gt_u32_e32 vcc, s20, v1
	s_and_saveexec_b64 s[20:21], vcc
	s_cbranch_execz .LBB94_1428
; %bb.1423:
	s_mov_b32 s24, 0x3bffffff
	v_cmp_lt_u32_e32 vcc, s24, v1
	s_mov_b64 s[24:25], 0
                                        ; implicit-def: $vgpr1
	s_and_saveexec_b64 s[26:27], vcc
	s_xor_b64 s[26:27], exec, s[26:27]
	s_cbranch_execz .LBB94_1526
; %bb.1424:
	v_bfe_u32 v1, v0, 20, 1
	s_mov_b32 s28, 0x487ffff
	v_add3_u32 v1, v0, v1, s28
	s_mov_b64 s[24:25], exec
	v_lshrrev_b32_e32 v1, 20, v1
	s_andn2_saveexec_b64 s[26:27], s[26:27]
	s_cbranch_execnz .LBB94_1527
.LBB94_1425:
	s_or_b64 exec, exec, s[26:27]
	v_mov_b32_e32 v6, 0
	s_and_saveexec_b64 s[26:27], s[24:25]
.LBB94_1426:
	v_lshrrev_b32_e32 v0, 24, v0
	s_movk_i32 s24, 0x80
	v_and_or_b32 v6, v0, s24, v1
.LBB94_1427:
	s_or_b64 exec, exec, s[26:27]
.LBB94_1428:
	s_or_b64 exec, exec, s[20:21]
	global_store_byte v[4:5], v6, off
.LBB94_1429:
	s_mov_b64 s[24:25], 0
.LBB94_1430:
	s_mov_b64 s[20:21], 0
	s_and_b64 vcc, exec, s[24:25]
	s_cbranch_vccz .LBB94_1470
; %bb.1431:
	s_cmp_gt_i32 s31, 22
	s_mov_b64 s[24:25], -1
	s_cbranch_scc0 .LBB94_1463
; %bb.1432:
	s_cmp_lt_i32 s31, 24
	s_cbranch_scc1 .LBB94_1452
; %bb.1433:
	s_cmp_gt_i32 s31, 24
	s_cbranch_scc0 .LBB94_1441
; %bb.1434:
	v_xor_b32_e32 v1, v2, v3
	v_ffbh_i32_e32 v0, v3
	v_ashrrev_i32_e32 v1, 31, v1
	v_add_u32_e32 v0, -1, v0
	v_add_u32_e32 v1, 32, v1
	v_min_u32_e32 v6, v0, v1
	v_lshlrev_b64 v[0:1], v6, v[2:3]
	s_mov_b32 s24, 0x47800000
	v_min_u32_e32 v0, 1, v0
	v_or_b32_e32 v0, v1, v0
	v_cvt_f32_i32_e32 v0, v0
	v_sub_u32_e32 v1, 32, v6
	v_mov_b32_e32 v6, 0x80
	v_ldexp_f32 v0, v0, v1
	v_and_b32_e32 v1, 0x7fffffff, v0
	v_cmp_gt_u32_e32 vcc, s24, v1
	s_and_saveexec_b64 s[24:25], vcc
	s_cbranch_execz .LBB94_1440
; %bb.1435:
	s_mov_b32 s26, 0x37ffffff
	v_cmp_lt_u32_e32 vcc, s26, v1
	s_mov_b64 s[26:27], 0
                                        ; implicit-def: $vgpr1
	s_and_saveexec_b64 s[28:29], vcc
	s_xor_b64 s[28:29], exec, s[28:29]
	s_cbranch_execz .LBB94_1646
; %bb.1436:
	v_bfe_u32 v1, v0, 21, 1
	s_mov_b32 s34, 0x88fffff
	v_add3_u32 v1, v0, v1, s34
	s_mov_b64 s[26:27], exec
	v_lshrrev_b32_e32 v1, 21, v1
	s_andn2_saveexec_b64 s[28:29], s[28:29]
	s_cbranch_execnz .LBB94_1647
.LBB94_1437:
	s_or_b64 exec, exec, s[28:29]
	v_mov_b32_e32 v6, 0
	s_and_saveexec_b64 s[28:29], s[26:27]
.LBB94_1438:
	v_lshrrev_b32_e32 v0, 24, v0
	s_movk_i32 s26, 0x80
	v_and_or_b32 v6, v0, s26, v1
.LBB94_1439:
	s_or_b64 exec, exec, s[28:29]
.LBB94_1440:
	s_or_b64 exec, exec, s[24:25]
	s_mov_b64 s[24:25], 0
	global_store_byte v[4:5], v6, off
.LBB94_1441:
	s_and_b64 vcc, exec, s[24:25]
	s_cbranch_vccz .LBB94_1451
; %bb.1442:
	v_xor_b32_e32 v1, v2, v3
	v_ffbh_i32_e32 v0, v3
	v_ashrrev_i32_e32 v1, 31, v1
	v_add_u32_e32 v0, -1, v0
	v_add_u32_e32 v1, 32, v1
	v_min_u32_e32 v6, v0, v1
	v_lshlrev_b64 v[0:1], v6, v[2:3]
	s_mov_b32 s24, 0x43f00000
	v_min_u32_e32 v0, 1, v0
	v_or_b32_e32 v0, v1, v0
	v_cvt_f32_i32_e32 v0, v0
	v_sub_u32_e32 v1, 32, v6
	v_ldexp_f32 v0, v0, v1
	v_and_b32_e32 v6, 0x7fffffff, v0
	v_cmp_gt_u32_e32 vcc, s24, v6
                                        ; implicit-def: $vgpr1
	s_and_saveexec_b64 s[24:25], vcc
	s_xor_b64 s[24:25], exec, s[24:25]
	s_cbranch_execz .LBB94_1448
; %bb.1443:
	s_mov_b32 s26, 0x3c7fffff
	v_cmp_lt_u32_e32 vcc, s26, v6
                                        ; implicit-def: $vgpr1
	s_and_saveexec_b64 s[26:27], vcc
	s_xor_b64 s[26:27], exec, s[26:27]
; %bb.1444:
	v_bfe_u32 v1, v0, 20, 1
	s_mov_b32 s28, 0x407ffff
	v_add3_u32 v1, v0, v1, s28
	v_lshrrev_b32_e32 v6, 20, v1
	v_and_b32_e32 v1, 0xff00000, v1
	s_mov_b32 s28, 0x7f00000
	v_mov_b32_e32 v7, 0x7e
	v_cmp_ne_u32_e32 vcc, s28, v1
	v_cndmask_b32_e32 v1, v7, v6, vcc
; %bb.1445:
	s_andn2_saveexec_b64 s[26:27], s[26:27]
; %bb.1446:
	s_mov_b32 s28, 0x46800000
	v_add_f32_e64 v1, |v0|, s28
; %bb.1447:
	s_or_b64 exec, exec, s[26:27]
                                        ; implicit-def: $vgpr6
.LBB94_1448:
	s_andn2_saveexec_b64 s[24:25], s[24:25]
; %bb.1449:
	s_mov_b32 s26, 0x7f800000
	v_mov_b32_e32 v1, 0x7e
	v_mov_b32_e32 v7, 0x7f
	v_cmp_lt_u32_e32 vcc, s26, v6
	v_cndmask_b32_e32 v1, v1, v7, vcc
; %bb.1450:
	s_or_b64 exec, exec, s[24:25]
	v_lshrrev_b32_e32 v0, 24, v0
	s_movk_i32 s24, 0x80
	v_and_or_b32 v0, v0, s24, v1
	global_store_byte v[4:5], v0, off
.LBB94_1451:
	s_mov_b64 s[24:25], 0
.LBB94_1452:
	s_andn2_b64 vcc, exec, s[24:25]
	s_cbranch_vccnz .LBB94_1462
; %bb.1453:
	v_xor_b32_e32 v1, v2, v3
	v_ffbh_i32_e32 v0, v3
	v_ashrrev_i32_e32 v1, 31, v1
	v_add_u32_e32 v0, -1, v0
	v_add_u32_e32 v1, 32, v1
	v_min_u32_e32 v6, v0, v1
	v_lshlrev_b64 v[0:1], v6, v[2:3]
	s_mov_b32 s24, 0x47800000
	v_min_u32_e32 v0, 1, v0
	v_or_b32_e32 v0, v1, v0
	v_cvt_f32_i32_e32 v0, v0
	v_sub_u32_e32 v1, 32, v6
	v_ldexp_f32 v0, v0, v1
	v_and_b32_e32 v6, 0x7fffffff, v0
	v_cmp_gt_u32_e32 vcc, s24, v6
                                        ; implicit-def: $vgpr1
	s_and_saveexec_b64 s[24:25], vcc
	s_xor_b64 s[24:25], exec, s[24:25]
	s_cbranch_execz .LBB94_1459
; %bb.1454:
	s_mov_b32 s26, 0x387fffff
	v_cmp_lt_u32_e32 vcc, s26, v6
                                        ; implicit-def: $vgpr1
	s_and_saveexec_b64 s[26:27], vcc
	s_xor_b64 s[26:27], exec, s[26:27]
; %bb.1455:
	v_bfe_u32 v1, v0, 21, 1
	s_mov_b32 s28, 0x80fffff
	v_add3_u32 v1, v0, v1, s28
	v_lshrrev_b32_e32 v1, 21, v1
; %bb.1456:
	s_andn2_saveexec_b64 s[26:27], s[26:27]
; %bb.1457:
	s_mov_b32 s28, 0x43000000
	v_add_f32_e64 v1, |v0|, s28
; %bb.1458:
	s_or_b64 exec, exec, s[26:27]
                                        ; implicit-def: $vgpr6
.LBB94_1459:
	s_andn2_saveexec_b64 s[24:25], s[24:25]
; %bb.1460:
	s_mov_b32 s26, 0x7f800000
	v_mov_b32_e32 v1, 0x7c
	v_mov_b32_e32 v7, 0x7f
	v_cmp_lt_u32_e32 vcc, s26, v6
	v_cndmask_b32_e32 v1, v1, v7, vcc
; %bb.1461:
	s_or_b64 exec, exec, s[24:25]
	v_lshrrev_b32_e32 v0, 24, v0
	s_movk_i32 s24, 0x80
	v_and_or_b32 v0, v0, s24, v1
	global_store_byte v[4:5], v0, off
.LBB94_1462:
	s_mov_b64 s[24:25], 0
.LBB94_1463:
	s_andn2_b64 vcc, exec, s[24:25]
	s_mov_b64 s[24:25], 0
	s_cbranch_vccnz .LBB94_1471
; %bb.1464:
	s_cmp_gt_i32 s31, 14
	s_mov_b64 s[26:27], -1
	s_cbranch_scc0 .LBB94_1468
; %bb.1465:
	s_cmp_eq_u32 s31, 15
	s_mov_b64 s[0:1], -1
	s_cbranch_scc0 .LBB94_1467
; %bb.1466:
	v_xor_b32_e32 v1, v2, v3
	v_ffbh_i32_e32 v0, v3
	v_ashrrev_i32_e32 v1, 31, v1
	v_add_u32_e32 v0, -1, v0
	v_add_u32_e32 v1, 32, v1
	v_min_u32_e32 v6, v0, v1
	v_lshlrev_b64 v[0:1], v6, v[2:3]
	s_movk_i32 s0, 0x7fff
	v_min_u32_e32 v0, 1, v0
	v_or_b32_e32 v0, v1, v0
	v_cvt_f32_i32_e32 v0, v0
	v_sub_u32_e32 v1, 32, v6
	v_ldexp_f32 v0, v0, v1
	v_bfe_u32 v1, v0, 16, 1
	v_add3_u32 v0, v0, v1, s0
	global_store_short_d16_hi v[4:5], v0, off
	s_mov_b64 s[0:1], 0
.LBB94_1467:
	s_mov_b64 s[26:27], 0
.LBB94_1468:
	s_and_b64 vcc, exec, s[26:27]
	s_cbranch_vccz .LBB94_1471
; %bb.1469:
	s_cmp_lg_u32 s31, 11
	s_cselect_b64 s[26:27], -1, 0
	s_andn2_b64 s[0:1], s[0:1], exec
	s_and_b64 s[26:27], s[26:27], exec
	s_mov_b64 s[24:25], -1
	s_or_b64 s[0:1], s[0:1], s[26:27]
	s_branch .LBB94_1471
.LBB94_1470:
	s_mov_b64 s[24:25], 0
.LBB94_1471:
	s_andn2_b64 s[6:7], s[6:7], exec
	s_and_b64 s[0:1], s[0:1], exec
	s_and_b64 s[20:21], s[20:21], exec
	;; [unrolled: 1-line block ×3, first 2 shown]
	s_or_b64 s[6:7], s[6:7], s[0:1]
	s_or_b64 exec, exec, s[18:19]
	s_and_saveexec_b64 s[0:1], s[6:7]
	s_cbranch_execz .LBB94_1400
.LBB94_1472:
	s_or_b64 s[22:23], s[22:23], exec
	s_andn2_b64 s[26:27], s[26:27], exec
	s_trap 2
	s_or_b64 exec, exec, s[0:1]
	s_and_saveexec_b64 s[0:1], s[26:27]
	s_xor_b64 s[0:1], exec, s[0:1]
	s_cbranch_execnz .LBB94_1401
.LBB94_1473:
	s_or_b64 exec, exec, s[0:1]
	s_and_saveexec_b64 s[0:1], s[20:21]
	s_xor_b64 s[0:1], exec, s[0:1]
	s_cbranch_execz .LBB94_1511
.LBB94_1474:
	s_sext_i32_i16 s18, s30
	s_cmp_lt_i32 s18, 5
	s_mov_b64 s[6:7], -1
	s_cbranch_scc1 .LBB94_1495
; %bb.1475:
	s_cmp_lt_i32 s18, 8
	s_cbranch_scc1 .LBB94_1485
; %bb.1476:
	s_cmp_lt_i32 s18, 9
	s_cbranch_scc1 .LBB94_1482
; %bb.1477:
	s_cmp_gt_i32 s18, 9
	s_cbranch_scc0 .LBB94_1479
; %bb.1478:
	s_waitcnt vmcnt(0)
	v_cvt_f64_i32_e32 v[0:1], v3
	v_cvt_f64_u32_e32 v[6:7], v2
	v_mov_b32_e32 v8, 0
	v_mov_b32_e32 v9, v8
	v_ldexp_f64 v[0:1], v[0:1], 32
	s_mov_b64 s[6:7], 0
	v_add_f64 v[6:7], v[0:1], v[6:7]
	global_store_dwordx4 v[4:5], v[6:9], off
.LBB94_1479:
	s_andn2_b64 vcc, exec, s[6:7]
	s_cbranch_vccnz .LBB94_1481
; %bb.1480:
	s_waitcnt vmcnt(0)
	v_xor_b32_e32 v1, v2, v3
	v_ffbh_i32_e32 v0, v3
	v_ashrrev_i32_e32 v1, 31, v1
	v_add_u32_e32 v0, -1, v0
	v_add_u32_e32 v1, 32, v1
	v_min_u32_e32 v6, v0, v1
	v_lshlrev_b64 v[0:1], v6, v[2:3]
	v_min_u32_e32 v0, 1, v0
	v_or_b32_e32 v0, v1, v0
	v_cvt_f32_i32_e32 v0, v0
	v_sub_u32_e32 v1, 32, v6
	v_ldexp_f32 v0, v0, v1
	v_mov_b32_e32 v1, 0
	global_store_dwordx2 v[4:5], v[0:1], off
.LBB94_1481:
	s_mov_b64 s[6:7], 0
.LBB94_1482:
	s_andn2_b64 vcc, exec, s[6:7]
	s_cbranch_vccnz .LBB94_1484
; %bb.1483:
	s_waitcnt vmcnt(0)
	v_xor_b32_e32 v1, v2, v3
	v_ffbh_i32_e32 v0, v3
	v_ashrrev_i32_e32 v1, 31, v1
	v_add_u32_e32 v0, -1, v0
	v_add_u32_e32 v1, 32, v1
	v_min_u32_e32 v6, v0, v1
	v_lshlrev_b64 v[0:1], v6, v[2:3]
	v_min_u32_e32 v0, 1, v0
	v_or_b32_e32 v0, v1, v0
	v_cvt_f32_i32_e32 v0, v0
	v_sub_u32_e32 v1, 32, v6
	v_ldexp_f32 v0, v0, v1
	v_cvt_f16_f32_e32 v0, v0
	global_store_dword v[4:5], v0, off
.LBB94_1484:
	s_mov_b64 s[6:7], 0
.LBB94_1485:
	s_andn2_b64 vcc, exec, s[6:7]
	s_cbranch_vccnz .LBB94_1494
; %bb.1486:
	s_sext_i32_i16 s18, s30
	s_cmp_lt_i32 s18, 6
	s_mov_b64 s[6:7], -1
	s_cbranch_scc1 .LBB94_1492
; %bb.1487:
	s_cmp_gt_i32 s18, 6
	s_cbranch_scc0 .LBB94_1489
; %bb.1488:
	s_waitcnt vmcnt(0)
	v_cvt_f64_i32_e32 v[0:1], v3
	v_cvt_f64_u32_e32 v[6:7], v2
	s_mov_b64 s[6:7], 0
	v_ldexp_f64 v[0:1], v[0:1], 32
	v_add_f64 v[0:1], v[0:1], v[6:7]
	global_store_dwordx2 v[4:5], v[0:1], off
.LBB94_1489:
	s_andn2_b64 vcc, exec, s[6:7]
	s_cbranch_vccnz .LBB94_1491
; %bb.1490:
	s_waitcnt vmcnt(0)
	v_xor_b32_e32 v1, v2, v3
	v_ffbh_i32_e32 v0, v3
	v_ashrrev_i32_e32 v1, 31, v1
	v_add_u32_e32 v0, -1, v0
	v_add_u32_e32 v1, 32, v1
	v_min_u32_e32 v6, v0, v1
	v_lshlrev_b64 v[0:1], v6, v[2:3]
	v_min_u32_e32 v0, 1, v0
	v_or_b32_e32 v0, v1, v0
	v_cvt_f32_i32_e32 v0, v0
	v_sub_u32_e32 v1, 32, v6
	v_ldexp_f32 v0, v0, v1
	global_store_dword v[4:5], v0, off
.LBB94_1491:
	s_mov_b64 s[6:7], 0
.LBB94_1492:
	s_andn2_b64 vcc, exec, s[6:7]
	s_cbranch_vccnz .LBB94_1494
; %bb.1493:
	s_waitcnt vmcnt(0)
	v_xor_b32_e32 v1, v2, v3
	v_ffbh_i32_e32 v0, v3
	v_ashrrev_i32_e32 v1, 31, v1
	v_add_u32_e32 v0, -1, v0
	v_add_u32_e32 v1, 32, v1
	v_min_u32_e32 v6, v0, v1
	v_lshlrev_b64 v[0:1], v6, v[2:3]
	v_min_u32_e32 v0, 1, v0
	v_or_b32_e32 v0, v1, v0
	v_cvt_f32_i32_e32 v0, v0
	v_sub_u32_e32 v1, 32, v6
	v_ldexp_f32 v0, v0, v1
	v_cvt_f16_f32_e32 v0, v0
	global_store_short v[4:5], v0, off
.LBB94_1494:
	s_mov_b64 s[6:7], 0
.LBB94_1495:
	s_andn2_b64 vcc, exec, s[6:7]
	s_cbranch_vccnz .LBB94_1511
; %bb.1496:
	s_sext_i32_i16 s18, s30
	s_cmp_lt_i32 s18, 2
	s_mov_b64 s[6:7], -1
	s_cbranch_scc1 .LBB94_1506
; %bb.1497:
	s_cmp_lt_i32 s18, 3
	s_cbranch_scc1 .LBB94_1503
; %bb.1498:
	s_cmp_gt_i32 s18, 3
	s_cbranch_scc0 .LBB94_1500
; %bb.1499:
	s_mov_b64 s[6:7], 0
	s_waitcnt vmcnt(0)
	global_store_dwordx2 v[4:5], v[2:3], off
.LBB94_1500:
	s_andn2_b64 vcc, exec, s[6:7]
	s_cbranch_vccnz .LBB94_1502
; %bb.1501:
	s_waitcnt vmcnt(0)
	global_store_dword v[4:5], v2, off
.LBB94_1502:
	s_mov_b64 s[6:7], 0
.LBB94_1503:
	s_andn2_b64 vcc, exec, s[6:7]
	s_cbranch_vccnz .LBB94_1505
; %bb.1504:
	s_waitcnt vmcnt(0)
	global_store_short v[4:5], v2, off
.LBB94_1505:
	s_mov_b64 s[6:7], 0
.LBB94_1506:
	s_andn2_b64 vcc, exec, s[6:7]
	s_cbranch_vccnz .LBB94_1511
; %bb.1507:
	s_sext_i32_i16 s6, s30
	s_cmp_gt_i32 s6, 0
	s_mov_b64 s[6:7], -1
	s_cbranch_scc0 .LBB94_1509
; %bb.1508:
	s_mov_b64 s[6:7], 0
	s_waitcnt vmcnt(0)
	global_store_byte v[4:5], v2, off
.LBB94_1509:
	s_andn2_b64 vcc, exec, s[6:7]
	s_cbranch_vccnz .LBB94_1511
; %bb.1510:
	s_waitcnt vmcnt(0)
	global_store_byte v[4:5], v2, off
.LBB94_1511:
	s_or_b64 exec, exec, s[0:1]
	s_and_b64 s[6:7], s[22:23], exec
                                        ; implicit-def: $vgpr18
.LBB94_1512:
	s_or_saveexec_b64 s[4:5], s[4:5]
	s_mov_b64 s[0:1], 0
                                        ; implicit-def: $sgpr20
                                        ; implicit-def: $vgpr2_vgpr3
                                        ; implicit-def: $vgpr0_vgpr1
	s_xor_b64 exec, exec, s[4:5]
	s_cbranch_execz .LBB94_2949
; %bb.1513:
	s_waitcnt vmcnt(0)
	v_mul_lo_u32 v6, s13, v18
	v_mov_b32_e32 v0, s11
	s_and_b32 s24, s54, 0xff
	s_cmp_lt_i32 s24, 11
	v_ashrrev_i32_e32 v1, 31, v6
	v_add_co_u32_e32 v2, vcc, s10, v6
	v_addc_co_u32_e32 v3, vcc, v0, v1, vcc
	s_cbranch_scc1 .LBB94_1520
; %bb.1514:
	s_and_b32 s22, 0xffff, s24
	s_cmp_gt_i32 s22, 25
	s_cbranch_scc0 .LBB94_1522
; %bb.1515:
	s_cmp_gt_i32 s22, 28
	s_cbranch_scc0 .LBB94_1523
; %bb.1516:
	;; [unrolled: 3-line block ×4, first 2 shown]
	s_cmp_eq_u32 s22, 46
	s_mov_b64 s[18:19], 0
	s_cbranch_scc0 .LBB94_1528
; %bb.1519:
	global_load_dword v0, v[2:3], off
	s_mov_b32 s0, 0x2f800000
	s_mov_b32 s1, 0xcf800000
	s_mov_b64 s[20:21], -1
	s_waitcnt vmcnt(0)
	v_lshlrev_b32_e32 v0, 16, v0
	v_trunc_f32_e32 v0, v0
	v_mul_f32_e64 v1, |v0|, s0
	v_floor_f32_e32 v1, v1
	v_fma_f32 v4, v1, s1, |v0|
	v_cvt_u32_f32_e32 v4, v4
	v_cvt_u32_f32_e32 v1, v1
	v_ashrrev_i32_e32 v5, 31, v0
	s_mov_b64 s[0:1], 0
	v_xor_b32_e32 v0, v4, v5
	v_xor_b32_e32 v1, v1, v5
	v_sub_co_u32_e32 v0, vcc, v0, v5
	v_subb_co_u32_e32 v1, vcc, v1, v5, vcc
	s_branch .LBB94_1529
.LBB94_1520:
	s_mov_b64 s[20:21], 0
                                        ; implicit-def: $vgpr0_vgpr1
	s_mov_b64 s[18:19], s[6:7]
	s_cbranch_execnz .LBB94_1587
.LBB94_1521:
	s_andn2_b64 vcc, exec, s[20:21]
	s_cbranch_vccz .LBB94_1632
	s_branch .LBB94_2947
.LBB94_1522:
	s_mov_b64 s[20:21], 0
                                        ; implicit-def: $vgpr0_vgpr1
	s_cbranch_execnz .LBB94_1556
	s_branch .LBB94_1583
.LBB94_1523:
	s_mov_b64 s[20:21], 0
                                        ; implicit-def: $vgpr0_vgpr1
	s_cbranch_execz .LBB94_1555
	s_branch .LBB94_1538
.LBB94_1524:
	s_mov_b64 s[20:21], 0
                                        ; implicit-def: $vgpr0_vgpr1
	s_cbranch_execnz .LBB94_1534
	s_branch .LBB94_1537
.LBB94_1525:
	s_mov_b64 s[18:19], -1
	s_mov_b64 s[20:21], 0
                                        ; implicit-def: $vgpr0_vgpr1
	s_branch .LBB94_1529
.LBB94_1526:
	s_andn2_saveexec_b64 s[26:27], s[26:27]
	s_cbranch_execz .LBB94_1425
.LBB94_1527:
	s_mov_b32 s28, 0x46000000
	v_add_f32_e64 v1, |v0|, s28
	v_and_b32_e32 v1, 0xff, v1
	v_cmp_ne_u32_e32 vcc, 0, v1
	s_andn2_b64 s[24:25], s[24:25], exec
	s_and_b64 s[28:29], vcc, exec
	s_or_b64 s[24:25], s[24:25], s[28:29]
	s_or_b64 exec, exec, s[26:27]
	v_mov_b32_e32 v6, 0
	s_and_saveexec_b64 s[26:27], s[24:25]
	s_cbranch_execnz .LBB94_1426
	s_branch .LBB94_1427
.LBB94_1528:
	s_mov_b64 s[0:1], -1
                                        ; implicit-def: $vgpr0_vgpr1
	s_mov_b64 s[20:21], 0
.LBB94_1529:
	s_and_b64 vcc, exec, s[18:19]
	s_cbranch_vccz .LBB94_1532
; %bb.1530:
	s_cmp_eq_u32 s22, 44
	s_cbranch_scc0 .LBB94_1533
; %bb.1531:
	global_load_ubyte v0, v[2:3], off
	s_mov_b32 s0, 0x2f800000
	s_mov_b32 s1, 0xcf800000
	s_mov_b64 s[20:21], -1
	s_waitcnt vmcnt(0)
	v_lshlrev_b32_e32 v1, 23, v0
	v_trunc_f32_e32 v1, v1
	v_mul_f32_e64 v4, |v1|, s0
	v_floor_f32_e32 v4, v4
	v_fma_f32 v5, v4, s1, |v1|
	v_cvt_u32_f32_e32 v5, v5
	v_cvt_u32_f32_e32 v4, v4
	v_ashrrev_i32_e32 v1, 31, v1
	s_mov_b64 s[0:1], 0
	v_xor_b32_e32 v5, v5, v1
	v_xor_b32_e32 v4, v4, v1
	v_sub_co_u32_e32 v5, vcc, v5, v1
	v_subb_co_u32_e32 v1, vcc, v4, v1, vcc
	v_cmp_ne_u32_e32 vcc, 0, v0
	v_cndmask_b32_e32 v1, 0, v1, vcc
	v_cndmask_b32_e32 v0, 0, v5, vcc
.LBB94_1532:
	s_branch .LBB94_1537
.LBB94_1533:
	s_mov_b64 s[0:1], -1
                                        ; implicit-def: $vgpr0_vgpr1
	s_branch .LBB94_1537
.LBB94_1534:
	s_cmp_eq_u32 s22, 29
	s_cbranch_scc0 .LBB94_1536
; %bb.1535:
	global_load_dwordx2 v[0:1], v[2:3], off
	s_mov_b64 s[0:1], 0
	s_mov_b64 s[20:21], -1
	s_branch .LBB94_1537
.LBB94_1536:
	s_mov_b64 s[0:1], -1
                                        ; implicit-def: $vgpr0_vgpr1
.LBB94_1537:
	s_branch .LBB94_1555
.LBB94_1538:
	s_cmp_lt_i32 s22, 27
	s_cbranch_scc1 .LBB94_1541
; %bb.1539:
	s_cmp_gt_i32 s22, 27
	s_cbranch_scc0 .LBB94_1542
; %bb.1540:
	global_load_dword v0, v[2:3], off
	s_waitcnt vmcnt(1)
	v_mov_b32_e32 v1, 0
	s_mov_b64 s[18:19], 0
	s_branch .LBB94_1543
.LBB94_1541:
	s_mov_b64 s[18:19], -1
                                        ; implicit-def: $vgpr0_vgpr1
	s_branch .LBB94_1546
.LBB94_1542:
	s_mov_b64 s[18:19], -1
                                        ; implicit-def: $vgpr0_vgpr1
.LBB94_1543:
	s_andn2_b64 vcc, exec, s[18:19]
	s_cbranch_vccnz .LBB94_1545
; %bb.1544:
	global_load_ushort v0, v[2:3], off
	s_mov_b32 s18, 0
	s_waitcnt vmcnt(1)
	v_mov_b32_e32 v1, s18
	s_waitcnt vmcnt(0)
	v_and_b32_e32 v0, 0xffff, v0
.LBB94_1545:
	s_mov_b64 s[18:19], 0
.LBB94_1546:
	s_andn2_b64 vcc, exec, s[18:19]
	s_cbranch_vccnz .LBB94_1554
; %bb.1547:
	global_load_ubyte v4, v[2:3], off
	s_movk_i32 s18, 0x7f
	s_mov_b64 s[20:21], 0
	s_waitcnt vmcnt(0)
	v_cmp_lt_i16_e32 vcc, s18, v4
	s_and_saveexec_b64 s[18:19], vcc
	s_xor_b64 s[18:19], exec, s[18:19]
; %bb.1548:
	s_movk_i32 s20, 0x80
	v_cmp_ne_u16_e32 vcc, s20, v4
	s_and_b64 s[20:21], vcc, exec
; %bb.1549:
	s_andn2_saveexec_b64 s[18:19], s[18:19]
; %bb.1550:
	v_cmp_ne_u16_e32 vcc, 0, v4
	s_andn2_b64 s[20:21], s[20:21], exec
	s_and_b64 s[26:27], vcc, exec
	s_or_b64 s[20:21], s[20:21], s[26:27]
; %bb.1551:
	s_or_b64 exec, exec, s[18:19]
	v_mov_b32_e32 v0, 0
	v_mov_b32_e32 v1, 0
	s_and_saveexec_b64 s[18:19], s[20:21]
	s_cbranch_execz .LBB94_1553
; %bb.1552:
	v_and_b32_e32 v1, 0xffff, v4
	v_lshlrev_b32_e32 v0, 24, v4
	v_and_b32_e32 v4, 7, v1
	v_ffbh_u32_e32 v7, v4
	v_min_u32_e32 v7, 32, v7
	v_subrev_u32_e32 v8, 28, v7
	v_bfe_u32 v5, v1, 3, 4
	v_lshlrev_b32_e32 v1, v8, v1
	v_sub_u32_e32 v7, 29, v7
	v_and_b32_e32 v1, 7, v1
	v_cmp_eq_u32_e32 vcc, 0, v5
	v_cndmask_b32_e32 v5, v5, v7, vcc
	v_cndmask_b32_e32 v1, v4, v1, vcc
	v_mov_b32_e32 v4, 0x3b800000
	v_lshlrev_b32_e32 v1, 20, v1
	v_and_b32_e32 v0, 0x80000000, v0
	v_lshl_add_u32 v4, v5, 23, v4
	v_or3_b32 v0, v0, v4, v1
	v_trunc_f32_e32 v0, v0
	s_mov_b32 s20, 0x2f800000
	v_mul_f32_e64 v1, |v0|, s20
	v_floor_f32_e32 v1, v1
	s_mov_b32 s20, 0xcf800000
	v_fma_f32 v4, v1, s20, |v0|
	v_cvt_u32_f32_e32 v4, v4
	v_cvt_u32_f32_e32 v1, v1
	v_ashrrev_i32_e32 v5, 31, v0
	v_xor_b32_e32 v0, v4, v5
	v_xor_b32_e32 v1, v1, v5
	v_sub_co_u32_e32 v0, vcc, v0, v5
	v_subb_co_u32_e32 v1, vcc, v1, v5, vcc
.LBB94_1553:
	s_or_b64 exec, exec, s[18:19]
.LBB94_1554:
	s_mov_b64 s[20:21], -1
.LBB94_1555:
	s_branch .LBB94_1583
.LBB94_1556:
	s_cmp_gt_i32 s22, 22
	s_cbranch_scc0 .LBB94_1566
; %bb.1557:
	s_cmp_lt_i32 s22, 24
	s_cbranch_scc1 .LBB94_1567
; %bb.1558:
	s_cmp_gt_i32 s22, 24
	s_cbranch_scc0 .LBB94_1568
; %bb.1559:
	global_load_ubyte v4, v[2:3], off
	s_movk_i32 s16, 0x7f
	s_mov_b64 s[18:19], 0
	s_waitcnt vmcnt(0)
	v_cmp_lt_i16_e32 vcc, s16, v4
	s_and_saveexec_b64 s[16:17], vcc
	s_xor_b64 s[16:17], exec, s[16:17]
; %bb.1560:
	s_movk_i32 s18, 0x80
	v_cmp_ne_u16_e32 vcc, s18, v4
	s_and_b64 s[18:19], vcc, exec
; %bb.1561:
	s_andn2_saveexec_b64 s[16:17], s[16:17]
; %bb.1562:
	v_cmp_ne_u16_e32 vcc, 0, v4
	s_andn2_b64 s[18:19], s[18:19], exec
	s_and_b64 s[20:21], vcc, exec
	s_or_b64 s[18:19], s[18:19], s[20:21]
; %bb.1563:
	s_or_b64 exec, exec, s[16:17]
	v_mov_b32_e32 v0, 0
	v_mov_b32_e32 v1, 0
	s_and_saveexec_b64 s[16:17], s[18:19]
	s_cbranch_execz .LBB94_1565
; %bb.1564:
	v_and_b32_e32 v1, 0xffff, v4
	v_lshlrev_b32_e32 v0, 24, v4
	v_and_b32_e32 v4, 3, v1
	v_ffbh_u32_e32 v7, v4
	v_min_u32_e32 v7, 32, v7
	v_subrev_u32_e32 v8, 29, v7
	v_bfe_u32 v5, v1, 2, 5
	v_lshlrev_b32_e32 v1, v8, v1
	v_sub_u32_e32 v7, 30, v7
	v_and_b32_e32 v1, 3, v1
	v_cmp_eq_u32_e32 vcc, 0, v5
	v_cndmask_b32_e32 v5, v5, v7, vcc
	v_cndmask_b32_e32 v1, v4, v1, vcc
	v_mov_b32_e32 v4, 0x37800000
	v_lshlrev_b32_e32 v1, 21, v1
	v_and_b32_e32 v0, 0x80000000, v0
	v_lshl_add_u32 v4, v5, 23, v4
	v_or3_b32 v0, v0, v4, v1
	v_trunc_f32_e32 v0, v0
	s_mov_b32 s18, 0x2f800000
	v_mul_f32_e64 v1, |v0|, s18
	v_floor_f32_e32 v1, v1
	s_mov_b32 s18, 0xcf800000
	v_fma_f32 v4, v1, s18, |v0|
	v_cvt_u32_f32_e32 v4, v4
	v_cvt_u32_f32_e32 v1, v1
	v_ashrrev_i32_e32 v5, 31, v0
	v_xor_b32_e32 v0, v4, v5
	v_xor_b32_e32 v1, v1, v5
	v_sub_co_u32_e32 v0, vcc, v0, v5
	v_subb_co_u32_e32 v1, vcc, v1, v5, vcc
.LBB94_1565:
	s_or_b64 exec, exec, s[16:17]
	s_mov_b64 s[16:17], 0
	s_branch .LBB94_1569
.LBB94_1566:
                                        ; implicit-def: $vgpr0_vgpr1
	s_mov_b64 s[16:17], 0
	s_branch .LBB94_1575
.LBB94_1567:
	s_mov_b64 s[16:17], -1
                                        ; implicit-def: $vgpr0_vgpr1
	s_branch .LBB94_1572
.LBB94_1568:
	s_mov_b64 s[16:17], -1
                                        ; implicit-def: $vgpr0_vgpr1
.LBB94_1569:
	s_and_b64 vcc, exec, s[16:17]
	s_cbranch_vccz .LBB94_1571
; %bb.1570:
	global_load_ubyte v0, v[2:3], off
	s_mov_b32 s16, 0x7f800000
	s_brev_b32 s17, 1
	s_mov_b32 s18, 0x2f800000
	s_mov_b32 s19, 0xcf800000
	s_waitcnt vmcnt(0)
	v_lshlrev_b32_e32 v0, 24, v0
	v_and_b32_e32 v1, 0x7f000000, v0
	v_ffbh_u32_e32 v4, v1
	v_min_u32_e32 v4, 32, v4
	v_sub_u32_e64 v4, v4, 4 clamp
	v_lshlrev_b32_e32 v7, v4, v1
	v_lshlrev_b32_e32 v4, 23, v4
	v_lshrrev_b32_e32 v7, 4, v7
	v_add_u32_e32 v5, 0x1000000, v1
	v_sub_u32_e32 v4, v7, v4
	v_ashrrev_i32_e32 v5, 8, v5
	v_add_u32_e32 v4, 0x3c000000, v4
	v_and_or_b32 v4, v5, s16, v4
	v_cmp_ne_u32_e32 vcc, 0, v1
	v_cndmask_b32_e32 v1, 0, v4, vcc
	v_and_or_b32 v0, v0, s17, v1
	v_trunc_f32_e32 v0, v0
	v_mul_f32_e64 v1, |v0|, s18
	v_floor_f32_e32 v1, v1
	v_fma_f32 v4, v1, s19, |v0|
	v_cvt_u32_f32_e32 v4, v4
	v_cvt_u32_f32_e32 v1, v1
	v_ashrrev_i32_e32 v5, 31, v0
	v_xor_b32_e32 v0, v4, v5
	v_xor_b32_e32 v1, v1, v5
	v_sub_co_u32_e32 v0, vcc, v0, v5
	v_subb_co_u32_e32 v1, vcc, v1, v5, vcc
.LBB94_1571:
	s_mov_b64 s[16:17], 0
.LBB94_1572:
	s_andn2_b64 vcc, exec, s[16:17]
	s_cbranch_vccnz .LBB94_1574
; %bb.1573:
	global_load_ubyte v0, v[2:3], off
	s_movk_i32 s16, 0x7f00
	s_brev_b32 s17, 16
	s_brev_b32 s18, 1
	s_mov_b32 s19, 0x2f800000
	s_mov_b32 s20, 0xcf800000
	s_waitcnt vmcnt(0)
	v_lshlrev_b16_e32 v1, 8, v0
	v_lshlrev_b32_e32 v0, 25, v0
	v_lshrrev_b32_e32 v4, 4, v0
	v_and_or_b32 v5, v1, s16, 0.5
	v_or_b32_e32 v4, 0x70000000, v4
	v_add_f32_e32 v5, -0.5, v5
	v_mul_f32_e32 v4, 0x7800000, v4
	v_cmp_gt_u32_e32 vcc, s17, v0
	v_bfe_i32 v1, v1, 0, 16
	v_cndmask_b32_e32 v0, v4, v5, vcc
	v_and_or_b32 v0, v1, s18, v0
	v_trunc_f32_e32 v0, v0
	v_mul_f32_e64 v1, |v0|, s19
	v_floor_f32_e32 v1, v1
	v_fma_f32 v4, v1, s20, |v0|
	v_cvt_u32_f32_e32 v4, v4
	v_cvt_u32_f32_e32 v1, v1
	v_ashrrev_i32_e32 v5, 31, v0
	v_xor_b32_e32 v0, v4, v5
	v_xor_b32_e32 v1, v1, v5
	v_sub_co_u32_e32 v0, vcc, v0, v5
	v_subb_co_u32_e32 v1, vcc, v1, v5, vcc
.LBB94_1574:
	s_mov_b64 s[20:21], -1
	s_mov_b64 s[16:17], 0
	s_cbranch_execnz .LBB94_1583
.LBB94_1575:
	s_cmp_gt_i32 s22, 14
	s_cbranch_scc0 .LBB94_1578
; %bb.1576:
	s_cmp_eq_u32 s22, 15
	s_cbranch_scc0 .LBB94_1579
; %bb.1577:
	global_load_ushort v0, v[2:3], off
	s_mov_b32 s0, 0x2f800000
	s_mov_b32 s1, 0xcf800000
	s_mov_b64 s[20:21], -1
	s_waitcnt vmcnt(0)
	v_lshlrev_b32_e32 v0, 16, v0
	v_trunc_f32_e32 v0, v0
	v_mul_f32_e64 v1, |v0|, s0
	v_floor_f32_e32 v1, v1
	v_fma_f32 v4, v1, s1, |v0|
	v_cvt_u32_f32_e32 v4, v4
	v_cvt_u32_f32_e32 v1, v1
	v_ashrrev_i32_e32 v5, 31, v0
	s_mov_b64 s[0:1], 0
	v_xor_b32_e32 v0, v4, v5
	v_xor_b32_e32 v1, v1, v5
	v_sub_co_u32_e32 v0, vcc, v0, v5
	v_subb_co_u32_e32 v1, vcc, v1, v5, vcc
	s_branch .LBB94_1580
.LBB94_1578:
	s_mov_b64 s[18:19], -1
                                        ; implicit-def: $vgpr0_vgpr1
	s_branch .LBB94_1581
.LBB94_1579:
	s_mov_b64 s[0:1], -1
                                        ; implicit-def: $vgpr0_vgpr1
.LBB94_1580:
	s_mov_b64 s[18:19], 0
.LBB94_1581:
	s_and_b64 vcc, exec, s[18:19]
	s_cbranch_vccz .LBB94_1583
; %bb.1582:
	s_cmp_lg_u32 s22, 11
	s_mov_b64 s[16:17], -1
	s_cselect_b64 s[0:1], -1, 0
.LBB94_1583:
	s_and_b64 vcc, exec, s[0:1]
	s_mov_b64 s[18:19], s[6:7]
	s_cbranch_vccnz .LBB94_1644
; %bb.1584:
	s_andn2_b64 vcc, exec, s[16:17]
	s_cbranch_vccnz .LBB94_1586
.LBB94_1585:
	global_load_ubyte v0, v[2:3], off
	s_mov_b32 s0, 0
	s_waitcnt vmcnt(1)
	v_mov_b32_e32 v1, s0
	s_mov_b64 s[20:21], -1
	s_waitcnt vmcnt(0)
	v_cmp_ne_u16_e32 vcc, 0, v0
	v_cndmask_b32_e64 v0, 0, 1, vcc
.LBB94_1586:
	s_branch .LBB94_1521
.LBB94_1587:
	s_and_b32 s16, 0xffff, s24
	s_cmp_lt_i32 s16, 5
	s_cbranch_scc1 .LBB94_1592
; %bb.1588:
	s_cmp_lt_i32 s16, 8
	s_cbranch_scc1 .LBB94_1593
; %bb.1589:
	;; [unrolled: 3-line block ×3, first 2 shown]
	s_cmp_gt_i32 s16, 9
	s_cbranch_scc0 .LBB94_1595
; %bb.1591:
	global_load_dwordx2 v[0:1], v[2:3], off
	s_movk_i32 s0, 0xffe0
	s_waitcnt vmcnt(0)
	v_trunc_f64_e32 v[0:1], v[0:1]
	v_ldexp_f64 v[4:5], v[0:1], s0
	s_mov_b32 s0, 0
	s_mov_b32 s1, 0xc1f00000
	v_floor_f64_e32 v[4:5], v[4:5]
	v_fma_f64 v[7:8], v[4:5], s[0:1], v[0:1]
	v_cvt_i32_f64_e32 v1, v[4:5]
	s_mov_b64 s[0:1], 0
	v_cvt_u32_f64_e32 v0, v[7:8]
	s_branch .LBB94_1596
.LBB94_1592:
                                        ; implicit-def: $vgpr0_vgpr1
	s_branch .LBB94_1613
.LBB94_1593:
                                        ; implicit-def: $vgpr0_vgpr1
	s_branch .LBB94_1602
.LBB94_1594:
	s_mov_b64 s[0:1], -1
                                        ; implicit-def: $vgpr0_vgpr1
	s_branch .LBB94_1599
.LBB94_1595:
	s_mov_b64 s[0:1], -1
                                        ; implicit-def: $vgpr0_vgpr1
.LBB94_1596:
	s_andn2_b64 vcc, exec, s[0:1]
	s_cbranch_vccnz .LBB94_1598
; %bb.1597:
	global_load_dword v0, v[2:3], off
	s_mov_b32 s0, 0x2f800000
	s_mov_b32 s1, 0xcf800000
	s_waitcnt vmcnt(0)
	v_trunc_f32_e32 v0, v0
	v_mul_f32_e64 v1, |v0|, s0
	v_floor_f32_e32 v1, v1
	v_cvt_u32_f32_e32 v4, v1
	v_fma_f32 v1, v1, s1, |v0|
	v_cvt_u32_f32_e32 v1, v1
	v_ashrrev_i32_e32 v5, 31, v0
	v_xor_b32_e32 v4, v4, v5
	v_xor_b32_e32 v0, v1, v5
	v_sub_co_u32_e32 v0, vcc, v0, v5
	v_subb_co_u32_e32 v1, vcc, v4, v5, vcc
.LBB94_1598:
	s_mov_b64 s[0:1], 0
.LBB94_1599:
	s_andn2_b64 vcc, exec, s[0:1]
	s_cbranch_vccnz .LBB94_1601
; %bb.1600:
	global_load_dword v0, v[2:3], off
	s_waitcnt vmcnt(0)
	v_cvt_f32_f16_e32 v0, v0
	v_cvt_i32_f32_e32 v0, v0
	v_ashrrev_i32_e32 v1, 31, v0
.LBB94_1601:
	s_cbranch_execnz .LBB94_1612
.LBB94_1602:
	s_cmp_lt_i32 s16, 6
	s_cbranch_scc1 .LBB94_1605
; %bb.1603:
	s_cmp_gt_i32 s16, 6
	s_cbranch_scc0 .LBB94_1606
; %bb.1604:
	global_load_dwordx2 v[0:1], v[2:3], off
	s_movk_i32 s0, 0xffe0
	s_waitcnt vmcnt(0)
	v_trunc_f64_e32 v[0:1], v[0:1]
	v_ldexp_f64 v[4:5], v[0:1], s0
	s_mov_b32 s0, 0
	s_mov_b32 s1, 0xc1f00000
	v_floor_f64_e32 v[4:5], v[4:5]
	v_fma_f64 v[7:8], v[4:5], s[0:1], v[0:1]
	v_cvt_i32_f64_e32 v1, v[4:5]
	s_mov_b64 s[0:1], 0
	v_cvt_u32_f64_e32 v0, v[7:8]
	s_branch .LBB94_1607
.LBB94_1605:
	s_mov_b64 s[0:1], -1
                                        ; implicit-def: $vgpr0_vgpr1
	s_branch .LBB94_1610
.LBB94_1606:
	s_mov_b64 s[0:1], -1
                                        ; implicit-def: $vgpr0_vgpr1
.LBB94_1607:
	s_andn2_b64 vcc, exec, s[0:1]
	s_cbranch_vccnz .LBB94_1609
; %bb.1608:
	global_load_dword v0, v[2:3], off
	s_mov_b32 s0, 0x2f800000
	s_mov_b32 s1, 0xcf800000
	s_waitcnt vmcnt(0)
	v_trunc_f32_e32 v0, v0
	v_mul_f32_e64 v1, |v0|, s0
	v_floor_f32_e32 v1, v1
	v_cvt_u32_f32_e32 v4, v1
	v_fma_f32 v1, v1, s1, |v0|
	v_cvt_u32_f32_e32 v1, v1
	v_ashrrev_i32_e32 v5, 31, v0
	v_xor_b32_e32 v4, v4, v5
	v_xor_b32_e32 v0, v1, v5
	v_sub_co_u32_e32 v0, vcc, v0, v5
	v_subb_co_u32_e32 v1, vcc, v4, v5, vcc
.LBB94_1609:
	s_mov_b64 s[0:1], 0
.LBB94_1610:
	s_andn2_b64 vcc, exec, s[0:1]
	s_cbranch_vccnz .LBB94_1612
; %bb.1611:
	global_load_ushort v0, v[2:3], off
	s_waitcnt vmcnt(0)
	v_cvt_f32_f16_e32 v0, v0
	v_cvt_i32_f32_e32 v0, v0
	v_ashrrev_i32_e32 v1, 31, v0
.LBB94_1612:
	s_cbranch_execnz .LBB94_1631
.LBB94_1613:
	s_cmp_lt_i32 s16, 2
	s_cbranch_scc1 .LBB94_1617
; %bb.1614:
	s_cmp_lt_i32 s16, 3
	s_cbranch_scc1 .LBB94_1618
; %bb.1615:
	s_cmp_gt_i32 s16, 3
	s_cbranch_scc0 .LBB94_1619
; %bb.1616:
	global_load_dwordx2 v[0:1], v[2:3], off
	s_mov_b64 s[0:1], 0
	s_branch .LBB94_1620
.LBB94_1617:
                                        ; implicit-def: $vgpr0_vgpr1
	s_branch .LBB94_1626
.LBB94_1618:
	s_mov_b64 s[0:1], -1
                                        ; implicit-def: $vgpr0_vgpr1
	s_branch .LBB94_1623
.LBB94_1619:
	s_mov_b64 s[0:1], -1
                                        ; implicit-def: $vgpr0_vgpr1
.LBB94_1620:
	s_andn2_b64 vcc, exec, s[0:1]
	s_cbranch_vccnz .LBB94_1622
; %bb.1621:
	global_load_dword v0, v[2:3], off
	s_waitcnt vmcnt(0)
	v_ashrrev_i32_e32 v1, 31, v0
.LBB94_1622:
	s_mov_b64 s[0:1], 0
.LBB94_1623:
	s_andn2_b64 vcc, exec, s[0:1]
	s_cbranch_vccnz .LBB94_1625
; %bb.1624:
	global_load_ushort v0, v[2:3], off
	s_waitcnt vmcnt(0)
	v_bfe_i32 v0, v0, 0, 16
	v_ashrrev_i32_e32 v1, 31, v0
.LBB94_1625:
	s_cbranch_execnz .LBB94_1631
.LBB94_1626:
	s_cmp_gt_i32 s16, 0
	s_cbranch_scc0 .LBB94_1628
; %bb.1627:
	global_load_sbyte v0, v[2:3], off
	s_mov_b64 s[0:1], 0
	s_waitcnt vmcnt(0)
	v_bfe_i32 v0, v0, 0, 16
	v_ashrrev_i32_e32 v1, 31, v0
	s_branch .LBB94_1629
.LBB94_1628:
	s_mov_b64 s[0:1], -1
                                        ; implicit-def: $vgpr0_vgpr1
.LBB94_1629:
	s_andn2_b64 vcc, exec, s[0:1]
	s_cbranch_vccnz .LBB94_1631
; %bb.1630:
	global_load_ubyte v0, v[2:3], off
	s_mov_b32 s0, 0
	s_waitcnt vmcnt(1)
	v_mov_b32_e32 v1, s0
	s_waitcnt vmcnt(0)
	v_and_b32_e32 v0, 0xffff, v0
.LBB94_1631:
.LBB94_1632:
	v_mul_lo_u32 v8, s14, v18
	v_mov_b32_e32 v2, s3
	s_and_b32 s25, s15, 0xff
	s_cmp_lt_i32 s25, 11
	v_ashrrev_i32_e32 v3, 31, v8
	v_add_co_u32_e32 v4, vcc, s2, v8
	v_addc_co_u32_e32 v5, vcc, v2, v3, vcc
	s_cbranch_scc1 .LBB94_1639
; %bb.1633:
	s_and_b32 s15, 0xffff, s25
	s_cmp_gt_i32 s15, 25
	s_mov_b64 s[16:17], 0
	s_cbranch_scc0 .LBB94_1641
; %bb.1634:
	s_cmp_gt_i32 s15, 28
	s_cbranch_scc0 .LBB94_1642
; %bb.1635:
	s_cmp_gt_i32 s15, 43
	;; [unrolled: 3-line block ×3, first 2 shown]
	s_cbranch_scc0 .LBB94_1645
; %bb.1637:
	s_cmp_eq_u32 s15, 46
	s_mov_b64 s[22:23], 0
	s_cbranch_scc0 .LBB94_1648
; %bb.1638:
	global_load_dword v2, v[4:5], off
	s_mov_b32 s0, 0x2f800000
	s_mov_b32 s1, 0xcf800000
	s_mov_b64 s[20:21], -1
	s_waitcnt vmcnt(0)
	v_lshlrev_b32_e32 v2, 16, v2
	v_trunc_f32_e32 v2, v2
	v_mul_f32_e64 v3, |v2|, s0
	v_floor_f32_e32 v3, v3
	v_fma_f32 v7, v3, s1, |v2|
	v_cvt_u32_f32_e32 v7, v7
	v_cvt_u32_f32_e32 v3, v3
	v_ashrrev_i32_e32 v9, 31, v2
	s_mov_b64 s[0:1], 0
	v_xor_b32_e32 v2, v7, v9
	v_xor_b32_e32 v3, v3, v9
	v_sub_co_u32_e32 v2, vcc, v2, v9
	v_subb_co_u32_e32 v3, vcc, v3, v9, vcc
	s_branch .LBB94_1649
.LBB94_1639:
	s_mov_b64 s[20:21], 0
                                        ; implicit-def: $vgpr2_vgpr3
	s_cbranch_execnz .LBB94_1710
.LBB94_1640:
	s_andn2_b64 vcc, exec, s[20:21]
	s_cbranch_vccnz .LBB94_2947
	s_branch .LBB94_1757
.LBB94_1641:
	s_mov_b64 s[20:21], 0
	s_mov_b64 s[0:1], 0
                                        ; implicit-def: $vgpr2_vgpr3
	s_cbranch_execnz .LBB94_1678
	s_branch .LBB94_1706
.LBB94_1642:
	s_mov_b64 s[22:23], -1
	s_mov_b64 s[20:21], 0
	s_mov_b64 s[0:1], 0
                                        ; implicit-def: $vgpr2_vgpr3
	s_branch .LBB94_1659
.LBB94_1643:
	s_mov_b64 s[22:23], -1
	s_mov_b64 s[20:21], 0
	s_mov_b64 s[0:1], 0
                                        ; implicit-def: $vgpr2_vgpr3
	s_branch .LBB94_1654
.LBB94_1644:
	s_or_b64 s[18:19], s[6:7], exec
	s_trap 2
	s_cbranch_execz .LBB94_1585
	s_branch .LBB94_1586
.LBB94_1645:
	s_mov_b64 s[22:23], -1
	s_mov_b64 s[20:21], 0
	s_mov_b64 s[0:1], 0
                                        ; implicit-def: $vgpr2_vgpr3
	s_branch .LBB94_1649
.LBB94_1646:
	s_andn2_saveexec_b64 s[28:29], s[28:29]
	s_cbranch_execz .LBB94_1437
.LBB94_1647:
	s_mov_b32 s34, 0x42800000
	v_add_f32_e64 v1, |v0|, s34
	v_and_b32_e32 v1, 0xff, v1
	v_cmp_ne_u32_e32 vcc, 0, v1
	s_andn2_b64 s[26:27], s[26:27], exec
	s_and_b64 s[34:35], vcc, exec
	s_or_b64 s[26:27], s[26:27], s[34:35]
	s_or_b64 exec, exec, s[28:29]
	v_mov_b32_e32 v6, 0
	s_and_saveexec_b64 s[28:29], s[26:27]
	s_cbranch_execnz .LBB94_1438
	s_branch .LBB94_1439
.LBB94_1648:
	s_mov_b64 s[0:1], -1
                                        ; implicit-def: $vgpr2_vgpr3
	s_mov_b64 s[20:21], 0
.LBB94_1649:
	s_and_b64 vcc, exec, s[22:23]
	s_cbranch_vccz .LBB94_1653
; %bb.1650:
	s_cmp_eq_u32 s15, 44
	s_cbranch_scc0 .LBB94_1652
; %bb.1651:
	global_load_ubyte v2, v[4:5], off
	s_mov_b32 s0, 0x2f800000
	s_mov_b32 s1, 0xcf800000
	s_mov_b64 s[20:21], -1
	s_waitcnt vmcnt(0)
	v_lshlrev_b32_e32 v3, 23, v2
	v_trunc_f32_e32 v3, v3
	v_mul_f32_e64 v7, |v3|, s0
	v_floor_f32_e32 v7, v7
	v_fma_f32 v9, v7, s1, |v3|
	v_cvt_u32_f32_e32 v9, v9
	v_cvt_u32_f32_e32 v7, v7
	v_ashrrev_i32_e32 v3, 31, v3
	s_mov_b64 s[0:1], 0
	v_xor_b32_e32 v9, v9, v3
	v_xor_b32_e32 v7, v7, v3
	v_sub_co_u32_e32 v9, vcc, v9, v3
	v_subb_co_u32_e32 v3, vcc, v7, v3, vcc
	v_cmp_ne_u32_e32 vcc, 0, v2
	v_cndmask_b32_e32 v3, 0, v3, vcc
	v_cndmask_b32_e32 v2, 0, v9, vcc
	s_branch .LBB94_1653
.LBB94_1652:
	s_mov_b64 s[0:1], -1
                                        ; implicit-def: $vgpr2_vgpr3
.LBB94_1653:
	s_mov_b64 s[22:23], 0
.LBB94_1654:
	s_and_b64 vcc, exec, s[22:23]
	s_cbranch_vccz .LBB94_1658
; %bb.1655:
	s_cmp_eq_u32 s15, 29
	s_cbranch_scc0 .LBB94_1657
; %bb.1656:
	global_load_dwordx2 v[2:3], v[4:5], off
	s_mov_b64 s[0:1], 0
	s_mov_b64 s[20:21], -1
	s_branch .LBB94_1658
.LBB94_1657:
	s_mov_b64 s[0:1], -1
                                        ; implicit-def: $vgpr2_vgpr3
.LBB94_1658:
	s_mov_b64 s[22:23], 0
.LBB94_1659:
	s_and_b64 vcc, exec, s[22:23]
	s_cbranch_vccz .LBB94_1677
; %bb.1660:
	s_cmp_lt_i32 s15, 27
	s_cbranch_scc1 .LBB94_1663
; %bb.1661:
	s_cmp_gt_i32 s15, 27
	s_cbranch_scc0 .LBB94_1664
; %bb.1662:
	global_load_dword v2, v[4:5], off
	s_waitcnt vmcnt(1)
	v_mov_b32_e32 v3, 0
	s_mov_b64 s[20:21], 0
	s_branch .LBB94_1665
.LBB94_1663:
	s_mov_b64 s[20:21], -1
                                        ; implicit-def: $vgpr2_vgpr3
	s_branch .LBB94_1668
.LBB94_1664:
	s_mov_b64 s[20:21], -1
                                        ; implicit-def: $vgpr2_vgpr3
.LBB94_1665:
	s_andn2_b64 vcc, exec, s[20:21]
	s_cbranch_vccnz .LBB94_1667
; %bb.1666:
	global_load_ushort v2, v[4:5], off
	s_mov_b32 s20, 0
	s_waitcnt vmcnt(1)
	v_mov_b32_e32 v3, s20
	s_waitcnt vmcnt(0)
	v_and_b32_e32 v2, 0xffff, v2
.LBB94_1667:
	s_mov_b64 s[20:21], 0
.LBB94_1668:
	s_andn2_b64 vcc, exec, s[20:21]
	s_cbranch_vccnz .LBB94_1676
; %bb.1669:
	global_load_ubyte v7, v[4:5], off
	s_movk_i32 s20, 0x7f
	s_mov_b64 s[22:23], 0
	s_waitcnt vmcnt(0)
	v_cmp_lt_i16_e32 vcc, s20, v7
	s_and_saveexec_b64 s[20:21], vcc
	s_xor_b64 s[20:21], exec, s[20:21]
; %bb.1670:
	s_movk_i32 s22, 0x80
	v_cmp_ne_u16_e32 vcc, s22, v7
	s_and_b64 s[22:23], vcc, exec
; %bb.1671:
	s_andn2_saveexec_b64 s[20:21], s[20:21]
; %bb.1672:
	v_cmp_ne_u16_e32 vcc, 0, v7
	s_andn2_b64 s[22:23], s[22:23], exec
	s_and_b64 s[26:27], vcc, exec
	s_or_b64 s[22:23], s[22:23], s[26:27]
; %bb.1673:
	s_or_b64 exec, exec, s[20:21]
	v_mov_b32_e32 v2, 0
	v_mov_b32_e32 v3, 0
	s_and_saveexec_b64 s[20:21], s[22:23]
	s_cbranch_execz .LBB94_1675
; %bb.1674:
	v_and_b32_e32 v3, 0xffff, v7
	v_lshlrev_b32_e32 v2, 24, v7
	v_and_b32_e32 v7, 7, v3
	v_ffbh_u32_e32 v10, v7
	v_min_u32_e32 v10, 32, v10
	v_subrev_u32_e32 v11, 28, v10
	v_bfe_u32 v9, v3, 3, 4
	v_lshlrev_b32_e32 v3, v11, v3
	v_sub_u32_e32 v10, 29, v10
	v_and_b32_e32 v3, 7, v3
	v_cmp_eq_u32_e32 vcc, 0, v9
	v_cndmask_b32_e32 v9, v9, v10, vcc
	v_cndmask_b32_e32 v3, v7, v3, vcc
	v_mov_b32_e32 v7, 0x3b800000
	v_lshlrev_b32_e32 v3, 20, v3
	v_and_b32_e32 v2, 0x80000000, v2
	v_lshl_add_u32 v7, v9, 23, v7
	v_or3_b32 v2, v2, v7, v3
	v_trunc_f32_e32 v2, v2
	s_mov_b32 s22, 0x2f800000
	v_mul_f32_e64 v3, |v2|, s22
	v_floor_f32_e32 v3, v3
	s_mov_b32 s22, 0xcf800000
	v_fma_f32 v7, v3, s22, |v2|
	v_cvt_u32_f32_e32 v7, v7
	v_cvt_u32_f32_e32 v3, v3
	v_ashrrev_i32_e32 v9, 31, v2
	v_xor_b32_e32 v2, v7, v9
	v_xor_b32_e32 v3, v3, v9
	v_sub_co_u32_e32 v2, vcc, v2, v9
	v_subb_co_u32_e32 v3, vcc, v3, v9, vcc
.LBB94_1675:
	s_or_b64 exec, exec, s[20:21]
.LBB94_1676:
	s_mov_b64 s[20:21], -1
.LBB94_1677:
	s_branch .LBB94_1706
.LBB94_1678:
	s_cmp_gt_i32 s15, 22
	s_cbranch_scc0 .LBB94_1688
; %bb.1679:
	s_cmp_lt_i32 s15, 24
	s_cbranch_scc1 .LBB94_1689
; %bb.1680:
	s_cmp_gt_i32 s15, 24
	s_cbranch_scc0 .LBB94_1690
; %bb.1681:
	global_load_ubyte v7, v[4:5], off
	s_movk_i32 s16, 0x7f
	s_mov_b64 s[20:21], 0
	s_waitcnt vmcnt(0)
	v_cmp_lt_i16_e32 vcc, s16, v7
	s_and_saveexec_b64 s[16:17], vcc
	s_xor_b64 s[16:17], exec, s[16:17]
; %bb.1682:
	s_movk_i32 s20, 0x80
	v_cmp_ne_u16_e32 vcc, s20, v7
	s_and_b64 s[20:21], vcc, exec
; %bb.1683:
	s_andn2_saveexec_b64 s[16:17], s[16:17]
; %bb.1684:
	v_cmp_ne_u16_e32 vcc, 0, v7
	s_andn2_b64 s[20:21], s[20:21], exec
	s_and_b64 s[22:23], vcc, exec
	s_or_b64 s[20:21], s[20:21], s[22:23]
; %bb.1685:
	s_or_b64 exec, exec, s[16:17]
	v_mov_b32_e32 v2, 0
	v_mov_b32_e32 v3, 0
	s_and_saveexec_b64 s[16:17], s[20:21]
	s_cbranch_execz .LBB94_1687
; %bb.1686:
	v_and_b32_e32 v3, 0xffff, v7
	v_lshlrev_b32_e32 v2, 24, v7
	v_and_b32_e32 v7, 3, v3
	v_ffbh_u32_e32 v10, v7
	v_min_u32_e32 v10, 32, v10
	v_subrev_u32_e32 v11, 29, v10
	v_bfe_u32 v9, v3, 2, 5
	v_lshlrev_b32_e32 v3, v11, v3
	v_sub_u32_e32 v10, 30, v10
	v_and_b32_e32 v3, 3, v3
	v_cmp_eq_u32_e32 vcc, 0, v9
	v_cndmask_b32_e32 v9, v9, v10, vcc
	v_cndmask_b32_e32 v3, v7, v3, vcc
	v_mov_b32_e32 v7, 0x37800000
	v_lshlrev_b32_e32 v3, 21, v3
	v_and_b32_e32 v2, 0x80000000, v2
	v_lshl_add_u32 v7, v9, 23, v7
	v_or3_b32 v2, v2, v7, v3
	v_trunc_f32_e32 v2, v2
	s_mov_b32 s20, 0x2f800000
	v_mul_f32_e64 v3, |v2|, s20
	v_floor_f32_e32 v3, v3
	s_mov_b32 s20, 0xcf800000
	v_fma_f32 v7, v3, s20, |v2|
	v_cvt_u32_f32_e32 v7, v7
	v_cvt_u32_f32_e32 v3, v3
	v_ashrrev_i32_e32 v9, 31, v2
	v_xor_b32_e32 v2, v7, v9
	v_xor_b32_e32 v3, v3, v9
	v_sub_co_u32_e32 v2, vcc, v2, v9
	v_subb_co_u32_e32 v3, vcc, v3, v9, vcc
.LBB94_1687:
	s_or_b64 exec, exec, s[16:17]
	s_mov_b64 s[16:17], 0
	s_branch .LBB94_1691
.LBB94_1688:
	s_mov_b64 s[16:17], -1
                                        ; implicit-def: $vgpr2_vgpr3
	s_branch .LBB94_1697
.LBB94_1689:
	s_mov_b64 s[16:17], -1
                                        ; implicit-def: $vgpr2_vgpr3
	s_branch .LBB94_1694
.LBB94_1690:
	s_mov_b64 s[16:17], -1
                                        ; implicit-def: $vgpr2_vgpr3
.LBB94_1691:
	s_and_b64 vcc, exec, s[16:17]
	s_cbranch_vccz .LBB94_1693
; %bb.1692:
	global_load_ubyte v2, v[4:5], off
	s_mov_b32 s16, 0x7f800000
	s_brev_b32 s17, 1
	s_mov_b32 s20, 0x2f800000
	s_mov_b32 s21, 0xcf800000
	s_waitcnt vmcnt(0)
	v_lshlrev_b32_e32 v2, 24, v2
	v_and_b32_e32 v3, 0x7f000000, v2
	v_ffbh_u32_e32 v7, v3
	v_min_u32_e32 v7, 32, v7
	v_sub_u32_e64 v7, v7, 4 clamp
	v_lshlrev_b32_e32 v10, v7, v3
	v_lshlrev_b32_e32 v7, 23, v7
	v_lshrrev_b32_e32 v10, 4, v10
	v_add_u32_e32 v9, 0x1000000, v3
	v_sub_u32_e32 v7, v10, v7
	v_ashrrev_i32_e32 v9, 8, v9
	v_add_u32_e32 v7, 0x3c000000, v7
	v_and_or_b32 v7, v9, s16, v7
	v_cmp_ne_u32_e32 vcc, 0, v3
	v_cndmask_b32_e32 v3, 0, v7, vcc
	v_and_or_b32 v2, v2, s17, v3
	v_trunc_f32_e32 v2, v2
	v_mul_f32_e64 v3, |v2|, s20
	v_floor_f32_e32 v3, v3
	v_fma_f32 v7, v3, s21, |v2|
	v_cvt_u32_f32_e32 v7, v7
	v_cvt_u32_f32_e32 v3, v3
	v_ashrrev_i32_e32 v9, 31, v2
	v_xor_b32_e32 v2, v7, v9
	v_xor_b32_e32 v3, v3, v9
	v_sub_co_u32_e32 v2, vcc, v2, v9
	v_subb_co_u32_e32 v3, vcc, v3, v9, vcc
.LBB94_1693:
	s_mov_b64 s[16:17], 0
.LBB94_1694:
	s_andn2_b64 vcc, exec, s[16:17]
	s_cbranch_vccnz .LBB94_1696
; %bb.1695:
	global_load_ubyte v2, v[4:5], off
	s_movk_i32 s16, 0x7f00
	s_brev_b32 s17, 16
	s_brev_b32 s20, 1
	s_mov_b32 s21, 0x2f800000
	s_mov_b32 s22, 0xcf800000
	s_waitcnt vmcnt(0)
	v_lshlrev_b16_e32 v3, 8, v2
	v_lshlrev_b32_e32 v2, 25, v2
	v_lshrrev_b32_e32 v7, 4, v2
	v_and_or_b32 v9, v3, s16, 0.5
	v_or_b32_e32 v7, 0x70000000, v7
	v_add_f32_e32 v9, -0.5, v9
	v_mul_f32_e32 v7, 0x7800000, v7
	v_cmp_gt_u32_e32 vcc, s17, v2
	v_bfe_i32 v3, v3, 0, 16
	v_cndmask_b32_e32 v2, v7, v9, vcc
	v_and_or_b32 v2, v3, s20, v2
	v_trunc_f32_e32 v2, v2
	v_mul_f32_e64 v3, |v2|, s21
	v_floor_f32_e32 v3, v3
	v_fma_f32 v7, v3, s22, |v2|
	v_cvt_u32_f32_e32 v7, v7
	v_cvt_u32_f32_e32 v3, v3
	v_ashrrev_i32_e32 v9, 31, v2
	v_xor_b32_e32 v2, v7, v9
	v_xor_b32_e32 v3, v3, v9
	v_sub_co_u32_e32 v2, vcc, v2, v9
	v_subb_co_u32_e32 v3, vcc, v3, v9, vcc
.LBB94_1696:
	s_mov_b64 s[16:17], 0
	s_mov_b64 s[20:21], -1
.LBB94_1697:
	s_andn2_b64 vcc, exec, s[16:17]
	s_mov_b64 s[16:17], 0
	s_cbranch_vccnz .LBB94_1706
; %bb.1698:
	s_cmp_gt_i32 s15, 14
	s_cbranch_scc0 .LBB94_1701
; %bb.1699:
	s_cmp_eq_u32 s15, 15
	s_cbranch_scc0 .LBB94_1702
; %bb.1700:
	global_load_ushort v2, v[4:5], off
	s_mov_b32 s0, 0x2f800000
	s_mov_b32 s1, 0xcf800000
	s_mov_b64 s[20:21], -1
	s_waitcnt vmcnt(0)
	v_lshlrev_b32_e32 v2, 16, v2
	v_trunc_f32_e32 v2, v2
	v_mul_f32_e64 v3, |v2|, s0
	v_floor_f32_e32 v3, v3
	v_fma_f32 v7, v3, s1, |v2|
	v_cvt_u32_f32_e32 v7, v7
	v_cvt_u32_f32_e32 v3, v3
	v_ashrrev_i32_e32 v9, 31, v2
	s_mov_b64 s[0:1], 0
	v_xor_b32_e32 v2, v7, v9
	v_xor_b32_e32 v3, v3, v9
	v_sub_co_u32_e32 v2, vcc, v2, v9
	v_subb_co_u32_e32 v3, vcc, v3, v9, vcc
	s_branch .LBB94_1703
.LBB94_1701:
	s_mov_b64 s[22:23], -1
                                        ; implicit-def: $vgpr2_vgpr3
	s_branch .LBB94_1704
.LBB94_1702:
	s_mov_b64 s[0:1], -1
                                        ; implicit-def: $vgpr2_vgpr3
.LBB94_1703:
	s_mov_b64 s[22:23], 0
.LBB94_1704:
	s_and_b64 vcc, exec, s[22:23]
	s_cbranch_vccz .LBB94_1706
; %bb.1705:
	s_cmp_lg_u32 s15, 11
	s_mov_b64 s[16:17], -1
	s_cselect_b64 s[0:1], -1, 0
.LBB94_1706:
	s_and_b64 vcc, exec, s[0:1]
	s_cbranch_vccnz .LBB94_1769
; %bb.1707:
	s_andn2_b64 vcc, exec, s[16:17]
	s_cbranch_vccnz .LBB94_1709
.LBB94_1708:
	global_load_ubyte v2, v[4:5], off
	s_mov_b32 s0, 0
	s_waitcnt vmcnt(1)
	v_mov_b32_e32 v3, s0
	s_mov_b64 s[20:21], -1
	s_waitcnt vmcnt(0)
	v_cmp_ne_u16_e32 vcc, 0, v2
	v_cndmask_b32_e64 v2, 0, 1, vcc
.LBB94_1709:
	s_branch .LBB94_1640
.LBB94_1710:
	s_and_b32 s15, 0xffff, s25
	s_cmp_lt_i32 s15, 5
	s_cbranch_scc1 .LBB94_1715
; %bb.1711:
	s_cmp_lt_i32 s15, 8
	s_cbranch_scc1 .LBB94_1716
; %bb.1712:
	;; [unrolled: 3-line block ×3, first 2 shown]
	s_cmp_gt_i32 s15, 9
	s_cbranch_scc0 .LBB94_1718
; %bb.1714:
	global_load_dwordx2 v[2:3], v[4:5], off
	s_movk_i32 s0, 0xffe0
	s_waitcnt vmcnt(0)
	v_trunc_f64_e32 v[2:3], v[2:3]
	v_ldexp_f64 v[9:10], v[2:3], s0
	s_mov_b32 s0, 0
	s_mov_b32 s1, 0xc1f00000
	v_floor_f64_e32 v[9:10], v[9:10]
	v_fma_f64 v[11:12], v[9:10], s[0:1], v[2:3]
	v_cvt_i32_f64_e32 v3, v[9:10]
	s_mov_b64 s[0:1], 0
	v_cvt_u32_f64_e32 v2, v[11:12]
	s_branch .LBB94_1719
.LBB94_1715:
                                        ; implicit-def: $vgpr2_vgpr3
	s_branch .LBB94_1737
.LBB94_1716:
	s_mov_b64 s[0:1], -1
                                        ; implicit-def: $vgpr2_vgpr3
	s_branch .LBB94_1725
.LBB94_1717:
	s_mov_b64 s[0:1], -1
                                        ; implicit-def: $vgpr2_vgpr3
	s_branch .LBB94_1722
.LBB94_1718:
	s_mov_b64 s[0:1], -1
                                        ; implicit-def: $vgpr2_vgpr3
.LBB94_1719:
	s_andn2_b64 vcc, exec, s[0:1]
	s_cbranch_vccnz .LBB94_1721
; %bb.1720:
	global_load_dword v2, v[4:5], off
	s_mov_b32 s0, 0x2f800000
	s_mov_b32 s1, 0xcf800000
	s_waitcnt vmcnt(0)
	v_trunc_f32_e32 v2, v2
	v_mul_f32_e64 v3, |v2|, s0
	v_floor_f32_e32 v3, v3
	v_cvt_u32_f32_e32 v7, v3
	v_fma_f32 v3, v3, s1, |v2|
	v_cvt_u32_f32_e32 v3, v3
	v_ashrrev_i32_e32 v9, 31, v2
	v_xor_b32_e32 v7, v7, v9
	v_xor_b32_e32 v2, v3, v9
	v_sub_co_u32_e32 v2, vcc, v2, v9
	v_subb_co_u32_e32 v3, vcc, v7, v9, vcc
.LBB94_1721:
	s_mov_b64 s[0:1], 0
.LBB94_1722:
	s_andn2_b64 vcc, exec, s[0:1]
	s_cbranch_vccnz .LBB94_1724
; %bb.1723:
	global_load_dword v2, v[4:5], off
	s_waitcnt vmcnt(0)
	v_cvt_f32_f16_e32 v2, v2
	v_cvt_i32_f32_e32 v2, v2
	v_ashrrev_i32_e32 v3, 31, v2
.LBB94_1724:
	s_mov_b64 s[0:1], 0
.LBB94_1725:
	s_andn2_b64 vcc, exec, s[0:1]
	s_cbranch_vccnz .LBB94_1736
; %bb.1726:
	s_cmp_lt_i32 s15, 6
	s_cbranch_scc1 .LBB94_1729
; %bb.1727:
	s_cmp_gt_i32 s15, 6
	s_cbranch_scc0 .LBB94_1730
; %bb.1728:
	global_load_dwordx2 v[2:3], v[4:5], off
	s_movk_i32 s0, 0xffe0
	s_waitcnt vmcnt(0)
	v_trunc_f64_e32 v[2:3], v[2:3]
	v_ldexp_f64 v[9:10], v[2:3], s0
	s_mov_b32 s0, 0
	s_mov_b32 s1, 0xc1f00000
	v_floor_f64_e32 v[9:10], v[9:10]
	v_fma_f64 v[11:12], v[9:10], s[0:1], v[2:3]
	v_cvt_i32_f64_e32 v3, v[9:10]
	s_mov_b64 s[0:1], 0
	v_cvt_u32_f64_e32 v2, v[11:12]
	s_branch .LBB94_1731
.LBB94_1729:
	s_mov_b64 s[0:1], -1
                                        ; implicit-def: $vgpr2_vgpr3
	s_branch .LBB94_1734
.LBB94_1730:
	s_mov_b64 s[0:1], -1
                                        ; implicit-def: $vgpr2_vgpr3
.LBB94_1731:
	s_andn2_b64 vcc, exec, s[0:1]
	s_cbranch_vccnz .LBB94_1733
; %bb.1732:
	global_load_dword v2, v[4:5], off
	s_mov_b32 s0, 0x2f800000
	s_mov_b32 s1, 0xcf800000
	s_waitcnt vmcnt(0)
	v_trunc_f32_e32 v2, v2
	v_mul_f32_e64 v3, |v2|, s0
	v_floor_f32_e32 v3, v3
	v_cvt_u32_f32_e32 v7, v3
	v_fma_f32 v3, v3, s1, |v2|
	v_cvt_u32_f32_e32 v3, v3
	v_ashrrev_i32_e32 v9, 31, v2
	v_xor_b32_e32 v7, v7, v9
	v_xor_b32_e32 v2, v3, v9
	v_sub_co_u32_e32 v2, vcc, v2, v9
	v_subb_co_u32_e32 v3, vcc, v7, v9, vcc
.LBB94_1733:
	s_mov_b64 s[0:1], 0
.LBB94_1734:
	s_andn2_b64 vcc, exec, s[0:1]
	s_cbranch_vccnz .LBB94_1736
; %bb.1735:
	global_load_ushort v2, v[4:5], off
	s_waitcnt vmcnt(0)
	v_cvt_f32_f16_e32 v2, v2
	v_cvt_i32_f32_e32 v2, v2
	v_ashrrev_i32_e32 v3, 31, v2
.LBB94_1736:
	s_cbranch_execnz .LBB94_1756
.LBB94_1737:
	s_cmp_lt_i32 s15, 2
	s_cbranch_scc1 .LBB94_1741
; %bb.1738:
	s_cmp_lt_i32 s15, 3
	s_cbranch_scc1 .LBB94_1742
; %bb.1739:
	s_cmp_gt_i32 s15, 3
	s_cbranch_scc0 .LBB94_1743
; %bb.1740:
	global_load_dwordx2 v[2:3], v[4:5], off
	s_mov_b64 s[0:1], 0
	s_branch .LBB94_1744
.LBB94_1741:
	s_mov_b64 s[0:1], -1
                                        ; implicit-def: $vgpr2_vgpr3
	s_branch .LBB94_1750
.LBB94_1742:
	s_mov_b64 s[0:1], -1
                                        ; implicit-def: $vgpr2_vgpr3
	s_branch .LBB94_1747
.LBB94_1743:
	s_mov_b64 s[0:1], -1
                                        ; implicit-def: $vgpr2_vgpr3
.LBB94_1744:
	s_andn2_b64 vcc, exec, s[0:1]
	s_cbranch_vccnz .LBB94_1746
; %bb.1745:
	global_load_dword v2, v[4:5], off
	s_waitcnt vmcnt(0)
	v_ashrrev_i32_e32 v3, 31, v2
.LBB94_1746:
	s_mov_b64 s[0:1], 0
.LBB94_1747:
	s_andn2_b64 vcc, exec, s[0:1]
	s_cbranch_vccnz .LBB94_1749
; %bb.1748:
	global_load_ushort v2, v[4:5], off
	s_waitcnt vmcnt(0)
	v_bfe_i32 v2, v2, 0, 16
	v_ashrrev_i32_e32 v3, 31, v2
.LBB94_1749:
	s_mov_b64 s[0:1], 0
.LBB94_1750:
	s_andn2_b64 vcc, exec, s[0:1]
	s_cbranch_vccnz .LBB94_1756
; %bb.1751:
	s_cmp_gt_i32 s15, 0
	s_cbranch_scc0 .LBB94_1753
; %bb.1752:
	global_load_sbyte v2, v[4:5], off
	s_mov_b64 s[0:1], 0
	s_waitcnt vmcnt(0)
	v_bfe_i32 v2, v2, 0, 16
	v_ashrrev_i32_e32 v3, 31, v2
	s_branch .LBB94_1754
.LBB94_1753:
	s_mov_b64 s[0:1], -1
                                        ; implicit-def: $vgpr2_vgpr3
.LBB94_1754:
	s_andn2_b64 vcc, exec, s[0:1]
	s_cbranch_vccnz .LBB94_1756
; %bb.1755:
	global_load_ubyte v2, v[4:5], off
	s_mov_b32 s0, 0
	s_waitcnt vmcnt(1)
	v_mov_b32_e32 v3, s0
	s_waitcnt vmcnt(0)
	v_and_b32_e32 v2, 0xffff, v2
.LBB94_1756:
.LBB94_1757:
	s_lshl_b32 s13, s13, 7
	v_add_u32_e32 v10, s13, v6
	v_ashrrev_i32_e32 v4, 31, v10
	v_mov_b32_e32 v5, s11
	v_add_co_u32_e32 v6, vcc, s10, v10
	s_cmp_lt_i32 s24, 11
	v_addc_co_u32_e32 v7, vcc, v5, v4, vcc
	s_cbranch_scc1 .LBB94_1764
; %bb.1758:
	s_and_b32 s15, 0xffff, s24
	s_cmp_gt_i32 s15, 25
	s_mov_b64 s[16:17], 0
	s_cbranch_scc0 .LBB94_1766
; %bb.1759:
	s_cmp_gt_i32 s15, 28
	s_cbranch_scc0 .LBB94_1767
; %bb.1760:
	s_cmp_gt_i32 s15, 43
	;; [unrolled: 3-line block ×3, first 2 shown]
	s_cbranch_scc0 .LBB94_1770
; %bb.1762:
	s_cmp_eq_u32 s15, 46
	s_mov_b64 s[22:23], 0
	s_cbranch_scc0 .LBB94_1771
; %bb.1763:
	global_load_dword v4, v[6:7], off
	s_mov_b32 s0, 0x2f800000
	s_mov_b32 s1, 0xcf800000
	s_mov_b64 s[20:21], -1
	s_waitcnt vmcnt(0)
	v_lshlrev_b32_e32 v4, 16, v4
	v_trunc_f32_e32 v4, v4
	v_mul_f32_e64 v5, |v4|, s0
	v_floor_f32_e32 v5, v5
	v_fma_f32 v9, v5, s1, |v4|
	v_cvt_u32_f32_e32 v9, v9
	v_cvt_u32_f32_e32 v5, v5
	v_ashrrev_i32_e32 v11, 31, v4
	s_mov_b64 s[0:1], 0
	v_xor_b32_e32 v4, v9, v11
	v_xor_b32_e32 v5, v5, v11
	v_sub_co_u32_e32 v4, vcc, v4, v11
	v_subb_co_u32_e32 v5, vcc, v5, v11, vcc
	s_branch .LBB94_1772
.LBB94_1764:
	s_mov_b64 s[20:21], 0
                                        ; implicit-def: $vgpr4_vgpr5
	s_cbranch_execnz .LBB94_1834
.LBB94_1765:
	s_andn2_b64 vcc, exec, s[20:21]
	s_cbranch_vccnz .LBB94_2947
	s_branch .LBB94_1882
.LBB94_1766:
	s_mov_b64 s[22:23], -1
	s_mov_b64 s[20:21], 0
	s_mov_b64 s[0:1], 0
                                        ; implicit-def: $vgpr4_vgpr5
	s_branch .LBB94_1801
.LBB94_1767:
	s_mov_b64 s[22:23], -1
	s_mov_b64 s[20:21], 0
	s_mov_b64 s[0:1], 0
                                        ; implicit-def: $vgpr4_vgpr5
	s_branch .LBB94_1782
.LBB94_1768:
	s_mov_b64 s[22:23], -1
	s_mov_b64 s[20:21], 0
	s_mov_b64 s[0:1], 0
                                        ; implicit-def: $vgpr4_vgpr5
	s_branch .LBB94_1777
.LBB94_1769:
	s_trap 2
	s_or_b64 s[18:19], s[18:19], exec
	s_cbranch_execz .LBB94_1708
	s_branch .LBB94_1709
.LBB94_1770:
	s_mov_b64 s[22:23], -1
	s_mov_b64 s[20:21], 0
	s_mov_b64 s[0:1], 0
                                        ; implicit-def: $vgpr4_vgpr5
	s_branch .LBB94_1772
.LBB94_1771:
	s_mov_b64 s[0:1], -1
                                        ; implicit-def: $vgpr4_vgpr5
	s_mov_b64 s[20:21], 0
.LBB94_1772:
	s_and_b64 vcc, exec, s[22:23]
	s_cbranch_vccz .LBB94_1776
; %bb.1773:
	s_cmp_eq_u32 s15, 44
	s_cbranch_scc0 .LBB94_1775
; %bb.1774:
	global_load_ubyte v4, v[6:7], off
	s_mov_b32 s0, 0x2f800000
	s_mov_b32 s1, 0xcf800000
	s_mov_b64 s[20:21], -1
	s_waitcnt vmcnt(0)
	v_lshlrev_b32_e32 v5, 23, v4
	v_trunc_f32_e32 v5, v5
	v_mul_f32_e64 v9, |v5|, s0
	v_floor_f32_e32 v9, v9
	v_fma_f32 v11, v9, s1, |v5|
	v_cvt_u32_f32_e32 v11, v11
	v_cvt_u32_f32_e32 v9, v9
	v_ashrrev_i32_e32 v5, 31, v5
	s_mov_b64 s[0:1], 0
	v_xor_b32_e32 v11, v11, v5
	v_xor_b32_e32 v9, v9, v5
	v_sub_co_u32_e32 v11, vcc, v11, v5
	v_subb_co_u32_e32 v5, vcc, v9, v5, vcc
	v_cmp_ne_u32_e32 vcc, 0, v4
	v_cndmask_b32_e32 v5, 0, v5, vcc
	v_cndmask_b32_e32 v4, 0, v11, vcc
	s_branch .LBB94_1776
.LBB94_1775:
	s_mov_b64 s[0:1], -1
                                        ; implicit-def: $vgpr4_vgpr5
.LBB94_1776:
	s_mov_b64 s[22:23], 0
.LBB94_1777:
	s_and_b64 vcc, exec, s[22:23]
	s_cbranch_vccz .LBB94_1781
; %bb.1778:
	s_cmp_eq_u32 s15, 29
	s_cbranch_scc0 .LBB94_1780
; %bb.1779:
	global_load_dwordx2 v[4:5], v[6:7], off
	s_mov_b64 s[0:1], 0
	s_mov_b64 s[20:21], -1
	s_branch .LBB94_1781
.LBB94_1780:
	s_mov_b64 s[0:1], -1
                                        ; implicit-def: $vgpr4_vgpr5
.LBB94_1781:
	s_mov_b64 s[22:23], 0
.LBB94_1782:
	s_and_b64 vcc, exec, s[22:23]
	s_cbranch_vccz .LBB94_1800
; %bb.1783:
	s_cmp_lt_i32 s15, 27
	s_cbranch_scc1 .LBB94_1786
; %bb.1784:
	s_cmp_gt_i32 s15, 27
	s_cbranch_scc0 .LBB94_1787
; %bb.1785:
	global_load_dword v4, v[6:7], off
	s_waitcnt vmcnt(1)
	v_mov_b32_e32 v5, 0
	s_mov_b64 s[20:21], 0
	s_branch .LBB94_1788
.LBB94_1786:
	s_mov_b64 s[20:21], -1
                                        ; implicit-def: $vgpr4_vgpr5
	s_branch .LBB94_1791
.LBB94_1787:
	s_mov_b64 s[20:21], -1
                                        ; implicit-def: $vgpr4_vgpr5
.LBB94_1788:
	s_andn2_b64 vcc, exec, s[20:21]
	s_cbranch_vccnz .LBB94_1790
; %bb.1789:
	global_load_ushort v4, v[6:7], off
	s_mov_b32 s20, 0
	s_waitcnt vmcnt(1)
	v_mov_b32_e32 v5, s20
	s_waitcnt vmcnt(0)
	v_and_b32_e32 v4, 0xffff, v4
.LBB94_1790:
	s_mov_b64 s[20:21], 0
.LBB94_1791:
	s_andn2_b64 vcc, exec, s[20:21]
	s_cbranch_vccnz .LBB94_1799
; %bb.1792:
	global_load_ubyte v9, v[6:7], off
	s_movk_i32 s20, 0x7f
	s_mov_b64 s[22:23], 0
	s_waitcnt vmcnt(0)
	v_cmp_lt_i16_e32 vcc, s20, v9
	s_and_saveexec_b64 s[20:21], vcc
	s_xor_b64 s[20:21], exec, s[20:21]
; %bb.1793:
	s_movk_i32 s22, 0x80
	v_cmp_ne_u16_e32 vcc, s22, v9
	s_and_b64 s[22:23], vcc, exec
; %bb.1794:
	s_andn2_saveexec_b64 s[20:21], s[20:21]
; %bb.1795:
	v_cmp_ne_u16_e32 vcc, 0, v9
	s_andn2_b64 s[22:23], s[22:23], exec
	s_and_b64 s[26:27], vcc, exec
	s_or_b64 s[22:23], s[22:23], s[26:27]
; %bb.1796:
	s_or_b64 exec, exec, s[20:21]
	v_mov_b32_e32 v4, 0
	v_mov_b32_e32 v5, 0
	s_and_saveexec_b64 s[20:21], s[22:23]
	s_cbranch_execz .LBB94_1798
; %bb.1797:
	v_and_b32_e32 v5, 0xffff, v9
	v_lshlrev_b32_e32 v4, 24, v9
	v_and_b32_e32 v9, 7, v5
	v_ffbh_u32_e32 v12, v9
	v_min_u32_e32 v12, 32, v12
	v_subrev_u32_e32 v13, 28, v12
	v_bfe_u32 v11, v5, 3, 4
	v_lshlrev_b32_e32 v5, v13, v5
	v_sub_u32_e32 v12, 29, v12
	v_and_b32_e32 v5, 7, v5
	v_cmp_eq_u32_e32 vcc, 0, v11
	v_cndmask_b32_e32 v11, v11, v12, vcc
	v_cndmask_b32_e32 v5, v9, v5, vcc
	v_mov_b32_e32 v9, 0x3b800000
	v_lshlrev_b32_e32 v5, 20, v5
	v_and_b32_e32 v4, 0x80000000, v4
	v_lshl_add_u32 v9, v11, 23, v9
	v_or3_b32 v4, v4, v9, v5
	v_trunc_f32_e32 v4, v4
	s_mov_b32 s22, 0x2f800000
	v_mul_f32_e64 v5, |v4|, s22
	v_floor_f32_e32 v5, v5
	s_mov_b32 s22, 0xcf800000
	v_fma_f32 v9, v5, s22, |v4|
	v_cvt_u32_f32_e32 v9, v9
	v_cvt_u32_f32_e32 v5, v5
	v_ashrrev_i32_e32 v11, 31, v4
	v_xor_b32_e32 v4, v9, v11
	v_xor_b32_e32 v5, v5, v11
	v_sub_co_u32_e32 v4, vcc, v4, v11
	v_subb_co_u32_e32 v5, vcc, v5, v11, vcc
.LBB94_1798:
	s_or_b64 exec, exec, s[20:21]
.LBB94_1799:
	s_mov_b64 s[20:21], -1
.LBB94_1800:
	s_mov_b64 s[22:23], 0
.LBB94_1801:
	s_and_b64 vcc, exec, s[22:23]
	s_cbranch_vccz .LBB94_1830
; %bb.1802:
	s_cmp_gt_i32 s15, 22
	s_cbranch_scc0 .LBB94_1812
; %bb.1803:
	s_cmp_lt_i32 s15, 24
	s_cbranch_scc1 .LBB94_1813
; %bb.1804:
	s_cmp_gt_i32 s15, 24
	s_cbranch_scc0 .LBB94_1814
; %bb.1805:
	global_load_ubyte v9, v[6:7], off
	s_movk_i32 s16, 0x7f
	s_mov_b64 s[20:21], 0
	s_waitcnt vmcnt(0)
	v_cmp_lt_i16_e32 vcc, s16, v9
	s_and_saveexec_b64 s[16:17], vcc
	s_xor_b64 s[16:17], exec, s[16:17]
; %bb.1806:
	s_movk_i32 s20, 0x80
	v_cmp_ne_u16_e32 vcc, s20, v9
	s_and_b64 s[20:21], vcc, exec
; %bb.1807:
	s_andn2_saveexec_b64 s[16:17], s[16:17]
; %bb.1808:
	v_cmp_ne_u16_e32 vcc, 0, v9
	s_andn2_b64 s[20:21], s[20:21], exec
	s_and_b64 s[22:23], vcc, exec
	s_or_b64 s[20:21], s[20:21], s[22:23]
; %bb.1809:
	s_or_b64 exec, exec, s[16:17]
	v_mov_b32_e32 v4, 0
	v_mov_b32_e32 v5, 0
	s_and_saveexec_b64 s[16:17], s[20:21]
	s_cbranch_execz .LBB94_1811
; %bb.1810:
	v_and_b32_e32 v5, 0xffff, v9
	v_lshlrev_b32_e32 v4, 24, v9
	v_and_b32_e32 v9, 3, v5
	v_ffbh_u32_e32 v12, v9
	v_min_u32_e32 v12, 32, v12
	v_subrev_u32_e32 v13, 29, v12
	v_bfe_u32 v11, v5, 2, 5
	v_lshlrev_b32_e32 v5, v13, v5
	v_sub_u32_e32 v12, 30, v12
	v_and_b32_e32 v5, 3, v5
	v_cmp_eq_u32_e32 vcc, 0, v11
	v_cndmask_b32_e32 v11, v11, v12, vcc
	v_cndmask_b32_e32 v5, v9, v5, vcc
	v_mov_b32_e32 v9, 0x37800000
	v_lshlrev_b32_e32 v5, 21, v5
	v_and_b32_e32 v4, 0x80000000, v4
	v_lshl_add_u32 v9, v11, 23, v9
	v_or3_b32 v4, v4, v9, v5
	v_trunc_f32_e32 v4, v4
	s_mov_b32 s20, 0x2f800000
	v_mul_f32_e64 v5, |v4|, s20
	v_floor_f32_e32 v5, v5
	s_mov_b32 s20, 0xcf800000
	v_fma_f32 v9, v5, s20, |v4|
	v_cvt_u32_f32_e32 v9, v9
	v_cvt_u32_f32_e32 v5, v5
	v_ashrrev_i32_e32 v11, 31, v4
	v_xor_b32_e32 v4, v9, v11
	v_xor_b32_e32 v5, v5, v11
	v_sub_co_u32_e32 v4, vcc, v4, v11
	v_subb_co_u32_e32 v5, vcc, v5, v11, vcc
.LBB94_1811:
	s_or_b64 exec, exec, s[16:17]
	s_mov_b64 s[16:17], 0
	s_branch .LBB94_1815
.LBB94_1812:
	s_mov_b64 s[16:17], -1
                                        ; implicit-def: $vgpr4_vgpr5
	s_branch .LBB94_1821
.LBB94_1813:
	s_mov_b64 s[16:17], -1
                                        ; implicit-def: $vgpr4_vgpr5
	s_branch .LBB94_1818
.LBB94_1814:
	s_mov_b64 s[16:17], -1
                                        ; implicit-def: $vgpr4_vgpr5
.LBB94_1815:
	s_and_b64 vcc, exec, s[16:17]
	s_cbranch_vccz .LBB94_1817
; %bb.1816:
	global_load_ubyte v4, v[6:7], off
	s_mov_b32 s16, 0x7f800000
	s_brev_b32 s17, 1
	s_mov_b32 s20, 0x2f800000
	s_mov_b32 s21, 0xcf800000
	s_waitcnt vmcnt(0)
	v_lshlrev_b32_e32 v4, 24, v4
	v_and_b32_e32 v5, 0x7f000000, v4
	v_ffbh_u32_e32 v9, v5
	v_min_u32_e32 v9, 32, v9
	v_sub_u32_e64 v9, v9, 4 clamp
	v_lshlrev_b32_e32 v12, v9, v5
	v_lshlrev_b32_e32 v9, 23, v9
	v_lshrrev_b32_e32 v12, 4, v12
	v_add_u32_e32 v11, 0x1000000, v5
	v_sub_u32_e32 v9, v12, v9
	v_ashrrev_i32_e32 v11, 8, v11
	v_add_u32_e32 v9, 0x3c000000, v9
	v_and_or_b32 v9, v11, s16, v9
	v_cmp_ne_u32_e32 vcc, 0, v5
	v_cndmask_b32_e32 v5, 0, v9, vcc
	v_and_or_b32 v4, v4, s17, v5
	v_trunc_f32_e32 v4, v4
	v_mul_f32_e64 v5, |v4|, s20
	v_floor_f32_e32 v5, v5
	v_fma_f32 v9, v5, s21, |v4|
	v_cvt_u32_f32_e32 v9, v9
	v_cvt_u32_f32_e32 v5, v5
	v_ashrrev_i32_e32 v11, 31, v4
	v_xor_b32_e32 v4, v9, v11
	v_xor_b32_e32 v5, v5, v11
	v_sub_co_u32_e32 v4, vcc, v4, v11
	v_subb_co_u32_e32 v5, vcc, v5, v11, vcc
.LBB94_1817:
	s_mov_b64 s[16:17], 0
.LBB94_1818:
	s_andn2_b64 vcc, exec, s[16:17]
	s_cbranch_vccnz .LBB94_1820
; %bb.1819:
	global_load_ubyte v4, v[6:7], off
	s_movk_i32 s16, 0x7f00
	s_brev_b32 s17, 16
	s_brev_b32 s20, 1
	s_mov_b32 s21, 0x2f800000
	s_mov_b32 s22, 0xcf800000
	s_waitcnt vmcnt(0)
	v_lshlrev_b16_e32 v5, 8, v4
	v_lshlrev_b32_e32 v4, 25, v4
	v_lshrrev_b32_e32 v9, 4, v4
	v_and_or_b32 v11, v5, s16, 0.5
	v_or_b32_e32 v9, 0x70000000, v9
	v_add_f32_e32 v11, -0.5, v11
	v_mul_f32_e32 v9, 0x7800000, v9
	v_cmp_gt_u32_e32 vcc, s17, v4
	v_bfe_i32 v5, v5, 0, 16
	v_cndmask_b32_e32 v4, v9, v11, vcc
	v_and_or_b32 v4, v5, s20, v4
	v_trunc_f32_e32 v4, v4
	v_mul_f32_e64 v5, |v4|, s21
	v_floor_f32_e32 v5, v5
	v_fma_f32 v9, v5, s22, |v4|
	v_cvt_u32_f32_e32 v9, v9
	v_cvt_u32_f32_e32 v5, v5
	v_ashrrev_i32_e32 v11, 31, v4
	v_xor_b32_e32 v4, v9, v11
	v_xor_b32_e32 v5, v5, v11
	v_sub_co_u32_e32 v4, vcc, v4, v11
	v_subb_co_u32_e32 v5, vcc, v5, v11, vcc
.LBB94_1820:
	s_mov_b64 s[16:17], 0
	s_mov_b64 s[20:21], -1
.LBB94_1821:
	s_andn2_b64 vcc, exec, s[16:17]
	s_mov_b64 s[16:17], 0
	s_cbranch_vccnz .LBB94_1830
; %bb.1822:
	s_cmp_gt_i32 s15, 14
	s_cbranch_scc0 .LBB94_1825
; %bb.1823:
	s_cmp_eq_u32 s15, 15
	s_cbranch_scc0 .LBB94_1826
; %bb.1824:
	global_load_ushort v4, v[6:7], off
	s_mov_b32 s0, 0x2f800000
	s_mov_b32 s1, 0xcf800000
	s_mov_b64 s[20:21], -1
	s_waitcnt vmcnt(0)
	v_lshlrev_b32_e32 v4, 16, v4
	v_trunc_f32_e32 v4, v4
	v_mul_f32_e64 v5, |v4|, s0
	v_floor_f32_e32 v5, v5
	v_fma_f32 v9, v5, s1, |v4|
	v_cvt_u32_f32_e32 v9, v9
	v_cvt_u32_f32_e32 v5, v5
	v_ashrrev_i32_e32 v11, 31, v4
	s_mov_b64 s[0:1], 0
	v_xor_b32_e32 v4, v9, v11
	v_xor_b32_e32 v5, v5, v11
	v_sub_co_u32_e32 v4, vcc, v4, v11
	v_subb_co_u32_e32 v5, vcc, v5, v11, vcc
	s_branch .LBB94_1827
.LBB94_1825:
	s_mov_b64 s[22:23], -1
                                        ; implicit-def: $vgpr4_vgpr5
	s_branch .LBB94_1828
.LBB94_1826:
	s_mov_b64 s[0:1], -1
                                        ; implicit-def: $vgpr4_vgpr5
.LBB94_1827:
	s_mov_b64 s[22:23], 0
.LBB94_1828:
	s_and_b64 vcc, exec, s[22:23]
	s_cbranch_vccz .LBB94_1830
; %bb.1829:
	s_cmp_lg_u32 s15, 11
	s_mov_b64 s[16:17], -1
	s_cselect_b64 s[0:1], -1, 0
.LBB94_1830:
	s_and_b64 vcc, exec, s[0:1]
	s_cbranch_vccnz .LBB94_1893
; %bb.1831:
	s_andn2_b64 vcc, exec, s[16:17]
	s_cbranch_vccnz .LBB94_1833
.LBB94_1832:
	global_load_ubyte v4, v[6:7], off
	s_mov_b32 s0, 0
	s_waitcnt vmcnt(1)
	v_mov_b32_e32 v5, s0
	s_mov_b64 s[20:21], -1
	s_waitcnt vmcnt(0)
	v_cmp_ne_u16_e32 vcc, 0, v4
	v_cndmask_b32_e64 v4, 0, 1, vcc
.LBB94_1833:
	s_branch .LBB94_1765
.LBB94_1834:
	s_and_b32 s15, 0xffff, s24
	s_cmp_lt_i32 s15, 5
	s_cbranch_scc1 .LBB94_1839
; %bb.1835:
	s_cmp_lt_i32 s15, 8
	s_cbranch_scc1 .LBB94_1840
; %bb.1836:
	;; [unrolled: 3-line block ×3, first 2 shown]
	s_cmp_gt_i32 s15, 9
	s_cbranch_scc0 .LBB94_1842
; %bb.1838:
	global_load_dwordx2 v[4:5], v[6:7], off
	s_movk_i32 s0, 0xffe0
	s_waitcnt vmcnt(0)
	v_trunc_f64_e32 v[4:5], v[4:5]
	v_ldexp_f64 v[11:12], v[4:5], s0
	s_mov_b32 s0, 0
	s_mov_b32 s1, 0xc1f00000
	v_floor_f64_e32 v[11:12], v[11:12]
	v_fma_f64 v[13:14], v[11:12], s[0:1], v[4:5]
	v_cvt_i32_f64_e32 v5, v[11:12]
	s_mov_b64 s[0:1], 0
	v_cvt_u32_f64_e32 v4, v[13:14]
	s_branch .LBB94_1843
.LBB94_1839:
	s_mov_b64 s[0:1], -1
                                        ; implicit-def: $vgpr4_vgpr5
	s_branch .LBB94_1861
.LBB94_1840:
	s_mov_b64 s[0:1], -1
                                        ; implicit-def: $vgpr4_vgpr5
	s_branch .LBB94_1849
.LBB94_1841:
	s_mov_b64 s[0:1], -1
                                        ; implicit-def: $vgpr4_vgpr5
	s_branch .LBB94_1846
.LBB94_1842:
	s_mov_b64 s[0:1], -1
                                        ; implicit-def: $vgpr4_vgpr5
.LBB94_1843:
	s_andn2_b64 vcc, exec, s[0:1]
	s_cbranch_vccnz .LBB94_1845
; %bb.1844:
	global_load_dword v4, v[6:7], off
	s_mov_b32 s0, 0x2f800000
	s_mov_b32 s1, 0xcf800000
	s_waitcnt vmcnt(0)
	v_trunc_f32_e32 v4, v4
	v_mul_f32_e64 v5, |v4|, s0
	v_floor_f32_e32 v5, v5
	v_cvt_u32_f32_e32 v9, v5
	v_fma_f32 v5, v5, s1, |v4|
	v_cvt_u32_f32_e32 v5, v5
	v_ashrrev_i32_e32 v11, 31, v4
	v_xor_b32_e32 v9, v9, v11
	v_xor_b32_e32 v4, v5, v11
	v_sub_co_u32_e32 v4, vcc, v4, v11
	v_subb_co_u32_e32 v5, vcc, v9, v11, vcc
.LBB94_1845:
	s_mov_b64 s[0:1], 0
.LBB94_1846:
	s_andn2_b64 vcc, exec, s[0:1]
	s_cbranch_vccnz .LBB94_1848
; %bb.1847:
	global_load_dword v4, v[6:7], off
	s_waitcnt vmcnt(0)
	v_cvt_f32_f16_e32 v4, v4
	v_cvt_i32_f32_e32 v4, v4
	v_ashrrev_i32_e32 v5, 31, v4
.LBB94_1848:
	s_mov_b64 s[0:1], 0
.LBB94_1849:
	s_andn2_b64 vcc, exec, s[0:1]
	s_cbranch_vccnz .LBB94_1860
; %bb.1850:
	s_cmp_lt_i32 s15, 6
	s_cbranch_scc1 .LBB94_1853
; %bb.1851:
	s_cmp_gt_i32 s15, 6
	s_cbranch_scc0 .LBB94_1854
; %bb.1852:
	global_load_dwordx2 v[4:5], v[6:7], off
	s_movk_i32 s0, 0xffe0
	s_waitcnt vmcnt(0)
	v_trunc_f64_e32 v[4:5], v[4:5]
	v_ldexp_f64 v[11:12], v[4:5], s0
	s_mov_b32 s0, 0
	s_mov_b32 s1, 0xc1f00000
	v_floor_f64_e32 v[11:12], v[11:12]
	v_fma_f64 v[13:14], v[11:12], s[0:1], v[4:5]
	v_cvt_i32_f64_e32 v5, v[11:12]
	s_mov_b64 s[0:1], 0
	v_cvt_u32_f64_e32 v4, v[13:14]
	s_branch .LBB94_1855
.LBB94_1853:
	s_mov_b64 s[0:1], -1
                                        ; implicit-def: $vgpr4_vgpr5
	s_branch .LBB94_1858
.LBB94_1854:
	s_mov_b64 s[0:1], -1
                                        ; implicit-def: $vgpr4_vgpr5
.LBB94_1855:
	s_andn2_b64 vcc, exec, s[0:1]
	s_cbranch_vccnz .LBB94_1857
; %bb.1856:
	global_load_dword v4, v[6:7], off
	s_mov_b32 s0, 0x2f800000
	s_mov_b32 s1, 0xcf800000
	s_waitcnt vmcnt(0)
	v_trunc_f32_e32 v4, v4
	v_mul_f32_e64 v5, |v4|, s0
	v_floor_f32_e32 v5, v5
	v_cvt_u32_f32_e32 v9, v5
	v_fma_f32 v5, v5, s1, |v4|
	v_cvt_u32_f32_e32 v5, v5
	v_ashrrev_i32_e32 v11, 31, v4
	v_xor_b32_e32 v9, v9, v11
	v_xor_b32_e32 v4, v5, v11
	v_sub_co_u32_e32 v4, vcc, v4, v11
	v_subb_co_u32_e32 v5, vcc, v9, v11, vcc
.LBB94_1857:
	s_mov_b64 s[0:1], 0
.LBB94_1858:
	s_andn2_b64 vcc, exec, s[0:1]
	s_cbranch_vccnz .LBB94_1860
; %bb.1859:
	global_load_ushort v4, v[6:7], off
	s_waitcnt vmcnt(0)
	v_cvt_f32_f16_e32 v4, v4
	v_cvt_i32_f32_e32 v4, v4
	v_ashrrev_i32_e32 v5, 31, v4
.LBB94_1860:
	s_mov_b64 s[0:1], 0
.LBB94_1861:
	s_andn2_b64 vcc, exec, s[0:1]
	s_cbranch_vccnz .LBB94_1881
; %bb.1862:
	s_cmp_lt_i32 s15, 2
	s_cbranch_scc1 .LBB94_1866
; %bb.1863:
	s_cmp_lt_i32 s15, 3
	s_cbranch_scc1 .LBB94_1867
; %bb.1864:
	s_cmp_gt_i32 s15, 3
	s_cbranch_scc0 .LBB94_1868
; %bb.1865:
	global_load_dwordx2 v[4:5], v[6:7], off
	s_mov_b64 s[0:1], 0
	s_branch .LBB94_1869
.LBB94_1866:
	s_mov_b64 s[0:1], -1
                                        ; implicit-def: $vgpr4_vgpr5
	s_branch .LBB94_1875
.LBB94_1867:
	s_mov_b64 s[0:1], -1
                                        ; implicit-def: $vgpr4_vgpr5
	s_branch .LBB94_1872
.LBB94_1868:
	s_mov_b64 s[0:1], -1
                                        ; implicit-def: $vgpr4_vgpr5
.LBB94_1869:
	s_andn2_b64 vcc, exec, s[0:1]
	s_cbranch_vccnz .LBB94_1871
; %bb.1870:
	global_load_dword v4, v[6:7], off
	s_waitcnt vmcnt(0)
	v_ashrrev_i32_e32 v5, 31, v4
.LBB94_1871:
	s_mov_b64 s[0:1], 0
.LBB94_1872:
	s_andn2_b64 vcc, exec, s[0:1]
	s_cbranch_vccnz .LBB94_1874
; %bb.1873:
	global_load_ushort v4, v[6:7], off
	s_waitcnt vmcnt(0)
	v_bfe_i32 v4, v4, 0, 16
	v_ashrrev_i32_e32 v5, 31, v4
.LBB94_1874:
	s_mov_b64 s[0:1], 0
.LBB94_1875:
	s_andn2_b64 vcc, exec, s[0:1]
	s_cbranch_vccnz .LBB94_1881
; %bb.1876:
	s_cmp_gt_i32 s15, 0
	s_cbranch_scc0 .LBB94_1878
; %bb.1877:
	global_load_sbyte v4, v[6:7], off
	s_mov_b64 s[0:1], 0
	s_waitcnt vmcnt(0)
	v_bfe_i32 v4, v4, 0, 16
	v_ashrrev_i32_e32 v5, 31, v4
	s_branch .LBB94_1879
.LBB94_1878:
	s_mov_b64 s[0:1], -1
                                        ; implicit-def: $vgpr4_vgpr5
.LBB94_1879:
	s_andn2_b64 vcc, exec, s[0:1]
	s_cbranch_vccnz .LBB94_1881
; %bb.1880:
	global_load_ubyte v4, v[6:7], off
	s_mov_b32 s0, 0
	s_waitcnt vmcnt(1)
	v_mov_b32_e32 v5, s0
	s_waitcnt vmcnt(0)
	v_and_b32_e32 v4, 0xffff, v4
.LBB94_1881:
.LBB94_1882:
	s_lshl_b32 s22, s14, 7
	v_add_u32_e32 v12, s22, v8
	v_ashrrev_i32_e32 v6, 31, v12
	v_mov_b32_e32 v7, s3
	v_add_co_u32_e32 v8, vcc, s2, v12
	s_cmp_lt_i32 s25, 11
	v_addc_co_u32_e32 v9, vcc, v7, v6, vcc
	s_cbranch_scc1 .LBB94_1889
; %bb.1883:
	s_and_b32 s23, 0xffff, s25
	s_cmp_gt_i32 s23, 25
	s_mov_b64 s[14:15], 0
	s_cbranch_scc0 .LBB94_1890
; %bb.1884:
	s_cmp_gt_i32 s23, 28
	s_cbranch_scc0 .LBB94_1891
; %bb.1885:
	s_cmp_gt_i32 s23, 43
	;; [unrolled: 3-line block ×3, first 2 shown]
	s_cbranch_scc0 .LBB94_1894
; %bb.1887:
	s_cmp_eq_u32 s23, 46
	s_mov_b64 s[20:21], 0
	s_cbranch_scc0 .LBB94_1895
; %bb.1888:
	global_load_dword v6, v[8:9], off
	s_mov_b32 s0, 0x2f800000
	s_mov_b32 s1, 0xcf800000
	s_mov_b64 s[16:17], -1
	s_waitcnt vmcnt(0)
	v_lshlrev_b32_e32 v6, 16, v6
	v_trunc_f32_e32 v6, v6
	v_mul_f32_e64 v7, |v6|, s0
	v_floor_f32_e32 v7, v7
	v_fma_f32 v11, v7, s1, |v6|
	v_cvt_u32_f32_e32 v11, v11
	v_cvt_u32_f32_e32 v7, v7
	v_ashrrev_i32_e32 v13, 31, v6
	s_mov_b64 s[0:1], 0
	v_xor_b32_e32 v6, v11, v13
	v_xor_b32_e32 v7, v7, v13
	v_sub_co_u32_e32 v6, vcc, v6, v13
	v_subb_co_u32_e32 v7, vcc, v7, v13, vcc
	s_branch .LBB94_1896
.LBB94_1889:
	s_mov_b64 s[0:1], -1
	s_mov_b64 s[16:17], 0
                                        ; implicit-def: $vgpr6_vgpr7
	s_branch .LBB94_1958
.LBB94_1890:
	s_mov_b64 s[20:21], -1
	s_mov_b64 s[16:17], 0
	s_mov_b64 s[0:1], 0
                                        ; implicit-def: $vgpr6_vgpr7
	s_branch .LBB94_1925
.LBB94_1891:
	s_mov_b64 s[20:21], -1
	s_mov_b64 s[16:17], 0
	s_mov_b64 s[0:1], 0
                                        ; implicit-def: $vgpr6_vgpr7
	s_branch .LBB94_1906
.LBB94_1892:
	s_mov_b64 s[20:21], -1
	s_mov_b64 s[16:17], 0
	s_mov_b64 s[0:1], 0
                                        ; implicit-def: $vgpr6_vgpr7
	s_branch .LBB94_1901
.LBB94_1893:
	s_trap 2
	s_or_b64 s[18:19], s[18:19], exec
	s_cbranch_execz .LBB94_1832
	s_branch .LBB94_1833
.LBB94_1894:
	s_mov_b64 s[20:21], -1
	s_mov_b64 s[16:17], 0
	s_mov_b64 s[0:1], 0
                                        ; implicit-def: $vgpr6_vgpr7
	s_branch .LBB94_1896
.LBB94_1895:
	s_mov_b64 s[0:1], -1
                                        ; implicit-def: $vgpr6_vgpr7
	s_mov_b64 s[16:17], 0
.LBB94_1896:
	s_and_b64 vcc, exec, s[20:21]
	s_cbranch_vccz .LBB94_1900
; %bb.1897:
	s_cmp_eq_u32 s23, 44
	s_cbranch_scc0 .LBB94_1899
; %bb.1898:
	global_load_ubyte v6, v[8:9], off
	s_mov_b32 s0, 0x2f800000
	s_mov_b32 s1, 0xcf800000
	s_mov_b64 s[16:17], -1
	s_waitcnt vmcnt(0)
	v_lshlrev_b32_e32 v7, 23, v6
	v_trunc_f32_e32 v7, v7
	v_mul_f32_e64 v11, |v7|, s0
	v_floor_f32_e32 v11, v11
	v_fma_f32 v13, v11, s1, |v7|
	v_cvt_u32_f32_e32 v13, v13
	v_cvt_u32_f32_e32 v11, v11
	v_ashrrev_i32_e32 v7, 31, v7
	s_mov_b64 s[0:1], 0
	v_xor_b32_e32 v13, v13, v7
	v_xor_b32_e32 v11, v11, v7
	v_sub_co_u32_e32 v13, vcc, v13, v7
	v_subb_co_u32_e32 v7, vcc, v11, v7, vcc
	v_cmp_ne_u32_e32 vcc, 0, v6
	v_cndmask_b32_e32 v7, 0, v7, vcc
	v_cndmask_b32_e32 v6, 0, v13, vcc
	s_branch .LBB94_1900
.LBB94_1899:
	s_mov_b64 s[0:1], -1
                                        ; implicit-def: $vgpr6_vgpr7
.LBB94_1900:
	s_mov_b64 s[20:21], 0
.LBB94_1901:
	s_and_b64 vcc, exec, s[20:21]
	s_cbranch_vccz .LBB94_1905
; %bb.1902:
	s_cmp_eq_u32 s23, 29
	s_cbranch_scc0 .LBB94_1904
; %bb.1903:
	global_load_dwordx2 v[6:7], v[8:9], off
	s_mov_b64 s[0:1], 0
	s_mov_b64 s[16:17], -1
	s_branch .LBB94_1905
.LBB94_1904:
	s_mov_b64 s[0:1], -1
                                        ; implicit-def: $vgpr6_vgpr7
.LBB94_1905:
	s_mov_b64 s[20:21], 0
.LBB94_1906:
	s_and_b64 vcc, exec, s[20:21]
	s_cbranch_vccz .LBB94_1924
; %bb.1907:
	s_cmp_lt_i32 s23, 27
	s_cbranch_scc1 .LBB94_1910
; %bb.1908:
	s_cmp_gt_i32 s23, 27
	s_cbranch_scc0 .LBB94_1911
; %bb.1909:
	global_load_dword v6, v[8:9], off
	s_waitcnt vmcnt(1)
	v_mov_b32_e32 v7, 0
	s_mov_b64 s[16:17], 0
	s_branch .LBB94_1912
.LBB94_1910:
	s_mov_b64 s[16:17], -1
                                        ; implicit-def: $vgpr6_vgpr7
	s_branch .LBB94_1915
.LBB94_1911:
	s_mov_b64 s[16:17], -1
                                        ; implicit-def: $vgpr6_vgpr7
.LBB94_1912:
	s_andn2_b64 vcc, exec, s[16:17]
	s_cbranch_vccnz .LBB94_1914
; %bb.1913:
	global_load_ushort v6, v[8:9], off
	s_mov_b32 s16, 0
	s_waitcnt vmcnt(1)
	v_mov_b32_e32 v7, s16
	s_waitcnt vmcnt(0)
	v_and_b32_e32 v6, 0xffff, v6
.LBB94_1914:
	s_mov_b64 s[16:17], 0
.LBB94_1915:
	s_andn2_b64 vcc, exec, s[16:17]
	s_cbranch_vccnz .LBB94_1923
; %bb.1916:
	global_load_ubyte v11, v[8:9], off
	s_movk_i32 s16, 0x7f
	s_mov_b64 s[20:21], 0
	s_waitcnt vmcnt(0)
	v_cmp_lt_i16_e32 vcc, s16, v11
	s_and_saveexec_b64 s[16:17], vcc
	s_xor_b64 s[16:17], exec, s[16:17]
; %bb.1917:
	s_movk_i32 s20, 0x80
	v_cmp_ne_u16_e32 vcc, s20, v11
	s_and_b64 s[20:21], vcc, exec
; %bb.1918:
	s_andn2_saveexec_b64 s[16:17], s[16:17]
; %bb.1919:
	v_cmp_ne_u16_e32 vcc, 0, v11
	s_andn2_b64 s[20:21], s[20:21], exec
	s_and_b64 s[26:27], vcc, exec
	s_or_b64 s[20:21], s[20:21], s[26:27]
; %bb.1920:
	s_or_b64 exec, exec, s[16:17]
	v_mov_b32_e32 v6, 0
	v_mov_b32_e32 v7, 0
	s_and_saveexec_b64 s[16:17], s[20:21]
	s_cbranch_execz .LBB94_1922
; %bb.1921:
	v_and_b32_e32 v7, 0xffff, v11
	v_lshlrev_b32_e32 v6, 24, v11
	v_and_b32_e32 v11, 7, v7
	v_ffbh_u32_e32 v14, v11
	v_min_u32_e32 v14, 32, v14
	v_subrev_u32_e32 v15, 28, v14
	v_bfe_u32 v13, v7, 3, 4
	v_lshlrev_b32_e32 v7, v15, v7
	v_sub_u32_e32 v14, 29, v14
	v_and_b32_e32 v7, 7, v7
	v_cmp_eq_u32_e32 vcc, 0, v13
	v_cndmask_b32_e32 v13, v13, v14, vcc
	v_cndmask_b32_e32 v7, v11, v7, vcc
	v_mov_b32_e32 v11, 0x3b800000
	v_lshlrev_b32_e32 v7, 20, v7
	v_and_b32_e32 v6, 0x80000000, v6
	v_lshl_add_u32 v11, v13, 23, v11
	v_or3_b32 v6, v6, v11, v7
	v_trunc_f32_e32 v6, v6
	s_mov_b32 s20, 0x2f800000
	v_mul_f32_e64 v7, |v6|, s20
	v_floor_f32_e32 v7, v7
	s_mov_b32 s20, 0xcf800000
	v_fma_f32 v11, v7, s20, |v6|
	v_cvt_u32_f32_e32 v11, v11
	v_cvt_u32_f32_e32 v7, v7
	v_ashrrev_i32_e32 v13, 31, v6
	v_xor_b32_e32 v6, v11, v13
	v_xor_b32_e32 v7, v7, v13
	v_sub_co_u32_e32 v6, vcc, v6, v13
	v_subb_co_u32_e32 v7, vcc, v7, v13, vcc
.LBB94_1922:
	s_or_b64 exec, exec, s[16:17]
.LBB94_1923:
	s_mov_b64 s[16:17], -1
.LBB94_1924:
	s_mov_b64 s[20:21], 0
.LBB94_1925:
	s_and_b64 vcc, exec, s[20:21]
	s_cbranch_vccz .LBB94_1954
; %bb.1926:
	s_cmp_gt_i32 s23, 22
	s_cbranch_scc0 .LBB94_1936
; %bb.1927:
	s_cmp_lt_i32 s23, 24
	s_cbranch_scc1 .LBB94_1937
; %bb.1928:
	s_cmp_gt_i32 s23, 24
	s_cbranch_scc0 .LBB94_1938
; %bb.1929:
	global_load_ubyte v11, v[8:9], off
	s_movk_i32 s14, 0x7f
	s_mov_b64 s[16:17], 0
	s_waitcnt vmcnt(0)
	v_cmp_lt_i16_e32 vcc, s14, v11
	s_and_saveexec_b64 s[14:15], vcc
	s_xor_b64 s[14:15], exec, s[14:15]
; %bb.1930:
	s_movk_i32 s16, 0x80
	v_cmp_ne_u16_e32 vcc, s16, v11
	s_and_b64 s[16:17], vcc, exec
; %bb.1931:
	s_andn2_saveexec_b64 s[14:15], s[14:15]
; %bb.1932:
	v_cmp_ne_u16_e32 vcc, 0, v11
	s_andn2_b64 s[16:17], s[16:17], exec
	s_and_b64 s[20:21], vcc, exec
	s_or_b64 s[16:17], s[16:17], s[20:21]
; %bb.1933:
	s_or_b64 exec, exec, s[14:15]
	v_mov_b32_e32 v6, 0
	v_mov_b32_e32 v7, 0
	s_and_saveexec_b64 s[14:15], s[16:17]
	s_cbranch_execz .LBB94_1935
; %bb.1934:
	v_and_b32_e32 v7, 0xffff, v11
	v_lshlrev_b32_e32 v6, 24, v11
	v_and_b32_e32 v11, 3, v7
	v_ffbh_u32_e32 v14, v11
	v_min_u32_e32 v14, 32, v14
	v_subrev_u32_e32 v15, 29, v14
	v_bfe_u32 v13, v7, 2, 5
	v_lshlrev_b32_e32 v7, v15, v7
	v_sub_u32_e32 v14, 30, v14
	v_and_b32_e32 v7, 3, v7
	v_cmp_eq_u32_e32 vcc, 0, v13
	v_cndmask_b32_e32 v13, v13, v14, vcc
	v_cndmask_b32_e32 v7, v11, v7, vcc
	v_mov_b32_e32 v11, 0x37800000
	v_lshlrev_b32_e32 v7, 21, v7
	v_and_b32_e32 v6, 0x80000000, v6
	v_lshl_add_u32 v11, v13, 23, v11
	v_or3_b32 v6, v6, v11, v7
	v_trunc_f32_e32 v6, v6
	s_mov_b32 s16, 0x2f800000
	v_mul_f32_e64 v7, |v6|, s16
	v_floor_f32_e32 v7, v7
	s_mov_b32 s16, 0xcf800000
	v_fma_f32 v11, v7, s16, |v6|
	v_cvt_u32_f32_e32 v11, v11
	v_cvt_u32_f32_e32 v7, v7
	v_ashrrev_i32_e32 v13, 31, v6
	v_xor_b32_e32 v6, v11, v13
	v_xor_b32_e32 v7, v7, v13
	v_sub_co_u32_e32 v6, vcc, v6, v13
	v_subb_co_u32_e32 v7, vcc, v7, v13, vcc
.LBB94_1935:
	s_or_b64 exec, exec, s[14:15]
	s_mov_b64 s[14:15], 0
	s_branch .LBB94_1939
.LBB94_1936:
	s_mov_b64 s[14:15], -1
                                        ; implicit-def: $vgpr6_vgpr7
	s_branch .LBB94_1945
.LBB94_1937:
	s_mov_b64 s[14:15], -1
                                        ; implicit-def: $vgpr6_vgpr7
	s_branch .LBB94_1942
.LBB94_1938:
	s_mov_b64 s[14:15], -1
                                        ; implicit-def: $vgpr6_vgpr7
.LBB94_1939:
	s_and_b64 vcc, exec, s[14:15]
	s_cbranch_vccz .LBB94_1941
; %bb.1940:
	global_load_ubyte v6, v[8:9], off
	s_mov_b32 s14, 0x7f800000
	s_brev_b32 s15, 1
	s_mov_b32 s16, 0x2f800000
	s_mov_b32 s17, 0xcf800000
	s_waitcnt vmcnt(0)
	v_lshlrev_b32_e32 v6, 24, v6
	v_and_b32_e32 v7, 0x7f000000, v6
	v_ffbh_u32_e32 v11, v7
	v_min_u32_e32 v11, 32, v11
	v_sub_u32_e64 v11, v11, 4 clamp
	v_lshlrev_b32_e32 v14, v11, v7
	v_lshlrev_b32_e32 v11, 23, v11
	v_lshrrev_b32_e32 v14, 4, v14
	v_add_u32_e32 v13, 0x1000000, v7
	v_sub_u32_e32 v11, v14, v11
	v_ashrrev_i32_e32 v13, 8, v13
	v_add_u32_e32 v11, 0x3c000000, v11
	v_and_or_b32 v11, v13, s14, v11
	v_cmp_ne_u32_e32 vcc, 0, v7
	v_cndmask_b32_e32 v7, 0, v11, vcc
	v_and_or_b32 v6, v6, s15, v7
	v_trunc_f32_e32 v6, v6
	v_mul_f32_e64 v7, |v6|, s16
	v_floor_f32_e32 v7, v7
	v_fma_f32 v11, v7, s17, |v6|
	v_cvt_u32_f32_e32 v11, v11
	v_cvt_u32_f32_e32 v7, v7
	v_ashrrev_i32_e32 v13, 31, v6
	v_xor_b32_e32 v6, v11, v13
	v_xor_b32_e32 v7, v7, v13
	v_sub_co_u32_e32 v6, vcc, v6, v13
	v_subb_co_u32_e32 v7, vcc, v7, v13, vcc
.LBB94_1941:
	s_mov_b64 s[14:15], 0
.LBB94_1942:
	s_andn2_b64 vcc, exec, s[14:15]
	s_cbranch_vccnz .LBB94_1944
; %bb.1943:
	global_load_ubyte v6, v[8:9], off
	s_movk_i32 s14, 0x7f00
	s_brev_b32 s15, 16
	s_brev_b32 s16, 1
	s_mov_b32 s17, 0x2f800000
	s_mov_b32 s20, 0xcf800000
	s_waitcnt vmcnt(0)
	v_lshlrev_b16_e32 v7, 8, v6
	v_lshlrev_b32_e32 v6, 25, v6
	v_lshrrev_b32_e32 v11, 4, v6
	v_and_or_b32 v13, v7, s14, 0.5
	v_or_b32_e32 v11, 0x70000000, v11
	v_add_f32_e32 v13, -0.5, v13
	v_mul_f32_e32 v11, 0x7800000, v11
	v_cmp_gt_u32_e32 vcc, s15, v6
	v_bfe_i32 v7, v7, 0, 16
	v_cndmask_b32_e32 v6, v11, v13, vcc
	v_and_or_b32 v6, v7, s16, v6
	v_trunc_f32_e32 v6, v6
	v_mul_f32_e64 v7, |v6|, s17
	v_floor_f32_e32 v7, v7
	v_fma_f32 v11, v7, s20, |v6|
	v_cvt_u32_f32_e32 v11, v11
	v_cvt_u32_f32_e32 v7, v7
	v_ashrrev_i32_e32 v13, 31, v6
	v_xor_b32_e32 v6, v11, v13
	v_xor_b32_e32 v7, v7, v13
	v_sub_co_u32_e32 v6, vcc, v6, v13
	v_subb_co_u32_e32 v7, vcc, v7, v13, vcc
.LBB94_1944:
	s_mov_b64 s[14:15], 0
	s_mov_b64 s[16:17], -1
.LBB94_1945:
	s_andn2_b64 vcc, exec, s[14:15]
	s_mov_b64 s[14:15], 0
	s_cbranch_vccnz .LBB94_1954
; %bb.1946:
	s_cmp_gt_i32 s23, 14
	s_cbranch_scc0 .LBB94_1949
; %bb.1947:
	s_cmp_eq_u32 s23, 15
	s_cbranch_scc0 .LBB94_1950
; %bb.1948:
	global_load_ushort v6, v[8:9], off
	s_mov_b32 s0, 0x2f800000
	s_mov_b32 s1, 0xcf800000
	s_mov_b64 s[16:17], -1
	s_waitcnt vmcnt(0)
	v_lshlrev_b32_e32 v6, 16, v6
	v_trunc_f32_e32 v6, v6
	v_mul_f32_e64 v7, |v6|, s0
	v_floor_f32_e32 v7, v7
	v_fma_f32 v11, v7, s1, |v6|
	v_cvt_u32_f32_e32 v11, v11
	v_cvt_u32_f32_e32 v7, v7
	v_ashrrev_i32_e32 v13, 31, v6
	s_mov_b64 s[0:1], 0
	v_xor_b32_e32 v6, v11, v13
	v_xor_b32_e32 v7, v7, v13
	v_sub_co_u32_e32 v6, vcc, v6, v13
	v_subb_co_u32_e32 v7, vcc, v7, v13, vcc
	s_branch .LBB94_1951
.LBB94_1949:
	s_mov_b64 s[20:21], -1
                                        ; implicit-def: $vgpr6_vgpr7
	s_branch .LBB94_1952
.LBB94_1950:
	s_mov_b64 s[0:1], -1
                                        ; implicit-def: $vgpr6_vgpr7
.LBB94_1951:
	s_mov_b64 s[20:21], 0
.LBB94_1952:
	s_and_b64 vcc, exec, s[20:21]
	s_cbranch_vccz .LBB94_1954
; %bb.1953:
	s_cmp_lg_u32 s23, 11
	s_mov_b64 s[14:15], -1
	s_cselect_b64 s[0:1], -1, 0
.LBB94_1954:
	s_and_b64 vcc, exec, s[0:1]
	s_cbranch_vccnz .LBB94_2019
; %bb.1955:
	s_andn2_b64 vcc, exec, s[14:15]
	s_cbranch_vccnz .LBB94_1957
.LBB94_1956:
	global_load_ubyte v6, v[8:9], off
	s_mov_b32 s0, 0
	s_waitcnt vmcnt(1)
	v_mov_b32_e32 v7, s0
	s_mov_b64 s[16:17], -1
	s_waitcnt vmcnt(0)
	v_cmp_ne_u16_e32 vcc, 0, v6
	v_cndmask_b32_e64 v6, 0, 1, vcc
.LBB94_1957:
	s_mov_b64 s[0:1], 0
.LBB94_1958:
	s_and_b64 vcc, exec, s[0:1]
	s_cbranch_vccz .LBB94_2007
; %bb.1959:
	s_and_b32 s14, 0xffff, s25
	s_cmp_lt_i32 s14, 5
	s_cbranch_scc1 .LBB94_1964
; %bb.1960:
	s_cmp_lt_i32 s14, 8
	s_cbranch_scc1 .LBB94_1965
; %bb.1961:
	;; [unrolled: 3-line block ×3, first 2 shown]
	s_cmp_gt_i32 s14, 9
	s_cbranch_scc0 .LBB94_1967
; %bb.1963:
	global_load_dwordx2 v[6:7], v[8:9], off
	s_movk_i32 s0, 0xffe0
	s_waitcnt vmcnt(0)
	v_trunc_f64_e32 v[6:7], v[6:7]
	v_ldexp_f64 v[13:14], v[6:7], s0
	s_mov_b32 s0, 0
	s_mov_b32 s1, 0xc1f00000
	v_floor_f64_e32 v[13:14], v[13:14]
	v_fma_f64 v[15:16], v[13:14], s[0:1], v[6:7]
	v_cvt_i32_f64_e32 v7, v[13:14]
	s_mov_b64 s[0:1], 0
	v_cvt_u32_f64_e32 v6, v[15:16]
	s_branch .LBB94_1968
.LBB94_1964:
	s_mov_b64 s[0:1], -1
                                        ; implicit-def: $vgpr6_vgpr7
	s_branch .LBB94_1986
.LBB94_1965:
	s_mov_b64 s[0:1], -1
                                        ; implicit-def: $vgpr6_vgpr7
	s_branch .LBB94_1974
.LBB94_1966:
	s_mov_b64 s[0:1], -1
                                        ; implicit-def: $vgpr6_vgpr7
	s_branch .LBB94_1971
.LBB94_1967:
	s_mov_b64 s[0:1], -1
                                        ; implicit-def: $vgpr6_vgpr7
.LBB94_1968:
	s_andn2_b64 vcc, exec, s[0:1]
	s_cbranch_vccnz .LBB94_1970
; %bb.1969:
	global_load_dword v6, v[8:9], off
	s_mov_b32 s0, 0x2f800000
	s_mov_b32 s1, 0xcf800000
	s_waitcnt vmcnt(0)
	v_trunc_f32_e32 v6, v6
	v_mul_f32_e64 v7, |v6|, s0
	v_floor_f32_e32 v7, v7
	v_cvt_u32_f32_e32 v11, v7
	v_fma_f32 v7, v7, s1, |v6|
	v_cvt_u32_f32_e32 v7, v7
	v_ashrrev_i32_e32 v13, 31, v6
	v_xor_b32_e32 v11, v11, v13
	v_xor_b32_e32 v6, v7, v13
	v_sub_co_u32_e32 v6, vcc, v6, v13
	v_subb_co_u32_e32 v7, vcc, v11, v13, vcc
.LBB94_1970:
	s_mov_b64 s[0:1], 0
.LBB94_1971:
	s_andn2_b64 vcc, exec, s[0:1]
	s_cbranch_vccnz .LBB94_1973
; %bb.1972:
	global_load_dword v6, v[8:9], off
	s_waitcnt vmcnt(0)
	v_cvt_f32_f16_e32 v6, v6
	v_cvt_i32_f32_e32 v6, v6
	v_ashrrev_i32_e32 v7, 31, v6
.LBB94_1973:
	s_mov_b64 s[0:1], 0
.LBB94_1974:
	s_andn2_b64 vcc, exec, s[0:1]
	s_cbranch_vccnz .LBB94_1985
; %bb.1975:
	s_cmp_lt_i32 s14, 6
	s_cbranch_scc1 .LBB94_1978
; %bb.1976:
	s_cmp_gt_i32 s14, 6
	s_cbranch_scc0 .LBB94_1979
; %bb.1977:
	global_load_dwordx2 v[6:7], v[8:9], off
	s_movk_i32 s0, 0xffe0
	s_waitcnt vmcnt(0)
	v_trunc_f64_e32 v[6:7], v[6:7]
	v_ldexp_f64 v[13:14], v[6:7], s0
	s_mov_b32 s0, 0
	s_mov_b32 s1, 0xc1f00000
	v_floor_f64_e32 v[13:14], v[13:14]
	v_fma_f64 v[15:16], v[13:14], s[0:1], v[6:7]
	v_cvt_i32_f64_e32 v7, v[13:14]
	s_mov_b64 s[0:1], 0
	v_cvt_u32_f64_e32 v6, v[15:16]
	s_branch .LBB94_1980
.LBB94_1978:
	s_mov_b64 s[0:1], -1
                                        ; implicit-def: $vgpr6_vgpr7
	s_branch .LBB94_1983
.LBB94_1979:
	s_mov_b64 s[0:1], -1
                                        ; implicit-def: $vgpr6_vgpr7
.LBB94_1980:
	s_andn2_b64 vcc, exec, s[0:1]
	s_cbranch_vccnz .LBB94_1982
; %bb.1981:
	global_load_dword v6, v[8:9], off
	s_mov_b32 s0, 0x2f800000
	s_mov_b32 s1, 0xcf800000
	s_waitcnt vmcnt(0)
	v_trunc_f32_e32 v6, v6
	v_mul_f32_e64 v7, |v6|, s0
	v_floor_f32_e32 v7, v7
	v_cvt_u32_f32_e32 v11, v7
	v_fma_f32 v7, v7, s1, |v6|
	v_cvt_u32_f32_e32 v7, v7
	v_ashrrev_i32_e32 v13, 31, v6
	v_xor_b32_e32 v11, v11, v13
	v_xor_b32_e32 v6, v7, v13
	v_sub_co_u32_e32 v6, vcc, v6, v13
	v_subb_co_u32_e32 v7, vcc, v11, v13, vcc
.LBB94_1982:
	s_mov_b64 s[0:1], 0
.LBB94_1983:
	s_andn2_b64 vcc, exec, s[0:1]
	s_cbranch_vccnz .LBB94_1985
; %bb.1984:
	global_load_ushort v6, v[8:9], off
	s_waitcnt vmcnt(0)
	v_cvt_f32_f16_e32 v6, v6
	v_cvt_i32_f32_e32 v6, v6
	v_ashrrev_i32_e32 v7, 31, v6
.LBB94_1985:
	s_mov_b64 s[0:1], 0
.LBB94_1986:
	s_andn2_b64 vcc, exec, s[0:1]
	s_cbranch_vccnz .LBB94_2006
; %bb.1987:
	s_cmp_lt_i32 s14, 2
	s_cbranch_scc1 .LBB94_1991
; %bb.1988:
	s_cmp_lt_i32 s14, 3
	s_cbranch_scc1 .LBB94_1992
; %bb.1989:
	s_cmp_gt_i32 s14, 3
	s_cbranch_scc0 .LBB94_1993
; %bb.1990:
	global_load_dwordx2 v[6:7], v[8:9], off
	s_mov_b64 s[0:1], 0
	s_branch .LBB94_1994
.LBB94_1991:
	s_mov_b64 s[0:1], -1
                                        ; implicit-def: $vgpr6_vgpr7
	s_branch .LBB94_2000
.LBB94_1992:
	s_mov_b64 s[0:1], -1
                                        ; implicit-def: $vgpr6_vgpr7
	s_branch .LBB94_1997
.LBB94_1993:
	s_mov_b64 s[0:1], -1
                                        ; implicit-def: $vgpr6_vgpr7
.LBB94_1994:
	s_andn2_b64 vcc, exec, s[0:1]
	s_cbranch_vccnz .LBB94_1996
; %bb.1995:
	global_load_dword v6, v[8:9], off
	s_waitcnt vmcnt(0)
	v_ashrrev_i32_e32 v7, 31, v6
.LBB94_1996:
	s_mov_b64 s[0:1], 0
.LBB94_1997:
	s_andn2_b64 vcc, exec, s[0:1]
	s_cbranch_vccnz .LBB94_1999
; %bb.1998:
	global_load_ushort v6, v[8:9], off
	s_waitcnt vmcnt(0)
	v_bfe_i32 v6, v6, 0, 16
	v_ashrrev_i32_e32 v7, 31, v6
.LBB94_1999:
	s_mov_b64 s[0:1], 0
.LBB94_2000:
	s_andn2_b64 vcc, exec, s[0:1]
	s_cbranch_vccnz .LBB94_2006
; %bb.2001:
	s_cmp_gt_i32 s14, 0
	s_cbranch_scc0 .LBB94_2003
; %bb.2002:
	global_load_sbyte v6, v[8:9], off
	s_mov_b64 s[0:1], 0
	s_waitcnt vmcnt(0)
	v_bfe_i32 v6, v6, 0, 16
	v_ashrrev_i32_e32 v7, 31, v6
	s_branch .LBB94_2004
.LBB94_2003:
	s_mov_b64 s[0:1], -1
                                        ; implicit-def: $vgpr6_vgpr7
.LBB94_2004:
	s_andn2_b64 vcc, exec, s[0:1]
	s_cbranch_vccnz .LBB94_2006
; %bb.2005:
	global_load_ubyte v6, v[8:9], off
	s_mov_b32 s0, 0
	s_waitcnt vmcnt(1)
	v_mov_b32_e32 v7, s0
	s_waitcnt vmcnt(0)
	v_and_b32_e32 v6, 0xffff, v6
.LBB94_2006:
	s_mov_b64 s[16:17], -1
.LBB94_2007:
	s_andn2_b64 vcc, exec, s[16:17]
	s_cbranch_vccnz .LBB94_2947
; %bb.2008:
	v_add_u32_e32 v14, s13, v10
	v_ashrrev_i32_e32 v8, 31, v14
	v_mov_b32_e32 v9, s11
	v_add_co_u32_e32 v10, vcc, s10, v14
	s_cmp_lt_i32 s24, 11
	v_addc_co_u32_e32 v11, vcc, v9, v8, vcc
	s_cbranch_scc1 .LBB94_2015
; %bb.2009:
	s_and_b32 s23, 0xffff, s24
	s_cmp_gt_i32 s23, 25
	s_mov_b64 s[14:15], 0
	s_cbranch_scc0 .LBB94_2016
; %bb.2010:
	s_cmp_gt_i32 s23, 28
	s_cbranch_scc0 .LBB94_2017
; %bb.2011:
	s_cmp_gt_i32 s23, 43
	;; [unrolled: 3-line block ×3, first 2 shown]
	s_cbranch_scc0 .LBB94_2020
; %bb.2013:
	s_cmp_eq_u32 s23, 46
	s_mov_b64 s[20:21], 0
	s_cbranch_scc0 .LBB94_2021
; %bb.2014:
	global_load_dword v8, v[10:11], off
	s_mov_b32 s0, 0x2f800000
	s_mov_b32 s1, 0xcf800000
	s_mov_b64 s[16:17], -1
	s_waitcnt vmcnt(0)
	v_lshlrev_b32_e32 v8, 16, v8
	v_trunc_f32_e32 v8, v8
	v_mul_f32_e64 v9, |v8|, s0
	v_floor_f32_e32 v9, v9
	v_fma_f32 v13, v9, s1, |v8|
	v_cvt_u32_f32_e32 v13, v13
	v_cvt_u32_f32_e32 v9, v9
	v_ashrrev_i32_e32 v15, 31, v8
	s_mov_b64 s[0:1], 0
	v_xor_b32_e32 v8, v13, v15
	v_xor_b32_e32 v9, v9, v15
	v_sub_co_u32_e32 v8, vcc, v8, v15
	v_subb_co_u32_e32 v9, vcc, v9, v15, vcc
	s_branch .LBB94_2022
.LBB94_2015:
	s_mov_b64 s[0:1], -1
	s_mov_b64 s[16:17], 0
                                        ; implicit-def: $vgpr8_vgpr9
	s_branch .LBB94_2084
.LBB94_2016:
	s_mov_b64 s[20:21], -1
	s_mov_b64 s[16:17], 0
	s_mov_b64 s[0:1], 0
                                        ; implicit-def: $vgpr8_vgpr9
	s_branch .LBB94_2051
.LBB94_2017:
	s_mov_b64 s[20:21], -1
	s_mov_b64 s[16:17], 0
	s_mov_b64 s[0:1], 0
                                        ; implicit-def: $vgpr8_vgpr9
	s_branch .LBB94_2032
.LBB94_2018:
	s_mov_b64 s[20:21], -1
	s_mov_b64 s[16:17], 0
	s_mov_b64 s[0:1], 0
                                        ; implicit-def: $vgpr8_vgpr9
	s_branch .LBB94_2027
.LBB94_2019:
	s_trap 2
	s_or_b64 s[18:19], s[18:19], exec
	s_cbranch_execz .LBB94_1956
	s_branch .LBB94_1957
.LBB94_2020:
	s_mov_b64 s[20:21], -1
	s_mov_b64 s[16:17], 0
	s_mov_b64 s[0:1], 0
                                        ; implicit-def: $vgpr8_vgpr9
	s_branch .LBB94_2022
.LBB94_2021:
	s_mov_b64 s[0:1], -1
                                        ; implicit-def: $vgpr8_vgpr9
	s_mov_b64 s[16:17], 0
.LBB94_2022:
	s_and_b64 vcc, exec, s[20:21]
	s_cbranch_vccz .LBB94_2026
; %bb.2023:
	s_cmp_eq_u32 s23, 44
	s_cbranch_scc0 .LBB94_2025
; %bb.2024:
	global_load_ubyte v8, v[10:11], off
	s_mov_b32 s0, 0x2f800000
	s_mov_b32 s1, 0xcf800000
	s_mov_b64 s[16:17], -1
	s_waitcnt vmcnt(0)
	v_lshlrev_b32_e32 v9, 23, v8
	v_trunc_f32_e32 v9, v9
	v_mul_f32_e64 v13, |v9|, s0
	v_floor_f32_e32 v13, v13
	v_fma_f32 v15, v13, s1, |v9|
	v_cvt_u32_f32_e32 v15, v15
	v_cvt_u32_f32_e32 v13, v13
	v_ashrrev_i32_e32 v9, 31, v9
	s_mov_b64 s[0:1], 0
	v_xor_b32_e32 v15, v15, v9
	v_xor_b32_e32 v13, v13, v9
	v_sub_co_u32_e32 v15, vcc, v15, v9
	v_subb_co_u32_e32 v9, vcc, v13, v9, vcc
	v_cmp_ne_u32_e32 vcc, 0, v8
	v_cndmask_b32_e32 v9, 0, v9, vcc
	v_cndmask_b32_e32 v8, 0, v15, vcc
	s_branch .LBB94_2026
.LBB94_2025:
	s_mov_b64 s[0:1], -1
                                        ; implicit-def: $vgpr8_vgpr9
.LBB94_2026:
	s_mov_b64 s[20:21], 0
.LBB94_2027:
	s_and_b64 vcc, exec, s[20:21]
	s_cbranch_vccz .LBB94_2031
; %bb.2028:
	s_cmp_eq_u32 s23, 29
	s_cbranch_scc0 .LBB94_2030
; %bb.2029:
	global_load_dwordx2 v[8:9], v[10:11], off
	s_mov_b64 s[0:1], 0
	s_mov_b64 s[16:17], -1
	s_branch .LBB94_2031
.LBB94_2030:
	s_mov_b64 s[0:1], -1
                                        ; implicit-def: $vgpr8_vgpr9
.LBB94_2031:
	s_mov_b64 s[20:21], 0
.LBB94_2032:
	s_and_b64 vcc, exec, s[20:21]
	s_cbranch_vccz .LBB94_2050
; %bb.2033:
	s_cmp_lt_i32 s23, 27
	s_cbranch_scc1 .LBB94_2036
; %bb.2034:
	s_cmp_gt_i32 s23, 27
	s_cbranch_scc0 .LBB94_2037
; %bb.2035:
	global_load_dword v8, v[10:11], off
	s_waitcnt vmcnt(1)
	v_mov_b32_e32 v9, 0
	s_mov_b64 s[16:17], 0
	s_branch .LBB94_2038
.LBB94_2036:
	s_mov_b64 s[16:17], -1
                                        ; implicit-def: $vgpr8_vgpr9
	s_branch .LBB94_2041
.LBB94_2037:
	s_mov_b64 s[16:17], -1
                                        ; implicit-def: $vgpr8_vgpr9
.LBB94_2038:
	s_andn2_b64 vcc, exec, s[16:17]
	s_cbranch_vccnz .LBB94_2040
; %bb.2039:
	global_load_ushort v8, v[10:11], off
	s_mov_b32 s16, 0
	s_waitcnt vmcnt(1)
	v_mov_b32_e32 v9, s16
	s_waitcnt vmcnt(0)
	v_and_b32_e32 v8, 0xffff, v8
.LBB94_2040:
	s_mov_b64 s[16:17], 0
.LBB94_2041:
	s_andn2_b64 vcc, exec, s[16:17]
	s_cbranch_vccnz .LBB94_2049
; %bb.2042:
	global_load_ubyte v13, v[10:11], off
	s_movk_i32 s16, 0x7f
	s_mov_b64 s[20:21], 0
	s_waitcnt vmcnt(0)
	v_cmp_lt_i16_e32 vcc, s16, v13
	s_and_saveexec_b64 s[16:17], vcc
	s_xor_b64 s[16:17], exec, s[16:17]
; %bb.2043:
	s_movk_i32 s20, 0x80
	v_cmp_ne_u16_e32 vcc, s20, v13
	s_and_b64 s[20:21], vcc, exec
; %bb.2044:
	s_andn2_saveexec_b64 s[16:17], s[16:17]
; %bb.2045:
	v_cmp_ne_u16_e32 vcc, 0, v13
	s_andn2_b64 s[20:21], s[20:21], exec
	s_and_b64 s[26:27], vcc, exec
	s_or_b64 s[20:21], s[20:21], s[26:27]
; %bb.2046:
	s_or_b64 exec, exec, s[16:17]
	v_mov_b32_e32 v8, 0
	v_mov_b32_e32 v9, 0
	s_and_saveexec_b64 s[16:17], s[20:21]
	s_cbranch_execz .LBB94_2048
; %bb.2047:
	v_and_b32_e32 v9, 0xffff, v13
	v_lshlrev_b32_e32 v8, 24, v13
	v_and_b32_e32 v13, 7, v9
	v_ffbh_u32_e32 v16, v13
	v_min_u32_e32 v16, 32, v16
	v_subrev_u32_e32 v17, 28, v16
	v_bfe_u32 v15, v9, 3, 4
	v_lshlrev_b32_e32 v9, v17, v9
	v_sub_u32_e32 v16, 29, v16
	v_and_b32_e32 v9, 7, v9
	v_cmp_eq_u32_e32 vcc, 0, v15
	v_cndmask_b32_e32 v15, v15, v16, vcc
	v_cndmask_b32_e32 v9, v13, v9, vcc
	v_mov_b32_e32 v13, 0x3b800000
	v_lshlrev_b32_e32 v9, 20, v9
	v_and_b32_e32 v8, 0x80000000, v8
	v_lshl_add_u32 v13, v15, 23, v13
	v_or3_b32 v8, v8, v13, v9
	v_trunc_f32_e32 v8, v8
	s_mov_b32 s20, 0x2f800000
	v_mul_f32_e64 v9, |v8|, s20
	v_floor_f32_e32 v9, v9
	s_mov_b32 s20, 0xcf800000
	v_fma_f32 v13, v9, s20, |v8|
	v_cvt_u32_f32_e32 v13, v13
	v_cvt_u32_f32_e32 v9, v9
	v_ashrrev_i32_e32 v15, 31, v8
	v_xor_b32_e32 v8, v13, v15
	v_xor_b32_e32 v9, v9, v15
	v_sub_co_u32_e32 v8, vcc, v8, v15
	v_subb_co_u32_e32 v9, vcc, v9, v15, vcc
.LBB94_2048:
	s_or_b64 exec, exec, s[16:17]
.LBB94_2049:
	s_mov_b64 s[16:17], -1
.LBB94_2050:
	s_mov_b64 s[20:21], 0
.LBB94_2051:
	s_and_b64 vcc, exec, s[20:21]
	s_cbranch_vccz .LBB94_2080
; %bb.2052:
	s_cmp_gt_i32 s23, 22
	s_cbranch_scc0 .LBB94_2062
; %bb.2053:
	s_cmp_lt_i32 s23, 24
	s_cbranch_scc1 .LBB94_2063
; %bb.2054:
	s_cmp_gt_i32 s23, 24
	s_cbranch_scc0 .LBB94_2064
; %bb.2055:
	global_load_ubyte v13, v[10:11], off
	s_movk_i32 s14, 0x7f
	s_mov_b64 s[16:17], 0
	s_waitcnt vmcnt(0)
	v_cmp_lt_i16_e32 vcc, s14, v13
	s_and_saveexec_b64 s[14:15], vcc
	s_xor_b64 s[14:15], exec, s[14:15]
; %bb.2056:
	s_movk_i32 s16, 0x80
	v_cmp_ne_u16_e32 vcc, s16, v13
	s_and_b64 s[16:17], vcc, exec
; %bb.2057:
	s_andn2_saveexec_b64 s[14:15], s[14:15]
; %bb.2058:
	v_cmp_ne_u16_e32 vcc, 0, v13
	s_andn2_b64 s[16:17], s[16:17], exec
	s_and_b64 s[20:21], vcc, exec
	s_or_b64 s[16:17], s[16:17], s[20:21]
; %bb.2059:
	s_or_b64 exec, exec, s[14:15]
	v_mov_b32_e32 v8, 0
	v_mov_b32_e32 v9, 0
	s_and_saveexec_b64 s[14:15], s[16:17]
	s_cbranch_execz .LBB94_2061
; %bb.2060:
	v_and_b32_e32 v9, 0xffff, v13
	v_lshlrev_b32_e32 v8, 24, v13
	v_and_b32_e32 v13, 3, v9
	v_ffbh_u32_e32 v16, v13
	v_min_u32_e32 v16, 32, v16
	v_subrev_u32_e32 v17, 29, v16
	v_bfe_u32 v15, v9, 2, 5
	v_lshlrev_b32_e32 v9, v17, v9
	v_sub_u32_e32 v16, 30, v16
	v_and_b32_e32 v9, 3, v9
	v_cmp_eq_u32_e32 vcc, 0, v15
	v_cndmask_b32_e32 v15, v15, v16, vcc
	v_cndmask_b32_e32 v9, v13, v9, vcc
	v_mov_b32_e32 v13, 0x37800000
	v_lshlrev_b32_e32 v9, 21, v9
	v_and_b32_e32 v8, 0x80000000, v8
	v_lshl_add_u32 v13, v15, 23, v13
	v_or3_b32 v8, v8, v13, v9
	v_trunc_f32_e32 v8, v8
	s_mov_b32 s16, 0x2f800000
	v_mul_f32_e64 v9, |v8|, s16
	v_floor_f32_e32 v9, v9
	s_mov_b32 s16, 0xcf800000
	v_fma_f32 v13, v9, s16, |v8|
	v_cvt_u32_f32_e32 v13, v13
	v_cvt_u32_f32_e32 v9, v9
	v_ashrrev_i32_e32 v15, 31, v8
	v_xor_b32_e32 v8, v13, v15
	v_xor_b32_e32 v9, v9, v15
	v_sub_co_u32_e32 v8, vcc, v8, v15
	v_subb_co_u32_e32 v9, vcc, v9, v15, vcc
.LBB94_2061:
	s_or_b64 exec, exec, s[14:15]
	s_mov_b64 s[14:15], 0
	s_branch .LBB94_2065
.LBB94_2062:
	s_mov_b64 s[14:15], -1
                                        ; implicit-def: $vgpr8_vgpr9
	s_branch .LBB94_2071
.LBB94_2063:
	s_mov_b64 s[14:15], -1
                                        ; implicit-def: $vgpr8_vgpr9
	s_branch .LBB94_2068
.LBB94_2064:
	s_mov_b64 s[14:15], -1
                                        ; implicit-def: $vgpr8_vgpr9
.LBB94_2065:
	s_and_b64 vcc, exec, s[14:15]
	s_cbranch_vccz .LBB94_2067
; %bb.2066:
	global_load_ubyte v8, v[10:11], off
	s_mov_b32 s14, 0x7f800000
	s_brev_b32 s15, 1
	s_mov_b32 s16, 0x2f800000
	s_mov_b32 s17, 0xcf800000
	s_waitcnt vmcnt(0)
	v_lshlrev_b32_e32 v8, 24, v8
	v_and_b32_e32 v9, 0x7f000000, v8
	v_ffbh_u32_e32 v13, v9
	v_min_u32_e32 v13, 32, v13
	v_sub_u32_e64 v13, v13, 4 clamp
	v_lshlrev_b32_e32 v16, v13, v9
	v_lshlrev_b32_e32 v13, 23, v13
	v_lshrrev_b32_e32 v16, 4, v16
	v_add_u32_e32 v15, 0x1000000, v9
	v_sub_u32_e32 v13, v16, v13
	v_ashrrev_i32_e32 v15, 8, v15
	v_add_u32_e32 v13, 0x3c000000, v13
	v_and_or_b32 v13, v15, s14, v13
	v_cmp_ne_u32_e32 vcc, 0, v9
	v_cndmask_b32_e32 v9, 0, v13, vcc
	v_and_or_b32 v8, v8, s15, v9
	v_trunc_f32_e32 v8, v8
	v_mul_f32_e64 v9, |v8|, s16
	v_floor_f32_e32 v9, v9
	v_fma_f32 v13, v9, s17, |v8|
	v_cvt_u32_f32_e32 v13, v13
	v_cvt_u32_f32_e32 v9, v9
	v_ashrrev_i32_e32 v15, 31, v8
	v_xor_b32_e32 v8, v13, v15
	v_xor_b32_e32 v9, v9, v15
	v_sub_co_u32_e32 v8, vcc, v8, v15
	v_subb_co_u32_e32 v9, vcc, v9, v15, vcc
.LBB94_2067:
	s_mov_b64 s[14:15], 0
.LBB94_2068:
	s_andn2_b64 vcc, exec, s[14:15]
	s_cbranch_vccnz .LBB94_2070
; %bb.2069:
	global_load_ubyte v8, v[10:11], off
	s_movk_i32 s14, 0x7f00
	s_brev_b32 s15, 16
	s_brev_b32 s16, 1
	s_mov_b32 s17, 0x2f800000
	s_mov_b32 s20, 0xcf800000
	s_waitcnt vmcnt(0)
	v_lshlrev_b16_e32 v9, 8, v8
	v_lshlrev_b32_e32 v8, 25, v8
	v_lshrrev_b32_e32 v13, 4, v8
	v_and_or_b32 v15, v9, s14, 0.5
	v_or_b32_e32 v13, 0x70000000, v13
	v_add_f32_e32 v15, -0.5, v15
	v_mul_f32_e32 v13, 0x7800000, v13
	v_cmp_gt_u32_e32 vcc, s15, v8
	v_bfe_i32 v9, v9, 0, 16
	v_cndmask_b32_e32 v8, v13, v15, vcc
	v_and_or_b32 v8, v9, s16, v8
	v_trunc_f32_e32 v8, v8
	v_mul_f32_e64 v9, |v8|, s17
	v_floor_f32_e32 v9, v9
	v_fma_f32 v13, v9, s20, |v8|
	v_cvt_u32_f32_e32 v13, v13
	v_cvt_u32_f32_e32 v9, v9
	v_ashrrev_i32_e32 v15, 31, v8
	v_xor_b32_e32 v8, v13, v15
	v_xor_b32_e32 v9, v9, v15
	v_sub_co_u32_e32 v8, vcc, v8, v15
	v_subb_co_u32_e32 v9, vcc, v9, v15, vcc
.LBB94_2070:
	s_mov_b64 s[14:15], 0
	s_mov_b64 s[16:17], -1
.LBB94_2071:
	s_andn2_b64 vcc, exec, s[14:15]
	s_mov_b64 s[14:15], 0
	s_cbranch_vccnz .LBB94_2080
; %bb.2072:
	s_cmp_gt_i32 s23, 14
	s_cbranch_scc0 .LBB94_2075
; %bb.2073:
	s_cmp_eq_u32 s23, 15
	s_cbranch_scc0 .LBB94_2076
; %bb.2074:
	global_load_ushort v8, v[10:11], off
	s_mov_b32 s0, 0x2f800000
	s_mov_b32 s1, 0xcf800000
	s_mov_b64 s[16:17], -1
	s_waitcnt vmcnt(0)
	v_lshlrev_b32_e32 v8, 16, v8
	v_trunc_f32_e32 v8, v8
	v_mul_f32_e64 v9, |v8|, s0
	v_floor_f32_e32 v9, v9
	v_fma_f32 v13, v9, s1, |v8|
	v_cvt_u32_f32_e32 v13, v13
	v_cvt_u32_f32_e32 v9, v9
	v_ashrrev_i32_e32 v15, 31, v8
	s_mov_b64 s[0:1], 0
	v_xor_b32_e32 v8, v13, v15
	v_xor_b32_e32 v9, v9, v15
	v_sub_co_u32_e32 v8, vcc, v8, v15
	v_subb_co_u32_e32 v9, vcc, v9, v15, vcc
	s_branch .LBB94_2077
.LBB94_2075:
	s_mov_b64 s[20:21], -1
                                        ; implicit-def: $vgpr8_vgpr9
	s_branch .LBB94_2078
.LBB94_2076:
	s_mov_b64 s[0:1], -1
                                        ; implicit-def: $vgpr8_vgpr9
.LBB94_2077:
	s_mov_b64 s[20:21], 0
.LBB94_2078:
	s_and_b64 vcc, exec, s[20:21]
	s_cbranch_vccz .LBB94_2080
; %bb.2079:
	s_cmp_lg_u32 s23, 11
	s_mov_b64 s[14:15], -1
	s_cselect_b64 s[0:1], -1, 0
.LBB94_2080:
	s_and_b64 vcc, exec, s[0:1]
	s_cbranch_vccnz .LBB94_2145
; %bb.2081:
	s_andn2_b64 vcc, exec, s[14:15]
	s_cbranch_vccnz .LBB94_2083
.LBB94_2082:
	global_load_ubyte v8, v[10:11], off
	s_mov_b32 s0, 0
	s_waitcnt vmcnt(1)
	v_mov_b32_e32 v9, s0
	s_mov_b64 s[16:17], -1
	s_waitcnt vmcnt(0)
	v_cmp_ne_u16_e32 vcc, 0, v8
	v_cndmask_b32_e64 v8, 0, 1, vcc
.LBB94_2083:
	s_mov_b64 s[0:1], 0
.LBB94_2084:
	s_and_b64 vcc, exec, s[0:1]
	s_cbranch_vccz .LBB94_2133
; %bb.2085:
	s_and_b32 s14, 0xffff, s24
	s_cmp_lt_i32 s14, 5
	s_cbranch_scc1 .LBB94_2090
; %bb.2086:
	s_cmp_lt_i32 s14, 8
	s_cbranch_scc1 .LBB94_2091
; %bb.2087:
	;; [unrolled: 3-line block ×3, first 2 shown]
	s_cmp_gt_i32 s14, 9
	s_cbranch_scc0 .LBB94_2093
; %bb.2089:
	global_load_dwordx2 v[8:9], v[10:11], off
	s_movk_i32 s0, 0xffe0
	s_waitcnt vmcnt(0)
	v_trunc_f64_e32 v[8:9], v[8:9]
	v_ldexp_f64 v[15:16], v[8:9], s0
	s_mov_b32 s0, 0
	s_mov_b32 s1, 0xc1f00000
	v_floor_f64_e32 v[15:16], v[15:16]
	v_fma_f64 v[19:20], v[15:16], s[0:1], v[8:9]
	v_cvt_i32_f64_e32 v9, v[15:16]
	s_mov_b64 s[0:1], 0
	v_cvt_u32_f64_e32 v8, v[19:20]
	s_branch .LBB94_2094
.LBB94_2090:
	s_mov_b64 s[0:1], -1
                                        ; implicit-def: $vgpr8_vgpr9
	s_branch .LBB94_2112
.LBB94_2091:
	s_mov_b64 s[0:1], -1
                                        ; implicit-def: $vgpr8_vgpr9
	s_branch .LBB94_2100
.LBB94_2092:
	s_mov_b64 s[0:1], -1
                                        ; implicit-def: $vgpr8_vgpr9
	s_branch .LBB94_2097
.LBB94_2093:
	s_mov_b64 s[0:1], -1
                                        ; implicit-def: $vgpr8_vgpr9
.LBB94_2094:
	s_andn2_b64 vcc, exec, s[0:1]
	s_cbranch_vccnz .LBB94_2096
; %bb.2095:
	global_load_dword v8, v[10:11], off
	s_mov_b32 s0, 0x2f800000
	s_mov_b32 s1, 0xcf800000
	s_waitcnt vmcnt(0)
	v_trunc_f32_e32 v8, v8
	v_mul_f32_e64 v9, |v8|, s0
	v_floor_f32_e32 v9, v9
	v_cvt_u32_f32_e32 v13, v9
	v_fma_f32 v9, v9, s1, |v8|
	v_cvt_u32_f32_e32 v9, v9
	v_ashrrev_i32_e32 v15, 31, v8
	v_xor_b32_e32 v13, v13, v15
	v_xor_b32_e32 v8, v9, v15
	v_sub_co_u32_e32 v8, vcc, v8, v15
	v_subb_co_u32_e32 v9, vcc, v13, v15, vcc
.LBB94_2096:
	s_mov_b64 s[0:1], 0
.LBB94_2097:
	s_andn2_b64 vcc, exec, s[0:1]
	s_cbranch_vccnz .LBB94_2099
; %bb.2098:
	global_load_dword v8, v[10:11], off
	s_waitcnt vmcnt(0)
	v_cvt_f32_f16_e32 v8, v8
	v_cvt_i32_f32_e32 v8, v8
	v_ashrrev_i32_e32 v9, 31, v8
.LBB94_2099:
	s_mov_b64 s[0:1], 0
.LBB94_2100:
	s_andn2_b64 vcc, exec, s[0:1]
	s_cbranch_vccnz .LBB94_2111
; %bb.2101:
	s_cmp_lt_i32 s14, 6
	s_cbranch_scc1 .LBB94_2104
; %bb.2102:
	s_cmp_gt_i32 s14, 6
	s_cbranch_scc0 .LBB94_2105
; %bb.2103:
	global_load_dwordx2 v[8:9], v[10:11], off
	s_movk_i32 s0, 0xffe0
	s_waitcnt vmcnt(0)
	v_trunc_f64_e32 v[8:9], v[8:9]
	v_ldexp_f64 v[15:16], v[8:9], s0
	s_mov_b32 s0, 0
	s_mov_b32 s1, 0xc1f00000
	v_floor_f64_e32 v[15:16], v[15:16]
	v_fma_f64 v[19:20], v[15:16], s[0:1], v[8:9]
	v_cvt_i32_f64_e32 v9, v[15:16]
	s_mov_b64 s[0:1], 0
	v_cvt_u32_f64_e32 v8, v[19:20]
	s_branch .LBB94_2106
.LBB94_2104:
	s_mov_b64 s[0:1], -1
                                        ; implicit-def: $vgpr8_vgpr9
	s_branch .LBB94_2109
.LBB94_2105:
	s_mov_b64 s[0:1], -1
                                        ; implicit-def: $vgpr8_vgpr9
.LBB94_2106:
	s_andn2_b64 vcc, exec, s[0:1]
	s_cbranch_vccnz .LBB94_2108
; %bb.2107:
	global_load_dword v8, v[10:11], off
	s_mov_b32 s0, 0x2f800000
	s_mov_b32 s1, 0xcf800000
	s_waitcnt vmcnt(0)
	v_trunc_f32_e32 v8, v8
	v_mul_f32_e64 v9, |v8|, s0
	v_floor_f32_e32 v9, v9
	v_cvt_u32_f32_e32 v13, v9
	v_fma_f32 v9, v9, s1, |v8|
	v_cvt_u32_f32_e32 v9, v9
	v_ashrrev_i32_e32 v15, 31, v8
	v_xor_b32_e32 v13, v13, v15
	v_xor_b32_e32 v8, v9, v15
	v_sub_co_u32_e32 v8, vcc, v8, v15
	v_subb_co_u32_e32 v9, vcc, v13, v15, vcc
.LBB94_2108:
	s_mov_b64 s[0:1], 0
.LBB94_2109:
	s_andn2_b64 vcc, exec, s[0:1]
	s_cbranch_vccnz .LBB94_2111
; %bb.2110:
	global_load_ushort v8, v[10:11], off
	s_waitcnt vmcnt(0)
	v_cvt_f32_f16_e32 v8, v8
	v_cvt_i32_f32_e32 v8, v8
	v_ashrrev_i32_e32 v9, 31, v8
.LBB94_2111:
	s_mov_b64 s[0:1], 0
.LBB94_2112:
	s_andn2_b64 vcc, exec, s[0:1]
	s_cbranch_vccnz .LBB94_2132
; %bb.2113:
	s_cmp_lt_i32 s14, 2
	s_cbranch_scc1 .LBB94_2117
; %bb.2114:
	s_cmp_lt_i32 s14, 3
	s_cbranch_scc1 .LBB94_2118
; %bb.2115:
	s_cmp_gt_i32 s14, 3
	s_cbranch_scc0 .LBB94_2119
; %bb.2116:
	global_load_dwordx2 v[8:9], v[10:11], off
	s_mov_b64 s[0:1], 0
	s_branch .LBB94_2120
.LBB94_2117:
	s_mov_b64 s[0:1], -1
                                        ; implicit-def: $vgpr8_vgpr9
	s_branch .LBB94_2126
.LBB94_2118:
	s_mov_b64 s[0:1], -1
                                        ; implicit-def: $vgpr8_vgpr9
	s_branch .LBB94_2123
.LBB94_2119:
	s_mov_b64 s[0:1], -1
                                        ; implicit-def: $vgpr8_vgpr9
.LBB94_2120:
	s_andn2_b64 vcc, exec, s[0:1]
	s_cbranch_vccnz .LBB94_2122
; %bb.2121:
	global_load_dword v8, v[10:11], off
	s_waitcnt vmcnt(0)
	v_ashrrev_i32_e32 v9, 31, v8
.LBB94_2122:
	s_mov_b64 s[0:1], 0
.LBB94_2123:
	s_andn2_b64 vcc, exec, s[0:1]
	s_cbranch_vccnz .LBB94_2125
; %bb.2124:
	global_load_ushort v8, v[10:11], off
	s_waitcnt vmcnt(0)
	v_bfe_i32 v8, v8, 0, 16
	v_ashrrev_i32_e32 v9, 31, v8
.LBB94_2125:
	s_mov_b64 s[0:1], 0
.LBB94_2126:
	s_andn2_b64 vcc, exec, s[0:1]
	s_cbranch_vccnz .LBB94_2132
; %bb.2127:
	s_cmp_gt_i32 s14, 0
	s_cbranch_scc0 .LBB94_2129
; %bb.2128:
	global_load_sbyte v8, v[10:11], off
	s_mov_b64 s[0:1], 0
	s_waitcnt vmcnt(0)
	v_bfe_i32 v8, v8, 0, 16
	v_ashrrev_i32_e32 v9, 31, v8
	s_branch .LBB94_2130
.LBB94_2129:
	s_mov_b64 s[0:1], -1
                                        ; implicit-def: $vgpr8_vgpr9
.LBB94_2130:
	s_andn2_b64 vcc, exec, s[0:1]
	s_cbranch_vccnz .LBB94_2132
; %bb.2131:
	global_load_ubyte v8, v[10:11], off
	s_mov_b32 s0, 0
	s_waitcnt vmcnt(1)
	v_mov_b32_e32 v9, s0
	s_waitcnt vmcnt(0)
	v_and_b32_e32 v8, 0xffff, v8
.LBB94_2132:
	s_mov_b64 s[16:17], -1
.LBB94_2133:
	s_andn2_b64 vcc, exec, s[16:17]
	s_cbranch_vccnz .LBB94_2947
; %bb.2134:
	v_add_u32_e32 v16, s22, v12
	v_ashrrev_i32_e32 v10, 31, v16
	v_mov_b32_e32 v11, s3
	v_add_co_u32_e32 v12, vcc, s2, v16
	s_cmp_lt_i32 s25, 11
	v_addc_co_u32_e32 v13, vcc, v11, v10, vcc
	s_cbranch_scc1 .LBB94_2141
; %bb.2135:
	s_and_b32 s23, 0xffff, s25
	s_cmp_gt_i32 s23, 25
	s_mov_b64 s[14:15], 0
	s_cbranch_scc0 .LBB94_2142
; %bb.2136:
	s_cmp_gt_i32 s23, 28
	s_cbranch_scc0 .LBB94_2143
; %bb.2137:
	s_cmp_gt_i32 s23, 43
	;; [unrolled: 3-line block ×3, first 2 shown]
	s_cbranch_scc0 .LBB94_2146
; %bb.2139:
	s_cmp_eq_u32 s23, 46
	s_mov_b64 s[20:21], 0
	s_cbranch_scc0 .LBB94_2149
; %bb.2140:
	global_load_dword v10, v[12:13], off
	s_mov_b32 s0, 0x2f800000
	s_mov_b32 s1, 0xcf800000
	s_mov_b64 s[16:17], -1
	s_waitcnt vmcnt(0)
	v_lshlrev_b32_e32 v10, 16, v10
	v_trunc_f32_e32 v10, v10
	v_mul_f32_e64 v11, |v10|, s0
	v_floor_f32_e32 v11, v11
	v_fma_f32 v15, v11, s1, |v10|
	v_cvt_u32_f32_e32 v15, v15
	v_cvt_u32_f32_e32 v11, v11
	v_ashrrev_i32_e32 v17, 31, v10
	s_mov_b64 s[0:1], 0
	v_xor_b32_e32 v10, v15, v17
	v_xor_b32_e32 v11, v11, v17
	v_sub_co_u32_e32 v10, vcc, v10, v17
	v_subb_co_u32_e32 v11, vcc, v11, v17, vcc
	s_branch .LBB94_2150
.LBB94_2141:
	s_mov_b64 s[0:1], -1
	s_mov_b64 s[16:17], 0
                                        ; implicit-def: $vgpr10_vgpr11
	s_branch .LBB94_2212
.LBB94_2142:
	s_mov_b64 s[20:21], -1
	s_mov_b64 s[16:17], 0
	s_mov_b64 s[0:1], 0
                                        ; implicit-def: $vgpr10_vgpr11
	s_branch .LBB94_2179
.LBB94_2143:
	s_mov_b64 s[20:21], -1
	s_mov_b64 s[16:17], 0
	s_mov_b64 s[0:1], 0
                                        ; implicit-def: $vgpr10_vgpr11
	s_branch .LBB94_2160
.LBB94_2144:
	s_mov_b64 s[20:21], -1
	s_mov_b64 s[16:17], 0
	s_mov_b64 s[0:1], 0
                                        ; implicit-def: $vgpr10_vgpr11
	s_branch .LBB94_2155
.LBB94_2145:
	s_trap 2
	s_or_b64 s[18:19], s[18:19], exec
	s_cbranch_execz .LBB94_2082
	s_branch .LBB94_2083
.LBB94_2146:
	s_mov_b64 s[20:21], -1
	s_mov_b64 s[16:17], 0
	s_mov_b64 s[0:1], 0
                                        ; implicit-def: $vgpr10_vgpr11
	s_branch .LBB94_2150
.LBB94_2147:
	s_andn2_saveexec_b64 s[44:45], s[44:45]
	s_cbranch_execz .LBB94_1061
.LBB94_2148:
	s_mov_b32 s49, 0x42800000
	v_add_f32_e64 v5, |v4|, s49
	v_and_b32_e32 v5, 0xff, v5
	v_cmp_ne_u32_e32 vcc, 0, v5
	s_andn2_b64 s[42:43], s[42:43], exec
	s_and_b64 s[50:51], vcc, exec
	s_or_b64 s[42:43], s[42:43], s[50:51]
	s_or_b64 exec, exec, s[44:45]
	v_mov_b32_e32 v6, 0
	s_and_saveexec_b64 s[44:45], s[42:43]
	s_cbranch_execnz .LBB94_1062
	s_branch .LBB94_1063
.LBB94_2149:
	s_mov_b64 s[0:1], -1
                                        ; implicit-def: $vgpr10_vgpr11
	s_mov_b64 s[16:17], 0
.LBB94_2150:
	s_and_b64 vcc, exec, s[20:21]
	s_cbranch_vccz .LBB94_2154
; %bb.2151:
	s_cmp_eq_u32 s23, 44
	s_cbranch_scc0 .LBB94_2153
; %bb.2152:
	global_load_ubyte v10, v[12:13], off
	s_mov_b32 s0, 0x2f800000
	s_mov_b32 s1, 0xcf800000
	s_mov_b64 s[16:17], -1
	s_waitcnt vmcnt(0)
	v_lshlrev_b32_e32 v11, 23, v10
	v_trunc_f32_e32 v11, v11
	v_mul_f32_e64 v15, |v11|, s0
	v_floor_f32_e32 v15, v15
	v_fma_f32 v17, v15, s1, |v11|
	v_cvt_u32_f32_e32 v17, v17
	v_cvt_u32_f32_e32 v15, v15
	v_ashrrev_i32_e32 v11, 31, v11
	s_mov_b64 s[0:1], 0
	v_xor_b32_e32 v17, v17, v11
	v_xor_b32_e32 v15, v15, v11
	v_sub_co_u32_e32 v17, vcc, v17, v11
	v_subb_co_u32_e32 v11, vcc, v15, v11, vcc
	v_cmp_ne_u32_e32 vcc, 0, v10
	v_cndmask_b32_e32 v11, 0, v11, vcc
	v_cndmask_b32_e32 v10, 0, v17, vcc
	s_branch .LBB94_2154
.LBB94_2153:
	s_mov_b64 s[0:1], -1
                                        ; implicit-def: $vgpr10_vgpr11
.LBB94_2154:
	s_mov_b64 s[20:21], 0
.LBB94_2155:
	s_and_b64 vcc, exec, s[20:21]
	s_cbranch_vccz .LBB94_2159
; %bb.2156:
	s_cmp_eq_u32 s23, 29
	s_cbranch_scc0 .LBB94_2158
; %bb.2157:
	global_load_dwordx2 v[10:11], v[12:13], off
	s_mov_b64 s[0:1], 0
	s_mov_b64 s[16:17], -1
	s_branch .LBB94_2159
.LBB94_2158:
	s_mov_b64 s[0:1], -1
                                        ; implicit-def: $vgpr10_vgpr11
.LBB94_2159:
	s_mov_b64 s[20:21], 0
.LBB94_2160:
	s_and_b64 vcc, exec, s[20:21]
	s_cbranch_vccz .LBB94_2178
; %bb.2161:
	s_cmp_lt_i32 s23, 27
	s_cbranch_scc1 .LBB94_2164
; %bb.2162:
	s_cmp_gt_i32 s23, 27
	s_cbranch_scc0 .LBB94_2165
; %bb.2163:
	global_load_dword v10, v[12:13], off
	s_waitcnt vmcnt(1)
	v_mov_b32_e32 v11, 0
	s_mov_b64 s[16:17], 0
	s_branch .LBB94_2166
.LBB94_2164:
	s_mov_b64 s[16:17], -1
                                        ; implicit-def: $vgpr10_vgpr11
	s_branch .LBB94_2169
.LBB94_2165:
	s_mov_b64 s[16:17], -1
                                        ; implicit-def: $vgpr10_vgpr11
.LBB94_2166:
	s_andn2_b64 vcc, exec, s[16:17]
	s_cbranch_vccnz .LBB94_2168
; %bb.2167:
	global_load_ushort v10, v[12:13], off
	s_mov_b32 s16, 0
	s_waitcnt vmcnt(1)
	v_mov_b32_e32 v11, s16
	s_waitcnt vmcnt(0)
	v_and_b32_e32 v10, 0xffff, v10
.LBB94_2168:
	s_mov_b64 s[16:17], 0
.LBB94_2169:
	s_andn2_b64 vcc, exec, s[16:17]
	s_cbranch_vccnz .LBB94_2177
; %bb.2170:
	global_load_ubyte v15, v[12:13], off
	s_movk_i32 s16, 0x7f
	s_mov_b64 s[20:21], 0
	s_waitcnt vmcnt(0)
	v_cmp_lt_i16_e32 vcc, s16, v15
	s_and_saveexec_b64 s[16:17], vcc
	s_xor_b64 s[16:17], exec, s[16:17]
; %bb.2171:
	s_movk_i32 s20, 0x80
	v_cmp_ne_u16_e32 vcc, s20, v15
	s_and_b64 s[20:21], vcc, exec
; %bb.2172:
	s_andn2_saveexec_b64 s[16:17], s[16:17]
; %bb.2173:
	v_cmp_ne_u16_e32 vcc, 0, v15
	s_andn2_b64 s[20:21], s[20:21], exec
	s_and_b64 s[26:27], vcc, exec
	s_or_b64 s[20:21], s[20:21], s[26:27]
; %bb.2174:
	s_or_b64 exec, exec, s[16:17]
	v_mov_b32_e32 v10, 0
	v_mov_b32_e32 v11, 0
	s_and_saveexec_b64 s[16:17], s[20:21]
	s_cbranch_execz .LBB94_2176
; %bb.2175:
	v_and_b32_e32 v11, 0xffff, v15
	v_lshlrev_b32_e32 v10, 24, v15
	v_and_b32_e32 v15, 7, v11
	v_ffbh_u32_e32 v19, v15
	v_min_u32_e32 v19, 32, v19
	v_subrev_u32_e32 v20, 28, v19
	v_bfe_u32 v17, v11, 3, 4
	v_lshlrev_b32_e32 v11, v20, v11
	v_sub_u32_e32 v19, 29, v19
	v_and_b32_e32 v11, 7, v11
	v_cmp_eq_u32_e32 vcc, 0, v17
	v_cndmask_b32_e32 v17, v17, v19, vcc
	v_cndmask_b32_e32 v11, v15, v11, vcc
	v_mov_b32_e32 v15, 0x3b800000
	v_lshlrev_b32_e32 v11, 20, v11
	v_and_b32_e32 v10, 0x80000000, v10
	v_lshl_add_u32 v15, v17, 23, v15
	v_or3_b32 v10, v10, v15, v11
	v_trunc_f32_e32 v10, v10
	s_mov_b32 s20, 0x2f800000
	v_mul_f32_e64 v11, |v10|, s20
	v_floor_f32_e32 v11, v11
	s_mov_b32 s20, 0xcf800000
	v_fma_f32 v15, v11, s20, |v10|
	v_cvt_u32_f32_e32 v15, v15
	v_cvt_u32_f32_e32 v11, v11
	v_ashrrev_i32_e32 v17, 31, v10
	v_xor_b32_e32 v10, v15, v17
	v_xor_b32_e32 v11, v11, v17
	v_sub_co_u32_e32 v10, vcc, v10, v17
	v_subb_co_u32_e32 v11, vcc, v11, v17, vcc
.LBB94_2176:
	s_or_b64 exec, exec, s[16:17]
.LBB94_2177:
	s_mov_b64 s[16:17], -1
.LBB94_2178:
	s_mov_b64 s[20:21], 0
.LBB94_2179:
	s_and_b64 vcc, exec, s[20:21]
	s_cbranch_vccz .LBB94_2208
; %bb.2180:
	s_cmp_gt_i32 s23, 22
	s_cbranch_scc0 .LBB94_2190
; %bb.2181:
	s_cmp_lt_i32 s23, 24
	s_cbranch_scc1 .LBB94_2191
; %bb.2182:
	s_cmp_gt_i32 s23, 24
	s_cbranch_scc0 .LBB94_2192
; %bb.2183:
	global_load_ubyte v15, v[12:13], off
	s_movk_i32 s14, 0x7f
	s_mov_b64 s[16:17], 0
	s_waitcnt vmcnt(0)
	v_cmp_lt_i16_e32 vcc, s14, v15
	s_and_saveexec_b64 s[14:15], vcc
	s_xor_b64 s[14:15], exec, s[14:15]
; %bb.2184:
	s_movk_i32 s16, 0x80
	v_cmp_ne_u16_e32 vcc, s16, v15
	s_and_b64 s[16:17], vcc, exec
; %bb.2185:
	s_andn2_saveexec_b64 s[14:15], s[14:15]
; %bb.2186:
	v_cmp_ne_u16_e32 vcc, 0, v15
	s_andn2_b64 s[16:17], s[16:17], exec
	s_and_b64 s[20:21], vcc, exec
	s_or_b64 s[16:17], s[16:17], s[20:21]
; %bb.2187:
	s_or_b64 exec, exec, s[14:15]
	v_mov_b32_e32 v10, 0
	v_mov_b32_e32 v11, 0
	s_and_saveexec_b64 s[14:15], s[16:17]
	s_cbranch_execz .LBB94_2189
; %bb.2188:
	v_and_b32_e32 v11, 0xffff, v15
	v_lshlrev_b32_e32 v10, 24, v15
	v_and_b32_e32 v15, 3, v11
	v_ffbh_u32_e32 v19, v15
	v_min_u32_e32 v19, 32, v19
	v_subrev_u32_e32 v20, 29, v19
	v_bfe_u32 v17, v11, 2, 5
	v_lshlrev_b32_e32 v11, v20, v11
	v_sub_u32_e32 v19, 30, v19
	v_and_b32_e32 v11, 3, v11
	v_cmp_eq_u32_e32 vcc, 0, v17
	v_cndmask_b32_e32 v17, v17, v19, vcc
	v_cndmask_b32_e32 v11, v15, v11, vcc
	v_mov_b32_e32 v15, 0x37800000
	v_lshlrev_b32_e32 v11, 21, v11
	v_and_b32_e32 v10, 0x80000000, v10
	v_lshl_add_u32 v15, v17, 23, v15
	v_or3_b32 v10, v10, v15, v11
	v_trunc_f32_e32 v10, v10
	s_mov_b32 s16, 0x2f800000
	v_mul_f32_e64 v11, |v10|, s16
	v_floor_f32_e32 v11, v11
	s_mov_b32 s16, 0xcf800000
	v_fma_f32 v15, v11, s16, |v10|
	v_cvt_u32_f32_e32 v15, v15
	v_cvt_u32_f32_e32 v11, v11
	v_ashrrev_i32_e32 v17, 31, v10
	v_xor_b32_e32 v10, v15, v17
	v_xor_b32_e32 v11, v11, v17
	v_sub_co_u32_e32 v10, vcc, v10, v17
	v_subb_co_u32_e32 v11, vcc, v11, v17, vcc
.LBB94_2189:
	s_or_b64 exec, exec, s[14:15]
	s_mov_b64 s[14:15], 0
	s_branch .LBB94_2193
.LBB94_2190:
	s_mov_b64 s[14:15], -1
                                        ; implicit-def: $vgpr10_vgpr11
	s_branch .LBB94_2199
.LBB94_2191:
	s_mov_b64 s[14:15], -1
                                        ; implicit-def: $vgpr10_vgpr11
	s_branch .LBB94_2196
.LBB94_2192:
	s_mov_b64 s[14:15], -1
                                        ; implicit-def: $vgpr10_vgpr11
.LBB94_2193:
	s_and_b64 vcc, exec, s[14:15]
	s_cbranch_vccz .LBB94_2195
; %bb.2194:
	global_load_ubyte v10, v[12:13], off
	s_mov_b32 s14, 0x7f800000
	s_brev_b32 s15, 1
	s_mov_b32 s16, 0x2f800000
	s_mov_b32 s17, 0xcf800000
	s_waitcnt vmcnt(0)
	v_lshlrev_b32_e32 v10, 24, v10
	v_and_b32_e32 v11, 0x7f000000, v10
	v_ffbh_u32_e32 v15, v11
	v_min_u32_e32 v15, 32, v15
	v_sub_u32_e64 v15, v15, 4 clamp
	v_lshlrev_b32_e32 v19, v15, v11
	v_lshlrev_b32_e32 v15, 23, v15
	v_lshrrev_b32_e32 v19, 4, v19
	v_add_u32_e32 v17, 0x1000000, v11
	v_sub_u32_e32 v15, v19, v15
	v_ashrrev_i32_e32 v17, 8, v17
	v_add_u32_e32 v15, 0x3c000000, v15
	v_and_or_b32 v15, v17, s14, v15
	v_cmp_ne_u32_e32 vcc, 0, v11
	v_cndmask_b32_e32 v11, 0, v15, vcc
	v_and_or_b32 v10, v10, s15, v11
	v_trunc_f32_e32 v10, v10
	v_mul_f32_e64 v11, |v10|, s16
	v_floor_f32_e32 v11, v11
	v_fma_f32 v15, v11, s17, |v10|
	v_cvt_u32_f32_e32 v15, v15
	v_cvt_u32_f32_e32 v11, v11
	v_ashrrev_i32_e32 v17, 31, v10
	v_xor_b32_e32 v10, v15, v17
	v_xor_b32_e32 v11, v11, v17
	v_sub_co_u32_e32 v10, vcc, v10, v17
	v_subb_co_u32_e32 v11, vcc, v11, v17, vcc
.LBB94_2195:
	s_mov_b64 s[14:15], 0
.LBB94_2196:
	s_andn2_b64 vcc, exec, s[14:15]
	s_cbranch_vccnz .LBB94_2198
; %bb.2197:
	global_load_ubyte v10, v[12:13], off
	s_movk_i32 s14, 0x7f00
	s_brev_b32 s15, 16
	s_brev_b32 s16, 1
	s_mov_b32 s17, 0x2f800000
	s_mov_b32 s20, 0xcf800000
	s_waitcnt vmcnt(0)
	v_lshlrev_b16_e32 v11, 8, v10
	v_lshlrev_b32_e32 v10, 25, v10
	v_lshrrev_b32_e32 v15, 4, v10
	v_and_or_b32 v17, v11, s14, 0.5
	v_or_b32_e32 v15, 0x70000000, v15
	v_add_f32_e32 v17, -0.5, v17
	v_mul_f32_e32 v15, 0x7800000, v15
	v_cmp_gt_u32_e32 vcc, s15, v10
	v_bfe_i32 v11, v11, 0, 16
	v_cndmask_b32_e32 v10, v15, v17, vcc
	v_and_or_b32 v10, v11, s16, v10
	v_trunc_f32_e32 v10, v10
	v_mul_f32_e64 v11, |v10|, s17
	v_floor_f32_e32 v11, v11
	v_fma_f32 v15, v11, s20, |v10|
	v_cvt_u32_f32_e32 v15, v15
	v_cvt_u32_f32_e32 v11, v11
	v_ashrrev_i32_e32 v17, 31, v10
	v_xor_b32_e32 v10, v15, v17
	v_xor_b32_e32 v11, v11, v17
	v_sub_co_u32_e32 v10, vcc, v10, v17
	v_subb_co_u32_e32 v11, vcc, v11, v17, vcc
.LBB94_2198:
	s_mov_b64 s[14:15], 0
	s_mov_b64 s[16:17], -1
.LBB94_2199:
	s_andn2_b64 vcc, exec, s[14:15]
	s_mov_b64 s[14:15], 0
	s_cbranch_vccnz .LBB94_2208
; %bb.2200:
	s_cmp_gt_i32 s23, 14
	s_cbranch_scc0 .LBB94_2203
; %bb.2201:
	s_cmp_eq_u32 s23, 15
	s_cbranch_scc0 .LBB94_2204
; %bb.2202:
	global_load_ushort v10, v[12:13], off
	s_mov_b32 s0, 0x2f800000
	s_mov_b32 s1, 0xcf800000
	s_mov_b64 s[16:17], -1
	s_waitcnt vmcnt(0)
	v_lshlrev_b32_e32 v10, 16, v10
	v_trunc_f32_e32 v10, v10
	v_mul_f32_e64 v11, |v10|, s0
	v_floor_f32_e32 v11, v11
	v_fma_f32 v15, v11, s1, |v10|
	v_cvt_u32_f32_e32 v15, v15
	v_cvt_u32_f32_e32 v11, v11
	v_ashrrev_i32_e32 v17, 31, v10
	s_mov_b64 s[0:1], 0
	v_xor_b32_e32 v10, v15, v17
	v_xor_b32_e32 v11, v11, v17
	v_sub_co_u32_e32 v10, vcc, v10, v17
	v_subb_co_u32_e32 v11, vcc, v11, v17, vcc
	s_branch .LBB94_2205
.LBB94_2203:
	s_mov_b64 s[20:21], -1
                                        ; implicit-def: $vgpr10_vgpr11
	s_branch .LBB94_2206
.LBB94_2204:
	s_mov_b64 s[0:1], -1
                                        ; implicit-def: $vgpr10_vgpr11
.LBB94_2205:
	s_mov_b64 s[20:21], 0
.LBB94_2206:
	s_and_b64 vcc, exec, s[20:21]
	s_cbranch_vccz .LBB94_2208
; %bb.2207:
	s_cmp_lg_u32 s23, 11
	s_mov_b64 s[14:15], -1
	s_cselect_b64 s[0:1], -1, 0
.LBB94_2208:
	s_and_b64 vcc, exec, s[0:1]
	s_cbranch_vccnz .LBB94_2273
; %bb.2209:
	s_andn2_b64 vcc, exec, s[14:15]
	s_cbranch_vccnz .LBB94_2211
.LBB94_2210:
	global_load_ubyte v10, v[12:13], off
	s_mov_b32 s0, 0
	s_waitcnt vmcnt(1)
	v_mov_b32_e32 v11, s0
	s_mov_b64 s[16:17], -1
	s_waitcnt vmcnt(0)
	v_cmp_ne_u16_e32 vcc, 0, v10
	v_cndmask_b32_e64 v10, 0, 1, vcc
.LBB94_2211:
	s_mov_b64 s[0:1], 0
.LBB94_2212:
	s_and_b64 vcc, exec, s[0:1]
	s_cbranch_vccz .LBB94_2261
; %bb.2213:
	s_and_b32 s14, 0xffff, s25
	s_cmp_lt_i32 s14, 5
	s_cbranch_scc1 .LBB94_2218
; %bb.2214:
	s_cmp_lt_i32 s14, 8
	s_cbranch_scc1 .LBB94_2219
; %bb.2215:
	;; [unrolled: 3-line block ×3, first 2 shown]
	s_cmp_gt_i32 s14, 9
	s_cbranch_scc0 .LBB94_2221
; %bb.2217:
	global_load_dwordx2 v[10:11], v[12:13], off
	s_movk_i32 s0, 0xffe0
	s_waitcnt vmcnt(0)
	v_trunc_f64_e32 v[10:11], v[10:11]
	v_ldexp_f64 v[19:20], v[10:11], s0
	s_mov_b32 s0, 0
	s_mov_b32 s1, 0xc1f00000
	v_floor_f64_e32 v[19:20], v[19:20]
	v_fma_f64 v[21:22], v[19:20], s[0:1], v[10:11]
	v_cvt_i32_f64_e32 v11, v[19:20]
	s_mov_b64 s[0:1], 0
	v_cvt_u32_f64_e32 v10, v[21:22]
	s_branch .LBB94_2222
.LBB94_2218:
	s_mov_b64 s[0:1], -1
                                        ; implicit-def: $vgpr10_vgpr11
	s_branch .LBB94_2240
.LBB94_2219:
	s_mov_b64 s[0:1], -1
                                        ; implicit-def: $vgpr10_vgpr11
	s_branch .LBB94_2228
.LBB94_2220:
	s_mov_b64 s[0:1], -1
                                        ; implicit-def: $vgpr10_vgpr11
	s_branch .LBB94_2225
.LBB94_2221:
	s_mov_b64 s[0:1], -1
                                        ; implicit-def: $vgpr10_vgpr11
.LBB94_2222:
	s_andn2_b64 vcc, exec, s[0:1]
	s_cbranch_vccnz .LBB94_2224
; %bb.2223:
	global_load_dword v10, v[12:13], off
	s_mov_b32 s0, 0x2f800000
	s_mov_b32 s1, 0xcf800000
	s_waitcnt vmcnt(0)
	v_trunc_f32_e32 v10, v10
	v_mul_f32_e64 v11, |v10|, s0
	v_floor_f32_e32 v11, v11
	v_cvt_u32_f32_e32 v15, v11
	v_fma_f32 v11, v11, s1, |v10|
	v_cvt_u32_f32_e32 v11, v11
	v_ashrrev_i32_e32 v17, 31, v10
	v_xor_b32_e32 v15, v15, v17
	v_xor_b32_e32 v10, v11, v17
	v_sub_co_u32_e32 v10, vcc, v10, v17
	v_subb_co_u32_e32 v11, vcc, v15, v17, vcc
.LBB94_2224:
	s_mov_b64 s[0:1], 0
.LBB94_2225:
	s_andn2_b64 vcc, exec, s[0:1]
	s_cbranch_vccnz .LBB94_2227
; %bb.2226:
	global_load_dword v10, v[12:13], off
	s_waitcnt vmcnt(0)
	v_cvt_f32_f16_e32 v10, v10
	v_cvt_i32_f32_e32 v10, v10
	v_ashrrev_i32_e32 v11, 31, v10
.LBB94_2227:
	s_mov_b64 s[0:1], 0
.LBB94_2228:
	s_andn2_b64 vcc, exec, s[0:1]
	s_cbranch_vccnz .LBB94_2239
; %bb.2229:
	s_cmp_lt_i32 s14, 6
	s_cbranch_scc1 .LBB94_2232
; %bb.2230:
	s_cmp_gt_i32 s14, 6
	s_cbranch_scc0 .LBB94_2233
; %bb.2231:
	global_load_dwordx2 v[10:11], v[12:13], off
	s_movk_i32 s0, 0xffe0
	s_waitcnt vmcnt(0)
	v_trunc_f64_e32 v[10:11], v[10:11]
	v_ldexp_f64 v[19:20], v[10:11], s0
	s_mov_b32 s0, 0
	s_mov_b32 s1, 0xc1f00000
	v_floor_f64_e32 v[19:20], v[19:20]
	v_fma_f64 v[21:22], v[19:20], s[0:1], v[10:11]
	v_cvt_i32_f64_e32 v11, v[19:20]
	s_mov_b64 s[0:1], 0
	v_cvt_u32_f64_e32 v10, v[21:22]
	s_branch .LBB94_2234
.LBB94_2232:
	s_mov_b64 s[0:1], -1
                                        ; implicit-def: $vgpr10_vgpr11
	s_branch .LBB94_2237
.LBB94_2233:
	s_mov_b64 s[0:1], -1
                                        ; implicit-def: $vgpr10_vgpr11
.LBB94_2234:
	s_andn2_b64 vcc, exec, s[0:1]
	s_cbranch_vccnz .LBB94_2236
; %bb.2235:
	global_load_dword v10, v[12:13], off
	s_mov_b32 s0, 0x2f800000
	s_mov_b32 s1, 0xcf800000
	s_waitcnt vmcnt(0)
	v_trunc_f32_e32 v10, v10
	v_mul_f32_e64 v11, |v10|, s0
	v_floor_f32_e32 v11, v11
	v_cvt_u32_f32_e32 v15, v11
	v_fma_f32 v11, v11, s1, |v10|
	v_cvt_u32_f32_e32 v11, v11
	v_ashrrev_i32_e32 v17, 31, v10
	v_xor_b32_e32 v15, v15, v17
	v_xor_b32_e32 v10, v11, v17
	v_sub_co_u32_e32 v10, vcc, v10, v17
	v_subb_co_u32_e32 v11, vcc, v15, v17, vcc
.LBB94_2236:
	s_mov_b64 s[0:1], 0
.LBB94_2237:
	s_andn2_b64 vcc, exec, s[0:1]
	s_cbranch_vccnz .LBB94_2239
; %bb.2238:
	global_load_ushort v10, v[12:13], off
	s_waitcnt vmcnt(0)
	v_cvt_f32_f16_e32 v10, v10
	v_cvt_i32_f32_e32 v10, v10
	v_ashrrev_i32_e32 v11, 31, v10
.LBB94_2239:
	s_mov_b64 s[0:1], 0
.LBB94_2240:
	s_andn2_b64 vcc, exec, s[0:1]
	s_cbranch_vccnz .LBB94_2260
; %bb.2241:
	s_cmp_lt_i32 s14, 2
	s_cbranch_scc1 .LBB94_2245
; %bb.2242:
	s_cmp_lt_i32 s14, 3
	s_cbranch_scc1 .LBB94_2246
; %bb.2243:
	s_cmp_gt_i32 s14, 3
	s_cbranch_scc0 .LBB94_2247
; %bb.2244:
	global_load_dwordx2 v[10:11], v[12:13], off
	s_mov_b64 s[0:1], 0
	s_branch .LBB94_2248
.LBB94_2245:
	s_mov_b64 s[0:1], -1
                                        ; implicit-def: $vgpr10_vgpr11
	s_branch .LBB94_2254
.LBB94_2246:
	s_mov_b64 s[0:1], -1
                                        ; implicit-def: $vgpr10_vgpr11
	s_branch .LBB94_2251
.LBB94_2247:
	s_mov_b64 s[0:1], -1
                                        ; implicit-def: $vgpr10_vgpr11
.LBB94_2248:
	s_andn2_b64 vcc, exec, s[0:1]
	s_cbranch_vccnz .LBB94_2250
; %bb.2249:
	global_load_dword v10, v[12:13], off
	s_waitcnt vmcnt(0)
	v_ashrrev_i32_e32 v11, 31, v10
.LBB94_2250:
	s_mov_b64 s[0:1], 0
.LBB94_2251:
	s_andn2_b64 vcc, exec, s[0:1]
	s_cbranch_vccnz .LBB94_2253
; %bb.2252:
	global_load_ushort v10, v[12:13], off
	s_waitcnt vmcnt(0)
	v_bfe_i32 v10, v10, 0, 16
	v_ashrrev_i32_e32 v11, 31, v10
.LBB94_2253:
	s_mov_b64 s[0:1], 0
.LBB94_2254:
	s_andn2_b64 vcc, exec, s[0:1]
	s_cbranch_vccnz .LBB94_2260
; %bb.2255:
	s_cmp_gt_i32 s14, 0
	s_cbranch_scc0 .LBB94_2257
; %bb.2256:
	global_load_sbyte v10, v[12:13], off
	s_mov_b64 s[0:1], 0
	s_waitcnt vmcnt(0)
	v_bfe_i32 v10, v10, 0, 16
	v_ashrrev_i32_e32 v11, 31, v10
	s_branch .LBB94_2258
.LBB94_2257:
	s_mov_b64 s[0:1], -1
                                        ; implicit-def: $vgpr10_vgpr11
.LBB94_2258:
	s_andn2_b64 vcc, exec, s[0:1]
	s_cbranch_vccnz .LBB94_2260
; %bb.2259:
	global_load_ubyte v10, v[12:13], off
	s_mov_b32 s0, 0
	s_waitcnt vmcnt(1)
	v_mov_b32_e32 v11, s0
	s_waitcnt vmcnt(0)
	v_and_b32_e32 v10, 0xffff, v10
.LBB94_2260:
	s_mov_b64 s[16:17], -1
.LBB94_2261:
	s_andn2_b64 vcc, exec, s[16:17]
	s_cbranch_vccnz .LBB94_2947
; %bb.2262:
	v_add_u32_e32 v12, s13, v14
	v_ashrrev_i32_e32 v13, 31, v12
	v_mov_b32_e32 v15, s11
	v_add_co_u32_e32 v14, vcc, s10, v12
	s_cmp_lt_i32 s24, 11
	v_addc_co_u32_e32 v15, vcc, v15, v13, vcc
	s_cbranch_scc1 .LBB94_2269
; %bb.2263:
	s_and_b32 s13, 0xffff, s24
	s_cmp_gt_i32 s13, 25
	s_mov_b64 s[10:11], 0
	s_cbranch_scc0 .LBB94_2270
; %bb.2264:
	s_cmp_gt_i32 s13, 28
	s_cbranch_scc0 .LBB94_2271
; %bb.2265:
	s_cmp_gt_i32 s13, 43
	;; [unrolled: 3-line block ×3, first 2 shown]
	s_cbranch_scc0 .LBB94_2274
; %bb.2267:
	s_cmp_eq_u32 s13, 46
	s_mov_b64 s[16:17], 0
	s_cbranch_scc0 .LBB94_2275
; %bb.2268:
	global_load_dword v12, v[14:15], off
	s_mov_b32 s0, 0x2f800000
	s_mov_b32 s1, 0xcf800000
	s_mov_b64 s[14:15], -1
	s_waitcnt vmcnt(0)
	v_lshlrev_b32_e32 v12, 16, v12
	v_trunc_f32_e32 v12, v12
	v_mul_f32_e64 v13, |v12|, s0
	v_floor_f32_e32 v13, v13
	v_fma_f32 v17, v13, s1, |v12|
	v_cvt_u32_f32_e32 v17, v17
	v_cvt_u32_f32_e32 v13, v13
	v_ashrrev_i32_e32 v19, 31, v12
	s_mov_b64 s[0:1], 0
	v_xor_b32_e32 v12, v17, v19
	v_xor_b32_e32 v13, v13, v19
	v_sub_co_u32_e32 v12, vcc, v12, v19
	v_subb_co_u32_e32 v13, vcc, v13, v19, vcc
	s_branch .LBB94_2276
.LBB94_2269:
	s_mov_b64 s[0:1], -1
	s_mov_b64 s[14:15], 0
                                        ; implicit-def: $vgpr12_vgpr13
	s_branch .LBB94_2338
.LBB94_2270:
	s_mov_b64 s[16:17], -1
	s_mov_b64 s[14:15], 0
	s_mov_b64 s[0:1], 0
                                        ; implicit-def: $vgpr12_vgpr13
	s_branch .LBB94_2305
.LBB94_2271:
	s_mov_b64 s[16:17], -1
	s_mov_b64 s[14:15], 0
	s_mov_b64 s[0:1], 0
                                        ; implicit-def: $vgpr12_vgpr13
	s_branch .LBB94_2286
.LBB94_2272:
	s_mov_b64 s[16:17], -1
	s_mov_b64 s[14:15], 0
	s_mov_b64 s[0:1], 0
                                        ; implicit-def: $vgpr12_vgpr13
	s_branch .LBB94_2281
.LBB94_2273:
	s_trap 2
	s_or_b64 s[18:19], s[18:19], exec
	s_cbranch_execz .LBB94_2210
	s_branch .LBB94_2211
.LBB94_2274:
	s_mov_b64 s[16:17], -1
	s_mov_b64 s[14:15], 0
	s_mov_b64 s[0:1], 0
                                        ; implicit-def: $vgpr12_vgpr13
	s_branch .LBB94_2276
.LBB94_2275:
	s_mov_b64 s[0:1], -1
                                        ; implicit-def: $vgpr12_vgpr13
	s_mov_b64 s[14:15], 0
.LBB94_2276:
	s_and_b64 vcc, exec, s[16:17]
	s_cbranch_vccz .LBB94_2280
; %bb.2277:
	s_cmp_eq_u32 s13, 44
	s_cbranch_scc0 .LBB94_2279
; %bb.2278:
	global_load_ubyte v12, v[14:15], off
	s_mov_b32 s0, 0x2f800000
	s_mov_b32 s1, 0xcf800000
	s_mov_b64 s[14:15], -1
	s_waitcnt vmcnt(0)
	v_lshlrev_b32_e32 v13, 23, v12
	v_trunc_f32_e32 v13, v13
	v_mul_f32_e64 v17, |v13|, s0
	v_floor_f32_e32 v17, v17
	v_fma_f32 v19, v17, s1, |v13|
	v_cvt_u32_f32_e32 v19, v19
	v_cvt_u32_f32_e32 v17, v17
	v_ashrrev_i32_e32 v13, 31, v13
	s_mov_b64 s[0:1], 0
	v_xor_b32_e32 v19, v19, v13
	v_xor_b32_e32 v17, v17, v13
	v_sub_co_u32_e32 v19, vcc, v19, v13
	v_subb_co_u32_e32 v13, vcc, v17, v13, vcc
	v_cmp_ne_u32_e32 vcc, 0, v12
	v_cndmask_b32_e32 v13, 0, v13, vcc
	v_cndmask_b32_e32 v12, 0, v19, vcc
	s_branch .LBB94_2280
.LBB94_2279:
	s_mov_b64 s[0:1], -1
                                        ; implicit-def: $vgpr12_vgpr13
.LBB94_2280:
	s_mov_b64 s[16:17], 0
.LBB94_2281:
	s_and_b64 vcc, exec, s[16:17]
	s_cbranch_vccz .LBB94_2285
; %bb.2282:
	s_cmp_eq_u32 s13, 29
	s_cbranch_scc0 .LBB94_2284
; %bb.2283:
	global_load_dwordx2 v[12:13], v[14:15], off
	s_mov_b64 s[0:1], 0
	s_mov_b64 s[14:15], -1
	s_branch .LBB94_2285
.LBB94_2284:
	s_mov_b64 s[0:1], -1
                                        ; implicit-def: $vgpr12_vgpr13
.LBB94_2285:
	s_mov_b64 s[16:17], 0
.LBB94_2286:
	s_and_b64 vcc, exec, s[16:17]
	s_cbranch_vccz .LBB94_2304
; %bb.2287:
	s_cmp_lt_i32 s13, 27
	s_cbranch_scc1 .LBB94_2290
; %bb.2288:
	s_cmp_gt_i32 s13, 27
	s_cbranch_scc0 .LBB94_2291
; %bb.2289:
	global_load_dword v12, v[14:15], off
	s_waitcnt vmcnt(1)
	v_mov_b32_e32 v13, 0
	s_mov_b64 s[14:15], 0
	s_branch .LBB94_2292
.LBB94_2290:
	s_mov_b64 s[14:15], -1
                                        ; implicit-def: $vgpr12_vgpr13
	s_branch .LBB94_2295
.LBB94_2291:
	s_mov_b64 s[14:15], -1
                                        ; implicit-def: $vgpr12_vgpr13
.LBB94_2292:
	s_andn2_b64 vcc, exec, s[14:15]
	s_cbranch_vccnz .LBB94_2294
; %bb.2293:
	global_load_ushort v12, v[14:15], off
	s_mov_b32 s14, 0
	s_waitcnt vmcnt(1)
	v_mov_b32_e32 v13, s14
	s_waitcnt vmcnt(0)
	v_and_b32_e32 v12, 0xffff, v12
.LBB94_2294:
	s_mov_b64 s[14:15], 0
.LBB94_2295:
	s_andn2_b64 vcc, exec, s[14:15]
	s_cbranch_vccnz .LBB94_2303
; %bb.2296:
	global_load_ubyte v17, v[14:15], off
	s_movk_i32 s14, 0x7f
	s_mov_b64 s[16:17], 0
	s_waitcnt vmcnt(0)
	v_cmp_lt_i16_e32 vcc, s14, v17
	s_and_saveexec_b64 s[14:15], vcc
	s_xor_b64 s[14:15], exec, s[14:15]
; %bb.2297:
	s_movk_i32 s16, 0x80
	v_cmp_ne_u16_e32 vcc, s16, v17
	s_and_b64 s[16:17], vcc, exec
; %bb.2298:
	s_andn2_saveexec_b64 s[14:15], s[14:15]
; %bb.2299:
	v_cmp_ne_u16_e32 vcc, 0, v17
	s_andn2_b64 s[16:17], s[16:17], exec
	s_and_b64 s[20:21], vcc, exec
	s_or_b64 s[16:17], s[16:17], s[20:21]
; %bb.2300:
	s_or_b64 exec, exec, s[14:15]
	v_mov_b32_e32 v12, 0
	v_mov_b32_e32 v13, 0
	s_and_saveexec_b64 s[14:15], s[16:17]
	s_cbranch_execz .LBB94_2302
; %bb.2301:
	v_and_b32_e32 v13, 0xffff, v17
	v_lshlrev_b32_e32 v12, 24, v17
	v_and_b32_e32 v17, 7, v13
	v_ffbh_u32_e32 v20, v17
	v_min_u32_e32 v20, 32, v20
	v_subrev_u32_e32 v21, 28, v20
	v_bfe_u32 v19, v13, 3, 4
	v_lshlrev_b32_e32 v13, v21, v13
	v_sub_u32_e32 v20, 29, v20
	v_and_b32_e32 v13, 7, v13
	v_cmp_eq_u32_e32 vcc, 0, v19
	v_cndmask_b32_e32 v19, v19, v20, vcc
	v_cndmask_b32_e32 v13, v17, v13, vcc
	v_mov_b32_e32 v17, 0x3b800000
	v_lshlrev_b32_e32 v13, 20, v13
	v_and_b32_e32 v12, 0x80000000, v12
	v_lshl_add_u32 v17, v19, 23, v17
	v_or3_b32 v12, v12, v17, v13
	v_trunc_f32_e32 v12, v12
	s_mov_b32 s16, 0x2f800000
	v_mul_f32_e64 v13, |v12|, s16
	v_floor_f32_e32 v13, v13
	s_mov_b32 s16, 0xcf800000
	v_fma_f32 v17, v13, s16, |v12|
	v_cvt_u32_f32_e32 v17, v17
	v_cvt_u32_f32_e32 v13, v13
	v_ashrrev_i32_e32 v19, 31, v12
	v_xor_b32_e32 v12, v17, v19
	v_xor_b32_e32 v13, v13, v19
	v_sub_co_u32_e32 v12, vcc, v12, v19
	v_subb_co_u32_e32 v13, vcc, v13, v19, vcc
.LBB94_2302:
	s_or_b64 exec, exec, s[14:15]
.LBB94_2303:
	s_mov_b64 s[14:15], -1
.LBB94_2304:
	s_mov_b64 s[16:17], 0
.LBB94_2305:
	s_and_b64 vcc, exec, s[16:17]
	s_cbranch_vccz .LBB94_2334
; %bb.2306:
	s_cmp_gt_i32 s13, 22
	s_cbranch_scc0 .LBB94_2316
; %bb.2307:
	s_cmp_lt_i32 s13, 24
	s_cbranch_scc1 .LBB94_2317
; %bb.2308:
	s_cmp_gt_i32 s13, 24
	s_cbranch_scc0 .LBB94_2318
; %bb.2309:
	global_load_ubyte v17, v[14:15], off
	s_movk_i32 s10, 0x7f
	s_mov_b64 s[14:15], 0
	s_waitcnt vmcnt(0)
	v_cmp_lt_i16_e32 vcc, s10, v17
	s_and_saveexec_b64 s[10:11], vcc
	s_xor_b64 s[10:11], exec, s[10:11]
; %bb.2310:
	s_movk_i32 s14, 0x80
	v_cmp_ne_u16_e32 vcc, s14, v17
	s_and_b64 s[14:15], vcc, exec
; %bb.2311:
	s_andn2_saveexec_b64 s[10:11], s[10:11]
; %bb.2312:
	v_cmp_ne_u16_e32 vcc, 0, v17
	s_andn2_b64 s[14:15], s[14:15], exec
	s_and_b64 s[16:17], vcc, exec
	s_or_b64 s[14:15], s[14:15], s[16:17]
; %bb.2313:
	s_or_b64 exec, exec, s[10:11]
	v_mov_b32_e32 v12, 0
	v_mov_b32_e32 v13, 0
	s_and_saveexec_b64 s[10:11], s[14:15]
	s_cbranch_execz .LBB94_2315
; %bb.2314:
	v_and_b32_e32 v13, 0xffff, v17
	v_lshlrev_b32_e32 v12, 24, v17
	v_and_b32_e32 v17, 3, v13
	v_ffbh_u32_e32 v20, v17
	v_min_u32_e32 v20, 32, v20
	v_subrev_u32_e32 v21, 29, v20
	v_bfe_u32 v19, v13, 2, 5
	v_lshlrev_b32_e32 v13, v21, v13
	v_sub_u32_e32 v20, 30, v20
	v_and_b32_e32 v13, 3, v13
	v_cmp_eq_u32_e32 vcc, 0, v19
	v_cndmask_b32_e32 v19, v19, v20, vcc
	v_cndmask_b32_e32 v13, v17, v13, vcc
	v_mov_b32_e32 v17, 0x37800000
	v_lshlrev_b32_e32 v13, 21, v13
	v_and_b32_e32 v12, 0x80000000, v12
	v_lshl_add_u32 v17, v19, 23, v17
	v_or3_b32 v12, v12, v17, v13
	v_trunc_f32_e32 v12, v12
	s_mov_b32 s14, 0x2f800000
	v_mul_f32_e64 v13, |v12|, s14
	v_floor_f32_e32 v13, v13
	s_mov_b32 s14, 0xcf800000
	v_fma_f32 v17, v13, s14, |v12|
	v_cvt_u32_f32_e32 v17, v17
	v_cvt_u32_f32_e32 v13, v13
	v_ashrrev_i32_e32 v19, 31, v12
	v_xor_b32_e32 v12, v17, v19
	v_xor_b32_e32 v13, v13, v19
	v_sub_co_u32_e32 v12, vcc, v12, v19
	v_subb_co_u32_e32 v13, vcc, v13, v19, vcc
.LBB94_2315:
	s_or_b64 exec, exec, s[10:11]
	s_mov_b64 s[10:11], 0
	s_branch .LBB94_2319
.LBB94_2316:
	s_mov_b64 s[10:11], -1
                                        ; implicit-def: $vgpr12_vgpr13
	s_branch .LBB94_2325
.LBB94_2317:
	s_mov_b64 s[10:11], -1
                                        ; implicit-def: $vgpr12_vgpr13
	s_branch .LBB94_2322
.LBB94_2318:
	s_mov_b64 s[10:11], -1
                                        ; implicit-def: $vgpr12_vgpr13
.LBB94_2319:
	s_and_b64 vcc, exec, s[10:11]
	s_cbranch_vccz .LBB94_2321
; %bb.2320:
	global_load_ubyte v12, v[14:15], off
	s_mov_b32 s10, 0x7f800000
	s_brev_b32 s11, 1
	s_mov_b32 s14, 0x2f800000
	s_mov_b32 s15, 0xcf800000
	s_waitcnt vmcnt(0)
	v_lshlrev_b32_e32 v12, 24, v12
	v_and_b32_e32 v13, 0x7f000000, v12
	v_ffbh_u32_e32 v17, v13
	v_min_u32_e32 v17, 32, v17
	v_sub_u32_e64 v17, v17, 4 clamp
	v_lshlrev_b32_e32 v20, v17, v13
	v_lshlrev_b32_e32 v17, 23, v17
	v_lshrrev_b32_e32 v20, 4, v20
	v_add_u32_e32 v19, 0x1000000, v13
	v_sub_u32_e32 v17, v20, v17
	v_ashrrev_i32_e32 v19, 8, v19
	v_add_u32_e32 v17, 0x3c000000, v17
	v_and_or_b32 v17, v19, s10, v17
	v_cmp_ne_u32_e32 vcc, 0, v13
	v_cndmask_b32_e32 v13, 0, v17, vcc
	v_and_or_b32 v12, v12, s11, v13
	v_trunc_f32_e32 v12, v12
	v_mul_f32_e64 v13, |v12|, s14
	v_floor_f32_e32 v13, v13
	v_fma_f32 v17, v13, s15, |v12|
	v_cvt_u32_f32_e32 v17, v17
	v_cvt_u32_f32_e32 v13, v13
	v_ashrrev_i32_e32 v19, 31, v12
	v_xor_b32_e32 v12, v17, v19
	v_xor_b32_e32 v13, v13, v19
	v_sub_co_u32_e32 v12, vcc, v12, v19
	v_subb_co_u32_e32 v13, vcc, v13, v19, vcc
.LBB94_2321:
	s_mov_b64 s[10:11], 0
.LBB94_2322:
	s_andn2_b64 vcc, exec, s[10:11]
	s_cbranch_vccnz .LBB94_2324
; %bb.2323:
	global_load_ubyte v12, v[14:15], off
	s_movk_i32 s10, 0x7f00
	s_brev_b32 s11, 16
	s_brev_b32 s14, 1
	s_mov_b32 s15, 0x2f800000
	s_mov_b32 s16, 0xcf800000
	s_waitcnt vmcnt(0)
	v_lshlrev_b16_e32 v13, 8, v12
	v_lshlrev_b32_e32 v12, 25, v12
	v_lshrrev_b32_e32 v17, 4, v12
	v_and_or_b32 v19, v13, s10, 0.5
	v_or_b32_e32 v17, 0x70000000, v17
	v_add_f32_e32 v19, -0.5, v19
	v_mul_f32_e32 v17, 0x7800000, v17
	v_cmp_gt_u32_e32 vcc, s11, v12
	v_bfe_i32 v13, v13, 0, 16
	v_cndmask_b32_e32 v12, v17, v19, vcc
	v_and_or_b32 v12, v13, s14, v12
	v_trunc_f32_e32 v12, v12
	v_mul_f32_e64 v13, |v12|, s15
	v_floor_f32_e32 v13, v13
	v_fma_f32 v17, v13, s16, |v12|
	v_cvt_u32_f32_e32 v17, v17
	v_cvt_u32_f32_e32 v13, v13
	v_ashrrev_i32_e32 v19, 31, v12
	v_xor_b32_e32 v12, v17, v19
	v_xor_b32_e32 v13, v13, v19
	v_sub_co_u32_e32 v12, vcc, v12, v19
	v_subb_co_u32_e32 v13, vcc, v13, v19, vcc
.LBB94_2324:
	s_mov_b64 s[10:11], 0
	s_mov_b64 s[14:15], -1
.LBB94_2325:
	s_andn2_b64 vcc, exec, s[10:11]
	s_mov_b64 s[10:11], 0
	s_cbranch_vccnz .LBB94_2334
; %bb.2326:
	s_cmp_gt_i32 s13, 14
	s_cbranch_scc0 .LBB94_2329
; %bb.2327:
	s_cmp_eq_u32 s13, 15
	s_cbranch_scc0 .LBB94_2330
; %bb.2328:
	global_load_ushort v12, v[14:15], off
	s_mov_b32 s0, 0x2f800000
	s_mov_b32 s1, 0xcf800000
	s_mov_b64 s[14:15], -1
	s_waitcnt vmcnt(0)
	v_lshlrev_b32_e32 v12, 16, v12
	v_trunc_f32_e32 v12, v12
	v_mul_f32_e64 v13, |v12|, s0
	v_floor_f32_e32 v13, v13
	v_fma_f32 v17, v13, s1, |v12|
	v_cvt_u32_f32_e32 v17, v17
	v_cvt_u32_f32_e32 v13, v13
	v_ashrrev_i32_e32 v19, 31, v12
	s_mov_b64 s[0:1], 0
	v_xor_b32_e32 v12, v17, v19
	v_xor_b32_e32 v13, v13, v19
	v_sub_co_u32_e32 v12, vcc, v12, v19
	v_subb_co_u32_e32 v13, vcc, v13, v19, vcc
	s_branch .LBB94_2331
.LBB94_2329:
	s_mov_b64 s[16:17], -1
                                        ; implicit-def: $vgpr12_vgpr13
	s_branch .LBB94_2332
.LBB94_2330:
	s_mov_b64 s[0:1], -1
                                        ; implicit-def: $vgpr12_vgpr13
.LBB94_2331:
	s_mov_b64 s[16:17], 0
.LBB94_2332:
	s_and_b64 vcc, exec, s[16:17]
	s_cbranch_vccz .LBB94_2334
; %bb.2333:
	s_cmp_lg_u32 s13, 11
	s_mov_b64 s[10:11], -1
	s_cselect_b64 s[0:1], -1, 0
.LBB94_2334:
	s_and_b64 vcc, exec, s[0:1]
	s_cbranch_vccnz .LBB94_2399
; %bb.2335:
	s_andn2_b64 vcc, exec, s[10:11]
	s_cbranch_vccnz .LBB94_2337
.LBB94_2336:
	global_load_ubyte v12, v[14:15], off
	s_mov_b32 s0, 0
	s_waitcnt vmcnt(1)
	v_mov_b32_e32 v13, s0
	s_mov_b64 s[14:15], -1
	s_waitcnt vmcnt(0)
	v_cmp_ne_u16_e32 vcc, 0, v12
	v_cndmask_b32_e64 v12, 0, 1, vcc
.LBB94_2337:
	s_mov_b64 s[0:1], 0
.LBB94_2338:
	s_and_b64 vcc, exec, s[0:1]
	s_cbranch_vccz .LBB94_2387
; %bb.2339:
	s_and_b32 s10, 0xffff, s24
	s_cmp_lt_i32 s10, 5
	s_cbranch_scc1 .LBB94_2344
; %bb.2340:
	s_cmp_lt_i32 s10, 8
	s_cbranch_scc1 .LBB94_2345
; %bb.2341:
	;; [unrolled: 3-line block ×3, first 2 shown]
	s_cmp_gt_i32 s10, 9
	s_cbranch_scc0 .LBB94_2347
; %bb.2343:
	global_load_dwordx2 v[12:13], v[14:15], off
	s_movk_i32 s0, 0xffe0
	s_waitcnt vmcnt(0)
	v_trunc_f64_e32 v[12:13], v[12:13]
	v_ldexp_f64 v[19:20], v[12:13], s0
	s_mov_b32 s0, 0
	s_mov_b32 s1, 0xc1f00000
	v_floor_f64_e32 v[19:20], v[19:20]
	v_fma_f64 v[21:22], v[19:20], s[0:1], v[12:13]
	v_cvt_i32_f64_e32 v13, v[19:20]
	s_mov_b64 s[0:1], 0
	v_cvt_u32_f64_e32 v12, v[21:22]
	s_branch .LBB94_2348
.LBB94_2344:
	s_mov_b64 s[0:1], -1
                                        ; implicit-def: $vgpr12_vgpr13
	s_branch .LBB94_2366
.LBB94_2345:
	s_mov_b64 s[0:1], -1
                                        ; implicit-def: $vgpr12_vgpr13
	s_branch .LBB94_2354
.LBB94_2346:
	s_mov_b64 s[0:1], -1
                                        ; implicit-def: $vgpr12_vgpr13
	s_branch .LBB94_2351
.LBB94_2347:
	s_mov_b64 s[0:1], -1
                                        ; implicit-def: $vgpr12_vgpr13
.LBB94_2348:
	s_andn2_b64 vcc, exec, s[0:1]
	s_cbranch_vccnz .LBB94_2350
; %bb.2349:
	global_load_dword v12, v[14:15], off
	s_mov_b32 s0, 0x2f800000
	s_mov_b32 s1, 0xcf800000
	s_waitcnt vmcnt(0)
	v_trunc_f32_e32 v12, v12
	v_mul_f32_e64 v13, |v12|, s0
	v_floor_f32_e32 v13, v13
	v_cvt_u32_f32_e32 v17, v13
	v_fma_f32 v13, v13, s1, |v12|
	v_cvt_u32_f32_e32 v13, v13
	v_ashrrev_i32_e32 v19, 31, v12
	v_xor_b32_e32 v17, v17, v19
	v_xor_b32_e32 v12, v13, v19
	v_sub_co_u32_e32 v12, vcc, v12, v19
	v_subb_co_u32_e32 v13, vcc, v17, v19, vcc
.LBB94_2350:
	s_mov_b64 s[0:1], 0
.LBB94_2351:
	s_andn2_b64 vcc, exec, s[0:1]
	s_cbranch_vccnz .LBB94_2353
; %bb.2352:
	global_load_dword v12, v[14:15], off
	s_waitcnt vmcnt(0)
	v_cvt_f32_f16_e32 v12, v12
	v_cvt_i32_f32_e32 v12, v12
	v_ashrrev_i32_e32 v13, 31, v12
.LBB94_2353:
	s_mov_b64 s[0:1], 0
.LBB94_2354:
	s_andn2_b64 vcc, exec, s[0:1]
	s_cbranch_vccnz .LBB94_2365
; %bb.2355:
	s_cmp_lt_i32 s10, 6
	s_cbranch_scc1 .LBB94_2358
; %bb.2356:
	s_cmp_gt_i32 s10, 6
	s_cbranch_scc0 .LBB94_2359
; %bb.2357:
	global_load_dwordx2 v[12:13], v[14:15], off
	s_movk_i32 s0, 0xffe0
	s_waitcnt vmcnt(0)
	v_trunc_f64_e32 v[12:13], v[12:13]
	v_ldexp_f64 v[19:20], v[12:13], s0
	s_mov_b32 s0, 0
	s_mov_b32 s1, 0xc1f00000
	v_floor_f64_e32 v[19:20], v[19:20]
	v_fma_f64 v[21:22], v[19:20], s[0:1], v[12:13]
	v_cvt_i32_f64_e32 v13, v[19:20]
	s_mov_b64 s[0:1], 0
	v_cvt_u32_f64_e32 v12, v[21:22]
	s_branch .LBB94_2360
.LBB94_2358:
	s_mov_b64 s[0:1], -1
                                        ; implicit-def: $vgpr12_vgpr13
	s_branch .LBB94_2363
.LBB94_2359:
	s_mov_b64 s[0:1], -1
                                        ; implicit-def: $vgpr12_vgpr13
.LBB94_2360:
	s_andn2_b64 vcc, exec, s[0:1]
	s_cbranch_vccnz .LBB94_2362
; %bb.2361:
	global_load_dword v12, v[14:15], off
	s_mov_b32 s0, 0x2f800000
	s_mov_b32 s1, 0xcf800000
	s_waitcnt vmcnt(0)
	v_trunc_f32_e32 v12, v12
	v_mul_f32_e64 v13, |v12|, s0
	v_floor_f32_e32 v13, v13
	v_cvt_u32_f32_e32 v17, v13
	v_fma_f32 v13, v13, s1, |v12|
	v_cvt_u32_f32_e32 v13, v13
	v_ashrrev_i32_e32 v19, 31, v12
	v_xor_b32_e32 v17, v17, v19
	v_xor_b32_e32 v12, v13, v19
	v_sub_co_u32_e32 v12, vcc, v12, v19
	v_subb_co_u32_e32 v13, vcc, v17, v19, vcc
.LBB94_2362:
	s_mov_b64 s[0:1], 0
.LBB94_2363:
	s_andn2_b64 vcc, exec, s[0:1]
	s_cbranch_vccnz .LBB94_2365
; %bb.2364:
	global_load_ushort v12, v[14:15], off
	s_waitcnt vmcnt(0)
	v_cvt_f32_f16_e32 v12, v12
	v_cvt_i32_f32_e32 v12, v12
	v_ashrrev_i32_e32 v13, 31, v12
.LBB94_2365:
	s_mov_b64 s[0:1], 0
.LBB94_2366:
	s_andn2_b64 vcc, exec, s[0:1]
	s_cbranch_vccnz .LBB94_2386
; %bb.2367:
	s_cmp_lt_i32 s10, 2
	s_cbranch_scc1 .LBB94_2371
; %bb.2368:
	s_cmp_lt_i32 s10, 3
	s_cbranch_scc1 .LBB94_2372
; %bb.2369:
	s_cmp_gt_i32 s10, 3
	s_cbranch_scc0 .LBB94_2373
; %bb.2370:
	global_load_dwordx2 v[12:13], v[14:15], off
	s_mov_b64 s[0:1], 0
	s_branch .LBB94_2374
.LBB94_2371:
	s_mov_b64 s[0:1], -1
                                        ; implicit-def: $vgpr12_vgpr13
	s_branch .LBB94_2380
.LBB94_2372:
	s_mov_b64 s[0:1], -1
                                        ; implicit-def: $vgpr12_vgpr13
	s_branch .LBB94_2377
.LBB94_2373:
	s_mov_b64 s[0:1], -1
                                        ; implicit-def: $vgpr12_vgpr13
.LBB94_2374:
	s_andn2_b64 vcc, exec, s[0:1]
	s_cbranch_vccnz .LBB94_2376
; %bb.2375:
	global_load_dword v12, v[14:15], off
	s_waitcnt vmcnt(0)
	v_ashrrev_i32_e32 v13, 31, v12
.LBB94_2376:
	s_mov_b64 s[0:1], 0
.LBB94_2377:
	s_andn2_b64 vcc, exec, s[0:1]
	s_cbranch_vccnz .LBB94_2379
; %bb.2378:
	global_load_ushort v12, v[14:15], off
	s_waitcnt vmcnt(0)
	v_bfe_i32 v12, v12, 0, 16
	v_ashrrev_i32_e32 v13, 31, v12
.LBB94_2379:
	s_mov_b64 s[0:1], 0
.LBB94_2380:
	s_andn2_b64 vcc, exec, s[0:1]
	s_cbranch_vccnz .LBB94_2386
; %bb.2381:
	s_cmp_gt_i32 s10, 0
	s_cbranch_scc0 .LBB94_2383
; %bb.2382:
	global_load_sbyte v12, v[14:15], off
	s_mov_b64 s[0:1], 0
	s_waitcnt vmcnt(0)
	v_bfe_i32 v12, v12, 0, 16
	v_ashrrev_i32_e32 v13, 31, v12
	s_branch .LBB94_2384
.LBB94_2383:
	s_mov_b64 s[0:1], -1
                                        ; implicit-def: $vgpr12_vgpr13
.LBB94_2384:
	s_andn2_b64 vcc, exec, s[0:1]
	s_cbranch_vccnz .LBB94_2386
; %bb.2385:
	global_load_ubyte v12, v[14:15], off
	s_mov_b32 s0, 0
	s_waitcnt vmcnt(1)
	v_mov_b32_e32 v13, s0
	s_waitcnt vmcnt(0)
	v_and_b32_e32 v12, 0xffff, v12
.LBB94_2386:
	s_mov_b64 s[14:15], -1
.LBB94_2387:
	s_andn2_b64 vcc, exec, s[14:15]
	s_cbranch_vccnz .LBB94_2947
; %bb.2388:
	v_add_u32_e32 v14, s22, v16
	v_ashrrev_i32_e32 v15, 31, v14
	v_mov_b32_e32 v17, s3
	v_add_co_u32_e32 v16, vcc, s2, v14
	s_cmp_lt_i32 s25, 11
	v_addc_co_u32_e32 v17, vcc, v17, v15, vcc
	s_cbranch_scc1 .LBB94_2395
; %bb.2389:
	s_and_b32 s13, 0xffff, s25
	s_cmp_gt_i32 s13, 25
	s_mov_b64 s[2:3], 0
	s_cbranch_scc0 .LBB94_2396
; %bb.2390:
	s_cmp_gt_i32 s13, 28
	s_cbranch_scc0 .LBB94_2397
; %bb.2391:
	s_cmp_gt_i32 s13, 43
	;; [unrolled: 3-line block ×3, first 2 shown]
	s_cbranch_scc0 .LBB94_2400
; %bb.2393:
	s_cmp_eq_u32 s13, 46
	s_mov_b64 s[14:15], 0
	s_cbranch_scc0 .LBB94_2401
; %bb.2394:
	global_load_dword v14, v[16:17], off
	s_mov_b32 s0, 0x2f800000
	s_mov_b32 s1, 0xcf800000
	s_mov_b64 s[10:11], -1
	s_waitcnt vmcnt(0)
	v_lshlrev_b32_e32 v14, 16, v14
	v_trunc_f32_e32 v14, v14
	v_mul_f32_e64 v15, |v14|, s0
	v_floor_f32_e32 v15, v15
	v_fma_f32 v19, v15, s1, |v14|
	v_cvt_u32_f32_e32 v19, v19
	v_cvt_u32_f32_e32 v15, v15
	v_ashrrev_i32_e32 v20, 31, v14
	s_mov_b64 s[0:1], 0
	v_xor_b32_e32 v14, v19, v20
	v_xor_b32_e32 v15, v15, v20
	v_sub_co_u32_e32 v14, vcc, v14, v20
	v_subb_co_u32_e32 v15, vcc, v15, v20, vcc
	s_branch .LBB94_2402
.LBB94_2395:
	s_mov_b64 s[0:1], -1
	s_mov_b64 s[10:11], 0
                                        ; implicit-def: $vgpr14_vgpr15
	s_branch .LBB94_2464
.LBB94_2396:
	s_mov_b64 s[14:15], -1
	s_mov_b64 s[10:11], 0
	s_mov_b64 s[0:1], 0
                                        ; implicit-def: $vgpr14_vgpr15
	s_branch .LBB94_2431
.LBB94_2397:
	s_mov_b64 s[14:15], -1
	s_mov_b64 s[10:11], 0
	s_mov_b64 s[0:1], 0
                                        ; implicit-def: $vgpr14_vgpr15
	s_branch .LBB94_2412
.LBB94_2398:
	s_mov_b64 s[14:15], -1
	s_mov_b64 s[10:11], 0
	s_mov_b64 s[0:1], 0
                                        ; implicit-def: $vgpr14_vgpr15
	s_branch .LBB94_2407
.LBB94_2399:
	s_trap 2
	s_or_b64 s[18:19], s[18:19], exec
	s_cbranch_execz .LBB94_2336
	s_branch .LBB94_2337
.LBB94_2400:
	s_mov_b64 s[14:15], -1
	s_mov_b64 s[10:11], 0
	s_mov_b64 s[0:1], 0
                                        ; implicit-def: $vgpr14_vgpr15
	s_branch .LBB94_2402
.LBB94_2401:
	s_mov_b64 s[0:1], -1
                                        ; implicit-def: $vgpr14_vgpr15
	s_mov_b64 s[10:11], 0
.LBB94_2402:
	s_and_b64 vcc, exec, s[14:15]
	s_cbranch_vccz .LBB94_2406
; %bb.2403:
	s_cmp_eq_u32 s13, 44
	s_cbranch_scc0 .LBB94_2405
; %bb.2404:
	global_load_ubyte v14, v[16:17], off
	s_mov_b32 s0, 0x2f800000
	s_mov_b32 s1, 0xcf800000
	s_mov_b64 s[10:11], -1
	s_waitcnt vmcnt(0)
	v_lshlrev_b32_e32 v15, 23, v14
	v_trunc_f32_e32 v15, v15
	v_mul_f32_e64 v19, |v15|, s0
	v_floor_f32_e32 v19, v19
	v_fma_f32 v20, v19, s1, |v15|
	v_cvt_u32_f32_e32 v20, v20
	v_cvt_u32_f32_e32 v19, v19
	v_ashrrev_i32_e32 v15, 31, v15
	s_mov_b64 s[0:1], 0
	v_xor_b32_e32 v20, v20, v15
	v_xor_b32_e32 v19, v19, v15
	v_sub_co_u32_e32 v20, vcc, v20, v15
	v_subb_co_u32_e32 v15, vcc, v19, v15, vcc
	v_cmp_ne_u32_e32 vcc, 0, v14
	v_cndmask_b32_e32 v15, 0, v15, vcc
	v_cndmask_b32_e32 v14, 0, v20, vcc
	s_branch .LBB94_2406
.LBB94_2405:
	s_mov_b64 s[0:1], -1
                                        ; implicit-def: $vgpr14_vgpr15
.LBB94_2406:
	s_mov_b64 s[14:15], 0
.LBB94_2407:
	s_and_b64 vcc, exec, s[14:15]
	s_cbranch_vccz .LBB94_2411
; %bb.2408:
	s_cmp_eq_u32 s13, 29
	s_cbranch_scc0 .LBB94_2410
; %bb.2409:
	global_load_dwordx2 v[14:15], v[16:17], off
	s_mov_b64 s[0:1], 0
	s_mov_b64 s[10:11], -1
	s_branch .LBB94_2411
.LBB94_2410:
	s_mov_b64 s[0:1], -1
                                        ; implicit-def: $vgpr14_vgpr15
.LBB94_2411:
	s_mov_b64 s[14:15], 0
.LBB94_2412:
	s_and_b64 vcc, exec, s[14:15]
	s_cbranch_vccz .LBB94_2430
; %bb.2413:
	s_cmp_lt_i32 s13, 27
	s_cbranch_scc1 .LBB94_2416
; %bb.2414:
	s_cmp_gt_i32 s13, 27
	s_cbranch_scc0 .LBB94_2417
; %bb.2415:
	global_load_dword v14, v[16:17], off
	s_waitcnt vmcnt(1)
	v_mov_b32_e32 v15, 0
	s_mov_b64 s[10:11], 0
	s_branch .LBB94_2418
.LBB94_2416:
	s_mov_b64 s[10:11], -1
                                        ; implicit-def: $vgpr14_vgpr15
	s_branch .LBB94_2421
.LBB94_2417:
	s_mov_b64 s[10:11], -1
                                        ; implicit-def: $vgpr14_vgpr15
.LBB94_2418:
	s_andn2_b64 vcc, exec, s[10:11]
	s_cbranch_vccnz .LBB94_2420
; %bb.2419:
	global_load_ushort v14, v[16:17], off
	s_mov_b32 s10, 0
	s_waitcnt vmcnt(1)
	v_mov_b32_e32 v15, s10
	s_waitcnt vmcnt(0)
	v_and_b32_e32 v14, 0xffff, v14
.LBB94_2420:
	s_mov_b64 s[10:11], 0
.LBB94_2421:
	s_andn2_b64 vcc, exec, s[10:11]
	s_cbranch_vccnz .LBB94_2429
; %bb.2422:
	global_load_ubyte v19, v[16:17], off
	s_movk_i32 s10, 0x7f
	s_mov_b64 s[14:15], 0
	s_waitcnt vmcnt(0)
	v_cmp_lt_i16_e32 vcc, s10, v19
	s_and_saveexec_b64 s[10:11], vcc
	s_xor_b64 s[10:11], exec, s[10:11]
; %bb.2423:
	s_movk_i32 s14, 0x80
	v_cmp_ne_u16_e32 vcc, s14, v19
	s_and_b64 s[14:15], vcc, exec
; %bb.2424:
	s_andn2_saveexec_b64 s[10:11], s[10:11]
; %bb.2425:
	v_cmp_ne_u16_e32 vcc, 0, v19
	s_andn2_b64 s[14:15], s[14:15], exec
	s_and_b64 s[16:17], vcc, exec
	s_or_b64 s[14:15], s[14:15], s[16:17]
; %bb.2426:
	s_or_b64 exec, exec, s[10:11]
	v_mov_b32_e32 v14, 0
	v_mov_b32_e32 v15, 0
	s_and_saveexec_b64 s[10:11], s[14:15]
	s_cbranch_execz .LBB94_2428
; %bb.2427:
	v_and_b32_e32 v15, 0xffff, v19
	v_lshlrev_b32_e32 v14, 24, v19
	v_and_b32_e32 v19, 7, v15
	v_ffbh_u32_e32 v21, v19
	v_min_u32_e32 v21, 32, v21
	v_subrev_u32_e32 v22, 28, v21
	v_bfe_u32 v20, v15, 3, 4
	v_lshlrev_b32_e32 v15, v22, v15
	v_sub_u32_e32 v21, 29, v21
	v_and_b32_e32 v15, 7, v15
	v_cmp_eq_u32_e32 vcc, 0, v20
	v_cndmask_b32_e32 v20, v20, v21, vcc
	v_cndmask_b32_e32 v15, v19, v15, vcc
	v_mov_b32_e32 v19, 0x3b800000
	v_lshlrev_b32_e32 v15, 20, v15
	v_and_b32_e32 v14, 0x80000000, v14
	v_lshl_add_u32 v19, v20, 23, v19
	v_or3_b32 v14, v14, v19, v15
	v_trunc_f32_e32 v14, v14
	s_mov_b32 s14, 0x2f800000
	v_mul_f32_e64 v15, |v14|, s14
	v_floor_f32_e32 v15, v15
	s_mov_b32 s14, 0xcf800000
	v_fma_f32 v19, v15, s14, |v14|
	v_cvt_u32_f32_e32 v19, v19
	v_cvt_u32_f32_e32 v15, v15
	v_ashrrev_i32_e32 v20, 31, v14
	v_xor_b32_e32 v14, v19, v20
	v_xor_b32_e32 v15, v15, v20
	v_sub_co_u32_e32 v14, vcc, v14, v20
	v_subb_co_u32_e32 v15, vcc, v15, v20, vcc
.LBB94_2428:
	s_or_b64 exec, exec, s[10:11]
.LBB94_2429:
	s_mov_b64 s[10:11], -1
.LBB94_2430:
	s_mov_b64 s[14:15], 0
.LBB94_2431:
	s_and_b64 vcc, exec, s[14:15]
	s_cbranch_vccz .LBB94_2460
; %bb.2432:
	s_cmp_gt_i32 s13, 22
	s_cbranch_scc0 .LBB94_2442
; %bb.2433:
	s_cmp_lt_i32 s13, 24
	s_cbranch_scc1 .LBB94_2443
; %bb.2434:
	s_cmp_gt_i32 s13, 24
	s_cbranch_scc0 .LBB94_2444
; %bb.2435:
	global_load_ubyte v19, v[16:17], off
	s_movk_i32 s2, 0x7f
	s_mov_b64 s[10:11], 0
	s_waitcnt vmcnt(0)
	v_cmp_lt_i16_e32 vcc, s2, v19
	s_and_saveexec_b64 s[2:3], vcc
	s_xor_b64 s[2:3], exec, s[2:3]
; %bb.2436:
	s_movk_i32 s10, 0x80
	v_cmp_ne_u16_e32 vcc, s10, v19
	s_and_b64 s[10:11], vcc, exec
; %bb.2437:
	s_andn2_saveexec_b64 s[2:3], s[2:3]
; %bb.2438:
	v_cmp_ne_u16_e32 vcc, 0, v19
	s_andn2_b64 s[10:11], s[10:11], exec
	s_and_b64 s[14:15], vcc, exec
	s_or_b64 s[10:11], s[10:11], s[14:15]
; %bb.2439:
	s_or_b64 exec, exec, s[2:3]
	v_mov_b32_e32 v14, 0
	v_mov_b32_e32 v15, 0
	s_and_saveexec_b64 s[2:3], s[10:11]
	s_cbranch_execz .LBB94_2441
; %bb.2440:
	v_and_b32_e32 v15, 0xffff, v19
	v_lshlrev_b32_e32 v14, 24, v19
	v_and_b32_e32 v19, 3, v15
	v_ffbh_u32_e32 v21, v19
	v_min_u32_e32 v21, 32, v21
	v_subrev_u32_e32 v22, 29, v21
	v_bfe_u32 v20, v15, 2, 5
	v_lshlrev_b32_e32 v15, v22, v15
	v_sub_u32_e32 v21, 30, v21
	v_and_b32_e32 v15, 3, v15
	v_cmp_eq_u32_e32 vcc, 0, v20
	v_cndmask_b32_e32 v20, v20, v21, vcc
	v_cndmask_b32_e32 v15, v19, v15, vcc
	v_mov_b32_e32 v19, 0x37800000
	v_lshlrev_b32_e32 v15, 21, v15
	v_and_b32_e32 v14, 0x80000000, v14
	v_lshl_add_u32 v19, v20, 23, v19
	v_or3_b32 v14, v14, v19, v15
	v_trunc_f32_e32 v14, v14
	s_mov_b32 s10, 0x2f800000
	v_mul_f32_e64 v15, |v14|, s10
	v_floor_f32_e32 v15, v15
	s_mov_b32 s10, 0xcf800000
	v_fma_f32 v19, v15, s10, |v14|
	v_cvt_u32_f32_e32 v19, v19
	v_cvt_u32_f32_e32 v15, v15
	v_ashrrev_i32_e32 v20, 31, v14
	v_xor_b32_e32 v14, v19, v20
	v_xor_b32_e32 v15, v15, v20
	v_sub_co_u32_e32 v14, vcc, v14, v20
	v_subb_co_u32_e32 v15, vcc, v15, v20, vcc
.LBB94_2441:
	s_or_b64 exec, exec, s[2:3]
	s_mov_b64 s[2:3], 0
	s_branch .LBB94_2445
.LBB94_2442:
	s_mov_b64 s[2:3], -1
                                        ; implicit-def: $vgpr14_vgpr15
	s_branch .LBB94_2451
.LBB94_2443:
	s_mov_b64 s[2:3], -1
                                        ; implicit-def: $vgpr14_vgpr15
	s_branch .LBB94_2448
.LBB94_2444:
	s_mov_b64 s[2:3], -1
                                        ; implicit-def: $vgpr14_vgpr15
.LBB94_2445:
	s_and_b64 vcc, exec, s[2:3]
	s_cbranch_vccz .LBB94_2447
; %bb.2446:
	global_load_ubyte v14, v[16:17], off
	s_mov_b32 s2, 0x7f800000
	s_brev_b32 s3, 1
	s_mov_b32 s10, 0x2f800000
	s_mov_b32 s11, 0xcf800000
	s_waitcnt vmcnt(0)
	v_lshlrev_b32_e32 v14, 24, v14
	v_and_b32_e32 v15, 0x7f000000, v14
	v_ffbh_u32_e32 v19, v15
	v_min_u32_e32 v19, 32, v19
	v_sub_u32_e64 v19, v19, 4 clamp
	v_lshlrev_b32_e32 v21, v19, v15
	v_lshlrev_b32_e32 v19, 23, v19
	v_lshrrev_b32_e32 v21, 4, v21
	v_add_u32_e32 v20, 0x1000000, v15
	v_sub_u32_e32 v19, v21, v19
	v_ashrrev_i32_e32 v20, 8, v20
	v_add_u32_e32 v19, 0x3c000000, v19
	v_and_or_b32 v19, v20, s2, v19
	v_cmp_ne_u32_e32 vcc, 0, v15
	v_cndmask_b32_e32 v15, 0, v19, vcc
	v_and_or_b32 v14, v14, s3, v15
	v_trunc_f32_e32 v14, v14
	v_mul_f32_e64 v15, |v14|, s10
	v_floor_f32_e32 v15, v15
	v_fma_f32 v19, v15, s11, |v14|
	v_cvt_u32_f32_e32 v19, v19
	v_cvt_u32_f32_e32 v15, v15
	v_ashrrev_i32_e32 v20, 31, v14
	v_xor_b32_e32 v14, v19, v20
	v_xor_b32_e32 v15, v15, v20
	v_sub_co_u32_e32 v14, vcc, v14, v20
	v_subb_co_u32_e32 v15, vcc, v15, v20, vcc
.LBB94_2447:
	s_mov_b64 s[2:3], 0
.LBB94_2448:
	s_andn2_b64 vcc, exec, s[2:3]
	s_cbranch_vccnz .LBB94_2450
; %bb.2449:
	global_load_ubyte v14, v[16:17], off
	s_movk_i32 s2, 0x7f00
	s_brev_b32 s3, 16
	s_brev_b32 s10, 1
	s_mov_b32 s11, 0x2f800000
	s_mov_b32 s14, 0xcf800000
	s_waitcnt vmcnt(0)
	v_lshlrev_b16_e32 v15, 8, v14
	v_lshlrev_b32_e32 v14, 25, v14
	v_lshrrev_b32_e32 v19, 4, v14
	v_and_or_b32 v20, v15, s2, 0.5
	v_or_b32_e32 v19, 0x70000000, v19
	v_add_f32_e32 v20, -0.5, v20
	v_mul_f32_e32 v19, 0x7800000, v19
	v_cmp_gt_u32_e32 vcc, s3, v14
	v_bfe_i32 v15, v15, 0, 16
	v_cndmask_b32_e32 v14, v19, v20, vcc
	v_and_or_b32 v14, v15, s10, v14
	v_trunc_f32_e32 v14, v14
	v_mul_f32_e64 v15, |v14|, s11
	v_floor_f32_e32 v15, v15
	v_fma_f32 v19, v15, s14, |v14|
	v_cvt_u32_f32_e32 v19, v19
	v_cvt_u32_f32_e32 v15, v15
	v_ashrrev_i32_e32 v20, 31, v14
	v_xor_b32_e32 v14, v19, v20
	v_xor_b32_e32 v15, v15, v20
	v_sub_co_u32_e32 v14, vcc, v14, v20
	v_subb_co_u32_e32 v15, vcc, v15, v20, vcc
.LBB94_2450:
	s_mov_b64 s[2:3], 0
	s_mov_b64 s[10:11], -1
.LBB94_2451:
	s_andn2_b64 vcc, exec, s[2:3]
	s_mov_b64 s[2:3], 0
	s_cbranch_vccnz .LBB94_2460
; %bb.2452:
	s_cmp_gt_i32 s13, 14
	s_cbranch_scc0 .LBB94_2455
; %bb.2453:
	s_cmp_eq_u32 s13, 15
	s_cbranch_scc0 .LBB94_2456
; %bb.2454:
	global_load_ushort v14, v[16:17], off
	s_mov_b32 s0, 0x2f800000
	s_mov_b32 s1, 0xcf800000
	s_mov_b64 s[10:11], -1
	s_waitcnt vmcnt(0)
	v_lshlrev_b32_e32 v14, 16, v14
	v_trunc_f32_e32 v14, v14
	v_mul_f32_e64 v15, |v14|, s0
	v_floor_f32_e32 v15, v15
	v_fma_f32 v19, v15, s1, |v14|
	v_cvt_u32_f32_e32 v19, v19
	v_cvt_u32_f32_e32 v15, v15
	v_ashrrev_i32_e32 v20, 31, v14
	s_mov_b64 s[0:1], 0
	v_xor_b32_e32 v14, v19, v20
	v_xor_b32_e32 v15, v15, v20
	v_sub_co_u32_e32 v14, vcc, v14, v20
	v_subb_co_u32_e32 v15, vcc, v15, v20, vcc
	s_branch .LBB94_2457
.LBB94_2455:
	s_mov_b64 s[14:15], -1
                                        ; implicit-def: $vgpr14_vgpr15
	s_branch .LBB94_2458
.LBB94_2456:
	s_mov_b64 s[0:1], -1
                                        ; implicit-def: $vgpr14_vgpr15
.LBB94_2457:
	s_mov_b64 s[14:15], 0
.LBB94_2458:
	s_and_b64 vcc, exec, s[14:15]
	s_cbranch_vccz .LBB94_2460
; %bb.2459:
	s_cmp_lg_u32 s13, 11
	s_mov_b64 s[2:3], -1
	s_cselect_b64 s[0:1], -1, 0
.LBB94_2460:
	s_and_b64 vcc, exec, s[0:1]
	s_cbranch_vccnz .LBB94_2993
; %bb.2461:
	s_andn2_b64 vcc, exec, s[2:3]
	s_cbranch_vccnz .LBB94_2463
.LBB94_2462:
	global_load_ubyte v14, v[16:17], off
	s_mov_b32 s0, 0
	s_waitcnt vmcnt(1)
	v_mov_b32_e32 v15, s0
	s_mov_b64 s[10:11], -1
	s_waitcnt vmcnt(0)
	v_cmp_ne_u16_e32 vcc, 0, v14
	v_cndmask_b32_e64 v14, 0, 1, vcc
.LBB94_2463:
	s_mov_b64 s[0:1], 0
.LBB94_2464:
	s_and_b64 vcc, exec, s[0:1]
	s_cbranch_vccz .LBB94_2513
; %bb.2465:
	s_and_b32 s2, 0xffff, s25
	s_cmp_lt_i32 s2, 5
	s_cbranch_scc1 .LBB94_2470
; %bb.2466:
	s_cmp_lt_i32 s2, 8
	s_cbranch_scc1 .LBB94_2471
; %bb.2467:
	;; [unrolled: 3-line block ×3, first 2 shown]
	s_cmp_gt_i32 s2, 9
	s_cbranch_scc0 .LBB94_2473
; %bb.2469:
	global_load_dwordx2 v[14:15], v[16:17], off
	s_movk_i32 s0, 0xffe0
	s_waitcnt vmcnt(0)
	v_trunc_f64_e32 v[14:15], v[14:15]
	v_ldexp_f64 v[19:20], v[14:15], s0
	s_mov_b32 s0, 0
	s_mov_b32 s1, 0xc1f00000
	v_floor_f64_e32 v[19:20], v[19:20]
	v_fma_f64 v[21:22], v[19:20], s[0:1], v[14:15]
	v_cvt_i32_f64_e32 v15, v[19:20]
	s_mov_b64 s[0:1], 0
	v_cvt_u32_f64_e32 v14, v[21:22]
	s_branch .LBB94_2474
.LBB94_2470:
	s_mov_b64 s[0:1], -1
                                        ; implicit-def: $vgpr14_vgpr15
	s_branch .LBB94_2492
.LBB94_2471:
	s_mov_b64 s[0:1], -1
                                        ; implicit-def: $vgpr14_vgpr15
	s_branch .LBB94_2480
.LBB94_2472:
	s_mov_b64 s[0:1], -1
                                        ; implicit-def: $vgpr14_vgpr15
	s_branch .LBB94_2477
.LBB94_2473:
	s_mov_b64 s[0:1], -1
                                        ; implicit-def: $vgpr14_vgpr15
.LBB94_2474:
	s_andn2_b64 vcc, exec, s[0:1]
	s_cbranch_vccnz .LBB94_2476
; %bb.2475:
	global_load_dword v14, v[16:17], off
	s_mov_b32 s0, 0x2f800000
	s_mov_b32 s1, 0xcf800000
	s_waitcnt vmcnt(0)
	v_trunc_f32_e32 v14, v14
	v_mul_f32_e64 v15, |v14|, s0
	v_floor_f32_e32 v15, v15
	v_cvt_u32_f32_e32 v19, v15
	v_fma_f32 v15, v15, s1, |v14|
	v_cvt_u32_f32_e32 v15, v15
	v_ashrrev_i32_e32 v20, 31, v14
	v_xor_b32_e32 v19, v19, v20
	v_xor_b32_e32 v14, v15, v20
	v_sub_co_u32_e32 v14, vcc, v14, v20
	v_subb_co_u32_e32 v15, vcc, v19, v20, vcc
.LBB94_2476:
	s_mov_b64 s[0:1], 0
.LBB94_2477:
	s_andn2_b64 vcc, exec, s[0:1]
	s_cbranch_vccnz .LBB94_2479
; %bb.2478:
	global_load_dword v14, v[16:17], off
	s_waitcnt vmcnt(0)
	v_cvt_f32_f16_e32 v14, v14
	v_cvt_i32_f32_e32 v14, v14
	v_ashrrev_i32_e32 v15, 31, v14
.LBB94_2479:
	s_mov_b64 s[0:1], 0
.LBB94_2480:
	s_andn2_b64 vcc, exec, s[0:1]
	s_cbranch_vccnz .LBB94_2491
; %bb.2481:
	s_cmp_lt_i32 s2, 6
	s_cbranch_scc1 .LBB94_2484
; %bb.2482:
	s_cmp_gt_i32 s2, 6
	s_cbranch_scc0 .LBB94_2485
; %bb.2483:
	global_load_dwordx2 v[14:15], v[16:17], off
	s_movk_i32 s0, 0xffe0
	s_waitcnt vmcnt(0)
	v_trunc_f64_e32 v[14:15], v[14:15]
	v_ldexp_f64 v[19:20], v[14:15], s0
	s_mov_b32 s0, 0
	s_mov_b32 s1, 0xc1f00000
	v_floor_f64_e32 v[19:20], v[19:20]
	v_fma_f64 v[21:22], v[19:20], s[0:1], v[14:15]
	v_cvt_i32_f64_e32 v15, v[19:20]
	s_mov_b64 s[0:1], 0
	v_cvt_u32_f64_e32 v14, v[21:22]
	s_branch .LBB94_2486
.LBB94_2484:
	s_mov_b64 s[0:1], -1
                                        ; implicit-def: $vgpr14_vgpr15
	s_branch .LBB94_2489
.LBB94_2485:
	s_mov_b64 s[0:1], -1
                                        ; implicit-def: $vgpr14_vgpr15
.LBB94_2486:
	s_andn2_b64 vcc, exec, s[0:1]
	s_cbranch_vccnz .LBB94_2488
; %bb.2487:
	global_load_dword v14, v[16:17], off
	s_mov_b32 s0, 0x2f800000
	s_mov_b32 s1, 0xcf800000
	s_waitcnt vmcnt(0)
	v_trunc_f32_e32 v14, v14
	v_mul_f32_e64 v15, |v14|, s0
	v_floor_f32_e32 v15, v15
	v_cvt_u32_f32_e32 v19, v15
	v_fma_f32 v15, v15, s1, |v14|
	v_cvt_u32_f32_e32 v15, v15
	v_ashrrev_i32_e32 v20, 31, v14
	v_xor_b32_e32 v19, v19, v20
	v_xor_b32_e32 v14, v15, v20
	v_sub_co_u32_e32 v14, vcc, v14, v20
	v_subb_co_u32_e32 v15, vcc, v19, v20, vcc
.LBB94_2488:
	s_mov_b64 s[0:1], 0
.LBB94_2489:
	s_andn2_b64 vcc, exec, s[0:1]
	s_cbranch_vccnz .LBB94_2491
; %bb.2490:
	global_load_ushort v14, v[16:17], off
	s_waitcnt vmcnt(0)
	v_cvt_f32_f16_e32 v14, v14
	v_cvt_i32_f32_e32 v14, v14
	v_ashrrev_i32_e32 v15, 31, v14
.LBB94_2491:
	s_mov_b64 s[0:1], 0
.LBB94_2492:
	s_andn2_b64 vcc, exec, s[0:1]
	s_cbranch_vccnz .LBB94_2512
; %bb.2493:
	s_cmp_lt_i32 s2, 2
	s_cbranch_scc1 .LBB94_2497
; %bb.2494:
	s_cmp_lt_i32 s2, 3
	s_cbranch_scc1 .LBB94_2498
; %bb.2495:
	s_cmp_gt_i32 s2, 3
	s_cbranch_scc0 .LBB94_2499
; %bb.2496:
	global_load_dwordx2 v[14:15], v[16:17], off
	s_mov_b64 s[0:1], 0
	s_branch .LBB94_2500
.LBB94_2497:
	s_mov_b64 s[0:1], -1
                                        ; implicit-def: $vgpr14_vgpr15
	s_branch .LBB94_2506
.LBB94_2498:
	s_mov_b64 s[0:1], -1
                                        ; implicit-def: $vgpr14_vgpr15
	s_branch .LBB94_2503
.LBB94_2499:
	s_mov_b64 s[0:1], -1
                                        ; implicit-def: $vgpr14_vgpr15
.LBB94_2500:
	s_andn2_b64 vcc, exec, s[0:1]
	s_cbranch_vccnz .LBB94_2502
; %bb.2501:
	global_load_dword v14, v[16:17], off
	s_waitcnt vmcnt(0)
	v_ashrrev_i32_e32 v15, 31, v14
.LBB94_2502:
	s_mov_b64 s[0:1], 0
.LBB94_2503:
	s_andn2_b64 vcc, exec, s[0:1]
	s_cbranch_vccnz .LBB94_2505
; %bb.2504:
	global_load_ushort v14, v[16:17], off
	s_waitcnt vmcnt(0)
	v_bfe_i32 v14, v14, 0, 16
	v_ashrrev_i32_e32 v15, 31, v14
.LBB94_2505:
	s_mov_b64 s[0:1], 0
.LBB94_2506:
	s_andn2_b64 vcc, exec, s[0:1]
	s_cbranch_vccnz .LBB94_2512
; %bb.2507:
	s_cmp_gt_i32 s2, 0
	s_cbranch_scc0 .LBB94_2509
; %bb.2508:
	global_load_sbyte v14, v[16:17], off
	s_mov_b64 s[0:1], 0
	s_waitcnt vmcnt(0)
	v_bfe_i32 v14, v14, 0, 16
	v_ashrrev_i32_e32 v15, 31, v14
	s_branch .LBB94_2510
.LBB94_2509:
	s_mov_b64 s[0:1], -1
                                        ; implicit-def: $vgpr14_vgpr15
.LBB94_2510:
	s_andn2_b64 vcc, exec, s[0:1]
	s_cbranch_vccnz .LBB94_2512
; %bb.2511:
	global_load_ubyte v14, v[16:17], off
	s_mov_b32 s0, 0
	s_waitcnt vmcnt(1)
	v_mov_b32_e32 v15, s0
	s_waitcnt vmcnt(0)
	v_and_b32_e32 v14, 0xffff, v14
.LBB94_2512:
	s_mov_b64 s[10:11], -1
.LBB94_2513:
	s_andn2_b64 vcc, exec, s[10:11]
	s_cbranch_vccnz .LBB94_2947
; %bb.2514:
	v_mul_lo_u32 v16, s12, v18
	s_waitcnt vmcnt(0)
	v_lshlrev_b64 v[0:1], v2, v[0:1]
	v_cmp_gt_u64_e32 vcc, 64, v[2:3]
	v_mov_b32_e32 v17, s9
	v_cndmask_b32_e32 v1, 0, v1, vcc
	v_cndmask_b32_e32 v0, 0, v0, vcc
	v_ashrrev_i32_e32 v3, 31, v16
	s_and_b32 s20, s33, 0xff
	v_add_co_u32_e32 v2, vcc, s8, v16
	s_cmp_lt_i32 s20, 11
	v_addc_co_u32_e32 v3, vcc, v17, v3, vcc
	s_cbranch_scc1 .LBB94_2592
; %bb.2515:
	s_and_b32 s13, 0xffff, s20
	s_mov_b64 s[14:15], -1
	s_mov_b64 s[2:3], 0
	s_cmp_gt_i32 s13, 25
	s_mov_b64 s[10:11], 0
	s_mov_b64 s[0:1], 0
	s_cbranch_scc0 .LBB94_2548
; %bb.2516:
	s_cmp_gt_i32 s13, 28
	s_cbranch_scc0 .LBB94_2531
; %bb.2517:
	s_cmp_gt_i32 s13, 43
	;; [unrolled: 3-line block ×3, first 2 shown]
	s_cbranch_scc0 .LBB94_2521
; %bb.2519:
	s_mov_b64 s[0:1], -1
	s_mov_b64 s[14:15], 0
	s_cmp_eq_u32 s13, 46
	s_cbranch_scc0 .LBB94_2521
; %bb.2520:
	v_xor_b32_e32 v18, v0, v1
	v_ffbh_i32_e32 v17, v1
	v_ashrrev_i32_e32 v18, 31, v18
	v_add_u32_e32 v17, -1, v17
	v_add_u32_e32 v18, 32, v18
	v_min_u32_e32 v19, v17, v18
	v_lshlrev_b64 v[17:18], v19, v[0:1]
	s_movk_i32 s0, 0x7fff
	v_min_u32_e32 v17, 1, v17
	v_or_b32_e32 v17, v18, v17
	v_cvt_f32_i32_e32 v17, v17
	v_sub_u32_e32 v18, 32, v19
	s_mov_b64 s[10:11], -1
	v_ldexp_f32 v17, v17, v18
	v_bfe_u32 v18, v17, 16, 1
	v_add3_u32 v17, v17, v18, s0
	v_lshrrev_b32_e32 v17, 16, v17
	global_store_dword v[2:3], v17, off
	s_mov_b64 s[0:1], 0
.LBB94_2521:
	s_and_b64 vcc, exec, s[14:15]
	s_cbranch_vccz .LBB94_2526
; %bb.2522:
	s_cmp_eq_u32 s13, 44
	s_mov_b64 s[0:1], -1
	s_cbranch_scc0 .LBB94_2526
; %bb.2523:
	v_xor_b32_e32 v18, v0, v1
	v_ffbh_i32_e32 v17, v1
	v_ashrrev_i32_e32 v18, 31, v18
	v_add_u32_e32 v17, -1, v17
	v_add_u32_e32 v18, 32, v18
	v_min_u32_e32 v19, v17, v18
	v_lshlrev_b64 v[17:18], v19, v[0:1]
	s_movk_i32 s0, 0xff
	v_min_u32_e32 v17, 1, v17
	v_or_b32_e32 v17, v18, v17
	v_cvt_f32_i32_e32 v17, v17
	v_sub_u32_e32 v18, 32, v19
	v_mov_b32_e32 v19, 0xff
	v_ldexp_f32 v17, v17, v18
	v_bfe_u32 v18, v17, 23, 8
	v_cmp_ne_u32_e32 vcc, s0, v18
	s_and_saveexec_b64 s[10:11], vcc
; %bb.2524:
	s_mov_b32 s0, 0x3fffff
	v_lshrrev_b32_e32 v19, 23, v17
	v_and_b32_e32 v20, 0x400000, v17
	v_and_or_b32 v17, v17, s0, v18
	v_cmp_ne_u32_e32 vcc, 0, v20
	v_cmp_ne_u32_e64 s[0:1], 0, v17
	s_and_b64 s[0:1], vcc, s[0:1]
	v_cndmask_b32_e64 v17, 0, 1, s[0:1]
	v_add_u32_e32 v19, v19, v17
; %bb.2525:
	s_or_b64 exec, exec, s[10:11]
	s_mov_b64 s[0:1], 0
	s_mov_b64 s[10:11], -1
	global_store_byte v[2:3], v19, off
.LBB94_2526:
	s_mov_b64 s[14:15], 0
.LBB94_2527:
	s_and_b64 vcc, exec, s[14:15]
	s_cbranch_vccz .LBB94_2530
; %bb.2528:
	s_cmp_eq_u32 s13, 29
	s_mov_b64 s[0:1], -1
	s_cbranch_scc0 .LBB94_2530
; %bb.2529:
	global_store_dwordx2 v[2:3], v[0:1], off
	s_mov_b64 s[0:1], 0
	s_mov_b64 s[10:11], -1
.LBB94_2530:
	s_mov_b64 s[14:15], 0
.LBB94_2531:
	s_and_b64 vcc, exec, s[14:15]
	s_cbranch_vccz .LBB94_2547
; %bb.2532:
	s_cmp_lt_i32 s13, 27
	s_mov_b64 s[10:11], -1
	s_cbranch_scc1 .LBB94_2538
; %bb.2533:
	s_cmp_gt_i32 s13, 27
	s_cbranch_scc0 .LBB94_2535
; %bb.2534:
	s_mov_b64 s[10:11], 0
	global_store_dword v[2:3], v0, off
.LBB94_2535:
	s_andn2_b64 vcc, exec, s[10:11]
	s_cbranch_vccnz .LBB94_2537
; %bb.2536:
	global_store_short v[2:3], v0, off
.LBB94_2537:
	s_mov_b64 s[10:11], 0
.LBB94_2538:
	s_andn2_b64 vcc, exec, s[10:11]
	s_cbranch_vccnz .LBB94_2546
; %bb.2539:
	v_xor_b32_e32 v18, v0, v1
	v_ffbh_i32_e32 v17, v1
	v_ashrrev_i32_e32 v18, 31, v18
	v_add_u32_e32 v17, -1, v17
	v_add_u32_e32 v18, 32, v18
	v_min_u32_e32 v19, v17, v18
	v_lshlrev_b64 v[17:18], v19, v[0:1]
	s_mov_b32 s10, 0x43800000
	v_min_u32_e32 v17, 1, v17
	v_or_b32_e32 v17, v18, v17
	v_cvt_f32_i32_e32 v17, v17
	v_sub_u32_e32 v18, 32, v19
	v_mov_b32_e32 v19, 0x80
	v_ldexp_f32 v17, v17, v18
	v_and_b32_e32 v18, 0x7fffffff, v17
	v_cmp_gt_u32_e32 vcc, s10, v18
	s_and_saveexec_b64 s[10:11], vcc
	s_cbranch_execz .LBB94_2545
; %bb.2540:
	s_mov_b32 s14, 0x3bffffff
	v_cmp_lt_u32_e32 vcc, s14, v18
	s_mov_b64 s[14:15], 0
                                        ; implicit-def: $vgpr18
	s_and_saveexec_b64 s[16:17], vcc
	s_xor_b64 s[16:17], exec, s[16:17]
	s_cbranch_execz .LBB94_2994
; %bb.2541:
	v_bfe_u32 v18, v17, 20, 1
	s_mov_b32 s21, 0x487ffff
	v_add3_u32 v18, v17, v18, s21
	s_mov_b64 s[14:15], exec
	v_lshrrev_b32_e32 v18, 20, v18
	s_andn2_saveexec_b64 s[16:17], s[16:17]
	s_cbranch_execnz .LBB94_2995
.LBB94_2542:
	s_or_b64 exec, exec, s[16:17]
	v_mov_b32_e32 v19, 0
	s_and_saveexec_b64 s[16:17], s[14:15]
.LBB94_2543:
	v_lshrrev_b32_e32 v17, 24, v17
	s_movk_i32 s14, 0x80
	v_and_or_b32 v19, v17, s14, v18
.LBB94_2544:
	s_or_b64 exec, exec, s[16:17]
.LBB94_2545:
	s_or_b64 exec, exec, s[10:11]
	global_store_byte v[2:3], v19, off
.LBB94_2546:
	s_mov_b64 s[10:11], -1
.LBB94_2547:
	s_mov_b64 s[14:15], 0
.LBB94_2548:
	s_and_b64 vcc, exec, s[14:15]
	s_cbranch_vccz .LBB94_2588
; %bb.2549:
	s_cmp_gt_i32 s13, 22
	s_mov_b64 s[2:3], -1
	s_cbranch_scc0 .LBB94_2581
; %bb.2550:
	s_cmp_lt_i32 s13, 24
	s_cbranch_scc1 .LBB94_2570
; %bb.2551:
	s_cmp_gt_i32 s13, 24
	s_cbranch_scc0 .LBB94_2559
; %bb.2552:
	v_xor_b32_e32 v18, v0, v1
	v_ffbh_i32_e32 v17, v1
	v_ashrrev_i32_e32 v18, 31, v18
	v_add_u32_e32 v17, -1, v17
	v_add_u32_e32 v18, 32, v18
	v_min_u32_e32 v19, v17, v18
	v_lshlrev_b64 v[17:18], v19, v[0:1]
	s_mov_b32 s2, 0x47800000
	v_min_u32_e32 v17, 1, v17
	v_or_b32_e32 v17, v18, v17
	v_cvt_f32_i32_e32 v17, v17
	v_sub_u32_e32 v18, 32, v19
	v_mov_b32_e32 v19, 0x80
	v_ldexp_f32 v17, v17, v18
	v_and_b32_e32 v18, 0x7fffffff, v17
	v_cmp_gt_u32_e32 vcc, s2, v18
	s_and_saveexec_b64 s[2:3], vcc
	s_cbranch_execz .LBB94_2558
; %bb.2553:
	s_mov_b32 s10, 0x37ffffff
	v_cmp_lt_u32_e32 vcc, s10, v18
	s_mov_b64 s[10:11], 0
                                        ; implicit-def: $vgpr18
	s_and_saveexec_b64 s[14:15], vcc
	s_xor_b64 s[14:15], exec, s[14:15]
	s_cbranch_execz .LBB94_2997
; %bb.2554:
	v_bfe_u32 v18, v17, 21, 1
	s_mov_b32 s16, 0x88fffff
	v_add3_u32 v18, v17, v18, s16
	s_mov_b64 s[10:11], exec
	v_lshrrev_b32_e32 v18, 21, v18
	s_andn2_saveexec_b64 s[14:15], s[14:15]
	s_cbranch_execnz .LBB94_2998
.LBB94_2555:
	s_or_b64 exec, exec, s[14:15]
	v_mov_b32_e32 v19, 0
	s_and_saveexec_b64 s[14:15], s[10:11]
.LBB94_2556:
	v_lshrrev_b32_e32 v17, 24, v17
	s_movk_i32 s10, 0x80
	v_and_or_b32 v19, v17, s10, v18
.LBB94_2557:
	s_or_b64 exec, exec, s[14:15]
.LBB94_2558:
	s_or_b64 exec, exec, s[2:3]
	s_mov_b64 s[2:3], 0
	global_store_byte v[2:3], v19, off
.LBB94_2559:
	s_and_b64 vcc, exec, s[2:3]
	s_cbranch_vccz .LBB94_2569
; %bb.2560:
	v_xor_b32_e32 v18, v0, v1
	v_ffbh_i32_e32 v17, v1
	v_ashrrev_i32_e32 v18, 31, v18
	v_add_u32_e32 v17, -1, v17
	v_add_u32_e32 v18, 32, v18
	v_min_u32_e32 v19, v17, v18
	v_lshlrev_b64 v[17:18], v19, v[0:1]
	s_mov_b32 s2, 0x43f00000
	v_min_u32_e32 v17, 1, v17
	v_or_b32_e32 v17, v18, v17
	v_cvt_f32_i32_e32 v17, v17
	v_sub_u32_e32 v18, 32, v19
	v_ldexp_f32 v17, v17, v18
	v_and_b32_e32 v19, 0x7fffffff, v17
	v_cmp_gt_u32_e32 vcc, s2, v19
                                        ; implicit-def: $vgpr18
	s_and_saveexec_b64 s[2:3], vcc
	s_xor_b64 s[2:3], exec, s[2:3]
	s_cbranch_execz .LBB94_2566
; %bb.2561:
	s_mov_b32 s10, 0x3c7fffff
	v_cmp_lt_u32_e32 vcc, s10, v19
                                        ; implicit-def: $vgpr18
	s_and_saveexec_b64 s[10:11], vcc
	s_xor_b64 s[10:11], exec, s[10:11]
; %bb.2562:
	v_bfe_u32 v18, v17, 20, 1
	s_mov_b32 s14, 0x407ffff
	v_add3_u32 v18, v17, v18, s14
	v_lshrrev_b32_e32 v19, 20, v18
	v_and_b32_e32 v18, 0xff00000, v18
	s_mov_b32 s14, 0x7f00000
	v_mov_b32_e32 v20, 0x7e
	v_cmp_ne_u32_e32 vcc, s14, v18
	v_cndmask_b32_e32 v18, v20, v19, vcc
; %bb.2563:
	s_andn2_saveexec_b64 s[10:11], s[10:11]
; %bb.2564:
	s_mov_b32 s14, 0x46800000
	v_add_f32_e64 v18, |v17|, s14
; %bb.2565:
	s_or_b64 exec, exec, s[10:11]
                                        ; implicit-def: $vgpr19
.LBB94_2566:
	s_andn2_saveexec_b64 s[2:3], s[2:3]
; %bb.2567:
	s_mov_b32 s10, 0x7f800000
	v_mov_b32_e32 v18, 0x7e
	v_mov_b32_e32 v20, 0x7f
	v_cmp_lt_u32_e32 vcc, s10, v19
	v_cndmask_b32_e32 v18, v18, v20, vcc
; %bb.2568:
	s_or_b64 exec, exec, s[2:3]
	v_lshrrev_b32_e32 v17, 24, v17
	s_movk_i32 s2, 0x80
	v_and_or_b32 v17, v17, s2, v18
	global_store_byte v[2:3], v17, off
.LBB94_2569:
	s_mov_b64 s[2:3], 0
.LBB94_2570:
	s_andn2_b64 vcc, exec, s[2:3]
	s_cbranch_vccnz .LBB94_2580
; %bb.2571:
	v_xor_b32_e32 v18, v0, v1
	v_ffbh_i32_e32 v17, v1
	v_ashrrev_i32_e32 v18, 31, v18
	v_add_u32_e32 v17, -1, v17
	v_add_u32_e32 v18, 32, v18
	v_min_u32_e32 v19, v17, v18
	v_lshlrev_b64 v[17:18], v19, v[0:1]
	s_mov_b32 s2, 0x47800000
	v_min_u32_e32 v17, 1, v17
	v_or_b32_e32 v17, v18, v17
	v_cvt_f32_i32_e32 v17, v17
	v_sub_u32_e32 v18, 32, v19
	v_ldexp_f32 v17, v17, v18
	v_and_b32_e32 v19, 0x7fffffff, v17
	v_cmp_gt_u32_e32 vcc, s2, v19
                                        ; implicit-def: $vgpr18
	s_and_saveexec_b64 s[2:3], vcc
	s_xor_b64 s[2:3], exec, s[2:3]
	s_cbranch_execz .LBB94_2577
; %bb.2572:
	s_mov_b32 s10, 0x387fffff
	v_cmp_lt_u32_e32 vcc, s10, v19
                                        ; implicit-def: $vgpr18
	s_and_saveexec_b64 s[10:11], vcc
	s_xor_b64 s[10:11], exec, s[10:11]
; %bb.2573:
	v_bfe_u32 v18, v17, 21, 1
	s_mov_b32 s14, 0x80fffff
	v_add3_u32 v18, v17, v18, s14
	v_lshrrev_b32_e32 v18, 21, v18
; %bb.2574:
	s_andn2_saveexec_b64 s[10:11], s[10:11]
; %bb.2575:
	s_mov_b32 s14, 0x43000000
	v_add_f32_e64 v18, |v17|, s14
; %bb.2576:
	s_or_b64 exec, exec, s[10:11]
                                        ; implicit-def: $vgpr19
.LBB94_2577:
	s_andn2_saveexec_b64 s[2:3], s[2:3]
; %bb.2578:
	s_mov_b32 s10, 0x7f800000
	v_mov_b32_e32 v18, 0x7c
	v_mov_b32_e32 v20, 0x7f
	v_cmp_lt_u32_e32 vcc, s10, v19
	v_cndmask_b32_e32 v18, v18, v20, vcc
; %bb.2579:
	s_or_b64 exec, exec, s[2:3]
	v_lshrrev_b32_e32 v17, 24, v17
	s_movk_i32 s2, 0x80
	v_and_or_b32 v17, v17, s2, v18
	global_store_byte v[2:3], v17, off
.LBB94_2580:
	s_mov_b64 s[2:3], 0
	s_mov_b64 s[10:11], -1
.LBB94_2581:
	s_andn2_b64 vcc, exec, s[2:3]
	s_mov_b64 s[2:3], 0
	s_cbranch_vccnz .LBB94_2588
; %bb.2582:
	s_cmp_gt_i32 s13, 14
	s_mov_b64 s[14:15], -1
	s_cbranch_scc0 .LBB94_2586
; %bb.2583:
	s_cmp_eq_u32 s13, 15
	s_mov_b64 s[0:1], -1
	s_cbranch_scc0 .LBB94_2585
; %bb.2584:
	v_xor_b32_e32 v18, v0, v1
	v_ffbh_i32_e32 v17, v1
	v_ashrrev_i32_e32 v18, 31, v18
	v_add_u32_e32 v17, -1, v17
	v_add_u32_e32 v18, 32, v18
	v_min_u32_e32 v19, v17, v18
	v_lshlrev_b64 v[17:18], v19, v[0:1]
	s_movk_i32 s0, 0x7fff
	v_min_u32_e32 v17, 1, v17
	v_or_b32_e32 v17, v18, v17
	v_cvt_f32_i32_e32 v17, v17
	v_sub_u32_e32 v18, 32, v19
	s_mov_b64 s[10:11], -1
	v_ldexp_f32 v17, v17, v18
	v_bfe_u32 v18, v17, 16, 1
	v_add3_u32 v17, v17, v18, s0
	global_store_short_d16_hi v[2:3], v17, off
	s_mov_b64 s[0:1], 0
.LBB94_2585:
	s_mov_b64 s[14:15], 0
.LBB94_2586:
	s_and_b64 vcc, exec, s[14:15]
	s_cbranch_vccz .LBB94_2588
; %bb.2587:
	s_cmp_lg_u32 s13, 11
	s_mov_b64 s[2:3], -1
	s_cselect_b64 s[0:1], -1, 0
.LBB94_2588:
	s_and_b64 vcc, exec, s[0:1]
	s_cbranch_vccnz .LBB94_2996
; %bb.2589:
	s_andn2_b64 vcc, exec, s[2:3]
	s_cbranch_vccnz .LBB94_2591
.LBB94_2590:
	v_cmp_ne_u64_e32 vcc, 0, v[0:1]
	s_mov_b64 s[10:11], -1
	v_cndmask_b32_e64 v17, 0, 1, vcc
	global_store_byte v[2:3], v17, off
.LBB94_2591:
	s_mov_b64 s[0:1], 0
	s_branch .LBB94_2593
.LBB94_2592:
	s_mov_b64 s[0:1], -1
	s_mov_b64 s[10:11], 0
.LBB94_2593:
	s_and_b64 vcc, exec, s[0:1]
	s_cbranch_vccz .LBB94_2632
; %bb.2594:
	s_and_b32 s2, 0xffff, s20
	s_cmp_lt_i32 s2, 5
	s_mov_b64 s[0:1], -1
	s_cbranch_scc1 .LBB94_2615
; %bb.2595:
	s_cmp_lt_i32 s2, 8
	s_cbranch_scc1 .LBB94_2605
; %bb.2596:
	s_cmp_lt_i32 s2, 9
	s_cbranch_scc1 .LBB94_2602
; %bb.2597:
	s_cmp_gt_i32 s2, 9
	s_cbranch_scc0 .LBB94_2599
; %bb.2598:
	v_cvt_f64_i32_e32 v[17:18], v1
	v_cvt_f64_u32_e32 v[19:20], v0
	s_mov_b64 s[0:1], 0
	v_ldexp_f64 v[17:18], v[17:18], 32
	v_add_f64 v[17:18], v[17:18], v[19:20]
	v_mov_b32_e32 v19, 0
	v_mov_b32_e32 v20, v19
	global_store_dwordx4 v[2:3], v[17:20], off
.LBB94_2599:
	s_andn2_b64 vcc, exec, s[0:1]
	s_cbranch_vccnz .LBB94_2601
; %bb.2600:
	v_xor_b32_e32 v18, v0, v1
	v_ffbh_i32_e32 v17, v1
	v_ashrrev_i32_e32 v18, 31, v18
	v_add_u32_e32 v17, -1, v17
	v_add_u32_e32 v18, 32, v18
	v_min_u32_e32 v19, v17, v18
	v_lshlrev_b64 v[17:18], v19, v[0:1]
	v_min_u32_e32 v17, 1, v17
	v_or_b32_e32 v17, v18, v17
	v_cvt_f32_i32_e32 v17, v17
	v_sub_u32_e32 v18, 32, v19
	v_ldexp_f32 v17, v17, v18
	v_mov_b32_e32 v18, 0
	global_store_dwordx2 v[2:3], v[17:18], off
.LBB94_2601:
	s_mov_b64 s[0:1], 0
.LBB94_2602:
	s_andn2_b64 vcc, exec, s[0:1]
	s_cbranch_vccnz .LBB94_2604
; %bb.2603:
	v_xor_b32_e32 v18, v0, v1
	v_ffbh_i32_e32 v17, v1
	v_ashrrev_i32_e32 v18, 31, v18
	v_add_u32_e32 v17, -1, v17
	v_add_u32_e32 v18, 32, v18
	v_min_u32_e32 v19, v17, v18
	v_lshlrev_b64 v[17:18], v19, v[0:1]
	v_min_u32_e32 v17, 1, v17
	v_or_b32_e32 v17, v18, v17
	v_cvt_f32_i32_e32 v17, v17
	v_sub_u32_e32 v18, 32, v19
	v_ldexp_f32 v17, v17, v18
	v_cvt_f16_f32_e32 v17, v17
	global_store_dword v[2:3], v17, off
.LBB94_2604:
	s_mov_b64 s[0:1], 0
.LBB94_2605:
	s_andn2_b64 vcc, exec, s[0:1]
	s_cbranch_vccnz .LBB94_2614
; %bb.2606:
	s_cmp_lt_i32 s2, 6
	s_mov_b64 s[0:1], -1
	s_cbranch_scc1 .LBB94_2612
; %bb.2607:
	s_cmp_gt_i32 s2, 6
	s_cbranch_scc0 .LBB94_2609
; %bb.2608:
	v_cvt_f64_i32_e32 v[17:18], v1
	v_cvt_f64_u32_e32 v[19:20], v0
	s_mov_b64 s[0:1], 0
	v_ldexp_f64 v[17:18], v[17:18], 32
	v_add_f64 v[17:18], v[17:18], v[19:20]
	global_store_dwordx2 v[2:3], v[17:18], off
.LBB94_2609:
	s_andn2_b64 vcc, exec, s[0:1]
	s_cbranch_vccnz .LBB94_2611
; %bb.2610:
	v_xor_b32_e32 v18, v0, v1
	v_ffbh_i32_e32 v17, v1
	v_ashrrev_i32_e32 v18, 31, v18
	v_add_u32_e32 v17, -1, v17
	v_add_u32_e32 v18, 32, v18
	v_min_u32_e32 v19, v17, v18
	v_lshlrev_b64 v[17:18], v19, v[0:1]
	v_min_u32_e32 v17, 1, v17
	v_or_b32_e32 v17, v18, v17
	v_cvt_f32_i32_e32 v17, v17
	v_sub_u32_e32 v18, 32, v19
	v_ldexp_f32 v17, v17, v18
	global_store_dword v[2:3], v17, off
.LBB94_2611:
	s_mov_b64 s[0:1], 0
.LBB94_2612:
	s_andn2_b64 vcc, exec, s[0:1]
	s_cbranch_vccnz .LBB94_2614
; %bb.2613:
	v_xor_b32_e32 v18, v0, v1
	v_ffbh_i32_e32 v17, v1
	v_ashrrev_i32_e32 v18, 31, v18
	v_add_u32_e32 v17, -1, v17
	v_add_u32_e32 v18, 32, v18
	v_min_u32_e32 v19, v17, v18
	v_lshlrev_b64 v[17:18], v19, v[0:1]
	v_min_u32_e32 v17, 1, v17
	v_or_b32_e32 v17, v18, v17
	v_cvt_f32_i32_e32 v17, v17
	v_sub_u32_e32 v18, 32, v19
	v_ldexp_f32 v17, v17, v18
	v_cvt_f16_f32_e32 v17, v17
	global_store_short v[2:3], v17, off
.LBB94_2614:
	s_mov_b64 s[0:1], 0
.LBB94_2615:
	s_andn2_b64 vcc, exec, s[0:1]
	s_cbranch_vccnz .LBB94_2631
; %bb.2616:
	s_cmp_lt_i32 s2, 2
	s_mov_b64 s[0:1], -1
	s_cbranch_scc1 .LBB94_2626
; %bb.2617:
	s_cmp_lt_i32 s2, 3
	s_cbranch_scc1 .LBB94_2623
; %bb.2618:
	s_cmp_gt_i32 s2, 3
	s_cbranch_scc0 .LBB94_2620
; %bb.2619:
	global_store_dwordx2 v[2:3], v[0:1], off
	s_mov_b64 s[0:1], 0
.LBB94_2620:
	s_andn2_b64 vcc, exec, s[0:1]
	s_cbranch_vccnz .LBB94_2622
; %bb.2621:
	global_store_dword v[2:3], v0, off
.LBB94_2622:
	s_mov_b64 s[0:1], 0
.LBB94_2623:
	s_andn2_b64 vcc, exec, s[0:1]
	s_cbranch_vccnz .LBB94_2625
; %bb.2624:
	global_store_short v[2:3], v0, off
.LBB94_2625:
	s_mov_b64 s[0:1], 0
.LBB94_2626:
	s_andn2_b64 vcc, exec, s[0:1]
	s_cbranch_vccnz .LBB94_2631
; %bb.2627:
	s_cmp_gt_i32 s2, 0
	s_mov_b64 s[0:1], -1
	s_cbranch_scc0 .LBB94_2629
; %bb.2628:
	global_store_byte v[2:3], v0, off
	s_mov_b64 s[0:1], 0
.LBB94_2629:
	s_andn2_b64 vcc, exec, s[0:1]
	s_cbranch_vccnz .LBB94_2631
; %bb.2630:
	global_store_byte v[2:3], v0, off
.LBB94_2631:
	s_mov_b64 s[10:11], -1
.LBB94_2632:
	s_andn2_b64 vcc, exec, s[10:11]
	s_cbranch_vccnz .LBB94_2947
; %bb.2633:
	v_lshlrev_b64 v[0:1], v6, v[4:5]
	v_cmp_gt_u64_e32 vcc, 64, v[6:7]
	s_lshl_b32 s16, s12, 7
	v_add_u32_e32 v4, s16, v16
	v_cndmask_b32_e32 v1, 0, v1, vcc
	v_cndmask_b32_e32 v0, 0, v0, vcc
	v_ashrrev_i32_e32 v3, 31, v4
	v_mov_b32_e32 v5, s9
	v_add_co_u32_e32 v2, vcc, s8, v4
	s_cmp_lt_i32 s20, 11
	v_addc_co_u32_e32 v3, vcc, v5, v3, vcc
	s_cbranch_scc1 .LBB94_2711
; %bb.2634:
	s_and_b32 s17, 0xffff, s20
	s_mov_b64 s[12:13], -1
	s_mov_b64 s[2:3], 0
	s_cmp_gt_i32 s17, 25
	s_mov_b64 s[10:11], 0
	s_mov_b64 s[0:1], 0
	s_cbranch_scc0 .LBB94_2667
; %bb.2635:
	s_cmp_gt_i32 s17, 28
	s_cbranch_scc0 .LBB94_2650
; %bb.2636:
	s_cmp_gt_i32 s17, 43
	;; [unrolled: 3-line block ×3, first 2 shown]
	s_cbranch_scc0 .LBB94_2640
; %bb.2638:
	s_mov_b64 s[0:1], -1
	s_mov_b64 s[12:13], 0
	s_cmp_eq_u32 s17, 46
	s_cbranch_scc0 .LBB94_2640
; %bb.2639:
	v_xor_b32_e32 v6, v0, v1
	v_ffbh_i32_e32 v5, v1
	v_ashrrev_i32_e32 v6, 31, v6
	v_add_u32_e32 v5, -1, v5
	v_add_u32_e32 v6, 32, v6
	v_min_u32_e32 v7, v5, v6
	v_lshlrev_b64 v[5:6], v7, v[0:1]
	s_movk_i32 s0, 0x7fff
	v_min_u32_e32 v5, 1, v5
	v_or_b32_e32 v5, v6, v5
	v_cvt_f32_i32_e32 v5, v5
	v_sub_u32_e32 v6, 32, v7
	s_mov_b64 s[10:11], -1
	v_ldexp_f32 v5, v5, v6
	v_bfe_u32 v6, v5, 16, 1
	v_add3_u32 v5, v5, v6, s0
	v_lshrrev_b32_e32 v5, 16, v5
	global_store_dword v[2:3], v5, off
	s_mov_b64 s[0:1], 0
.LBB94_2640:
	s_and_b64 vcc, exec, s[12:13]
	s_cbranch_vccz .LBB94_2645
; %bb.2641:
	s_cmp_eq_u32 s17, 44
	s_mov_b64 s[0:1], -1
	s_cbranch_scc0 .LBB94_2645
; %bb.2642:
	v_xor_b32_e32 v6, v0, v1
	v_ffbh_i32_e32 v5, v1
	v_ashrrev_i32_e32 v6, 31, v6
	v_add_u32_e32 v5, -1, v5
	v_add_u32_e32 v6, 32, v6
	v_min_u32_e32 v7, v5, v6
	v_lshlrev_b64 v[5:6], v7, v[0:1]
	s_movk_i32 s0, 0xff
	v_min_u32_e32 v5, 1, v5
	v_or_b32_e32 v5, v6, v5
	v_cvt_f32_i32_e32 v5, v5
	v_sub_u32_e32 v6, 32, v7
	v_mov_b32_e32 v7, 0xff
	v_ldexp_f32 v5, v5, v6
	v_bfe_u32 v6, v5, 23, 8
	v_cmp_ne_u32_e32 vcc, s0, v6
	s_and_saveexec_b64 s[10:11], vcc
; %bb.2643:
	s_mov_b32 s0, 0x3fffff
	v_lshrrev_b32_e32 v7, 23, v5
	v_and_b32_e32 v16, 0x400000, v5
	v_and_or_b32 v5, v5, s0, v6
	v_cmp_ne_u32_e32 vcc, 0, v16
	v_cmp_ne_u32_e64 s[0:1], 0, v5
	s_and_b64 s[0:1], vcc, s[0:1]
	v_cndmask_b32_e64 v5, 0, 1, s[0:1]
	v_add_u32_e32 v7, v7, v5
; %bb.2644:
	s_or_b64 exec, exec, s[10:11]
	s_mov_b64 s[0:1], 0
	s_mov_b64 s[10:11], -1
	global_store_byte v[2:3], v7, off
.LBB94_2645:
	s_mov_b64 s[12:13], 0
.LBB94_2646:
	s_and_b64 vcc, exec, s[12:13]
	s_cbranch_vccz .LBB94_2649
; %bb.2647:
	s_cmp_eq_u32 s17, 29
	s_mov_b64 s[0:1], -1
	s_cbranch_scc0 .LBB94_2649
; %bb.2648:
	global_store_dwordx2 v[2:3], v[0:1], off
	s_mov_b64 s[0:1], 0
	s_mov_b64 s[10:11], -1
.LBB94_2649:
	s_mov_b64 s[12:13], 0
.LBB94_2650:
	s_and_b64 vcc, exec, s[12:13]
	s_cbranch_vccz .LBB94_2666
; %bb.2651:
	s_cmp_lt_i32 s17, 27
	s_mov_b64 s[10:11], -1
	s_cbranch_scc1 .LBB94_2657
; %bb.2652:
	s_cmp_gt_i32 s17, 27
	s_cbranch_scc0 .LBB94_2654
; %bb.2653:
	s_mov_b64 s[10:11], 0
	global_store_dword v[2:3], v0, off
.LBB94_2654:
	s_andn2_b64 vcc, exec, s[10:11]
	s_cbranch_vccnz .LBB94_2656
; %bb.2655:
	global_store_short v[2:3], v0, off
.LBB94_2656:
	s_mov_b64 s[10:11], 0
.LBB94_2657:
	s_andn2_b64 vcc, exec, s[10:11]
	s_cbranch_vccnz .LBB94_2665
; %bb.2658:
	v_xor_b32_e32 v6, v0, v1
	v_ffbh_i32_e32 v5, v1
	v_ashrrev_i32_e32 v6, 31, v6
	v_add_u32_e32 v5, -1, v5
	v_add_u32_e32 v6, 32, v6
	v_min_u32_e32 v7, v5, v6
	v_lshlrev_b64 v[5:6], v7, v[0:1]
	s_mov_b32 s10, 0x43800000
	v_min_u32_e32 v5, 1, v5
	v_or_b32_e32 v5, v6, v5
	v_cvt_f32_i32_e32 v5, v5
	v_sub_u32_e32 v6, 32, v7
	v_mov_b32_e32 v7, 0x80
	v_ldexp_f32 v5, v5, v6
	v_and_b32_e32 v6, 0x7fffffff, v5
	v_cmp_gt_u32_e32 vcc, s10, v6
	s_and_saveexec_b64 s[10:11], vcc
	s_cbranch_execz .LBB94_2664
; %bb.2659:
	s_mov_b32 s12, 0x3bffffff
	v_cmp_lt_u32_e32 vcc, s12, v6
	s_mov_b64 s[12:13], 0
                                        ; implicit-def: $vgpr6
	s_and_saveexec_b64 s[14:15], vcc
	s_xor_b64 s[14:15], exec, s[14:15]
	s_cbranch_execz .LBB94_2999
; %bb.2660:
	v_bfe_u32 v6, v5, 20, 1
	s_mov_b32 s21, 0x487ffff
	v_add3_u32 v6, v5, v6, s21
	s_mov_b64 s[12:13], exec
	v_lshrrev_b32_e32 v6, 20, v6
	s_andn2_saveexec_b64 s[14:15], s[14:15]
	s_cbranch_execnz .LBB94_3000
.LBB94_2661:
	s_or_b64 exec, exec, s[14:15]
	v_mov_b32_e32 v7, 0
	s_and_saveexec_b64 s[14:15], s[12:13]
.LBB94_2662:
	v_lshrrev_b32_e32 v5, 24, v5
	s_movk_i32 s12, 0x80
	v_and_or_b32 v7, v5, s12, v6
.LBB94_2663:
	s_or_b64 exec, exec, s[14:15]
.LBB94_2664:
	s_or_b64 exec, exec, s[10:11]
	global_store_byte v[2:3], v7, off
.LBB94_2665:
	s_mov_b64 s[10:11], -1
.LBB94_2666:
	s_mov_b64 s[12:13], 0
.LBB94_2667:
	s_and_b64 vcc, exec, s[12:13]
	s_cbranch_vccz .LBB94_2707
; %bb.2668:
	s_cmp_gt_i32 s17, 22
	s_mov_b64 s[2:3], -1
	s_cbranch_scc0 .LBB94_2700
; %bb.2669:
	s_cmp_lt_i32 s17, 24
	s_cbranch_scc1 .LBB94_2689
; %bb.2670:
	s_cmp_gt_i32 s17, 24
	s_cbranch_scc0 .LBB94_2678
; %bb.2671:
	v_xor_b32_e32 v6, v0, v1
	v_ffbh_i32_e32 v5, v1
	v_ashrrev_i32_e32 v6, 31, v6
	v_add_u32_e32 v5, -1, v5
	v_add_u32_e32 v6, 32, v6
	v_min_u32_e32 v7, v5, v6
	v_lshlrev_b64 v[5:6], v7, v[0:1]
	s_mov_b32 s2, 0x47800000
	v_min_u32_e32 v5, 1, v5
	v_or_b32_e32 v5, v6, v5
	v_cvt_f32_i32_e32 v5, v5
	v_sub_u32_e32 v6, 32, v7
	v_mov_b32_e32 v7, 0x80
	v_ldexp_f32 v5, v5, v6
	v_and_b32_e32 v6, 0x7fffffff, v5
	v_cmp_gt_u32_e32 vcc, s2, v6
	s_and_saveexec_b64 s[2:3], vcc
	s_cbranch_execz .LBB94_2677
; %bb.2672:
	s_mov_b32 s10, 0x37ffffff
	v_cmp_lt_u32_e32 vcc, s10, v6
	s_mov_b64 s[10:11], 0
                                        ; implicit-def: $vgpr6
	s_and_saveexec_b64 s[12:13], vcc
	s_xor_b64 s[12:13], exec, s[12:13]
	s_cbranch_execz .LBB94_3002
; %bb.2673:
	v_bfe_u32 v6, v5, 21, 1
	s_mov_b32 s14, 0x88fffff
	v_add3_u32 v6, v5, v6, s14
	s_mov_b64 s[10:11], exec
	v_lshrrev_b32_e32 v6, 21, v6
	s_andn2_saveexec_b64 s[12:13], s[12:13]
	s_cbranch_execnz .LBB94_3003
.LBB94_2674:
	s_or_b64 exec, exec, s[12:13]
	v_mov_b32_e32 v7, 0
	s_and_saveexec_b64 s[12:13], s[10:11]
.LBB94_2675:
	v_lshrrev_b32_e32 v5, 24, v5
	s_movk_i32 s10, 0x80
	v_and_or_b32 v7, v5, s10, v6
.LBB94_2676:
	s_or_b64 exec, exec, s[12:13]
.LBB94_2677:
	s_or_b64 exec, exec, s[2:3]
	s_mov_b64 s[2:3], 0
	global_store_byte v[2:3], v7, off
.LBB94_2678:
	s_and_b64 vcc, exec, s[2:3]
	s_cbranch_vccz .LBB94_2688
; %bb.2679:
	v_xor_b32_e32 v6, v0, v1
	v_ffbh_i32_e32 v5, v1
	v_ashrrev_i32_e32 v6, 31, v6
	v_add_u32_e32 v5, -1, v5
	v_add_u32_e32 v6, 32, v6
	v_min_u32_e32 v7, v5, v6
	v_lshlrev_b64 v[5:6], v7, v[0:1]
	s_mov_b32 s2, 0x43f00000
	v_min_u32_e32 v5, 1, v5
	v_or_b32_e32 v5, v6, v5
	v_cvt_f32_i32_e32 v5, v5
	v_sub_u32_e32 v6, 32, v7
	v_ldexp_f32 v5, v5, v6
	v_and_b32_e32 v7, 0x7fffffff, v5
	v_cmp_gt_u32_e32 vcc, s2, v7
                                        ; implicit-def: $vgpr6
	s_and_saveexec_b64 s[2:3], vcc
	s_xor_b64 s[2:3], exec, s[2:3]
	s_cbranch_execz .LBB94_2685
; %bb.2680:
	s_mov_b32 s10, 0x3c7fffff
	v_cmp_lt_u32_e32 vcc, s10, v7
                                        ; implicit-def: $vgpr6
	s_and_saveexec_b64 s[10:11], vcc
	s_xor_b64 s[10:11], exec, s[10:11]
; %bb.2681:
	v_bfe_u32 v6, v5, 20, 1
	s_mov_b32 s12, 0x407ffff
	v_add3_u32 v6, v5, v6, s12
	v_lshrrev_b32_e32 v7, 20, v6
	v_and_b32_e32 v6, 0xff00000, v6
	s_mov_b32 s12, 0x7f00000
	v_mov_b32_e32 v16, 0x7e
	v_cmp_ne_u32_e32 vcc, s12, v6
	v_cndmask_b32_e32 v6, v16, v7, vcc
; %bb.2682:
	s_andn2_saveexec_b64 s[10:11], s[10:11]
; %bb.2683:
	s_mov_b32 s12, 0x46800000
	v_add_f32_e64 v6, |v5|, s12
; %bb.2684:
	s_or_b64 exec, exec, s[10:11]
                                        ; implicit-def: $vgpr7
.LBB94_2685:
	s_andn2_saveexec_b64 s[2:3], s[2:3]
; %bb.2686:
	s_mov_b32 s10, 0x7f800000
	v_mov_b32_e32 v6, 0x7e
	v_mov_b32_e32 v16, 0x7f
	v_cmp_lt_u32_e32 vcc, s10, v7
	v_cndmask_b32_e32 v6, v6, v16, vcc
; %bb.2687:
	s_or_b64 exec, exec, s[2:3]
	v_lshrrev_b32_e32 v5, 24, v5
	s_movk_i32 s2, 0x80
	v_and_or_b32 v5, v5, s2, v6
	global_store_byte v[2:3], v5, off
.LBB94_2688:
	s_mov_b64 s[2:3], 0
.LBB94_2689:
	s_andn2_b64 vcc, exec, s[2:3]
	s_cbranch_vccnz .LBB94_2699
; %bb.2690:
	v_xor_b32_e32 v6, v0, v1
	v_ffbh_i32_e32 v5, v1
	v_ashrrev_i32_e32 v6, 31, v6
	v_add_u32_e32 v5, -1, v5
	v_add_u32_e32 v6, 32, v6
	v_min_u32_e32 v7, v5, v6
	v_lshlrev_b64 v[5:6], v7, v[0:1]
	s_mov_b32 s2, 0x47800000
	v_min_u32_e32 v5, 1, v5
	v_or_b32_e32 v5, v6, v5
	v_cvt_f32_i32_e32 v5, v5
	v_sub_u32_e32 v6, 32, v7
	v_ldexp_f32 v5, v5, v6
	v_and_b32_e32 v7, 0x7fffffff, v5
	v_cmp_gt_u32_e32 vcc, s2, v7
                                        ; implicit-def: $vgpr6
	s_and_saveexec_b64 s[2:3], vcc
	s_xor_b64 s[2:3], exec, s[2:3]
	s_cbranch_execz .LBB94_2696
; %bb.2691:
	s_mov_b32 s10, 0x387fffff
	v_cmp_lt_u32_e32 vcc, s10, v7
                                        ; implicit-def: $vgpr6
	s_and_saveexec_b64 s[10:11], vcc
	s_xor_b64 s[10:11], exec, s[10:11]
; %bb.2692:
	v_bfe_u32 v6, v5, 21, 1
	s_mov_b32 s12, 0x80fffff
	v_add3_u32 v6, v5, v6, s12
	v_lshrrev_b32_e32 v6, 21, v6
; %bb.2693:
	s_andn2_saveexec_b64 s[10:11], s[10:11]
; %bb.2694:
	s_mov_b32 s12, 0x43000000
	v_add_f32_e64 v6, |v5|, s12
; %bb.2695:
	s_or_b64 exec, exec, s[10:11]
                                        ; implicit-def: $vgpr7
.LBB94_2696:
	s_andn2_saveexec_b64 s[2:3], s[2:3]
; %bb.2697:
	s_mov_b32 s10, 0x7f800000
	v_mov_b32_e32 v6, 0x7c
	v_mov_b32_e32 v16, 0x7f
	v_cmp_lt_u32_e32 vcc, s10, v7
	v_cndmask_b32_e32 v6, v6, v16, vcc
; %bb.2698:
	s_or_b64 exec, exec, s[2:3]
	v_lshrrev_b32_e32 v5, 24, v5
	s_movk_i32 s2, 0x80
	v_and_or_b32 v5, v5, s2, v6
	global_store_byte v[2:3], v5, off
.LBB94_2699:
	s_mov_b64 s[2:3], 0
	s_mov_b64 s[10:11], -1
.LBB94_2700:
	s_andn2_b64 vcc, exec, s[2:3]
	s_mov_b64 s[2:3], 0
	s_cbranch_vccnz .LBB94_2707
; %bb.2701:
	s_cmp_gt_i32 s17, 14
	s_mov_b64 s[12:13], -1
	s_cbranch_scc0 .LBB94_2705
; %bb.2702:
	s_cmp_eq_u32 s17, 15
	s_mov_b64 s[0:1], -1
	s_cbranch_scc0 .LBB94_2704
; %bb.2703:
	v_xor_b32_e32 v6, v0, v1
	v_ffbh_i32_e32 v5, v1
	v_ashrrev_i32_e32 v6, 31, v6
	v_add_u32_e32 v5, -1, v5
	v_add_u32_e32 v6, 32, v6
	v_min_u32_e32 v7, v5, v6
	v_lshlrev_b64 v[5:6], v7, v[0:1]
	s_movk_i32 s0, 0x7fff
	v_min_u32_e32 v5, 1, v5
	v_or_b32_e32 v5, v6, v5
	v_cvt_f32_i32_e32 v5, v5
	v_sub_u32_e32 v6, 32, v7
	s_mov_b64 s[10:11], -1
	v_ldexp_f32 v5, v5, v6
	v_bfe_u32 v6, v5, 16, 1
	v_add3_u32 v5, v5, v6, s0
	global_store_short_d16_hi v[2:3], v5, off
	s_mov_b64 s[0:1], 0
.LBB94_2704:
	s_mov_b64 s[12:13], 0
.LBB94_2705:
	s_and_b64 vcc, exec, s[12:13]
	s_cbranch_vccz .LBB94_2707
; %bb.2706:
	s_cmp_lg_u32 s17, 11
	s_mov_b64 s[2:3], -1
	s_cselect_b64 s[0:1], -1, 0
.LBB94_2707:
	s_and_b64 vcc, exec, s[0:1]
	s_cbranch_vccnz .LBB94_3001
; %bb.2708:
	s_andn2_b64 vcc, exec, s[2:3]
	s_cbranch_vccnz .LBB94_2710
.LBB94_2709:
	v_cmp_ne_u64_e32 vcc, 0, v[0:1]
	s_mov_b64 s[10:11], -1
	v_cndmask_b32_e64 v5, 0, 1, vcc
	global_store_byte v[2:3], v5, off
.LBB94_2710:
	s_mov_b64 s[0:1], 0
	s_branch .LBB94_2712
.LBB94_2711:
	s_mov_b64 s[0:1], -1
	s_mov_b64 s[10:11], 0
.LBB94_2712:
	s_and_b64 vcc, exec, s[0:1]
	s_cbranch_vccz .LBB94_2751
; %bb.2713:
	s_and_b32 s2, 0xffff, s20
	s_cmp_lt_i32 s2, 5
	s_mov_b64 s[0:1], -1
	s_cbranch_scc1 .LBB94_2734
; %bb.2714:
	s_cmp_lt_i32 s2, 8
	s_cbranch_scc1 .LBB94_2724
; %bb.2715:
	s_cmp_lt_i32 s2, 9
	s_cbranch_scc1 .LBB94_2721
; %bb.2716:
	s_cmp_gt_i32 s2, 9
	s_cbranch_scc0 .LBB94_2718
; %bb.2717:
	v_cvt_f64_i32_e32 v[5:6], v1
	v_cvt_f64_u32_e32 v[16:17], v0
	v_mov_b32_e32 v18, 0
	v_mov_b32_e32 v19, v18
	v_ldexp_f64 v[5:6], v[5:6], 32
	s_mov_b64 s[0:1], 0
	v_add_f64 v[16:17], v[5:6], v[16:17]
	global_store_dwordx4 v[2:3], v[16:19], off
.LBB94_2718:
	s_andn2_b64 vcc, exec, s[0:1]
	s_cbranch_vccnz .LBB94_2720
; %bb.2719:
	v_xor_b32_e32 v6, v0, v1
	v_ffbh_i32_e32 v5, v1
	v_ashrrev_i32_e32 v6, 31, v6
	v_add_u32_e32 v5, -1, v5
	v_add_u32_e32 v6, 32, v6
	v_min_u32_e32 v7, v5, v6
	v_lshlrev_b64 v[5:6], v7, v[0:1]
	v_min_u32_e32 v5, 1, v5
	v_or_b32_e32 v5, v6, v5
	v_cvt_f32_i32_e32 v5, v5
	v_sub_u32_e32 v6, 32, v7
	v_ldexp_f32 v5, v5, v6
	v_mov_b32_e32 v6, 0
	global_store_dwordx2 v[2:3], v[5:6], off
.LBB94_2720:
	s_mov_b64 s[0:1], 0
.LBB94_2721:
	s_andn2_b64 vcc, exec, s[0:1]
	s_cbranch_vccnz .LBB94_2723
; %bb.2722:
	v_xor_b32_e32 v6, v0, v1
	v_ffbh_i32_e32 v5, v1
	v_ashrrev_i32_e32 v6, 31, v6
	v_add_u32_e32 v5, -1, v5
	v_add_u32_e32 v6, 32, v6
	v_min_u32_e32 v7, v5, v6
	v_lshlrev_b64 v[5:6], v7, v[0:1]
	v_min_u32_e32 v5, 1, v5
	v_or_b32_e32 v5, v6, v5
	v_cvt_f32_i32_e32 v5, v5
	v_sub_u32_e32 v6, 32, v7
	v_ldexp_f32 v5, v5, v6
	v_cvt_f16_f32_e32 v5, v5
	global_store_dword v[2:3], v5, off
.LBB94_2723:
	s_mov_b64 s[0:1], 0
.LBB94_2724:
	s_andn2_b64 vcc, exec, s[0:1]
	s_cbranch_vccnz .LBB94_2733
; %bb.2725:
	s_cmp_lt_i32 s2, 6
	s_mov_b64 s[0:1], -1
	s_cbranch_scc1 .LBB94_2731
; %bb.2726:
	s_cmp_gt_i32 s2, 6
	s_cbranch_scc0 .LBB94_2728
; %bb.2727:
	v_cvt_f64_i32_e32 v[5:6], v1
	v_cvt_f64_u32_e32 v[16:17], v0
	s_mov_b64 s[0:1], 0
	v_ldexp_f64 v[5:6], v[5:6], 32
	v_add_f64 v[5:6], v[5:6], v[16:17]
	global_store_dwordx2 v[2:3], v[5:6], off
.LBB94_2728:
	s_andn2_b64 vcc, exec, s[0:1]
	s_cbranch_vccnz .LBB94_2730
; %bb.2729:
	v_xor_b32_e32 v6, v0, v1
	v_ffbh_i32_e32 v5, v1
	v_ashrrev_i32_e32 v6, 31, v6
	v_add_u32_e32 v5, -1, v5
	v_add_u32_e32 v6, 32, v6
	v_min_u32_e32 v7, v5, v6
	v_lshlrev_b64 v[5:6], v7, v[0:1]
	v_min_u32_e32 v5, 1, v5
	v_or_b32_e32 v5, v6, v5
	v_cvt_f32_i32_e32 v5, v5
	v_sub_u32_e32 v6, 32, v7
	v_ldexp_f32 v5, v5, v6
	global_store_dword v[2:3], v5, off
.LBB94_2730:
	s_mov_b64 s[0:1], 0
.LBB94_2731:
	s_andn2_b64 vcc, exec, s[0:1]
	s_cbranch_vccnz .LBB94_2733
; %bb.2732:
	v_xor_b32_e32 v6, v0, v1
	v_ffbh_i32_e32 v5, v1
	v_ashrrev_i32_e32 v6, 31, v6
	v_add_u32_e32 v5, -1, v5
	v_add_u32_e32 v6, 32, v6
	v_min_u32_e32 v7, v5, v6
	v_lshlrev_b64 v[5:6], v7, v[0:1]
	v_min_u32_e32 v5, 1, v5
	v_or_b32_e32 v5, v6, v5
	v_cvt_f32_i32_e32 v5, v5
	v_sub_u32_e32 v6, 32, v7
	v_ldexp_f32 v5, v5, v6
	v_cvt_f16_f32_e32 v5, v5
	global_store_short v[2:3], v5, off
.LBB94_2733:
	s_mov_b64 s[0:1], 0
.LBB94_2734:
	s_andn2_b64 vcc, exec, s[0:1]
	s_cbranch_vccnz .LBB94_2750
; %bb.2735:
	s_cmp_lt_i32 s2, 2
	s_mov_b64 s[0:1], -1
	s_cbranch_scc1 .LBB94_2745
; %bb.2736:
	s_cmp_lt_i32 s2, 3
	s_cbranch_scc1 .LBB94_2742
; %bb.2737:
	s_cmp_gt_i32 s2, 3
	s_cbranch_scc0 .LBB94_2739
; %bb.2738:
	global_store_dwordx2 v[2:3], v[0:1], off
	s_mov_b64 s[0:1], 0
.LBB94_2739:
	s_andn2_b64 vcc, exec, s[0:1]
	s_cbranch_vccnz .LBB94_2741
; %bb.2740:
	global_store_dword v[2:3], v0, off
.LBB94_2741:
	s_mov_b64 s[0:1], 0
.LBB94_2742:
	s_andn2_b64 vcc, exec, s[0:1]
	s_cbranch_vccnz .LBB94_2744
; %bb.2743:
	global_store_short v[2:3], v0, off
.LBB94_2744:
	s_mov_b64 s[0:1], 0
.LBB94_2745:
	s_andn2_b64 vcc, exec, s[0:1]
	s_cbranch_vccnz .LBB94_2750
; %bb.2746:
	s_cmp_gt_i32 s2, 0
	s_mov_b64 s[0:1], -1
	s_cbranch_scc0 .LBB94_2748
; %bb.2747:
	global_store_byte v[2:3], v0, off
	s_mov_b64 s[0:1], 0
.LBB94_2748:
	s_andn2_b64 vcc, exec, s[0:1]
	s_cbranch_vccnz .LBB94_2750
; %bb.2749:
	global_store_byte v[2:3], v0, off
.LBB94_2750:
	s_mov_b64 s[10:11], -1
.LBB94_2751:
	s_andn2_b64 vcc, exec, s[10:11]
	s_cbranch_vccnz .LBB94_2947
; %bb.2752:
	v_lshlrev_b64 v[0:1], v10, v[8:9]
	v_cmp_gt_u64_e32 vcc, 64, v[10:11]
	v_add_u32_e32 v4, s16, v4
	v_cndmask_b32_e32 v1, 0, v1, vcc
	v_cndmask_b32_e32 v0, 0, v0, vcc
	v_ashrrev_i32_e32 v3, 31, v4
	v_mov_b32_e32 v5, s9
	v_add_co_u32_e32 v2, vcc, s8, v4
	s_cmp_lt_i32 s20, 11
	v_addc_co_u32_e32 v3, vcc, v5, v3, vcc
	s_cbranch_scc1 .LBB94_2830
; %bb.2753:
	s_and_b32 s17, 0xffff, s20
	s_mov_b64 s[12:13], -1
	s_mov_b64 s[2:3], 0
	s_cmp_gt_i32 s17, 25
	s_mov_b64 s[10:11], 0
	s_mov_b64 s[0:1], 0
	s_cbranch_scc0 .LBB94_2786
; %bb.2754:
	s_cmp_gt_i32 s17, 28
	s_cbranch_scc0 .LBB94_2769
; %bb.2755:
	s_cmp_gt_i32 s17, 43
	;; [unrolled: 3-line block ×3, first 2 shown]
	s_cbranch_scc0 .LBB94_2759
; %bb.2757:
	s_mov_b64 s[0:1], -1
	s_mov_b64 s[12:13], 0
	s_cmp_eq_u32 s17, 46
	s_cbranch_scc0 .LBB94_2759
; %bb.2758:
	v_xor_b32_e32 v6, v0, v1
	v_ffbh_i32_e32 v5, v1
	v_ashrrev_i32_e32 v6, 31, v6
	v_add_u32_e32 v5, -1, v5
	v_add_u32_e32 v6, 32, v6
	v_min_u32_e32 v7, v5, v6
	v_lshlrev_b64 v[5:6], v7, v[0:1]
	s_movk_i32 s0, 0x7fff
	v_min_u32_e32 v5, 1, v5
	v_or_b32_e32 v5, v6, v5
	v_cvt_f32_i32_e32 v5, v5
	v_sub_u32_e32 v6, 32, v7
	s_mov_b64 s[10:11], -1
	v_ldexp_f32 v5, v5, v6
	v_bfe_u32 v6, v5, 16, 1
	v_add3_u32 v5, v5, v6, s0
	v_lshrrev_b32_e32 v5, 16, v5
	global_store_dword v[2:3], v5, off
	s_mov_b64 s[0:1], 0
.LBB94_2759:
	s_and_b64 vcc, exec, s[12:13]
	s_cbranch_vccz .LBB94_2764
; %bb.2760:
	s_cmp_eq_u32 s17, 44
	s_mov_b64 s[0:1], -1
	s_cbranch_scc0 .LBB94_2764
; %bb.2761:
	v_xor_b32_e32 v6, v0, v1
	v_ffbh_i32_e32 v5, v1
	v_ashrrev_i32_e32 v6, 31, v6
	v_add_u32_e32 v5, -1, v5
	v_add_u32_e32 v6, 32, v6
	v_min_u32_e32 v7, v5, v6
	v_lshlrev_b64 v[5:6], v7, v[0:1]
	s_movk_i32 s0, 0xff
	v_min_u32_e32 v5, 1, v5
	v_or_b32_e32 v5, v6, v5
	v_cvt_f32_i32_e32 v5, v5
	v_sub_u32_e32 v6, 32, v7
	v_mov_b32_e32 v7, 0xff
	v_ldexp_f32 v5, v5, v6
	v_bfe_u32 v6, v5, 23, 8
	v_cmp_ne_u32_e32 vcc, s0, v6
	s_and_saveexec_b64 s[10:11], vcc
; %bb.2762:
	s_mov_b32 s0, 0x3fffff
	v_lshrrev_b32_e32 v7, 23, v5
	v_and_b32_e32 v8, 0x400000, v5
	v_and_or_b32 v5, v5, s0, v6
	v_cmp_ne_u32_e32 vcc, 0, v8
	v_cmp_ne_u32_e64 s[0:1], 0, v5
	s_and_b64 s[0:1], vcc, s[0:1]
	v_cndmask_b32_e64 v5, 0, 1, s[0:1]
	v_add_u32_e32 v7, v7, v5
; %bb.2763:
	s_or_b64 exec, exec, s[10:11]
	s_mov_b64 s[0:1], 0
	s_mov_b64 s[10:11], -1
	global_store_byte v[2:3], v7, off
.LBB94_2764:
	s_mov_b64 s[12:13], 0
.LBB94_2765:
	s_and_b64 vcc, exec, s[12:13]
	s_cbranch_vccz .LBB94_2768
; %bb.2766:
	s_cmp_eq_u32 s17, 29
	s_mov_b64 s[0:1], -1
	s_cbranch_scc0 .LBB94_2768
; %bb.2767:
	global_store_dwordx2 v[2:3], v[0:1], off
	s_mov_b64 s[0:1], 0
	s_mov_b64 s[10:11], -1
.LBB94_2768:
	s_mov_b64 s[12:13], 0
.LBB94_2769:
	s_and_b64 vcc, exec, s[12:13]
	s_cbranch_vccz .LBB94_2785
; %bb.2770:
	s_cmp_lt_i32 s17, 27
	s_mov_b64 s[10:11], -1
	s_cbranch_scc1 .LBB94_2776
; %bb.2771:
	s_cmp_gt_i32 s17, 27
	s_cbranch_scc0 .LBB94_2773
; %bb.2772:
	s_mov_b64 s[10:11], 0
	global_store_dword v[2:3], v0, off
.LBB94_2773:
	s_andn2_b64 vcc, exec, s[10:11]
	s_cbranch_vccnz .LBB94_2775
; %bb.2774:
	global_store_short v[2:3], v0, off
.LBB94_2775:
	s_mov_b64 s[10:11], 0
.LBB94_2776:
	s_andn2_b64 vcc, exec, s[10:11]
	s_cbranch_vccnz .LBB94_2784
; %bb.2777:
	v_xor_b32_e32 v6, v0, v1
	v_ffbh_i32_e32 v5, v1
	v_ashrrev_i32_e32 v6, 31, v6
	v_add_u32_e32 v5, -1, v5
	v_add_u32_e32 v6, 32, v6
	v_min_u32_e32 v7, v5, v6
	v_lshlrev_b64 v[5:6], v7, v[0:1]
	s_mov_b32 s10, 0x43800000
	v_min_u32_e32 v5, 1, v5
	v_or_b32_e32 v5, v6, v5
	v_cvt_f32_i32_e32 v5, v5
	v_sub_u32_e32 v6, 32, v7
	v_mov_b32_e32 v7, 0x80
	v_ldexp_f32 v5, v5, v6
	v_and_b32_e32 v6, 0x7fffffff, v5
	v_cmp_gt_u32_e32 vcc, s10, v6
	s_and_saveexec_b64 s[10:11], vcc
	s_cbranch_execz .LBB94_2783
; %bb.2778:
	s_mov_b32 s12, 0x3bffffff
	v_cmp_lt_u32_e32 vcc, s12, v6
	s_mov_b64 s[12:13], 0
                                        ; implicit-def: $vgpr6
	s_and_saveexec_b64 s[14:15], vcc
	s_xor_b64 s[14:15], exec, s[14:15]
	s_cbranch_execz .LBB94_3004
; %bb.2779:
	v_bfe_u32 v6, v5, 20, 1
	s_mov_b32 s21, 0x487ffff
	v_add3_u32 v6, v5, v6, s21
	s_mov_b64 s[12:13], exec
	v_lshrrev_b32_e32 v6, 20, v6
	s_andn2_saveexec_b64 s[14:15], s[14:15]
	s_cbranch_execnz .LBB94_3005
.LBB94_2780:
	s_or_b64 exec, exec, s[14:15]
	v_mov_b32_e32 v7, 0
	s_and_saveexec_b64 s[14:15], s[12:13]
.LBB94_2781:
	v_lshrrev_b32_e32 v5, 24, v5
	s_movk_i32 s12, 0x80
	v_and_or_b32 v7, v5, s12, v6
.LBB94_2782:
	s_or_b64 exec, exec, s[14:15]
.LBB94_2783:
	s_or_b64 exec, exec, s[10:11]
	global_store_byte v[2:3], v7, off
.LBB94_2784:
	s_mov_b64 s[10:11], -1
.LBB94_2785:
	s_mov_b64 s[12:13], 0
.LBB94_2786:
	s_and_b64 vcc, exec, s[12:13]
	s_cbranch_vccz .LBB94_2826
; %bb.2787:
	s_cmp_gt_i32 s17, 22
	s_mov_b64 s[2:3], -1
	s_cbranch_scc0 .LBB94_2819
; %bb.2788:
	s_cmp_lt_i32 s17, 24
	s_cbranch_scc1 .LBB94_2808
; %bb.2789:
	s_cmp_gt_i32 s17, 24
	s_cbranch_scc0 .LBB94_2797
; %bb.2790:
	v_xor_b32_e32 v6, v0, v1
	v_ffbh_i32_e32 v5, v1
	v_ashrrev_i32_e32 v6, 31, v6
	v_add_u32_e32 v5, -1, v5
	v_add_u32_e32 v6, 32, v6
	v_min_u32_e32 v7, v5, v6
	v_lshlrev_b64 v[5:6], v7, v[0:1]
	s_mov_b32 s2, 0x47800000
	v_min_u32_e32 v5, 1, v5
	v_or_b32_e32 v5, v6, v5
	v_cvt_f32_i32_e32 v5, v5
	v_sub_u32_e32 v6, 32, v7
	v_mov_b32_e32 v7, 0x80
	v_ldexp_f32 v5, v5, v6
	v_and_b32_e32 v6, 0x7fffffff, v5
	v_cmp_gt_u32_e32 vcc, s2, v6
	s_and_saveexec_b64 s[2:3], vcc
	s_cbranch_execz .LBB94_2796
; %bb.2791:
	s_mov_b32 s10, 0x37ffffff
	v_cmp_lt_u32_e32 vcc, s10, v6
	s_mov_b64 s[10:11], 0
                                        ; implicit-def: $vgpr6
	s_and_saveexec_b64 s[12:13], vcc
	s_xor_b64 s[12:13], exec, s[12:13]
	s_cbranch_execz .LBB94_3007
; %bb.2792:
	v_bfe_u32 v6, v5, 21, 1
	s_mov_b32 s14, 0x88fffff
	v_add3_u32 v6, v5, v6, s14
	s_mov_b64 s[10:11], exec
	v_lshrrev_b32_e32 v6, 21, v6
	s_andn2_saveexec_b64 s[12:13], s[12:13]
	s_cbranch_execnz .LBB94_3008
.LBB94_2793:
	s_or_b64 exec, exec, s[12:13]
	v_mov_b32_e32 v7, 0
	s_and_saveexec_b64 s[12:13], s[10:11]
.LBB94_2794:
	v_lshrrev_b32_e32 v5, 24, v5
	s_movk_i32 s10, 0x80
	v_and_or_b32 v7, v5, s10, v6
.LBB94_2795:
	s_or_b64 exec, exec, s[12:13]
.LBB94_2796:
	s_or_b64 exec, exec, s[2:3]
	s_mov_b64 s[2:3], 0
	global_store_byte v[2:3], v7, off
.LBB94_2797:
	s_and_b64 vcc, exec, s[2:3]
	s_cbranch_vccz .LBB94_2807
; %bb.2798:
	v_xor_b32_e32 v6, v0, v1
	v_ffbh_i32_e32 v5, v1
	v_ashrrev_i32_e32 v6, 31, v6
	v_add_u32_e32 v5, -1, v5
	v_add_u32_e32 v6, 32, v6
	v_min_u32_e32 v7, v5, v6
	v_lshlrev_b64 v[5:6], v7, v[0:1]
	s_mov_b32 s2, 0x43f00000
	v_min_u32_e32 v5, 1, v5
	v_or_b32_e32 v5, v6, v5
	v_cvt_f32_i32_e32 v5, v5
	v_sub_u32_e32 v6, 32, v7
	v_ldexp_f32 v5, v5, v6
	v_and_b32_e32 v7, 0x7fffffff, v5
	v_cmp_gt_u32_e32 vcc, s2, v7
                                        ; implicit-def: $vgpr6
	s_and_saveexec_b64 s[2:3], vcc
	s_xor_b64 s[2:3], exec, s[2:3]
	s_cbranch_execz .LBB94_2804
; %bb.2799:
	s_mov_b32 s10, 0x3c7fffff
	v_cmp_lt_u32_e32 vcc, s10, v7
                                        ; implicit-def: $vgpr6
	s_and_saveexec_b64 s[10:11], vcc
	s_xor_b64 s[10:11], exec, s[10:11]
; %bb.2800:
	v_bfe_u32 v6, v5, 20, 1
	s_mov_b32 s12, 0x407ffff
	v_add3_u32 v6, v5, v6, s12
	v_lshrrev_b32_e32 v7, 20, v6
	v_and_b32_e32 v6, 0xff00000, v6
	s_mov_b32 s12, 0x7f00000
	v_mov_b32_e32 v8, 0x7e
	v_cmp_ne_u32_e32 vcc, s12, v6
	v_cndmask_b32_e32 v6, v8, v7, vcc
; %bb.2801:
	s_andn2_saveexec_b64 s[10:11], s[10:11]
; %bb.2802:
	s_mov_b32 s12, 0x46800000
	v_add_f32_e64 v6, |v5|, s12
; %bb.2803:
	s_or_b64 exec, exec, s[10:11]
                                        ; implicit-def: $vgpr7
.LBB94_2804:
	s_andn2_saveexec_b64 s[2:3], s[2:3]
; %bb.2805:
	s_mov_b32 s10, 0x7f800000
	v_mov_b32_e32 v6, 0x7e
	v_mov_b32_e32 v8, 0x7f
	v_cmp_lt_u32_e32 vcc, s10, v7
	v_cndmask_b32_e32 v6, v6, v8, vcc
; %bb.2806:
	s_or_b64 exec, exec, s[2:3]
	v_lshrrev_b32_e32 v5, 24, v5
	s_movk_i32 s2, 0x80
	v_and_or_b32 v5, v5, s2, v6
	global_store_byte v[2:3], v5, off
.LBB94_2807:
	s_mov_b64 s[2:3], 0
.LBB94_2808:
	s_andn2_b64 vcc, exec, s[2:3]
	s_cbranch_vccnz .LBB94_2818
; %bb.2809:
	v_xor_b32_e32 v6, v0, v1
	v_ffbh_i32_e32 v5, v1
	v_ashrrev_i32_e32 v6, 31, v6
	v_add_u32_e32 v5, -1, v5
	v_add_u32_e32 v6, 32, v6
	v_min_u32_e32 v7, v5, v6
	v_lshlrev_b64 v[5:6], v7, v[0:1]
	s_mov_b32 s2, 0x47800000
	v_min_u32_e32 v5, 1, v5
	v_or_b32_e32 v5, v6, v5
	v_cvt_f32_i32_e32 v5, v5
	v_sub_u32_e32 v6, 32, v7
	v_ldexp_f32 v5, v5, v6
	v_and_b32_e32 v7, 0x7fffffff, v5
	v_cmp_gt_u32_e32 vcc, s2, v7
                                        ; implicit-def: $vgpr6
	s_and_saveexec_b64 s[2:3], vcc
	s_xor_b64 s[2:3], exec, s[2:3]
	s_cbranch_execz .LBB94_2815
; %bb.2810:
	s_mov_b32 s10, 0x387fffff
	v_cmp_lt_u32_e32 vcc, s10, v7
                                        ; implicit-def: $vgpr6
	s_and_saveexec_b64 s[10:11], vcc
	s_xor_b64 s[10:11], exec, s[10:11]
; %bb.2811:
	v_bfe_u32 v6, v5, 21, 1
	s_mov_b32 s12, 0x80fffff
	v_add3_u32 v6, v5, v6, s12
	v_lshrrev_b32_e32 v6, 21, v6
; %bb.2812:
	s_andn2_saveexec_b64 s[10:11], s[10:11]
; %bb.2813:
	s_mov_b32 s12, 0x43000000
	v_add_f32_e64 v6, |v5|, s12
; %bb.2814:
	s_or_b64 exec, exec, s[10:11]
                                        ; implicit-def: $vgpr7
.LBB94_2815:
	s_andn2_saveexec_b64 s[2:3], s[2:3]
; %bb.2816:
	s_mov_b32 s10, 0x7f800000
	v_mov_b32_e32 v6, 0x7c
	v_mov_b32_e32 v8, 0x7f
	v_cmp_lt_u32_e32 vcc, s10, v7
	v_cndmask_b32_e32 v6, v6, v8, vcc
; %bb.2817:
	s_or_b64 exec, exec, s[2:3]
	v_lshrrev_b32_e32 v5, 24, v5
	s_movk_i32 s2, 0x80
	v_and_or_b32 v5, v5, s2, v6
	global_store_byte v[2:3], v5, off
.LBB94_2818:
	s_mov_b64 s[2:3], 0
	s_mov_b64 s[10:11], -1
.LBB94_2819:
	s_andn2_b64 vcc, exec, s[2:3]
	s_mov_b64 s[2:3], 0
	s_cbranch_vccnz .LBB94_2826
; %bb.2820:
	s_cmp_gt_i32 s17, 14
	s_mov_b64 s[12:13], -1
	s_cbranch_scc0 .LBB94_2824
; %bb.2821:
	s_cmp_eq_u32 s17, 15
	s_mov_b64 s[0:1], -1
	s_cbranch_scc0 .LBB94_2823
; %bb.2822:
	v_xor_b32_e32 v6, v0, v1
	v_ffbh_i32_e32 v5, v1
	v_ashrrev_i32_e32 v6, 31, v6
	v_add_u32_e32 v5, -1, v5
	v_add_u32_e32 v6, 32, v6
	v_min_u32_e32 v7, v5, v6
	v_lshlrev_b64 v[5:6], v7, v[0:1]
	s_movk_i32 s0, 0x7fff
	v_min_u32_e32 v5, 1, v5
	v_or_b32_e32 v5, v6, v5
	v_cvt_f32_i32_e32 v5, v5
	v_sub_u32_e32 v6, 32, v7
	s_mov_b64 s[10:11], -1
	v_ldexp_f32 v5, v5, v6
	v_bfe_u32 v6, v5, 16, 1
	v_add3_u32 v5, v5, v6, s0
	global_store_short_d16_hi v[2:3], v5, off
	s_mov_b64 s[0:1], 0
.LBB94_2823:
	s_mov_b64 s[12:13], 0
.LBB94_2824:
	s_and_b64 vcc, exec, s[12:13]
	s_cbranch_vccz .LBB94_2826
; %bb.2825:
	s_cmp_lg_u32 s17, 11
	s_mov_b64 s[2:3], -1
	s_cselect_b64 s[0:1], -1, 0
.LBB94_2826:
	s_and_b64 vcc, exec, s[0:1]
	s_cbranch_vccnz .LBB94_3006
; %bb.2827:
	s_andn2_b64 vcc, exec, s[2:3]
	s_cbranch_vccnz .LBB94_2829
.LBB94_2828:
	v_cmp_ne_u64_e32 vcc, 0, v[0:1]
	s_mov_b64 s[10:11], -1
	v_cndmask_b32_e64 v5, 0, 1, vcc
	global_store_byte v[2:3], v5, off
.LBB94_2829:
	s_mov_b64 s[0:1], 0
	s_branch .LBB94_2831
.LBB94_2830:
	s_mov_b64 s[0:1], -1
	s_mov_b64 s[10:11], 0
.LBB94_2831:
	s_and_b64 vcc, exec, s[0:1]
	s_cbranch_vccz .LBB94_2870
; %bb.2832:
	s_and_b32 s2, 0xffff, s20
	s_cmp_lt_i32 s2, 5
	s_mov_b64 s[0:1], -1
	s_cbranch_scc1 .LBB94_2853
; %bb.2833:
	s_cmp_lt_i32 s2, 8
	s_cbranch_scc1 .LBB94_2843
; %bb.2834:
	s_cmp_lt_i32 s2, 9
	s_cbranch_scc1 .LBB94_2840
; %bb.2835:
	s_cmp_gt_i32 s2, 9
	s_cbranch_scc0 .LBB94_2837
; %bb.2836:
	v_cvt_f64_i32_e32 v[5:6], v1
	v_cvt_f64_u32_e32 v[7:8], v0
	s_mov_b64 s[0:1], 0
	v_ldexp_f64 v[5:6], v[5:6], 32
	v_add_f64 v[5:6], v[5:6], v[7:8]
	v_mov_b32_e32 v7, 0
	v_mov_b32_e32 v8, v7
	global_store_dwordx4 v[2:3], v[5:8], off
.LBB94_2837:
	s_andn2_b64 vcc, exec, s[0:1]
	s_cbranch_vccnz .LBB94_2839
; %bb.2838:
	v_xor_b32_e32 v6, v0, v1
	v_ffbh_i32_e32 v5, v1
	v_ashrrev_i32_e32 v6, 31, v6
	v_add_u32_e32 v5, -1, v5
	v_add_u32_e32 v6, 32, v6
	v_min_u32_e32 v7, v5, v6
	v_lshlrev_b64 v[5:6], v7, v[0:1]
	v_min_u32_e32 v5, 1, v5
	v_or_b32_e32 v5, v6, v5
	v_cvt_f32_i32_e32 v5, v5
	v_sub_u32_e32 v6, 32, v7
	v_ldexp_f32 v5, v5, v6
	v_mov_b32_e32 v6, 0
	global_store_dwordx2 v[2:3], v[5:6], off
.LBB94_2839:
	s_mov_b64 s[0:1], 0
.LBB94_2840:
	s_andn2_b64 vcc, exec, s[0:1]
	s_cbranch_vccnz .LBB94_2842
; %bb.2841:
	v_xor_b32_e32 v6, v0, v1
	v_ffbh_i32_e32 v5, v1
	v_ashrrev_i32_e32 v6, 31, v6
	v_add_u32_e32 v5, -1, v5
	v_add_u32_e32 v6, 32, v6
	v_min_u32_e32 v7, v5, v6
	v_lshlrev_b64 v[5:6], v7, v[0:1]
	v_min_u32_e32 v5, 1, v5
	v_or_b32_e32 v5, v6, v5
	v_cvt_f32_i32_e32 v5, v5
	v_sub_u32_e32 v6, 32, v7
	v_ldexp_f32 v5, v5, v6
	v_cvt_f16_f32_e32 v5, v5
	global_store_dword v[2:3], v5, off
.LBB94_2842:
	s_mov_b64 s[0:1], 0
.LBB94_2843:
	s_andn2_b64 vcc, exec, s[0:1]
	s_cbranch_vccnz .LBB94_2852
; %bb.2844:
	s_cmp_lt_i32 s2, 6
	s_mov_b64 s[0:1], -1
	s_cbranch_scc1 .LBB94_2850
; %bb.2845:
	s_cmp_gt_i32 s2, 6
	s_cbranch_scc0 .LBB94_2847
; %bb.2846:
	v_cvt_f64_i32_e32 v[5:6], v1
	v_cvt_f64_u32_e32 v[7:8], v0
	s_mov_b64 s[0:1], 0
	v_ldexp_f64 v[5:6], v[5:6], 32
	v_add_f64 v[5:6], v[5:6], v[7:8]
	global_store_dwordx2 v[2:3], v[5:6], off
.LBB94_2847:
	s_andn2_b64 vcc, exec, s[0:1]
	s_cbranch_vccnz .LBB94_2849
; %bb.2848:
	v_xor_b32_e32 v6, v0, v1
	v_ffbh_i32_e32 v5, v1
	v_ashrrev_i32_e32 v6, 31, v6
	v_add_u32_e32 v5, -1, v5
	v_add_u32_e32 v6, 32, v6
	v_min_u32_e32 v7, v5, v6
	v_lshlrev_b64 v[5:6], v7, v[0:1]
	v_min_u32_e32 v5, 1, v5
	v_or_b32_e32 v5, v6, v5
	v_cvt_f32_i32_e32 v5, v5
	v_sub_u32_e32 v6, 32, v7
	v_ldexp_f32 v5, v5, v6
	global_store_dword v[2:3], v5, off
.LBB94_2849:
	s_mov_b64 s[0:1], 0
.LBB94_2850:
	s_andn2_b64 vcc, exec, s[0:1]
	s_cbranch_vccnz .LBB94_2852
; %bb.2851:
	v_xor_b32_e32 v6, v0, v1
	v_ffbh_i32_e32 v5, v1
	v_ashrrev_i32_e32 v6, 31, v6
	v_add_u32_e32 v5, -1, v5
	v_add_u32_e32 v6, 32, v6
	v_min_u32_e32 v7, v5, v6
	v_lshlrev_b64 v[5:6], v7, v[0:1]
	v_min_u32_e32 v5, 1, v5
	v_or_b32_e32 v5, v6, v5
	v_cvt_f32_i32_e32 v5, v5
	v_sub_u32_e32 v6, 32, v7
	v_ldexp_f32 v5, v5, v6
	v_cvt_f16_f32_e32 v5, v5
	global_store_short v[2:3], v5, off
.LBB94_2852:
	s_mov_b64 s[0:1], 0
.LBB94_2853:
	s_andn2_b64 vcc, exec, s[0:1]
	s_cbranch_vccnz .LBB94_2869
; %bb.2854:
	s_cmp_lt_i32 s2, 2
	s_mov_b64 s[0:1], -1
	s_cbranch_scc1 .LBB94_2864
; %bb.2855:
	s_cmp_lt_i32 s2, 3
	s_cbranch_scc1 .LBB94_2861
; %bb.2856:
	s_cmp_gt_i32 s2, 3
	s_cbranch_scc0 .LBB94_2858
; %bb.2857:
	global_store_dwordx2 v[2:3], v[0:1], off
	s_mov_b64 s[0:1], 0
.LBB94_2858:
	s_andn2_b64 vcc, exec, s[0:1]
	s_cbranch_vccnz .LBB94_2860
; %bb.2859:
	global_store_dword v[2:3], v0, off
.LBB94_2860:
	s_mov_b64 s[0:1], 0
.LBB94_2861:
	s_andn2_b64 vcc, exec, s[0:1]
	s_cbranch_vccnz .LBB94_2863
; %bb.2862:
	global_store_short v[2:3], v0, off
.LBB94_2863:
	s_mov_b64 s[0:1], 0
.LBB94_2864:
	s_andn2_b64 vcc, exec, s[0:1]
	s_cbranch_vccnz .LBB94_2869
; %bb.2865:
	s_cmp_gt_i32 s2, 0
	s_mov_b64 s[0:1], -1
	s_cbranch_scc0 .LBB94_2867
; %bb.2866:
	global_store_byte v[2:3], v0, off
	s_mov_b64 s[0:1], 0
.LBB94_2867:
	s_andn2_b64 vcc, exec, s[0:1]
	s_cbranch_vccnz .LBB94_2869
; %bb.2868:
	global_store_byte v[2:3], v0, off
.LBB94_2869:
	s_mov_b64 s[10:11], -1
.LBB94_2870:
	s_andn2_b64 vcc, exec, s[10:11]
	s_cbranch_vccnz .LBB94_2947
; %bb.2871:
	v_lshlrev_b64 v[0:1], v14, v[12:13]
	v_cmp_gt_u64_e32 vcc, 64, v[14:15]
	v_add_u32_e32 v2, s16, v4
	v_cndmask_b32_e32 v1, 0, v1, vcc
	v_cndmask_b32_e32 v0, 0, v0, vcc
	v_ashrrev_i32_e32 v3, 31, v2
	v_mov_b32_e32 v4, s9
	v_add_co_u32_e32 v2, vcc, s8, v2
	s_cmp_lt_i32 s20, 11
	v_addc_co_u32_e32 v3, vcc, v4, v3, vcc
	s_cbranch_scc1 .LBB94_2992
; %bb.2872:
	s_and_b32 s14, 0xffff, s20
	s_mov_b64 s[8:9], -1
	s_mov_b64 s[2:3], 0
	s_cmp_gt_i32 s14, 25
	s_mov_b64 s[0:1], 0
	s_cbranch_scc0 .LBB94_2905
; %bb.2873:
	s_cmp_gt_i32 s14, 28
	s_cbranch_scc0 .LBB94_2889
; %bb.2874:
	s_cmp_gt_i32 s14, 43
	;; [unrolled: 3-line block ×3, first 2 shown]
	s_cbranch_scc0 .LBB94_2879
; %bb.2876:
	s_cmp_eq_u32 s14, 46
	s_mov_b64 s[0:1], -1
	s_cbranch_scc0 .LBB94_2878
; %bb.2877:
	v_xor_b32_e32 v5, v0, v1
	v_ffbh_i32_e32 v4, v1
	v_ashrrev_i32_e32 v5, 31, v5
	v_add_u32_e32 v4, -1, v4
	v_add_u32_e32 v5, 32, v5
	v_min_u32_e32 v6, v4, v5
	v_lshlrev_b64 v[4:5], v6, v[0:1]
	s_movk_i32 s0, 0x7fff
	v_min_u32_e32 v4, 1, v4
	v_or_b32_e32 v4, v5, v4
	v_cvt_f32_i32_e32 v4, v4
	v_sub_u32_e32 v5, 32, v6
	v_ldexp_f32 v4, v4, v5
	v_bfe_u32 v5, v4, 16, 1
	v_add3_u32 v4, v4, v5, s0
	v_lshrrev_b32_e32 v4, 16, v4
	global_store_dword v[2:3], v4, off
	s_mov_b64 s[0:1], 0
.LBB94_2878:
	s_mov_b64 s[8:9], 0
.LBB94_2879:
	s_and_b64 vcc, exec, s[8:9]
	s_cbranch_vccz .LBB94_2884
; %bb.2880:
	s_cmp_eq_u32 s14, 44
	s_mov_b64 s[0:1], -1
	s_cbranch_scc0 .LBB94_2884
; %bb.2881:
	v_xor_b32_e32 v5, v0, v1
	v_ffbh_i32_e32 v4, v1
	v_ashrrev_i32_e32 v5, 31, v5
	v_add_u32_e32 v4, -1, v4
	v_add_u32_e32 v5, 32, v5
	v_min_u32_e32 v6, v4, v5
	v_lshlrev_b64 v[4:5], v6, v[0:1]
	s_movk_i32 s0, 0xff
	v_min_u32_e32 v4, 1, v4
	v_or_b32_e32 v4, v5, v4
	v_cvt_f32_i32_e32 v4, v4
	v_sub_u32_e32 v5, 32, v6
	v_mov_b32_e32 v6, 0xff
	v_ldexp_f32 v4, v4, v5
	v_bfe_u32 v5, v4, 23, 8
	v_cmp_ne_u32_e32 vcc, s0, v5
	s_and_saveexec_b64 s[8:9], vcc
; %bb.2882:
	s_mov_b32 s0, 0x3fffff
	v_lshrrev_b32_e32 v6, 23, v4
	v_and_b32_e32 v7, 0x400000, v4
	v_and_or_b32 v4, v4, s0, v5
	v_cmp_ne_u32_e32 vcc, 0, v7
	v_cmp_ne_u32_e64 s[0:1], 0, v4
	s_and_b64 s[0:1], vcc, s[0:1]
	v_cndmask_b32_e64 v4, 0, 1, s[0:1]
	v_add_u32_e32 v6, v6, v4
; %bb.2883:
	s_or_b64 exec, exec, s[8:9]
	s_mov_b64 s[0:1], 0
	global_store_byte v[2:3], v6, off
.LBB94_2884:
	s_mov_b64 s[8:9], 0
.LBB94_2885:
	s_and_b64 vcc, exec, s[8:9]
	s_cbranch_vccz .LBB94_2888
; %bb.2886:
	s_cmp_eq_u32 s14, 29
	s_mov_b64 s[0:1], -1
	s_cbranch_scc0 .LBB94_2888
; %bb.2887:
	global_store_dwordx2 v[2:3], v[0:1], off
	s_mov_b64 s[0:1], 0
.LBB94_2888:
	s_mov_b64 s[8:9], 0
.LBB94_2889:
	s_and_b64 vcc, exec, s[8:9]
	s_cbranch_vccz .LBB94_2904
; %bb.2890:
	s_cmp_lt_i32 s14, 27
	s_mov_b64 s[8:9], -1
	s_cbranch_scc1 .LBB94_2896
; %bb.2891:
	s_cmp_gt_i32 s14, 27
	s_cbranch_scc0 .LBB94_2893
; %bb.2892:
	global_store_dword v[2:3], v0, off
	s_mov_b64 s[8:9], 0
.LBB94_2893:
	s_andn2_b64 vcc, exec, s[8:9]
	s_cbranch_vccnz .LBB94_2895
; %bb.2894:
	global_store_short v[2:3], v0, off
.LBB94_2895:
	s_mov_b64 s[8:9], 0
.LBB94_2896:
	s_andn2_b64 vcc, exec, s[8:9]
	s_cbranch_vccnz .LBB94_2904
; %bb.2897:
	v_xor_b32_e32 v5, v0, v1
	v_ffbh_i32_e32 v4, v1
	v_ashrrev_i32_e32 v5, 31, v5
	v_add_u32_e32 v4, -1, v4
	v_add_u32_e32 v5, 32, v5
	v_min_u32_e32 v6, v4, v5
	v_lshlrev_b64 v[4:5], v6, v[0:1]
	s_mov_b32 s8, 0x43800000
	v_min_u32_e32 v4, 1, v4
	v_or_b32_e32 v4, v5, v4
	v_cvt_f32_i32_e32 v4, v4
	v_sub_u32_e32 v5, 32, v6
	v_mov_b32_e32 v6, 0x80
	v_ldexp_f32 v4, v4, v5
	v_and_b32_e32 v5, 0x7fffffff, v4
	v_cmp_gt_u32_e32 vcc, s8, v5
	s_and_saveexec_b64 s[8:9], vcc
	s_cbranch_execz .LBB94_2903
; %bb.2898:
	s_mov_b32 s10, 0x3bffffff
	v_cmp_lt_u32_e32 vcc, s10, v5
	s_mov_b64 s[10:11], 0
                                        ; implicit-def: $vgpr5
	s_and_saveexec_b64 s[12:13], vcc
	s_xor_b64 s[12:13], exec, s[12:13]
	s_cbranch_execz .LBB94_3009
; %bb.2899:
	v_bfe_u32 v5, v4, 20, 1
	s_mov_b32 s15, 0x487ffff
	v_add3_u32 v5, v4, v5, s15
	s_mov_b64 s[10:11], exec
	v_lshrrev_b32_e32 v5, 20, v5
	s_andn2_saveexec_b64 s[12:13], s[12:13]
	s_cbranch_execnz .LBB94_3010
.LBB94_2900:
	s_or_b64 exec, exec, s[12:13]
	v_mov_b32_e32 v6, 0
	s_and_saveexec_b64 s[12:13], s[10:11]
.LBB94_2901:
	v_lshrrev_b32_e32 v4, 24, v4
	s_movk_i32 s10, 0x80
	v_and_or_b32 v6, v4, s10, v5
.LBB94_2902:
	s_or_b64 exec, exec, s[12:13]
.LBB94_2903:
	s_or_b64 exec, exec, s[8:9]
	global_store_byte v[2:3], v6, off
.LBB94_2904:
	s_mov_b64 s[8:9], 0
.LBB94_2905:
	s_and_b64 vcc, exec, s[8:9]
	s_cbranch_vccz .LBB94_2945
; %bb.2906:
	s_cmp_gt_i32 s14, 22
	s_mov_b64 s[2:3], -1
	s_cbranch_scc0 .LBB94_2938
; %bb.2907:
	s_cmp_lt_i32 s14, 24
	s_cbranch_scc1 .LBB94_2927
; %bb.2908:
	s_cmp_gt_i32 s14, 24
	s_cbranch_scc0 .LBB94_2916
; %bb.2909:
	v_xor_b32_e32 v5, v0, v1
	v_ffbh_i32_e32 v4, v1
	v_ashrrev_i32_e32 v5, 31, v5
	v_add_u32_e32 v4, -1, v4
	v_add_u32_e32 v5, 32, v5
	v_min_u32_e32 v6, v4, v5
	v_lshlrev_b64 v[4:5], v6, v[0:1]
	s_mov_b32 s2, 0x47800000
	v_min_u32_e32 v4, 1, v4
	v_or_b32_e32 v4, v5, v4
	v_cvt_f32_i32_e32 v4, v4
	v_sub_u32_e32 v5, 32, v6
	v_mov_b32_e32 v6, 0x80
	v_ldexp_f32 v4, v4, v5
	v_and_b32_e32 v5, 0x7fffffff, v4
	v_cmp_gt_u32_e32 vcc, s2, v5
	s_and_saveexec_b64 s[2:3], vcc
	s_cbranch_execz .LBB94_2915
; %bb.2910:
	s_mov_b32 s8, 0x37ffffff
	v_cmp_lt_u32_e32 vcc, s8, v5
	s_mov_b64 s[8:9], 0
                                        ; implicit-def: $vgpr5
	s_and_saveexec_b64 s[10:11], vcc
	s_xor_b64 s[10:11], exec, s[10:11]
	s_cbranch_execz .LBB94_3012
; %bb.2911:
	v_bfe_u32 v5, v4, 21, 1
	s_mov_b32 s12, 0x88fffff
	v_add3_u32 v5, v4, v5, s12
	s_mov_b64 s[8:9], exec
	v_lshrrev_b32_e32 v5, 21, v5
	s_andn2_saveexec_b64 s[10:11], s[10:11]
	s_cbranch_execnz .LBB94_3013
.LBB94_2912:
	s_or_b64 exec, exec, s[10:11]
	v_mov_b32_e32 v6, 0
	s_and_saveexec_b64 s[10:11], s[8:9]
.LBB94_2913:
	v_lshrrev_b32_e32 v4, 24, v4
	s_movk_i32 s8, 0x80
	v_and_or_b32 v6, v4, s8, v5
.LBB94_2914:
	s_or_b64 exec, exec, s[10:11]
.LBB94_2915:
	s_or_b64 exec, exec, s[2:3]
	s_mov_b64 s[2:3], 0
	global_store_byte v[2:3], v6, off
.LBB94_2916:
	s_and_b64 vcc, exec, s[2:3]
	s_cbranch_vccz .LBB94_2926
; %bb.2917:
	v_xor_b32_e32 v5, v0, v1
	v_ffbh_i32_e32 v4, v1
	v_ashrrev_i32_e32 v5, 31, v5
	v_add_u32_e32 v4, -1, v4
	v_add_u32_e32 v5, 32, v5
	v_min_u32_e32 v6, v4, v5
	v_lshlrev_b64 v[4:5], v6, v[0:1]
	s_mov_b32 s2, 0x43f00000
	v_min_u32_e32 v4, 1, v4
	v_or_b32_e32 v4, v5, v4
	v_cvt_f32_i32_e32 v4, v4
	v_sub_u32_e32 v5, 32, v6
	v_ldexp_f32 v4, v4, v5
	v_and_b32_e32 v6, 0x7fffffff, v4
	v_cmp_gt_u32_e32 vcc, s2, v6
                                        ; implicit-def: $vgpr5
	s_and_saveexec_b64 s[2:3], vcc
	s_xor_b64 s[2:3], exec, s[2:3]
	s_cbranch_execz .LBB94_2923
; %bb.2918:
	s_mov_b32 s8, 0x3c7fffff
	v_cmp_lt_u32_e32 vcc, s8, v6
                                        ; implicit-def: $vgpr5
	s_and_saveexec_b64 s[8:9], vcc
	s_xor_b64 s[8:9], exec, s[8:9]
; %bb.2919:
	v_bfe_u32 v5, v4, 20, 1
	s_mov_b32 s10, 0x407ffff
	v_add3_u32 v5, v4, v5, s10
	v_lshrrev_b32_e32 v6, 20, v5
	v_and_b32_e32 v5, 0xff00000, v5
	s_mov_b32 s10, 0x7f00000
	v_mov_b32_e32 v7, 0x7e
	v_cmp_ne_u32_e32 vcc, s10, v5
	v_cndmask_b32_e32 v5, v7, v6, vcc
; %bb.2920:
	s_andn2_saveexec_b64 s[8:9], s[8:9]
; %bb.2921:
	s_mov_b32 s10, 0x46800000
	v_add_f32_e64 v5, |v4|, s10
; %bb.2922:
	s_or_b64 exec, exec, s[8:9]
                                        ; implicit-def: $vgpr6
.LBB94_2923:
	s_andn2_saveexec_b64 s[2:3], s[2:3]
; %bb.2924:
	s_mov_b32 s8, 0x7f800000
	v_mov_b32_e32 v5, 0x7e
	v_mov_b32_e32 v7, 0x7f
	v_cmp_lt_u32_e32 vcc, s8, v6
	v_cndmask_b32_e32 v5, v5, v7, vcc
; %bb.2925:
	s_or_b64 exec, exec, s[2:3]
	v_lshrrev_b32_e32 v4, 24, v4
	s_movk_i32 s2, 0x80
	v_and_or_b32 v4, v4, s2, v5
	global_store_byte v[2:3], v4, off
.LBB94_2926:
	s_mov_b64 s[2:3], 0
.LBB94_2927:
	s_andn2_b64 vcc, exec, s[2:3]
	s_cbranch_vccnz .LBB94_2937
; %bb.2928:
	v_xor_b32_e32 v5, v0, v1
	v_ffbh_i32_e32 v4, v1
	v_ashrrev_i32_e32 v5, 31, v5
	v_add_u32_e32 v4, -1, v4
	v_add_u32_e32 v5, 32, v5
	v_min_u32_e32 v6, v4, v5
	v_lshlrev_b64 v[4:5], v6, v[0:1]
	s_mov_b32 s2, 0x47800000
	v_min_u32_e32 v4, 1, v4
	v_or_b32_e32 v4, v5, v4
	v_cvt_f32_i32_e32 v4, v4
	v_sub_u32_e32 v5, 32, v6
	v_ldexp_f32 v4, v4, v5
	v_and_b32_e32 v6, 0x7fffffff, v4
	v_cmp_gt_u32_e32 vcc, s2, v6
                                        ; implicit-def: $vgpr5
	s_and_saveexec_b64 s[2:3], vcc
	s_xor_b64 s[2:3], exec, s[2:3]
	s_cbranch_execz .LBB94_2934
; %bb.2929:
	s_mov_b32 s8, 0x387fffff
	v_cmp_lt_u32_e32 vcc, s8, v6
                                        ; implicit-def: $vgpr5
	s_and_saveexec_b64 s[8:9], vcc
	s_xor_b64 s[8:9], exec, s[8:9]
; %bb.2930:
	v_bfe_u32 v5, v4, 21, 1
	s_mov_b32 s10, 0x80fffff
	v_add3_u32 v5, v4, v5, s10
	v_lshrrev_b32_e32 v5, 21, v5
; %bb.2931:
	s_andn2_saveexec_b64 s[8:9], s[8:9]
; %bb.2932:
	s_mov_b32 s10, 0x43000000
	v_add_f32_e64 v5, |v4|, s10
; %bb.2933:
	s_or_b64 exec, exec, s[8:9]
                                        ; implicit-def: $vgpr6
.LBB94_2934:
	s_andn2_saveexec_b64 s[2:3], s[2:3]
; %bb.2935:
	s_mov_b32 s8, 0x7f800000
	v_mov_b32_e32 v5, 0x7c
	v_mov_b32_e32 v7, 0x7f
	v_cmp_lt_u32_e32 vcc, s8, v6
	v_cndmask_b32_e32 v5, v5, v7, vcc
; %bb.2936:
	s_or_b64 exec, exec, s[2:3]
	v_lshrrev_b32_e32 v4, 24, v4
	s_movk_i32 s2, 0x80
	v_and_or_b32 v4, v4, s2, v5
	global_store_byte v[2:3], v4, off
.LBB94_2937:
	s_mov_b64 s[2:3], 0
.LBB94_2938:
	s_andn2_b64 vcc, exec, s[2:3]
	s_mov_b64 s[2:3], 0
	s_cbranch_vccnz .LBB94_2945
; %bb.2939:
	s_cmp_gt_i32 s14, 14
	s_mov_b64 s[8:9], -1
	s_cbranch_scc0 .LBB94_2943
; %bb.2940:
	s_cmp_eq_u32 s14, 15
	s_mov_b64 s[0:1], -1
	s_cbranch_scc0 .LBB94_2942
; %bb.2941:
	v_xor_b32_e32 v5, v0, v1
	v_ffbh_i32_e32 v4, v1
	v_ashrrev_i32_e32 v5, 31, v5
	v_add_u32_e32 v4, -1, v4
	v_add_u32_e32 v5, 32, v5
	v_min_u32_e32 v6, v4, v5
	v_lshlrev_b64 v[4:5], v6, v[0:1]
	s_movk_i32 s0, 0x7fff
	v_min_u32_e32 v4, 1, v4
	v_or_b32_e32 v4, v5, v4
	v_cvt_f32_i32_e32 v4, v4
	v_sub_u32_e32 v5, 32, v6
	v_ldexp_f32 v4, v4, v5
	v_bfe_u32 v5, v4, 16, 1
	v_add3_u32 v4, v4, v5, s0
	global_store_short_d16_hi v[2:3], v4, off
	s_mov_b64 s[0:1], 0
.LBB94_2942:
	s_mov_b64 s[8:9], 0
.LBB94_2943:
	s_and_b64 vcc, exec, s[8:9]
	s_cbranch_vccz .LBB94_2945
; %bb.2944:
	s_cmp_lg_u32 s14, 11
	s_mov_b64 s[2:3], -1
	s_cselect_b64 s[0:1], -1, 0
.LBB94_2945:
	s_and_b64 vcc, exec, s[0:1]
	s_cbranch_vccnz .LBB94_3011
.LBB94_2946:
	s_mov_b64 s[0:1], 0
	s_branch .LBB94_2948
.LBB94_2947:
	s_mov_b64 s[0:1], 0
	s_mov_b64 s[2:3], 0
                                        ; implicit-def: $sgpr20
                                        ; implicit-def: $vgpr2_vgpr3
                                        ; implicit-def: $vgpr0_vgpr1
.LBB94_2948:
	s_and_b64 s[16:17], s[2:3], exec
	s_andn2_b64 s[2:3], s[6:7], exec
	s_and_b64 s[6:7], s[18:19], exec
	s_and_b64 s[0:1], s[0:1], exec
	s_or_b64 s[6:7], s[2:3], s[6:7]
.LBB94_2949:
	s_or_b64 exec, exec, s[4:5]
	s_and_saveexec_b64 s[2:3], s[6:7]
	s_cbranch_execz .LBB94_2952
; %bb.2950:
	; divergent unreachable
	s_or_b64 exec, exec, s[2:3]
	s_and_saveexec_b64 s[2:3], s[16:17]
	s_xor_b64 s[2:3], exec, s[2:3]
	s_cbranch_execnz .LBB94_2953
.LBB94_2951:
	s_or_b64 exec, exec, s[2:3]
	s_and_saveexec_b64 s[2:3], s[0:1]
	s_cbranch_execnz .LBB94_2954
	s_branch .LBB94_2991
.LBB94_2952:
	s_or_b64 exec, exec, s[2:3]
	s_and_saveexec_b64 s[2:3], s[16:17]
	s_xor_b64 s[2:3], exec, s[2:3]
	s_cbranch_execz .LBB94_2951
.LBB94_2953:
	s_waitcnt vmcnt(0)
	v_cmp_ne_u64_e32 vcc, 0, v[0:1]
	v_cndmask_b32_e64 v4, 0, 1, vcc
	global_store_byte v[2:3], v4, off
	s_or_b64 exec, exec, s[2:3]
	s_and_saveexec_b64 s[2:3], s[0:1]
	s_cbranch_execz .LBB94_2991
.LBB94_2954:
	s_sext_i32_i16 s2, s20
	s_cmp_lt_i32 s2, 5
	s_mov_b64 s[0:1], -1
	s_cbranch_scc1 .LBB94_2975
; %bb.2955:
	s_cmp_lt_i32 s2, 8
	s_cbranch_scc1 .LBB94_2965
; %bb.2956:
	s_cmp_lt_i32 s2, 9
	s_cbranch_scc1 .LBB94_2962
; %bb.2957:
	s_cmp_gt_i32 s2, 9
	s_cbranch_scc0 .LBB94_2959
; %bb.2958:
	s_waitcnt vmcnt(0)
	v_cvt_f64_i32_e32 v[4:5], v1
	v_cvt_f64_u32_e32 v[6:7], v0
	s_mov_b64 s[0:1], 0
	v_ldexp_f64 v[4:5], v[4:5], 32
	v_add_f64 v[4:5], v[4:5], v[6:7]
	v_mov_b32_e32 v6, 0
	v_mov_b32_e32 v7, v6
	global_store_dwordx4 v[2:3], v[4:7], off
.LBB94_2959:
	s_andn2_b64 vcc, exec, s[0:1]
	s_cbranch_vccnz .LBB94_2961
; %bb.2960:
	s_waitcnt vmcnt(0)
	v_xor_b32_e32 v5, v0, v1
	v_ffbh_i32_e32 v4, v1
	v_ashrrev_i32_e32 v5, 31, v5
	v_add_u32_e32 v4, -1, v4
	v_add_u32_e32 v5, 32, v5
	v_min_u32_e32 v6, v4, v5
	v_lshlrev_b64 v[4:5], v6, v[0:1]
	v_min_u32_e32 v4, 1, v4
	v_or_b32_e32 v4, v5, v4
	v_cvt_f32_i32_e32 v4, v4
	v_sub_u32_e32 v5, 32, v6
	v_ldexp_f32 v4, v4, v5
	v_mov_b32_e32 v5, 0
	global_store_dwordx2 v[2:3], v[4:5], off
.LBB94_2961:
	s_mov_b64 s[0:1], 0
.LBB94_2962:
	s_andn2_b64 vcc, exec, s[0:1]
	s_cbranch_vccnz .LBB94_2964
; %bb.2963:
	s_waitcnt vmcnt(0)
	v_xor_b32_e32 v5, v0, v1
	v_ffbh_i32_e32 v4, v1
	v_ashrrev_i32_e32 v5, 31, v5
	v_add_u32_e32 v4, -1, v4
	v_add_u32_e32 v5, 32, v5
	v_min_u32_e32 v6, v4, v5
	v_lshlrev_b64 v[4:5], v6, v[0:1]
	v_min_u32_e32 v4, 1, v4
	v_or_b32_e32 v4, v5, v4
	v_cvt_f32_i32_e32 v4, v4
	v_sub_u32_e32 v5, 32, v6
	v_ldexp_f32 v4, v4, v5
	v_cvt_f16_f32_e32 v4, v4
	global_store_dword v[2:3], v4, off
.LBB94_2964:
	s_mov_b64 s[0:1], 0
.LBB94_2965:
	s_andn2_b64 vcc, exec, s[0:1]
	s_cbranch_vccnz .LBB94_2974
; %bb.2966:
	s_sext_i32_i16 s2, s20
	s_cmp_lt_i32 s2, 6
	s_mov_b64 s[0:1], -1
	s_cbranch_scc1 .LBB94_2972
; %bb.2967:
	s_cmp_gt_i32 s2, 6
	s_cbranch_scc0 .LBB94_2969
; %bb.2968:
	s_waitcnt vmcnt(0)
	v_cvt_f64_i32_e32 v[4:5], v1
	v_cvt_f64_u32_e32 v[6:7], v0
	s_mov_b64 s[0:1], 0
	v_ldexp_f64 v[4:5], v[4:5], 32
	v_add_f64 v[4:5], v[4:5], v[6:7]
	global_store_dwordx2 v[2:3], v[4:5], off
.LBB94_2969:
	s_andn2_b64 vcc, exec, s[0:1]
	s_cbranch_vccnz .LBB94_2971
; %bb.2970:
	s_waitcnt vmcnt(0)
	v_xor_b32_e32 v5, v0, v1
	v_ffbh_i32_e32 v4, v1
	v_ashrrev_i32_e32 v5, 31, v5
	v_add_u32_e32 v4, -1, v4
	v_add_u32_e32 v5, 32, v5
	v_min_u32_e32 v6, v4, v5
	v_lshlrev_b64 v[4:5], v6, v[0:1]
	v_min_u32_e32 v4, 1, v4
	v_or_b32_e32 v4, v5, v4
	v_cvt_f32_i32_e32 v4, v4
	v_sub_u32_e32 v5, 32, v6
	v_ldexp_f32 v4, v4, v5
	global_store_dword v[2:3], v4, off
.LBB94_2971:
	s_mov_b64 s[0:1], 0
.LBB94_2972:
	s_andn2_b64 vcc, exec, s[0:1]
	s_cbranch_vccnz .LBB94_2974
; %bb.2973:
	s_waitcnt vmcnt(0)
	v_xor_b32_e32 v5, v0, v1
	v_ffbh_i32_e32 v4, v1
	v_ashrrev_i32_e32 v5, 31, v5
	v_add_u32_e32 v4, -1, v4
	v_add_u32_e32 v5, 32, v5
	v_min_u32_e32 v6, v4, v5
	v_lshlrev_b64 v[4:5], v6, v[0:1]
	v_min_u32_e32 v4, 1, v4
	v_or_b32_e32 v4, v5, v4
	v_cvt_f32_i32_e32 v4, v4
	v_sub_u32_e32 v5, 32, v6
	v_ldexp_f32 v4, v4, v5
	v_cvt_f16_f32_e32 v4, v4
	global_store_short v[2:3], v4, off
.LBB94_2974:
	s_mov_b64 s[0:1], 0
.LBB94_2975:
	s_andn2_b64 vcc, exec, s[0:1]
	s_cbranch_vccnz .LBB94_2991
; %bb.2976:
	s_sext_i32_i16 s2, s20
	s_cmp_lt_i32 s2, 2
	s_mov_b64 s[0:1], -1
	s_cbranch_scc1 .LBB94_2986
; %bb.2977:
	s_cmp_lt_i32 s2, 3
	s_cbranch_scc1 .LBB94_2983
; %bb.2978:
	s_cmp_gt_i32 s2, 3
	s_cbranch_scc0 .LBB94_2980
; %bb.2979:
	s_waitcnt vmcnt(0)
	global_store_dwordx2 v[2:3], v[0:1], off
	s_mov_b64 s[0:1], 0
.LBB94_2980:
	s_andn2_b64 vcc, exec, s[0:1]
	s_cbranch_vccnz .LBB94_2982
; %bb.2981:
	s_waitcnt vmcnt(0)
	global_store_dword v[2:3], v0, off
.LBB94_2982:
	s_mov_b64 s[0:1], 0
.LBB94_2983:
	s_andn2_b64 vcc, exec, s[0:1]
	s_cbranch_vccnz .LBB94_2985
; %bb.2984:
	s_waitcnt vmcnt(0)
	global_store_short v[2:3], v0, off
.LBB94_2985:
	s_mov_b64 s[0:1], 0
.LBB94_2986:
	s_andn2_b64 vcc, exec, s[0:1]
	s_cbranch_vccnz .LBB94_2991
; %bb.2987:
	s_sext_i32_i16 s0, s20
	s_cmp_gt_i32 s0, 0
	s_mov_b64 s[0:1], -1
	s_cbranch_scc0 .LBB94_2989
; %bb.2988:
	s_waitcnt vmcnt(0)
	global_store_byte v[2:3], v0, off
	s_mov_b64 s[0:1], 0
.LBB94_2989:
	s_andn2_b64 vcc, exec, s[0:1]
	s_cbranch_vccnz .LBB94_2991
; %bb.2990:
	s_waitcnt vmcnt(0)
	global_store_byte v[2:3], v0, off
	s_endpgm
.LBB94_2991:
	s_endpgm
.LBB94_2992:
	s_mov_b64 s[2:3], 0
	s_mov_b64 s[0:1], -1
	s_branch .LBB94_2948
.LBB94_2993:
	s_trap 2
	s_or_b64 s[18:19], s[18:19], exec
	s_cbranch_execz .LBB94_2462
	s_branch .LBB94_2463
.LBB94_2994:
	s_andn2_saveexec_b64 s[16:17], s[16:17]
	s_cbranch_execz .LBB94_2542
.LBB94_2995:
	s_mov_b32 s21, 0x46000000
	v_add_f32_e64 v18, |v17|, s21
	v_and_b32_e32 v18, 0xff, v18
	v_cmp_ne_u32_e32 vcc, 0, v18
	s_andn2_b64 s[14:15], s[14:15], exec
	s_and_b64 s[22:23], vcc, exec
	s_or_b64 s[14:15], s[14:15], s[22:23]
	s_or_b64 exec, exec, s[16:17]
	v_mov_b32_e32 v19, 0
	s_and_saveexec_b64 s[16:17], s[14:15]
	s_cbranch_execnz .LBB94_2543
	s_branch .LBB94_2544
.LBB94_2996:
	s_trap 2
	s_or_b64 s[18:19], s[18:19], exec
	s_cbranch_execz .LBB94_2590
	s_branch .LBB94_2591
.LBB94_2997:
	s_andn2_saveexec_b64 s[14:15], s[14:15]
	s_cbranch_execz .LBB94_2555
.LBB94_2998:
	s_mov_b32 s16, 0x42800000
	v_add_f32_e64 v18, |v17|, s16
	v_and_b32_e32 v18, 0xff, v18
	v_cmp_ne_u32_e32 vcc, 0, v18
	s_andn2_b64 s[10:11], s[10:11], exec
	s_and_b64 s[16:17], vcc, exec
	s_or_b64 s[10:11], s[10:11], s[16:17]
	s_or_b64 exec, exec, s[14:15]
	v_mov_b32_e32 v19, 0
	s_and_saveexec_b64 s[14:15], s[10:11]
	s_cbranch_execnz .LBB94_2556
	s_branch .LBB94_2557
.LBB94_2999:
	s_andn2_saveexec_b64 s[14:15], s[14:15]
	s_cbranch_execz .LBB94_2661
.LBB94_3000:
	s_mov_b32 s21, 0x46000000
	v_add_f32_e64 v6, |v5|, s21
	v_and_b32_e32 v6, 0xff, v6
	v_cmp_ne_u32_e32 vcc, 0, v6
	s_andn2_b64 s[12:13], s[12:13], exec
	s_and_b64 s[22:23], vcc, exec
	s_or_b64 s[12:13], s[12:13], s[22:23]
	s_or_b64 exec, exec, s[14:15]
	v_mov_b32_e32 v7, 0
	s_and_saveexec_b64 s[14:15], s[12:13]
	s_cbranch_execnz .LBB94_2662
	s_branch .LBB94_2663
.LBB94_3001:
	s_trap 2
	s_or_b64 s[18:19], s[18:19], exec
	s_cbranch_execz .LBB94_2709
	s_branch .LBB94_2710
.LBB94_3002:
	s_andn2_saveexec_b64 s[12:13], s[12:13]
	s_cbranch_execz .LBB94_2674
.LBB94_3003:
	s_mov_b32 s14, 0x42800000
	v_add_f32_e64 v6, |v5|, s14
	v_and_b32_e32 v6, 0xff, v6
	v_cmp_ne_u32_e32 vcc, 0, v6
	s_andn2_b64 s[10:11], s[10:11], exec
	s_and_b64 s[14:15], vcc, exec
	s_or_b64 s[10:11], s[10:11], s[14:15]
	s_or_b64 exec, exec, s[12:13]
	v_mov_b32_e32 v7, 0
	s_and_saveexec_b64 s[12:13], s[10:11]
	s_cbranch_execnz .LBB94_2675
	s_branch .LBB94_2676
.LBB94_3004:
	s_andn2_saveexec_b64 s[14:15], s[14:15]
	s_cbranch_execz .LBB94_2780
.LBB94_3005:
	s_mov_b32 s21, 0x46000000
	v_add_f32_e64 v6, |v5|, s21
	v_and_b32_e32 v6, 0xff, v6
	v_cmp_ne_u32_e32 vcc, 0, v6
	s_andn2_b64 s[12:13], s[12:13], exec
	s_and_b64 s[22:23], vcc, exec
	s_or_b64 s[12:13], s[12:13], s[22:23]
	s_or_b64 exec, exec, s[14:15]
	v_mov_b32_e32 v7, 0
	s_and_saveexec_b64 s[14:15], s[12:13]
	s_cbranch_execnz .LBB94_2781
	s_branch .LBB94_2782
.LBB94_3006:
	s_trap 2
	s_or_b64 s[18:19], s[18:19], exec
	s_cbranch_execz .LBB94_2828
	s_branch .LBB94_2829
.LBB94_3007:
	s_andn2_saveexec_b64 s[12:13], s[12:13]
	s_cbranch_execz .LBB94_2793
.LBB94_3008:
	s_mov_b32 s14, 0x42800000
	v_add_f32_e64 v6, |v5|, s14
	v_and_b32_e32 v6, 0xff, v6
	v_cmp_ne_u32_e32 vcc, 0, v6
	s_andn2_b64 s[10:11], s[10:11], exec
	s_and_b64 s[14:15], vcc, exec
	s_or_b64 s[10:11], s[10:11], s[14:15]
	s_or_b64 exec, exec, s[12:13]
	v_mov_b32_e32 v7, 0
	s_and_saveexec_b64 s[12:13], s[10:11]
	s_cbranch_execnz .LBB94_2794
	s_branch .LBB94_2795
.LBB94_3009:
	s_andn2_saveexec_b64 s[12:13], s[12:13]
	s_cbranch_execz .LBB94_2900
.LBB94_3010:
	s_mov_b32 s15, 0x46000000
	v_add_f32_e64 v5, |v4|, s15
	v_and_b32_e32 v5, 0xff, v5
	v_cmp_ne_u32_e32 vcc, 0, v5
	s_andn2_b64 s[10:11], s[10:11], exec
	s_and_b64 s[16:17], vcc, exec
	s_or_b64 s[10:11], s[10:11], s[16:17]
	s_or_b64 exec, exec, s[12:13]
	v_mov_b32_e32 v6, 0
	s_and_saveexec_b64 s[12:13], s[10:11]
	s_cbranch_execnz .LBB94_2901
	s_branch .LBB94_2902
.LBB94_3011:
	s_mov_b64 s[2:3], 0
	s_or_b64 s[18:19], s[18:19], exec
	s_trap 2
	s_branch .LBB94_2946
.LBB94_3012:
	s_andn2_saveexec_b64 s[10:11], s[10:11]
	s_cbranch_execz .LBB94_2912
.LBB94_3013:
	s_mov_b32 s12, 0x42800000
	v_add_f32_e64 v5, |v4|, s12
	v_and_b32_e32 v5, 0xff, v5
	v_cmp_ne_u32_e32 vcc, 0, v5
	s_andn2_b64 s[8:9], s[8:9], exec
	s_and_b64 s[12:13], vcc, exec
	s_or_b64 s[8:9], s[8:9], s[12:13]
	s_or_b64 exec, exec, s[10:11]
	v_mov_b32_e32 v6, 0
	s_and_saveexec_b64 s[10:11], s[8:9]
	s_cbranch_execnz .LBB94_2913
	s_branch .LBB94_2914
	.section	.rodata,"a",@progbits
	.p2align	6, 0x0
	.amdhsa_kernel _ZN2at6native32elementwise_kernel_manual_unrollILi128ELi4EZNS0_15gpu_kernel_implINS0_13BinaryFunctorIlllZZZNS0_18lshift_kernel_cudaERNS_18TensorIteratorBaseEENKUlvE_clEvENKUlvE2_clEvEUlllE_EEEEvS5_RKT_EUlibE_EEviT1_
		.amdhsa_group_segment_fixed_size 0
		.amdhsa_private_segment_fixed_size 0
		.amdhsa_kernarg_size 48
		.amdhsa_user_sgpr_count 6
		.amdhsa_user_sgpr_private_segment_buffer 1
		.amdhsa_user_sgpr_dispatch_ptr 0
		.amdhsa_user_sgpr_queue_ptr 0
		.amdhsa_user_sgpr_kernarg_segment_ptr 1
		.amdhsa_user_sgpr_dispatch_id 0
		.amdhsa_user_sgpr_flat_scratch_init 0
		.amdhsa_user_sgpr_private_segment_size 0
		.amdhsa_uses_dynamic_stack 0
		.amdhsa_system_sgpr_private_segment_wavefront_offset 0
		.amdhsa_system_sgpr_workgroup_id_x 1
		.amdhsa_system_sgpr_workgroup_id_y 0
		.amdhsa_system_sgpr_workgroup_id_z 0
		.amdhsa_system_sgpr_workgroup_info 0
		.amdhsa_system_vgpr_workitem_id 0
		.amdhsa_next_free_vgpr 23
		.amdhsa_next_free_sgpr 56
		.amdhsa_reserve_vcc 1
		.amdhsa_reserve_flat_scratch 0
		.amdhsa_float_round_mode_32 0
		.amdhsa_float_round_mode_16_64 0
		.amdhsa_float_denorm_mode_32 3
		.amdhsa_float_denorm_mode_16_64 3
		.amdhsa_dx10_clamp 1
		.amdhsa_ieee_mode 1
		.amdhsa_fp16_overflow 0
		.amdhsa_exception_fp_ieee_invalid_op 0
		.amdhsa_exception_fp_denorm_src 0
		.amdhsa_exception_fp_ieee_div_zero 0
		.amdhsa_exception_fp_ieee_overflow 0
		.amdhsa_exception_fp_ieee_underflow 0
		.amdhsa_exception_fp_ieee_inexact 0
		.amdhsa_exception_int_div_zero 0
	.end_amdhsa_kernel
	.section	.text._ZN2at6native32elementwise_kernel_manual_unrollILi128ELi4EZNS0_15gpu_kernel_implINS0_13BinaryFunctorIlllZZZNS0_18lshift_kernel_cudaERNS_18TensorIteratorBaseEENKUlvE_clEvENKUlvE2_clEvEUlllE_EEEEvS5_RKT_EUlibE_EEviT1_,"axG",@progbits,_ZN2at6native32elementwise_kernel_manual_unrollILi128ELi4EZNS0_15gpu_kernel_implINS0_13BinaryFunctorIlllZZZNS0_18lshift_kernel_cudaERNS_18TensorIteratorBaseEENKUlvE_clEvENKUlvE2_clEvEUlllE_EEEEvS5_RKT_EUlibE_EEviT1_,comdat
.Lfunc_end94:
	.size	_ZN2at6native32elementwise_kernel_manual_unrollILi128ELi4EZNS0_15gpu_kernel_implINS0_13BinaryFunctorIlllZZZNS0_18lshift_kernel_cudaERNS_18TensorIteratorBaseEENKUlvE_clEvENKUlvE2_clEvEUlllE_EEEEvS5_RKT_EUlibE_EEviT1_, .Lfunc_end94-_ZN2at6native32elementwise_kernel_manual_unrollILi128ELi4EZNS0_15gpu_kernel_implINS0_13BinaryFunctorIlllZZZNS0_18lshift_kernel_cudaERNS_18TensorIteratorBaseEENKUlvE_clEvENKUlvE2_clEvEUlllE_EEEEvS5_RKT_EUlibE_EEviT1_
                                        ; -- End function
	.set _ZN2at6native32elementwise_kernel_manual_unrollILi128ELi4EZNS0_15gpu_kernel_implINS0_13BinaryFunctorIlllZZZNS0_18lshift_kernel_cudaERNS_18TensorIteratorBaseEENKUlvE_clEvENKUlvE2_clEvEUlllE_EEEEvS5_RKT_EUlibE_EEviT1_.num_vgpr, 23
	.set _ZN2at6native32elementwise_kernel_manual_unrollILi128ELi4EZNS0_15gpu_kernel_implINS0_13BinaryFunctorIlllZZZNS0_18lshift_kernel_cudaERNS_18TensorIteratorBaseEENKUlvE_clEvENKUlvE2_clEvEUlllE_EEEEvS5_RKT_EUlibE_EEviT1_.num_agpr, 0
	.set _ZN2at6native32elementwise_kernel_manual_unrollILi128ELi4EZNS0_15gpu_kernel_implINS0_13BinaryFunctorIlllZZZNS0_18lshift_kernel_cudaERNS_18TensorIteratorBaseEENKUlvE_clEvENKUlvE2_clEvEUlllE_EEEEvS5_RKT_EUlibE_EEviT1_.numbered_sgpr, 56
	.set _ZN2at6native32elementwise_kernel_manual_unrollILi128ELi4EZNS0_15gpu_kernel_implINS0_13BinaryFunctorIlllZZZNS0_18lshift_kernel_cudaERNS_18TensorIteratorBaseEENKUlvE_clEvENKUlvE2_clEvEUlllE_EEEEvS5_RKT_EUlibE_EEviT1_.num_named_barrier, 0
	.set _ZN2at6native32elementwise_kernel_manual_unrollILi128ELi4EZNS0_15gpu_kernel_implINS0_13BinaryFunctorIlllZZZNS0_18lshift_kernel_cudaERNS_18TensorIteratorBaseEENKUlvE_clEvENKUlvE2_clEvEUlllE_EEEEvS5_RKT_EUlibE_EEviT1_.private_seg_size, 0
	.set _ZN2at6native32elementwise_kernel_manual_unrollILi128ELi4EZNS0_15gpu_kernel_implINS0_13BinaryFunctorIlllZZZNS0_18lshift_kernel_cudaERNS_18TensorIteratorBaseEENKUlvE_clEvENKUlvE2_clEvEUlllE_EEEEvS5_RKT_EUlibE_EEviT1_.uses_vcc, 1
	.set _ZN2at6native32elementwise_kernel_manual_unrollILi128ELi4EZNS0_15gpu_kernel_implINS0_13BinaryFunctorIlllZZZNS0_18lshift_kernel_cudaERNS_18TensorIteratorBaseEENKUlvE_clEvENKUlvE2_clEvEUlllE_EEEEvS5_RKT_EUlibE_EEviT1_.uses_flat_scratch, 0
	.set _ZN2at6native32elementwise_kernel_manual_unrollILi128ELi4EZNS0_15gpu_kernel_implINS0_13BinaryFunctorIlllZZZNS0_18lshift_kernel_cudaERNS_18TensorIteratorBaseEENKUlvE_clEvENKUlvE2_clEvEUlllE_EEEEvS5_RKT_EUlibE_EEviT1_.has_dyn_sized_stack, 0
	.set _ZN2at6native32elementwise_kernel_manual_unrollILi128ELi4EZNS0_15gpu_kernel_implINS0_13BinaryFunctorIlllZZZNS0_18lshift_kernel_cudaERNS_18TensorIteratorBaseEENKUlvE_clEvENKUlvE2_clEvEUlllE_EEEEvS5_RKT_EUlibE_EEviT1_.has_recursion, 0
	.set _ZN2at6native32elementwise_kernel_manual_unrollILi128ELi4EZNS0_15gpu_kernel_implINS0_13BinaryFunctorIlllZZZNS0_18lshift_kernel_cudaERNS_18TensorIteratorBaseEENKUlvE_clEvENKUlvE2_clEvEUlllE_EEEEvS5_RKT_EUlibE_EEviT1_.has_indirect_call, 0
	.section	.AMDGPU.csdata,"",@progbits
; Kernel info:
; codeLenInByte = 60028
; TotalNumSgprs: 60
; NumVgprs: 23
; ScratchSize: 0
; MemoryBound: 1
; FloatMode: 240
; IeeeMode: 1
; LDSByteSize: 0 bytes/workgroup (compile time only)
; SGPRBlocks: 7
; VGPRBlocks: 5
; NumSGPRsForWavesPerEU: 60
; NumVGPRsForWavesPerEU: 23
; Occupancy: 10
; WaveLimiterHint : 0
; COMPUTE_PGM_RSRC2:SCRATCH_EN: 0
; COMPUTE_PGM_RSRC2:USER_SGPR: 6
; COMPUTE_PGM_RSRC2:TRAP_HANDLER: 0
; COMPUTE_PGM_RSRC2:TGID_X_EN: 1
; COMPUTE_PGM_RSRC2:TGID_Y_EN: 0
; COMPUTE_PGM_RSRC2:TGID_Z_EN: 0
; COMPUTE_PGM_RSRC2:TIDIG_COMP_CNT: 0
	.section	.text._ZN2at6native32elementwise_kernel_manual_unrollILi128ELi4EZNS0_15gpu_kernel_implINS0_13BinaryFunctorIlllZZZNS0_18lshift_kernel_cudaERNS_18TensorIteratorBaseEENKUlvE_clEvENKUlvE2_clEvEUlllE_EEEEvS5_RKT_EUlibE0_EEviT1_,"axG",@progbits,_ZN2at6native32elementwise_kernel_manual_unrollILi128ELi4EZNS0_15gpu_kernel_implINS0_13BinaryFunctorIlllZZZNS0_18lshift_kernel_cudaERNS_18TensorIteratorBaseEENKUlvE_clEvENKUlvE2_clEvEUlllE_EEEEvS5_RKT_EUlibE0_EEviT1_,comdat
	.globl	_ZN2at6native32elementwise_kernel_manual_unrollILi128ELi4EZNS0_15gpu_kernel_implINS0_13BinaryFunctorIlllZZZNS0_18lshift_kernel_cudaERNS_18TensorIteratorBaseEENKUlvE_clEvENKUlvE2_clEvEUlllE_EEEEvS5_RKT_EUlibE0_EEviT1_ ; -- Begin function _ZN2at6native32elementwise_kernel_manual_unrollILi128ELi4EZNS0_15gpu_kernel_implINS0_13BinaryFunctorIlllZZZNS0_18lshift_kernel_cudaERNS_18TensorIteratorBaseEENKUlvE_clEvENKUlvE2_clEvEUlllE_EEEEvS5_RKT_EUlibE0_EEviT1_
	.p2align	8
	.type	_ZN2at6native32elementwise_kernel_manual_unrollILi128ELi4EZNS0_15gpu_kernel_implINS0_13BinaryFunctorIlllZZZNS0_18lshift_kernel_cudaERNS_18TensorIteratorBaseEENKUlvE_clEvENKUlvE2_clEvEUlllE_EEEEvS5_RKT_EUlibE0_EEviT1_,@function
_ZN2at6native32elementwise_kernel_manual_unrollILi128ELi4EZNS0_15gpu_kernel_implINS0_13BinaryFunctorIlllZZZNS0_18lshift_kernel_cudaERNS_18TensorIteratorBaseEENKUlvE_clEvENKUlvE2_clEvEUlllE_EEEEvS5_RKT_EUlibE0_EEviT1_: ; @_ZN2at6native32elementwise_kernel_manual_unrollILi128ELi4EZNS0_15gpu_kernel_implINS0_13BinaryFunctorIlllZZZNS0_18lshift_kernel_cudaERNS_18TensorIteratorBaseEENKUlvE_clEvENKUlvE2_clEvEUlllE_EEEEvS5_RKT_EUlibE0_EEviT1_
; %bb.0:
	s_load_dword s66, s[4:5], 0x0
	s_load_dword s33, s[4:5], 0x8
	s_add_u32 s2, s4, 8
	s_addc_u32 s3, s5, 0
	v_lshl_or_b32 v10, s6, 9, v0
	v_or_b32_e32 v21, 0x180, v10
	s_waitcnt lgkmcnt(0)
	s_add_i32 s68, s33, -1
	s_cmp_gt_u32 s68, 1
	v_cmp_le_i32_e32 vcc, s66, v21
	s_cselect_b64 s[20:21], -1, 0
	s_mov_b64 s[6:7], 0
	s_mov_b64 s[12:13], 0
	s_and_saveexec_b64 s[0:1], vcc
	s_xor_b64 s[22:23], exec, s[0:1]
	s_cbranch_execz .LBB95_1557
; %bb.1:
	v_mov_b32_e32 v0, 0
	global_load_ushort v1, v0, s[2:3] offset:417
	global_load_sbyte v2, v0, s[2:3] offset:419
	s_load_dwordx4 s[16:19], s[2:3], 0x4
	s_load_dwordx2 s[28:29], s[2:3], 0x14
	s_load_dwordx4 s[12:15], s[2:3], 0xc4
	s_load_dwordx2 s[26:27], s[2:3], 0xd4
	s_load_dwordx2 s[24:25], s[2:3], 0x198
	s_load_dwordx4 s[8:11], s[2:3], 0x188
	s_cmp_lg_u32 s33, 0
	s_cselect_b64 s[34:35], -1, 0
	s_min_u32 s72, s68, 15
	s_cmp_gt_u32 s33, 1
	v_cmp_gt_i32_e32 vcc, s66, v10
	s_mov_b64 s[0:1], -1
	s_mov_b64 s[46:47], 0
	s_mov_b64 s[40:41], 0
	;; [unrolled: 1-line block ×3, first 2 shown]
	s_cselect_b64 s[30:31], -1, 0
	s_mov_b64 s[36:37], 0
	s_waitcnt vmcnt(1)
	v_readfirstlane_b32 s69, v1
	s_waitcnt vmcnt(0)
	v_readfirstlane_b32 s70, v2
	s_lshr_b32 s71, s69, 8
	s_and_saveexec_b64 s[42:43], vcc
	s_cbranch_execz .LBB95_386
; %bb.2:
	s_andn2_b64 vcc, exec, s[20:21]
	s_cbranch_vccnz .LBB95_8
; %bb.3:
	s_andn2_b64 vcc, exec, s[34:35]
	s_cbranch_vccnz .LBB95_9
; %bb.4:
	s_add_i32 s0, s72, 1
	s_and_b32 s36, s0, 30
	s_add_u32 s0, s2, 0xffffffe8
	s_addc_u32 s1, s3, -1
	v_mov_b32_e32 v3, 0
	v_mov_b32_e32 v5, 0
	;; [unrolled: 1-line block ×4, first 2 shown]
.LBB95_5:                               ; =>This Inner Loop Header: Depth=1
	s_load_dwordx4 s[48:51], s[0:1], 0x1c
	s_load_dwordx2 s[38:39], s[0:1], 0x2c
	s_load_dwordx2 s[40:41], s[0:1], 0xec
	s_load_dwordx4 s[52:55], s[0:1], 0xdc
	s_add_u32 s0, s0, 24
	s_waitcnt lgkmcnt(0)
	v_mul_hi_u32 v2, s49, v1
	s_addc_u32 s1, s1, 0
	s_add_i32 s36, s36, -2
	s_cmp_lg_u32 s36, 0
	v_add_u32_e32 v2, v1, v2
	v_lshrrev_b32_e32 v2, s50, v2
	v_mul_lo_u32 v4, v2, s48
	v_mul_hi_u32 v6, s38, v2
	v_sub_u32_e32 v4, v1, v4
	v_add_u32_e32 v1, v2, v6
	v_lshrrev_b32_e32 v1, s39, v1
	v_mul_lo_u32 v8, v1, s51
	v_mul_lo_u32 v6, v4, s52
	v_mul_lo_u32 v7, v4, s53
	v_mul_lo_u32 v4, v4, s54
	v_sub_u32_e32 v2, v2, v8
	v_mul_lo_u32 v8, v2, s55
	v_mul_lo_u32 v9, v2, s40
	;; [unrolled: 1-line block ×3, first 2 shown]
	v_add3_u32 v0, v6, v0, v8
	v_add3_u32 v5, v7, v5, v9
	;; [unrolled: 1-line block ×3, first 2 shown]
	s_cbranch_scc1 .LBB95_5
; %bb.6:
	s_bitcmp1_b32 s72, 0
	s_cselect_b64 s[36:37], -1, 0
	s_and_b64 vcc, exec, s[36:37]
	s_cbranch_vccnz .LBB95_10
; %bb.7:
	s_load_dwordx2 s[36:37], s[0:1], 0x1c
	s_load_dword s40, s[0:1], 0x24
	s_load_dwordx2 s[38:39], s[0:1], 0xdc
	s_waitcnt lgkmcnt(0)
	v_mul_hi_u32 v2, s37, v1
	v_add_u32_e32 v2, v1, v2
	v_lshrrev_b32_e32 v2, s40, v2
	v_mul_lo_u32 v2, v2, s36
	s_load_dword s36, s[0:1], 0xe4
	v_sub_u32_e32 v2, v1, v2
	v_mad_u64_u32 v[0:1], s[0:1], v2, s38, v[0:1]
	v_mad_u64_u32 v[5:6], s[0:1], v2, s39, v[5:6]
	s_waitcnt lgkmcnt(0)
	v_mad_u64_u32 v[3:4], s[0:1], v2, s36, v[3:4]
	s_cbranch_execz .LBB95_11
	s_branch .LBB95_13
.LBB95_8:
                                        ; implicit-def: $vgpr0
                                        ; implicit-def: $vgpr5
                                        ; implicit-def: $vgpr3
	s_andn2_b64 vcc, exec, s[0:1]
	s_cbranch_vccz .LBB95_11
	s_branch .LBB95_13
.LBB95_9:
	v_mov_b32_e32 v0, 0
	v_mov_b32_e32 v5, 0
	v_mov_b32_e32 v3, 0
.LBB95_10:
	s_cbranch_execnz .LBB95_13
.LBB95_11:
	s_waitcnt lgkmcnt(0)
	v_mul_hi_u32 v0, s17, v10
	s_andn2_b64 vcc, exec, s[30:31]
	v_add_u32_e32 v0, v10, v0
	v_lshrrev_b32_e32 v1, s18, v0
	v_mul_lo_u32 v0, v1, s16
	v_sub_u32_e32 v2, v10, v0
	v_mul_lo_u32 v0, v2, s12
	v_mul_lo_u32 v5, v2, s13
	;; [unrolled: 1-line block ×3, first 2 shown]
	s_cbranch_vccnz .LBB95_13
; %bb.12:
	v_mul_hi_u32 v2, s28, v1
	v_add_u32_e32 v2, v1, v2
	v_lshrrev_b32_e32 v2, s29, v2
	v_mul_lo_u32 v2, v2, s19
	v_sub_u32_e32 v2, v1, v2
	v_mad_u64_u32 v[0:1], s[0:1], v2, s15, v[0:1]
	v_mad_u64_u32 v[5:6], s[0:1], v2, s26, v[5:6]
	;; [unrolled: 1-line block ×3, first 2 shown]
.LBB95_13:
	s_waitcnt lgkmcnt(0)
	v_mov_b32_e32 v1, s11
	s_and_b32 s38, s71, 0xff
	v_add_co_u32_e32 v4, vcc, s10, v5
	s_cmp_lt_i32 s38, 11
	v_addc_co_u32_e32 v5, vcc, 0, v1, vcc
	s_cbranch_scc1 .LBB95_20
; %bb.14:
	s_and_b32 s39, 0xffff, s38
	s_cmp_gt_i32 s39, 25
	s_cbranch_scc0 .LBB95_29
; %bb.15:
	s_cmp_gt_i32 s39, 28
	s_cbranch_scc0 .LBB95_39
; %bb.16:
	s_cmp_gt_i32 s39, 43
	s_cbranch_scc0 .LBB95_42
; %bb.17:
	s_cmp_gt_i32 s39, 45
	s_cbranch_scc0 .LBB95_45
; %bb.18:
	s_cmp_eq_u32 s39, 46
	s_mov_b64 s[36:37], 0
	s_cbranch_scc0 .LBB95_48
; %bb.19:
	global_load_dword v1, v[4:5], off
	s_mov_b32 s0, 0x2f800000
	s_mov_b32 s1, 0xcf800000
	s_mov_b64 s[40:41], 0
	s_waitcnt vmcnt(0)
	v_lshlrev_b32_e32 v1, 16, v1
	v_trunc_f32_e32 v1, v1
	v_mul_f32_e64 v2, |v1|, s0
	v_floor_f32_e32 v2, v2
	v_fma_f32 v6, v2, s1, |v1|
	v_cvt_u32_f32_e32 v6, v6
	v_cvt_u32_f32_e32 v2, v2
	v_ashrrev_i32_e32 v7, 31, v1
	s_mov_b64 s[0:1], -1
	v_xor_b32_e32 v1, v6, v7
	v_xor_b32_e32 v2, v2, v7
	v_sub_co_u32_e32 v1, vcc, v1, v7
	v_subb_co_u32_e32 v2, vcc, v2, v7, vcc
	s_branch .LBB95_50
.LBB95_20:
	s_mov_b64 s[40:41], 0
                                        ; implicit-def: $vgpr1_vgpr2
	s_mov_b64 s[0:1], 0
	s_cbranch_execnz .LBB95_112
.LBB95_21:
	s_andn2_b64 vcc, exec, s[0:1]
	s_cbranch_vccnz .LBB95_159
.LBB95_22:
	v_mov_b32_e32 v4, s25
	s_and_b32 s44, s70, 0xff
	v_add_co_u32_e32 v3, vcc, s24, v3
	s_cmp_lt_i32 s44, 11
	v_addc_co_u32_e32 v4, vcc, 0, v4, vcc
	s_cbranch_scc1 .LBB95_30
; %bb.23:
	s_and_b32 s45, 0xffff, s44
	s_cmp_gt_i32 s45, 25
	s_cbranch_scc0 .LBB95_40
; %bb.24:
	s_cmp_gt_i32 s45, 28
	s_cbranch_scc0 .LBB95_43
; %bb.25:
	;; [unrolled: 3-line block ×4, first 2 shown]
	s_cmp_eq_u32 s45, 46
	s_mov_b64 s[36:37], 0
	s_cbranch_scc0 .LBB95_160
; %bb.28:
	global_load_dword v5, v[3:4], off
	s_mov_b32 s0, 0x2f800000
	s_mov_b32 s1, 0xcf800000
	s_mov_b64 s[38:39], 0
	s_waitcnt vmcnt(0)
	v_lshlrev_b32_e32 v5, 16, v5
	v_trunc_f32_e32 v5, v5
	v_mul_f32_e64 v6, |v5|, s0
	v_floor_f32_e32 v6, v6
	v_fma_f32 v7, v6, s1, |v5|
	v_cvt_u32_f32_e32 v7, v7
	v_cvt_u32_f32_e32 v6, v6
	v_ashrrev_i32_e32 v8, 31, v5
	s_mov_b64 s[0:1], -1
	v_xor_b32_e32 v5, v7, v8
	v_xor_b32_e32 v6, v6, v8
	v_sub_co_u32_e32 v5, vcc, v5, v8
	v_subb_co_u32_e32 v6, vcc, v6, v8, vcc
	s_branch .LBB95_162
.LBB95_29:
	s_mov_b64 s[40:41], 0
	s_mov_b64 s[0:1], 0
                                        ; implicit-def: $vgpr1_vgpr2
	s_cbranch_execnz .LBB95_81
	s_branch .LBB95_111
.LBB95_30:
	s_mov_b64 s[38:39], 0
                                        ; implicit-def: $vgpr5_vgpr6
	s_mov_b64 s[0:1], 0
	s_cbranch_execnz .LBB95_335
.LBB95_31:
	s_andn2_b64 vcc, exec, s[0:1]
	s_cbranch_vccnz .LBB95_383
.LBB95_32:
	s_waitcnt vmcnt(0)
	v_lshlrev_b64 v[1:2], v5, v[1:2]
	v_cmp_gt_u64_e32 vcc, 64, v[5:6]
	v_mov_b32_e32 v4, s9
	v_cndmask_b32_e32 v2, 0, v2, vcc
	v_cndmask_b32_e32 v1, 0, v1, vcc
	s_and_b32 s50, s69, 0xff
	v_add_co_u32_e32 v3, vcc, s8, v0
	s_cmp_lt_i32 s50, 11
	v_addc_co_u32_e32 v4, vcc, 0, v4, vcc
	s_cbranch_scc1 .LBB95_41
; %bb.33:
	s_and_b32 s51, 0xffff, s50
	s_cmp_gt_i32 s51, 25
	s_cbranch_scc0 .LBB95_44
; %bb.34:
	s_cmp_gt_i32 s51, 28
	s_cbranch_scc0 .LBB95_47
; %bb.35:
	s_cmp_gt_i32 s51, 43
	s_cbranch_scc0 .LBB95_54
; %bb.36:
	s_cmp_gt_i32 s51, 45
	s_cbranch_scc0 .LBB95_165
; %bb.37:
	s_mov_b64 s[44:45], 0
	s_mov_b64 s[0:1], -1
	s_cmp_eq_u32 s51, 46
	s_mov_b64 s[36:37], 0
	s_cbranch_scc0 .LBB95_166
; %bb.38:
	v_xor_b32_e32 v5, v1, v2
	v_ffbh_i32_e32 v0, v2
	v_ashrrev_i32_e32 v5, 31, v5
	v_add_u32_e32 v0, -1, v0
	v_add_u32_e32 v5, 32, v5
	v_min_u32_e32 v0, v0, v5
	v_lshlrev_b64 v[5:6], v0, v[1:2]
	v_sub_u32_e32 v0, 32, v0
	v_min_u32_e32 v5, 1, v5
	v_or_b32_e32 v5, v6, v5
	v_cvt_f32_i32_e32 v5, v5
	s_movk_i32 s0, 0x7fff
	s_mov_b64 s[36:37], -1
	v_ldexp_f32 v0, v5, v0
	v_bfe_u32 v5, v0, 16, 1
	v_add3_u32 v0, v0, v5, s0
	v_lshrrev_b32_e32 v0, 16, v0
	global_store_dword v[3:4], v0, off
	s_mov_b64 s[0:1], 0
	s_branch .LBB95_166
.LBB95_39:
	s_mov_b64 s[36:37], -1
	s_mov_b64 s[40:41], 0
	s_mov_b64 s[0:1], 0
                                        ; implicit-def: $vgpr1_vgpr2
	s_branch .LBB95_62
.LBB95_40:
	s_mov_b64 s[36:37], -1
	s_mov_b64 s[38:39], 0
	s_mov_b64 s[0:1], 0
                                        ; implicit-def: $vgpr5_vgpr6
	s_branch .LBB95_303
.LBB95_41:
	s_mov_b64 s[44:45], -1
	s_mov_b64 s[0:1], 0
	s_mov_b64 s[36:37], 0
	s_branch .LBB95_235
.LBB95_42:
	s_mov_b64 s[36:37], -1
	s_mov_b64 s[40:41], 0
	s_mov_b64 s[0:1], 0
                                        ; implicit-def: $vgpr1_vgpr2
	s_branch .LBB95_57
.LBB95_43:
	s_mov_b64 s[36:37], -1
	s_mov_b64 s[38:39], 0
	s_mov_b64 s[0:1], 0
                                        ; implicit-def: $vgpr5_vgpr6
	s_branch .LBB95_284
.LBB95_44:
	s_mov_b64 s[44:45], -1
	s_mov_b64 s[0:1], 0
	s_mov_b64 s[36:37], 0
	s_branch .LBB95_193
.LBB95_45:
	s_mov_b64 s[36:37], -1
	s_mov_b64 s[40:41], 0
	s_branch .LBB95_49
.LBB95_46:
	s_mov_b64 s[36:37], -1
	s_mov_b64 s[38:39], 0
	s_mov_b64 s[0:1], 0
                                        ; implicit-def: $vgpr5_vgpr6
	s_branch .LBB95_279
.LBB95_47:
	s_mov_b64 s[44:45], -1
	s_mov_b64 s[0:1], 0
	s_mov_b64 s[36:37], 0
	s_branch .LBB95_176
.LBB95_48:
	s_mov_b64 s[40:41], -1
.LBB95_49:
	s_mov_b64 s[0:1], 0
                                        ; implicit-def: $vgpr1_vgpr2
.LBB95_50:
	s_and_b64 vcc, exec, s[36:37]
	s_cbranch_vccz .LBB95_56
; %bb.51:
	s_cmp_eq_u32 s39, 44
	s_cbranch_scc0 .LBB95_55
; %bb.52:
	global_load_ubyte v1, v[4:5], off
	s_mov_b32 s0, 0x2f800000
	s_mov_b32 s1, 0xcf800000
	s_mov_b64 s[40:41], 0
	s_waitcnt vmcnt(0)
	v_lshlrev_b32_e32 v2, 23, v1
	v_trunc_f32_e32 v2, v2
	v_mul_f32_e64 v6, |v2|, s0
	v_floor_f32_e32 v6, v6
	v_fma_f32 v7, v6, s1, |v2|
	v_cvt_u32_f32_e32 v7, v7
	v_cvt_u32_f32_e32 v6, v6
	v_ashrrev_i32_e32 v2, 31, v2
	s_mov_b64 s[0:1], -1
	v_xor_b32_e32 v7, v7, v2
	v_xor_b32_e32 v6, v6, v2
	v_sub_co_u32_e32 v7, vcc, v7, v2
	v_subb_co_u32_e32 v2, vcc, v6, v2, vcc
	v_cmp_ne_u32_e32 vcc, 0, v1
	v_cndmask_b32_e32 v2, 0, v2, vcc
	v_cndmask_b32_e32 v1, 0, v7, vcc
	s_branch .LBB95_56
.LBB95_53:
	s_mov_b64 s[36:37], -1
	s_mov_b64 s[38:39], 0
	s_branch .LBB95_161
.LBB95_54:
	s_mov_b64 s[44:45], -1
	s_mov_b64 s[0:1], 0
	s_mov_b64 s[36:37], 0
	s_branch .LBB95_172
.LBB95_55:
	s_mov_b64 s[40:41], -1
                                        ; implicit-def: $vgpr1_vgpr2
.LBB95_56:
	s_mov_b64 s[36:37], 0
.LBB95_57:
	s_and_b64 vcc, exec, s[36:37]
	s_cbranch_vccz .LBB95_61
; %bb.58:
	s_cmp_eq_u32 s39, 29
	s_cbranch_scc0 .LBB95_60
; %bb.59:
	global_load_dwordx2 v[1:2], v[4:5], off
	s_mov_b64 s[0:1], -1
	s_mov_b64 s[40:41], 0
	s_branch .LBB95_61
.LBB95_60:
	s_mov_b64 s[40:41], -1
                                        ; implicit-def: $vgpr1_vgpr2
.LBB95_61:
	s_mov_b64 s[36:37], 0
.LBB95_62:
	s_and_b64 vcc, exec, s[36:37]
	s_cbranch_vccz .LBB95_80
; %bb.63:
	s_cmp_lt_i32 s39, 27
	s_cbranch_scc1 .LBB95_66
; %bb.64:
	s_cmp_gt_i32 s39, 27
	s_cbranch_scc0 .LBB95_67
; %bb.65:
	global_load_dword v1, v[4:5], off
	s_waitcnt vmcnt(1)
	v_mov_b32_e32 v2, 0
	s_mov_b64 s[0:1], 0
	s_branch .LBB95_68
.LBB95_66:
	s_mov_b64 s[0:1], -1
                                        ; implicit-def: $vgpr1_vgpr2
	s_branch .LBB95_71
.LBB95_67:
	s_mov_b64 s[0:1], -1
                                        ; implicit-def: $vgpr1_vgpr2
.LBB95_68:
	s_andn2_b64 vcc, exec, s[0:1]
	s_cbranch_vccnz .LBB95_70
; %bb.69:
	global_load_ushort v1, v[4:5], off
	s_mov_b32 s0, 0
	s_waitcnt vmcnt(1)
	v_mov_b32_e32 v2, s0
	s_waitcnt vmcnt(0)
	v_and_b32_e32 v1, 0xffff, v1
.LBB95_70:
	s_mov_b64 s[0:1], 0
.LBB95_71:
	s_andn2_b64 vcc, exec, s[0:1]
	s_cbranch_vccnz .LBB95_79
; %bb.72:
	global_load_ubyte v6, v[4:5], off
	s_movk_i32 s0, 0x7f
	s_mov_b64 s[36:37], 0
	s_waitcnt vmcnt(0)
	v_cmp_lt_i16_e32 vcc, s0, v6
	s_and_saveexec_b64 s[0:1], vcc
	s_xor_b64 s[0:1], exec, s[0:1]
; %bb.73:
	s_movk_i32 s36, 0x80
	v_cmp_ne_u16_e32 vcc, s36, v6
	s_and_b64 s[36:37], vcc, exec
; %bb.74:
	s_andn2_saveexec_b64 s[0:1], s[0:1]
; %bb.75:
	v_cmp_ne_u16_e32 vcc, 0, v6
	s_andn2_b64 s[36:37], s[36:37], exec
	s_and_b64 s[44:45], vcc, exec
	s_or_b64 s[36:37], s[36:37], s[44:45]
; %bb.76:
	s_or_b64 exec, exec, s[0:1]
	v_mov_b32_e32 v1, 0
	v_mov_b32_e32 v2, 0
	s_and_saveexec_b64 s[0:1], s[36:37]
	s_cbranch_execz .LBB95_78
; %bb.77:
	v_and_b32_e32 v2, 0xffff, v6
	v_lshlrev_b32_e32 v1, 24, v6
	v_and_b32_e32 v6, 7, v2
	v_ffbh_u32_e32 v8, v6
	v_min_u32_e32 v8, 32, v8
	v_subrev_u32_e32 v9, 28, v8
	v_bfe_u32 v7, v2, 3, 4
	v_lshlrev_b32_e32 v2, v9, v2
	v_sub_u32_e32 v8, 29, v8
	v_and_b32_e32 v2, 7, v2
	v_cmp_eq_u32_e32 vcc, 0, v7
	v_cndmask_b32_e32 v7, v7, v8, vcc
	v_cndmask_b32_e32 v2, v6, v2, vcc
	v_mov_b32_e32 v6, 0x3b800000
	v_lshlrev_b32_e32 v2, 20, v2
	v_and_b32_e32 v1, 0x80000000, v1
	v_lshl_add_u32 v6, v7, 23, v6
	v_or3_b32 v1, v1, v6, v2
	v_trunc_f32_e32 v1, v1
	s_mov_b32 s36, 0x2f800000
	v_mul_f32_e64 v2, |v1|, s36
	v_floor_f32_e32 v2, v2
	s_mov_b32 s36, 0xcf800000
	v_fma_f32 v6, v2, s36, |v1|
	v_cvt_u32_f32_e32 v6, v6
	v_cvt_u32_f32_e32 v2, v2
	v_ashrrev_i32_e32 v7, 31, v1
	v_xor_b32_e32 v1, v6, v7
	v_xor_b32_e32 v2, v2, v7
	v_sub_co_u32_e32 v1, vcc, v1, v7
	v_subb_co_u32_e32 v2, vcc, v2, v7, vcc
.LBB95_78:
	s_or_b64 exec, exec, s[0:1]
.LBB95_79:
	s_mov_b64 s[0:1], -1
.LBB95_80:
	s_branch .LBB95_111
.LBB95_81:
	s_cmp_gt_i32 s39, 22
	s_cbranch_scc0 .LBB95_91
; %bb.82:
	s_cmp_lt_i32 s39, 24
	s_cbranch_scc1 .LBB95_92
; %bb.83:
	s_cmp_gt_i32 s39, 24
	s_cbranch_scc0 .LBB95_93
; %bb.84:
	global_load_ubyte v6, v[4:5], off
	s_movk_i32 s0, 0x7f
	s_mov_b64 s[36:37], 0
	s_waitcnt vmcnt(0)
	v_cmp_lt_i16_e32 vcc, s0, v6
	s_and_saveexec_b64 s[0:1], vcc
	s_xor_b64 s[0:1], exec, s[0:1]
; %bb.85:
	s_movk_i32 s36, 0x80
	v_cmp_ne_u16_e32 vcc, s36, v6
	s_and_b64 s[36:37], vcc, exec
; %bb.86:
	s_andn2_saveexec_b64 s[0:1], s[0:1]
; %bb.87:
	v_cmp_ne_u16_e32 vcc, 0, v6
	s_andn2_b64 s[36:37], s[36:37], exec
	s_and_b64 s[44:45], vcc, exec
	s_or_b64 s[36:37], s[36:37], s[44:45]
; %bb.88:
	s_or_b64 exec, exec, s[0:1]
	v_mov_b32_e32 v1, 0
	v_mov_b32_e32 v2, 0
	s_and_saveexec_b64 s[0:1], s[36:37]
	s_cbranch_execz .LBB95_90
; %bb.89:
	v_and_b32_e32 v2, 0xffff, v6
	v_lshlrev_b32_e32 v1, 24, v6
	v_and_b32_e32 v6, 3, v2
	v_ffbh_u32_e32 v8, v6
	v_min_u32_e32 v8, 32, v8
	v_subrev_u32_e32 v9, 29, v8
	v_bfe_u32 v7, v2, 2, 5
	v_lshlrev_b32_e32 v2, v9, v2
	v_sub_u32_e32 v8, 30, v8
	v_and_b32_e32 v2, 3, v2
	v_cmp_eq_u32_e32 vcc, 0, v7
	v_cndmask_b32_e32 v7, v7, v8, vcc
	v_cndmask_b32_e32 v2, v6, v2, vcc
	v_mov_b32_e32 v6, 0x37800000
	v_lshlrev_b32_e32 v2, 21, v2
	v_and_b32_e32 v1, 0x80000000, v1
	v_lshl_add_u32 v6, v7, 23, v6
	v_or3_b32 v1, v1, v6, v2
	v_trunc_f32_e32 v1, v1
	s_mov_b32 s36, 0x2f800000
	v_mul_f32_e64 v2, |v1|, s36
	v_floor_f32_e32 v2, v2
	s_mov_b32 s36, 0xcf800000
	v_fma_f32 v6, v2, s36, |v1|
	v_cvt_u32_f32_e32 v6, v6
	v_cvt_u32_f32_e32 v2, v2
	v_ashrrev_i32_e32 v7, 31, v1
	v_xor_b32_e32 v1, v6, v7
	v_xor_b32_e32 v2, v2, v7
	v_sub_co_u32_e32 v1, vcc, v1, v7
	v_subb_co_u32_e32 v2, vcc, v2, v7, vcc
.LBB95_90:
	s_or_b64 exec, exec, s[0:1]
	s_mov_b64 s[0:1], 0
	s_branch .LBB95_94
.LBB95_91:
	s_mov_b64 s[36:37], -1
                                        ; implicit-def: $vgpr1_vgpr2
	s_branch .LBB95_100
.LBB95_92:
	s_mov_b64 s[0:1], -1
                                        ; implicit-def: $vgpr1_vgpr2
	s_branch .LBB95_97
.LBB95_93:
	s_mov_b64 s[0:1], -1
                                        ; implicit-def: $vgpr1_vgpr2
.LBB95_94:
	s_and_b64 vcc, exec, s[0:1]
	s_cbranch_vccz .LBB95_96
; %bb.95:
	global_load_ubyte v1, v[4:5], off
	s_mov_b32 s0, 0x7f800000
	s_brev_b32 s1, 1
	s_mov_b32 s36, 0x2f800000
	s_mov_b32 s37, 0xcf800000
	s_waitcnt vmcnt(0)
	v_lshlrev_b32_e32 v1, 24, v1
	v_and_b32_e32 v2, 0x7f000000, v1
	v_ffbh_u32_e32 v6, v2
	v_min_u32_e32 v6, 32, v6
	v_sub_u32_e64 v6, v6, 4 clamp
	v_lshlrev_b32_e32 v8, v6, v2
	v_lshlrev_b32_e32 v6, 23, v6
	v_lshrrev_b32_e32 v8, 4, v8
	v_add_u32_e32 v7, 0x1000000, v2
	v_sub_u32_e32 v6, v8, v6
	v_ashrrev_i32_e32 v7, 8, v7
	v_add_u32_e32 v6, 0x3c000000, v6
	v_and_or_b32 v6, v7, s0, v6
	v_cmp_ne_u32_e32 vcc, 0, v2
	v_cndmask_b32_e32 v2, 0, v6, vcc
	v_and_or_b32 v1, v1, s1, v2
	v_trunc_f32_e32 v1, v1
	v_mul_f32_e64 v2, |v1|, s36
	v_floor_f32_e32 v2, v2
	v_fma_f32 v6, v2, s37, |v1|
	v_cvt_u32_f32_e32 v6, v6
	v_cvt_u32_f32_e32 v2, v2
	v_ashrrev_i32_e32 v7, 31, v1
	v_xor_b32_e32 v1, v6, v7
	v_xor_b32_e32 v2, v2, v7
	v_sub_co_u32_e32 v1, vcc, v1, v7
	v_subb_co_u32_e32 v2, vcc, v2, v7, vcc
.LBB95_96:
	s_mov_b64 s[0:1], 0
.LBB95_97:
	s_andn2_b64 vcc, exec, s[0:1]
	s_cbranch_vccnz .LBB95_99
; %bb.98:
	global_load_ubyte v1, v[4:5], off
	s_movk_i32 s0, 0x7f00
	s_brev_b32 s1, 16
	s_brev_b32 s36, 1
	s_mov_b32 s37, 0x2f800000
	s_mov_b32 s44, 0xcf800000
	s_waitcnt vmcnt(0)
	v_lshlrev_b16_e32 v2, 8, v1
	v_lshlrev_b32_e32 v1, 25, v1
	v_lshrrev_b32_e32 v6, 4, v1
	v_and_or_b32 v7, v2, s0, 0.5
	v_or_b32_e32 v6, 0x70000000, v6
	v_add_f32_e32 v7, -0.5, v7
	v_mul_f32_e32 v6, 0x7800000, v6
	v_cmp_gt_u32_e32 vcc, s1, v1
	v_bfe_i32 v2, v2, 0, 16
	v_cndmask_b32_e32 v1, v6, v7, vcc
	v_and_or_b32 v1, v2, s36, v1
	v_trunc_f32_e32 v1, v1
	v_mul_f32_e64 v2, |v1|, s37
	v_floor_f32_e32 v2, v2
	v_fma_f32 v6, v2, s44, |v1|
	v_cvt_u32_f32_e32 v6, v6
	v_cvt_u32_f32_e32 v2, v2
	v_ashrrev_i32_e32 v7, 31, v1
	v_xor_b32_e32 v1, v6, v7
	v_xor_b32_e32 v2, v2, v7
	v_sub_co_u32_e32 v1, vcc, v1, v7
	v_subb_co_u32_e32 v2, vcc, v2, v7, vcc
.LBB95_99:
	s_mov_b64 s[36:37], 0
	s_mov_b64 s[0:1], -1
.LBB95_100:
	s_andn2_b64 vcc, exec, s[36:37]
	s_cbranch_vccnz .LBB95_111
; %bb.101:
	s_cmp_gt_i32 s39, 14
	s_cbranch_scc0 .LBB95_104
; %bb.102:
	s_cmp_eq_u32 s39, 15
	s_cbranch_scc0 .LBB95_105
; %bb.103:
	global_load_ushort v1, v[4:5], off
	s_mov_b32 s0, 0x2f800000
	s_mov_b32 s1, 0xcf800000
	s_mov_b64 s[40:41], 0
	s_waitcnt vmcnt(0)
	v_lshlrev_b32_e32 v1, 16, v1
	v_trunc_f32_e32 v1, v1
	v_mul_f32_e64 v2, |v1|, s0
	v_floor_f32_e32 v2, v2
	v_fma_f32 v6, v2, s1, |v1|
	v_cvt_u32_f32_e32 v6, v6
	v_cvt_u32_f32_e32 v2, v2
	v_ashrrev_i32_e32 v7, 31, v1
	s_mov_b64 s[0:1], -1
	v_xor_b32_e32 v1, v6, v7
	v_xor_b32_e32 v2, v2, v7
	v_sub_co_u32_e32 v1, vcc, v1, v7
	v_subb_co_u32_e32 v2, vcc, v2, v7, vcc
	s_branch .LBB95_106
.LBB95_104:
	s_mov_b64 s[36:37], -1
                                        ; implicit-def: $vgpr1_vgpr2
	s_branch .LBB95_107
.LBB95_105:
	s_mov_b64 s[40:41], -1
                                        ; implicit-def: $vgpr1_vgpr2
.LBB95_106:
	s_mov_b64 s[36:37], 0
.LBB95_107:
	s_and_b64 vcc, exec, s[36:37]
	s_cbranch_vccz .LBB95_111
; %bb.108:
	s_cmp_eq_u32 s39, 11
	s_cbranch_scc0 .LBB95_110
; %bb.109:
	global_load_ubyte v1, v[4:5], off
	s_mov_b32 s36, 0
	s_mov_b64 s[0:1], -1
	s_waitcnt vmcnt(1)
	v_mov_b32_e32 v2, s36
	s_mov_b64 s[40:41], 0
	s_waitcnt vmcnt(0)
	v_cmp_ne_u16_e32 vcc, 0, v1
	v_cndmask_b32_e64 v1, 0, 1, vcc
	s_branch .LBB95_111
.LBB95_110:
	s_mov_b64 s[40:41], -1
                                        ; implicit-def: $vgpr1_vgpr2
.LBB95_111:
	s_branch .LBB95_21
.LBB95_112:
	s_and_b32 s36, 0xffff, s38
	s_cmp_lt_i32 s36, 5
	s_cbranch_scc1 .LBB95_117
; %bb.113:
	s_cmp_lt_i32 s36, 8
	s_cbranch_scc1 .LBB95_118
; %bb.114:
	;; [unrolled: 3-line block ×3, first 2 shown]
	s_cmp_gt_i32 s36, 9
	s_cbranch_scc0 .LBB95_120
; %bb.116:
	global_load_dwordx2 v[1:2], v[4:5], off
	s_movk_i32 s0, 0xffe0
	s_waitcnt vmcnt(0)
	v_trunc_f64_e32 v[1:2], v[1:2]
	v_ldexp_f64 v[6:7], v[1:2], s0
	s_mov_b32 s0, 0
	s_mov_b32 s1, 0xc1f00000
	v_floor_f64_e32 v[6:7], v[6:7]
	v_fma_f64 v[8:9], v[6:7], s[0:1], v[1:2]
	v_cvt_i32_f64_e32 v2, v[6:7]
	s_mov_b64 s[0:1], 0
	v_cvt_u32_f64_e32 v1, v[8:9]
	s_branch .LBB95_121
.LBB95_117:
                                        ; implicit-def: $vgpr1_vgpr2
	s_branch .LBB95_139
.LBB95_118:
	s_mov_b64 s[0:1], -1
                                        ; implicit-def: $vgpr1_vgpr2
	s_branch .LBB95_127
.LBB95_119:
	s_mov_b64 s[0:1], -1
                                        ; implicit-def: $vgpr1_vgpr2
	s_branch .LBB95_124
.LBB95_120:
	s_mov_b64 s[0:1], -1
                                        ; implicit-def: $vgpr1_vgpr2
.LBB95_121:
	s_andn2_b64 vcc, exec, s[0:1]
	s_cbranch_vccnz .LBB95_123
; %bb.122:
	global_load_dword v1, v[4:5], off
	s_mov_b32 s0, 0x2f800000
	s_mov_b32 s1, 0xcf800000
	s_waitcnt vmcnt(0)
	v_trunc_f32_e32 v1, v1
	v_mul_f32_e64 v2, |v1|, s0
	v_floor_f32_e32 v2, v2
	v_cvt_u32_f32_e32 v6, v2
	v_fma_f32 v2, v2, s1, |v1|
	v_cvt_u32_f32_e32 v2, v2
	v_ashrrev_i32_e32 v7, 31, v1
	v_xor_b32_e32 v6, v6, v7
	v_xor_b32_e32 v1, v2, v7
	v_sub_co_u32_e32 v1, vcc, v1, v7
	v_subb_co_u32_e32 v2, vcc, v6, v7, vcc
.LBB95_123:
	s_mov_b64 s[0:1], 0
.LBB95_124:
	s_andn2_b64 vcc, exec, s[0:1]
	s_cbranch_vccnz .LBB95_126
; %bb.125:
	global_load_dword v1, v[4:5], off
	s_waitcnt vmcnt(0)
	v_cvt_f32_f16_e32 v1, v1
	v_cvt_i32_f32_e32 v1, v1
	v_ashrrev_i32_e32 v2, 31, v1
.LBB95_126:
	s_mov_b64 s[0:1], 0
.LBB95_127:
	s_andn2_b64 vcc, exec, s[0:1]
	s_cbranch_vccnz .LBB95_138
; %bb.128:
	s_cmp_lt_i32 s36, 6
	s_cbranch_scc1 .LBB95_131
; %bb.129:
	s_cmp_gt_i32 s36, 6
	s_cbranch_scc0 .LBB95_132
; %bb.130:
	global_load_dwordx2 v[1:2], v[4:5], off
	s_movk_i32 s0, 0xffe0
	s_waitcnt vmcnt(0)
	v_trunc_f64_e32 v[1:2], v[1:2]
	v_ldexp_f64 v[6:7], v[1:2], s0
	s_mov_b32 s0, 0
	s_mov_b32 s1, 0xc1f00000
	v_floor_f64_e32 v[6:7], v[6:7]
	v_fma_f64 v[8:9], v[6:7], s[0:1], v[1:2]
	v_cvt_i32_f64_e32 v2, v[6:7]
	s_mov_b64 s[0:1], 0
	v_cvt_u32_f64_e32 v1, v[8:9]
	s_branch .LBB95_133
.LBB95_131:
	s_mov_b64 s[0:1], -1
                                        ; implicit-def: $vgpr1_vgpr2
	s_branch .LBB95_136
.LBB95_132:
	s_mov_b64 s[0:1], -1
                                        ; implicit-def: $vgpr1_vgpr2
.LBB95_133:
	s_andn2_b64 vcc, exec, s[0:1]
	s_cbranch_vccnz .LBB95_135
; %bb.134:
	global_load_dword v1, v[4:5], off
	s_mov_b32 s0, 0x2f800000
	s_mov_b32 s1, 0xcf800000
	s_waitcnt vmcnt(0)
	v_trunc_f32_e32 v1, v1
	v_mul_f32_e64 v2, |v1|, s0
	v_floor_f32_e32 v2, v2
	v_cvt_u32_f32_e32 v6, v2
	v_fma_f32 v2, v2, s1, |v1|
	v_cvt_u32_f32_e32 v2, v2
	v_ashrrev_i32_e32 v7, 31, v1
	v_xor_b32_e32 v6, v6, v7
	v_xor_b32_e32 v1, v2, v7
	v_sub_co_u32_e32 v1, vcc, v1, v7
	v_subb_co_u32_e32 v2, vcc, v6, v7, vcc
.LBB95_135:
	s_mov_b64 s[0:1], 0
.LBB95_136:
	s_andn2_b64 vcc, exec, s[0:1]
	s_cbranch_vccnz .LBB95_138
; %bb.137:
	global_load_ushort v1, v[4:5], off
	s_waitcnt vmcnt(0)
	v_cvt_f32_f16_e32 v1, v1
	v_cvt_i32_f32_e32 v1, v1
	v_ashrrev_i32_e32 v2, 31, v1
.LBB95_138:
	s_cbranch_execnz .LBB95_158
.LBB95_139:
	s_cmp_lt_i32 s36, 2
	s_cbranch_scc1 .LBB95_143
; %bb.140:
	s_cmp_lt_i32 s36, 3
	s_cbranch_scc1 .LBB95_144
; %bb.141:
	s_cmp_gt_i32 s36, 3
	s_cbranch_scc0 .LBB95_145
; %bb.142:
	global_load_dwordx2 v[1:2], v[4:5], off
	s_mov_b64 s[0:1], 0
	s_branch .LBB95_146
.LBB95_143:
	s_mov_b64 s[0:1], -1
                                        ; implicit-def: $vgpr1_vgpr2
	s_branch .LBB95_152
.LBB95_144:
	s_mov_b64 s[0:1], -1
                                        ; implicit-def: $vgpr1_vgpr2
	s_branch .LBB95_149
.LBB95_145:
	s_mov_b64 s[0:1], -1
                                        ; implicit-def: $vgpr1_vgpr2
.LBB95_146:
	s_andn2_b64 vcc, exec, s[0:1]
	s_cbranch_vccnz .LBB95_148
; %bb.147:
	global_load_dword v1, v[4:5], off
	s_waitcnt vmcnt(0)
	v_ashrrev_i32_e32 v2, 31, v1
.LBB95_148:
	s_mov_b64 s[0:1], 0
.LBB95_149:
	s_andn2_b64 vcc, exec, s[0:1]
	s_cbranch_vccnz .LBB95_151
; %bb.150:
	global_load_ushort v1, v[4:5], off
	s_waitcnt vmcnt(0)
	v_bfe_i32 v1, v1, 0, 16
	v_ashrrev_i32_e32 v2, 31, v1
.LBB95_151:
	s_mov_b64 s[0:1], 0
.LBB95_152:
	s_andn2_b64 vcc, exec, s[0:1]
	s_cbranch_vccnz .LBB95_158
; %bb.153:
	s_cmp_gt_i32 s36, 0
	s_cbranch_scc0 .LBB95_155
; %bb.154:
	global_load_sbyte v1, v[4:5], off
	s_mov_b64 s[0:1], 0
	s_waitcnt vmcnt(0)
	v_bfe_i32 v1, v1, 0, 16
	v_ashrrev_i32_e32 v2, 31, v1
	s_branch .LBB95_156
.LBB95_155:
	s_mov_b64 s[0:1], -1
                                        ; implicit-def: $vgpr1_vgpr2
.LBB95_156:
	s_andn2_b64 vcc, exec, s[0:1]
	s_cbranch_vccnz .LBB95_158
; %bb.157:
	global_load_ubyte v1, v[4:5], off
	s_mov_b32 s0, 0
	s_waitcnt vmcnt(1)
	v_mov_b32_e32 v2, s0
	s_waitcnt vmcnt(0)
	v_and_b32_e32 v1, 0xffff, v1
.LBB95_158:
	s_branch .LBB95_22
.LBB95_159:
	s_mov_b64 s[0:1], 0
	s_mov_b64 s[38:39], 0
	s_branch .LBB95_384
.LBB95_160:
	s_mov_b64 s[38:39], -1
.LBB95_161:
	s_mov_b64 s[0:1], 0
                                        ; implicit-def: $vgpr5_vgpr6
.LBB95_162:
	s_and_b64 vcc, exec, s[36:37]
	s_cbranch_vccz .LBB95_278
; %bb.163:
	s_cmp_eq_u32 s45, 44
	s_cbranch_scc0 .LBB95_277
; %bb.164:
	global_load_ubyte v5, v[3:4], off
	s_mov_b32 s0, 0x2f800000
	s_mov_b32 s1, 0xcf800000
	s_mov_b64 s[38:39], 0
	s_waitcnt vmcnt(0)
	v_lshlrev_b32_e32 v6, 23, v5
	v_trunc_f32_e32 v6, v6
	v_mul_f32_e64 v7, |v6|, s0
	v_floor_f32_e32 v7, v7
	v_fma_f32 v8, v7, s1, |v6|
	v_cvt_u32_f32_e32 v8, v8
	v_cvt_u32_f32_e32 v7, v7
	v_ashrrev_i32_e32 v6, 31, v6
	s_mov_b64 s[0:1], -1
	v_xor_b32_e32 v8, v8, v6
	v_xor_b32_e32 v7, v7, v6
	v_sub_co_u32_e32 v8, vcc, v8, v6
	v_subb_co_u32_e32 v6, vcc, v7, v6, vcc
	v_cmp_ne_u32_e32 vcc, 0, v5
	v_cndmask_b32_e32 v6, 0, v6, vcc
	v_cndmask_b32_e32 v5, 0, v8, vcc
	s_branch .LBB95_278
.LBB95_165:
	s_mov_b64 s[44:45], -1
	s_mov_b64 s[0:1], 0
	s_mov_b64 s[36:37], 0
.LBB95_166:
	s_and_b64 vcc, exec, s[44:45]
	s_cbranch_vccz .LBB95_171
; %bb.167:
	s_cmp_eq_u32 s51, 44
	s_mov_b64 s[0:1], -1
	s_cbranch_scc0 .LBB95_171
; %bb.168:
	v_xor_b32_e32 v5, v1, v2
	v_ffbh_i32_e32 v0, v2
	v_ashrrev_i32_e32 v5, 31, v5
	v_add_u32_e32 v0, -1, v0
	v_add_u32_e32 v5, 32, v5
	v_min_u32_e32 v0, v0, v5
	v_lshlrev_b64 v[5:6], v0, v[1:2]
	v_sub_u32_e32 v0, 32, v0
	v_min_u32_e32 v5, 1, v5
	v_or_b32_e32 v5, v6, v5
	v_cvt_f32_i32_e32 v5, v5
	s_movk_i32 s0, 0xff
	v_mov_b32_e32 v6, 0xff
	v_ldexp_f32 v0, v5, v0
	v_bfe_u32 v5, v0, 23, 8
	v_cmp_ne_u32_e32 vcc, s0, v5
	s_and_saveexec_b64 s[36:37], vcc
; %bb.169:
	s_mov_b32 s0, 0x3fffff
	v_lshrrev_b32_e32 v6, 23, v0
	v_and_b32_e32 v7, 0x400000, v0
	v_and_or_b32 v0, v0, s0, v5
	v_cmp_ne_u32_e32 vcc, 0, v7
	v_cmp_ne_u32_e64 s[0:1], 0, v0
	s_and_b64 s[0:1], vcc, s[0:1]
	v_cndmask_b32_e64 v0, 0, 1, s[0:1]
	v_add_u32_e32 v6, v6, v0
; %bb.170:
	s_or_b64 exec, exec, s[36:37]
	s_mov_b64 s[36:37], -1
	s_mov_b64 s[0:1], 0
	global_store_byte v[3:4], v6, off
.LBB95_171:
	s_mov_b64 s[44:45], 0
.LBB95_172:
	s_and_b64 vcc, exec, s[44:45]
	s_cbranch_vccz .LBB95_175
; %bb.173:
	s_cmp_eq_u32 s51, 29
	s_mov_b64 s[0:1], -1
	s_cbranch_scc0 .LBB95_175
; %bb.174:
	global_store_dwordx2 v[3:4], v[1:2], off
	s_mov_b64 s[36:37], -1
	s_mov_b64 s[0:1], 0
.LBB95_175:
	s_mov_b64 s[44:45], 0
.LBB95_176:
	s_and_b64 vcc, exec, s[44:45]
	s_cbranch_vccz .LBB95_192
; %bb.177:
	s_cmp_lt_i32 s51, 27
	s_mov_b64 s[36:37], -1
	s_cbranch_scc1 .LBB95_183
; %bb.178:
	s_cmp_gt_i32 s51, 27
	s_cbranch_scc0 .LBB95_180
; %bb.179:
	s_mov_b64 s[36:37], 0
	global_store_dword v[3:4], v1, off
.LBB95_180:
	s_andn2_b64 vcc, exec, s[36:37]
	s_cbranch_vccnz .LBB95_182
; %bb.181:
	global_store_short v[3:4], v1, off
.LBB95_182:
	s_mov_b64 s[36:37], 0
.LBB95_183:
	s_andn2_b64 vcc, exec, s[36:37]
	s_cbranch_vccnz .LBB95_191
; %bb.184:
	v_xor_b32_e32 v5, v1, v2
	v_ffbh_i32_e32 v0, v2
	v_ashrrev_i32_e32 v5, 31, v5
	v_add_u32_e32 v0, -1, v0
	v_add_u32_e32 v5, 32, v5
	v_min_u32_e32 v0, v0, v5
	v_lshlrev_b64 v[5:6], v0, v[1:2]
	v_sub_u32_e32 v0, 32, v0
	v_min_u32_e32 v5, 1, v5
	v_or_b32_e32 v5, v6, v5
	v_cvt_f32_i32_e32 v5, v5
	s_mov_b32 s36, 0x43800000
	v_mov_b32_e32 v6, 0x80
	v_ldexp_f32 v0, v5, v0
	v_and_b32_e32 v5, 0x7fffffff, v0
	v_cmp_gt_u32_e32 vcc, s36, v5
	s_and_saveexec_b64 s[36:37], vcc
	s_cbranch_execz .LBB95_190
; %bb.185:
	s_mov_b32 s44, 0x3bffffff
	v_cmp_lt_u32_e32 vcc, s44, v5
	s_mov_b64 s[44:45], 0
                                        ; implicit-def: $vgpr5
	s_and_saveexec_b64 s[48:49], vcc
	s_xor_b64 s[48:49], exec, s[48:49]
	s_cbranch_execz .LBB95_426
; %bb.186:
	v_bfe_u32 v5, v0, 20, 1
	s_mov_b32 s52, 0x487ffff
	v_add3_u32 v5, v0, v5, s52
	s_mov_b64 s[44:45], exec
	v_lshrrev_b32_e32 v5, 20, v5
	s_andn2_saveexec_b64 s[48:49], s[48:49]
	s_cbranch_execnz .LBB95_427
.LBB95_187:
	s_or_b64 exec, exec, s[48:49]
	v_mov_b32_e32 v6, 0
	s_and_saveexec_b64 s[48:49], s[44:45]
.LBB95_188:
	v_lshrrev_b32_e32 v0, 24, v0
	s_movk_i32 s44, 0x80
	v_and_or_b32 v6, v0, s44, v5
.LBB95_189:
	s_or_b64 exec, exec, s[48:49]
.LBB95_190:
	s_or_b64 exec, exec, s[36:37]
	global_store_byte v[3:4], v6, off
.LBB95_191:
	s_mov_b64 s[36:37], -1
.LBB95_192:
	s_mov_b64 s[44:45], 0
.LBB95_193:
	s_and_b64 vcc, exec, s[44:45]
	s_cbranch_vccz .LBB95_234
; %bb.194:
	s_cmp_gt_i32 s51, 22
	s_mov_b64 s[44:45], -1
	s_cbranch_scc0 .LBB95_226
; %bb.195:
	s_cmp_lt_i32 s51, 24
	s_mov_b64 s[36:37], -1
	s_cbranch_scc1 .LBB95_215
; %bb.196:
	s_cmp_gt_i32 s51, 24
	s_cbranch_scc0 .LBB95_204
; %bb.197:
	v_xor_b32_e32 v5, v1, v2
	v_ffbh_i32_e32 v0, v2
	v_ashrrev_i32_e32 v5, 31, v5
	v_add_u32_e32 v0, -1, v0
	v_add_u32_e32 v5, 32, v5
	v_min_u32_e32 v0, v0, v5
	v_lshlrev_b64 v[5:6], v0, v[1:2]
	v_sub_u32_e32 v0, 32, v0
	v_min_u32_e32 v5, 1, v5
	v_or_b32_e32 v5, v6, v5
	v_cvt_f32_i32_e32 v5, v5
	s_mov_b32 s36, 0x47800000
	v_mov_b32_e32 v6, 0x80
	v_ldexp_f32 v0, v5, v0
	v_and_b32_e32 v5, 0x7fffffff, v0
	v_cmp_gt_u32_e32 vcc, s36, v5
	s_and_saveexec_b64 s[36:37], vcc
	s_cbranch_execz .LBB95_203
; %bb.198:
	s_mov_b32 s44, 0x37ffffff
	v_cmp_lt_u32_e32 vcc, s44, v5
	s_mov_b64 s[44:45], 0
                                        ; implicit-def: $vgpr5
	s_and_saveexec_b64 s[48:49], vcc
	s_xor_b64 s[48:49], exec, s[48:49]
	s_cbranch_execz .LBB95_541
; %bb.199:
	v_bfe_u32 v5, v0, 21, 1
	s_mov_b32 s52, 0x88fffff
	v_add3_u32 v5, v0, v5, s52
	s_mov_b64 s[44:45], exec
	v_lshrrev_b32_e32 v5, 21, v5
	s_andn2_saveexec_b64 s[48:49], s[48:49]
	s_cbranch_execnz .LBB95_542
.LBB95_200:
	s_or_b64 exec, exec, s[48:49]
	v_mov_b32_e32 v6, 0
	s_and_saveexec_b64 s[48:49], s[44:45]
.LBB95_201:
	v_lshrrev_b32_e32 v0, 24, v0
	s_movk_i32 s44, 0x80
	v_and_or_b32 v6, v0, s44, v5
.LBB95_202:
	s_or_b64 exec, exec, s[48:49]
.LBB95_203:
	s_or_b64 exec, exec, s[36:37]
	s_mov_b64 s[36:37], 0
	global_store_byte v[3:4], v6, off
.LBB95_204:
	s_and_b64 vcc, exec, s[36:37]
	s_cbranch_vccz .LBB95_214
; %bb.205:
	v_xor_b32_e32 v5, v1, v2
	v_ffbh_i32_e32 v0, v2
	v_ashrrev_i32_e32 v5, 31, v5
	v_add_u32_e32 v0, -1, v0
	v_add_u32_e32 v5, 32, v5
	v_min_u32_e32 v0, v0, v5
	v_lshlrev_b64 v[5:6], v0, v[1:2]
	v_sub_u32_e32 v0, 32, v0
	v_min_u32_e32 v5, 1, v5
	v_or_b32_e32 v5, v6, v5
	v_cvt_f32_i32_e32 v5, v5
	s_mov_b32 s36, 0x43f00000
	v_ldexp_f32 v0, v5, v0
	v_and_b32_e32 v6, 0x7fffffff, v0
	v_cmp_gt_u32_e32 vcc, s36, v6
                                        ; implicit-def: $vgpr5
	s_and_saveexec_b64 s[36:37], vcc
	s_xor_b64 s[36:37], exec, s[36:37]
	s_cbranch_execz .LBB95_211
; %bb.206:
	s_mov_b32 s44, 0x3c7fffff
	v_cmp_lt_u32_e32 vcc, s44, v6
                                        ; implicit-def: $vgpr5
	s_and_saveexec_b64 s[44:45], vcc
	s_xor_b64 s[44:45], exec, s[44:45]
; %bb.207:
	v_bfe_u32 v5, v0, 20, 1
	s_mov_b32 s48, 0x407ffff
	v_add3_u32 v5, v0, v5, s48
	v_lshrrev_b32_e32 v6, 20, v5
	v_and_b32_e32 v5, 0xff00000, v5
	s_mov_b32 s48, 0x7f00000
	v_mov_b32_e32 v7, 0x7e
	v_cmp_ne_u32_e32 vcc, s48, v5
	v_cndmask_b32_e32 v5, v7, v6, vcc
; %bb.208:
	s_andn2_saveexec_b64 s[44:45], s[44:45]
; %bb.209:
	s_mov_b32 s48, 0x46800000
	v_add_f32_e64 v5, |v0|, s48
; %bb.210:
	s_or_b64 exec, exec, s[44:45]
                                        ; implicit-def: $vgpr6
.LBB95_211:
	s_andn2_saveexec_b64 s[36:37], s[36:37]
; %bb.212:
	s_mov_b32 s44, 0x7f800000
	v_mov_b32_e32 v5, 0x7e
	v_mov_b32_e32 v7, 0x7f
	v_cmp_lt_u32_e32 vcc, s44, v6
	v_cndmask_b32_e32 v5, v5, v7, vcc
; %bb.213:
	s_or_b64 exec, exec, s[36:37]
	v_lshrrev_b32_e32 v0, 24, v0
	s_movk_i32 s36, 0x80
	v_and_or_b32 v0, v0, s36, v5
	global_store_byte v[3:4], v0, off
.LBB95_214:
	s_mov_b64 s[36:37], 0
.LBB95_215:
	s_andn2_b64 vcc, exec, s[36:37]
	s_cbranch_vccnz .LBB95_225
; %bb.216:
	v_xor_b32_e32 v5, v1, v2
	v_ffbh_i32_e32 v0, v2
	v_ashrrev_i32_e32 v5, 31, v5
	v_add_u32_e32 v0, -1, v0
	v_add_u32_e32 v5, 32, v5
	v_min_u32_e32 v0, v0, v5
	v_lshlrev_b64 v[5:6], v0, v[1:2]
	v_sub_u32_e32 v0, 32, v0
	v_min_u32_e32 v5, 1, v5
	v_or_b32_e32 v5, v6, v5
	v_cvt_f32_i32_e32 v5, v5
	s_mov_b32 s36, 0x47800000
	v_ldexp_f32 v0, v5, v0
	v_and_b32_e32 v6, 0x7fffffff, v0
	v_cmp_gt_u32_e32 vcc, s36, v6
                                        ; implicit-def: $vgpr5
	s_and_saveexec_b64 s[36:37], vcc
	s_xor_b64 s[36:37], exec, s[36:37]
	s_cbranch_execz .LBB95_222
; %bb.217:
	s_mov_b32 s44, 0x387fffff
	v_cmp_lt_u32_e32 vcc, s44, v6
                                        ; implicit-def: $vgpr5
	s_and_saveexec_b64 s[44:45], vcc
	s_xor_b64 s[44:45], exec, s[44:45]
; %bb.218:
	v_bfe_u32 v5, v0, 21, 1
	s_mov_b32 s48, 0x80fffff
	v_add3_u32 v5, v0, v5, s48
	v_lshrrev_b32_e32 v5, 21, v5
; %bb.219:
	s_andn2_saveexec_b64 s[44:45], s[44:45]
; %bb.220:
	s_mov_b32 s48, 0x43000000
	v_add_f32_e64 v5, |v0|, s48
; %bb.221:
	s_or_b64 exec, exec, s[44:45]
                                        ; implicit-def: $vgpr6
.LBB95_222:
	s_andn2_saveexec_b64 s[36:37], s[36:37]
; %bb.223:
	s_mov_b32 s44, 0x7f800000
	v_mov_b32_e32 v5, 0x7c
	v_mov_b32_e32 v7, 0x7f
	v_cmp_lt_u32_e32 vcc, s44, v6
	v_cndmask_b32_e32 v5, v5, v7, vcc
; %bb.224:
	s_or_b64 exec, exec, s[36:37]
	v_lshrrev_b32_e32 v0, 24, v0
	s_movk_i32 s36, 0x80
	v_and_or_b32 v0, v0, s36, v5
	global_store_byte v[3:4], v0, off
.LBB95_225:
	s_mov_b64 s[44:45], 0
	s_mov_b64 s[36:37], -1
.LBB95_226:
	s_andn2_b64 vcc, exec, s[44:45]
	s_cbranch_vccnz .LBB95_234
; %bb.227:
	s_cmp_gt_i32 s51, 14
	s_mov_b64 s[44:45], -1
	s_cbranch_scc0 .LBB95_231
; %bb.228:
	s_cmp_eq_u32 s51, 15
	s_mov_b64 s[0:1], -1
	s_cbranch_scc0 .LBB95_230
; %bb.229:
	v_xor_b32_e32 v5, v1, v2
	v_ffbh_i32_e32 v0, v2
	v_ashrrev_i32_e32 v5, 31, v5
	v_add_u32_e32 v0, -1, v0
	v_add_u32_e32 v5, 32, v5
	v_min_u32_e32 v0, v0, v5
	v_lshlrev_b64 v[5:6], v0, v[1:2]
	v_sub_u32_e32 v0, 32, v0
	v_min_u32_e32 v5, 1, v5
	v_or_b32_e32 v5, v6, v5
	v_cvt_f32_i32_e32 v5, v5
	s_movk_i32 s0, 0x7fff
	s_mov_b64 s[36:37], -1
	v_ldexp_f32 v0, v5, v0
	v_bfe_u32 v5, v0, 16, 1
	v_add3_u32 v0, v0, v5, s0
	global_store_short_d16_hi v[3:4], v0, off
	s_mov_b64 s[0:1], 0
.LBB95_230:
	s_mov_b64 s[44:45], 0
.LBB95_231:
	s_and_b64 vcc, exec, s[44:45]
	s_cbranch_vccz .LBB95_234
; %bb.232:
	s_cmp_eq_u32 s51, 11
	s_mov_b64 s[0:1], -1
	s_cbranch_scc0 .LBB95_234
; %bb.233:
	v_cmp_ne_u64_e32 vcc, 0, v[1:2]
	s_mov_b64 s[0:1], 0
	v_cndmask_b32_e64 v0, 0, 1, vcc
	s_mov_b64 s[36:37], -1
	global_store_byte v[3:4], v0, off
.LBB95_234:
	s_mov_b64 s[44:45], 0
.LBB95_235:
	s_and_b64 vcc, exec, s[44:45]
	s_cbranch_vccz .LBB95_274
; %bb.236:
	s_and_b32 s44, 0xffff, s50
	s_cmp_lt_i32 s44, 5
	s_mov_b64 s[36:37], -1
	s_cbranch_scc1 .LBB95_257
; %bb.237:
	s_cmp_lt_i32 s44, 8
	s_cbranch_scc1 .LBB95_247
; %bb.238:
	s_cmp_lt_i32 s44, 9
	s_cbranch_scc1 .LBB95_244
; %bb.239:
	s_cmp_gt_i32 s44, 9
	s_cbranch_scc0 .LBB95_241
; %bb.240:
	v_cvt_f64_i32_e32 v[5:6], v2
	v_cvt_f64_u32_e32 v[7:8], v1
	s_mov_b64 s[36:37], 0
	v_ldexp_f64 v[5:6], v[5:6], 32
	v_add_f64 v[5:6], v[5:6], v[7:8]
	v_mov_b32_e32 v7, 0
	v_mov_b32_e32 v8, v7
	global_store_dwordx4 v[3:4], v[5:8], off
.LBB95_241:
	s_andn2_b64 vcc, exec, s[36:37]
	s_cbranch_vccnz .LBB95_243
; %bb.242:
	v_xor_b32_e32 v5, v1, v2
	v_ffbh_i32_e32 v0, v2
	v_ashrrev_i32_e32 v5, 31, v5
	v_add_u32_e32 v0, -1, v0
	v_add_u32_e32 v5, 32, v5
	v_min_u32_e32 v0, v0, v5
	v_lshlrev_b64 v[5:6], v0, v[1:2]
	v_sub_u32_e32 v0, 32, v0
	v_min_u32_e32 v5, 1, v5
	v_or_b32_e32 v5, v6, v5
	v_cvt_f32_i32_e32 v5, v5
	v_mov_b32_e32 v6, 0
	v_ldexp_f32 v5, v5, v0
	global_store_dwordx2 v[3:4], v[5:6], off
.LBB95_243:
	s_mov_b64 s[36:37], 0
.LBB95_244:
	s_andn2_b64 vcc, exec, s[36:37]
	s_cbranch_vccnz .LBB95_246
; %bb.245:
	v_xor_b32_e32 v5, v1, v2
	v_ffbh_i32_e32 v0, v2
	v_ashrrev_i32_e32 v5, 31, v5
	v_add_u32_e32 v0, -1, v0
	v_add_u32_e32 v5, 32, v5
	v_min_u32_e32 v0, v0, v5
	v_lshlrev_b64 v[5:6], v0, v[1:2]
	v_sub_u32_e32 v0, 32, v0
	v_min_u32_e32 v5, 1, v5
	v_or_b32_e32 v5, v6, v5
	v_cvt_f32_i32_e32 v5, v5
	v_ldexp_f32 v0, v5, v0
	v_cvt_f16_f32_e32 v0, v0
	global_store_dword v[3:4], v0, off
.LBB95_246:
	s_mov_b64 s[36:37], 0
.LBB95_247:
	s_andn2_b64 vcc, exec, s[36:37]
	s_cbranch_vccnz .LBB95_256
; %bb.248:
	s_cmp_lt_i32 s44, 6
	s_mov_b64 s[36:37], -1
	s_cbranch_scc1 .LBB95_254
; %bb.249:
	s_cmp_gt_i32 s44, 6
	s_cbranch_scc0 .LBB95_251
; %bb.250:
	v_cvt_f64_i32_e32 v[5:6], v2
	v_cvt_f64_u32_e32 v[7:8], v1
	s_mov_b64 s[36:37], 0
	v_ldexp_f64 v[5:6], v[5:6], 32
	v_add_f64 v[5:6], v[5:6], v[7:8]
	global_store_dwordx2 v[3:4], v[5:6], off
.LBB95_251:
	s_andn2_b64 vcc, exec, s[36:37]
	s_cbranch_vccnz .LBB95_253
; %bb.252:
	v_xor_b32_e32 v5, v1, v2
	v_ffbh_i32_e32 v0, v2
	v_ashrrev_i32_e32 v5, 31, v5
	v_add_u32_e32 v0, -1, v0
	v_add_u32_e32 v5, 32, v5
	v_min_u32_e32 v0, v0, v5
	v_lshlrev_b64 v[5:6], v0, v[1:2]
	v_sub_u32_e32 v0, 32, v0
	v_min_u32_e32 v5, 1, v5
	v_or_b32_e32 v5, v6, v5
	v_cvt_f32_i32_e32 v5, v5
	v_ldexp_f32 v0, v5, v0
	global_store_dword v[3:4], v0, off
.LBB95_253:
	s_mov_b64 s[36:37], 0
.LBB95_254:
	s_andn2_b64 vcc, exec, s[36:37]
	s_cbranch_vccnz .LBB95_256
; %bb.255:
	v_xor_b32_e32 v5, v1, v2
	v_ffbh_i32_e32 v0, v2
	v_ashrrev_i32_e32 v5, 31, v5
	v_add_u32_e32 v0, -1, v0
	v_add_u32_e32 v5, 32, v5
	v_min_u32_e32 v0, v0, v5
	v_lshlrev_b64 v[5:6], v0, v[1:2]
	v_sub_u32_e32 v0, 32, v0
	v_min_u32_e32 v5, 1, v5
	v_or_b32_e32 v5, v6, v5
	v_cvt_f32_i32_e32 v5, v5
	v_ldexp_f32 v0, v5, v0
	v_cvt_f16_f32_e32 v0, v0
	global_store_short v[3:4], v0, off
.LBB95_256:
	s_mov_b64 s[36:37], 0
.LBB95_257:
	s_andn2_b64 vcc, exec, s[36:37]
	s_cbranch_vccnz .LBB95_273
; %bb.258:
	s_cmp_lt_i32 s44, 2
	s_mov_b64 s[36:37], -1
	s_cbranch_scc1 .LBB95_268
; %bb.259:
	s_cmp_lt_i32 s44, 3
	s_cbranch_scc1 .LBB95_265
; %bb.260:
	s_cmp_gt_i32 s44, 3
	s_cbranch_scc0 .LBB95_262
; %bb.261:
	global_store_dwordx2 v[3:4], v[1:2], off
	s_mov_b64 s[36:37], 0
.LBB95_262:
	s_andn2_b64 vcc, exec, s[36:37]
	s_cbranch_vccnz .LBB95_264
; %bb.263:
	global_store_dword v[3:4], v1, off
.LBB95_264:
	s_mov_b64 s[36:37], 0
.LBB95_265:
	s_andn2_b64 vcc, exec, s[36:37]
	s_cbranch_vccnz .LBB95_267
; %bb.266:
	global_store_short v[3:4], v1, off
.LBB95_267:
	s_mov_b64 s[36:37], 0
.LBB95_268:
	s_andn2_b64 vcc, exec, s[36:37]
	s_cbranch_vccnz .LBB95_273
; %bb.269:
	s_cmp_gt_i32 s44, 0
	s_mov_b64 s[36:37], -1
	s_cbranch_scc0 .LBB95_271
; %bb.270:
	global_store_byte v[3:4], v1, off
	s_mov_b64 s[36:37], 0
.LBB95_271:
	s_andn2_b64 vcc, exec, s[36:37]
	s_cbranch_vccnz .LBB95_273
; %bb.272:
	global_store_byte v[3:4], v1, off
.LBB95_273:
	s_mov_b64 s[36:37], -1
.LBB95_274:
	s_andn2_b64 vcc, exec, s[36:37]
	s_cbranch_vccnz .LBB95_276
; %bb.275:
	v_add_u32_e32 v10, 0x80, v10
	s_mov_b64 s[44:45], -1
	s_branch .LBB95_385
.LBB95_276:
	s_mov_b64 s[44:45], 0
                                        ; implicit-def: $vgpr10
	s_branch .LBB95_385
.LBB95_277:
	s_mov_b64 s[38:39], -1
                                        ; implicit-def: $vgpr5_vgpr6
.LBB95_278:
	s_mov_b64 s[36:37], 0
.LBB95_279:
	s_and_b64 vcc, exec, s[36:37]
	s_cbranch_vccz .LBB95_283
; %bb.280:
	s_cmp_eq_u32 s45, 29
	s_cbranch_scc0 .LBB95_282
; %bb.281:
	global_load_dwordx2 v[5:6], v[3:4], off
	s_mov_b64 s[0:1], -1
	s_mov_b64 s[38:39], 0
	s_branch .LBB95_283
.LBB95_282:
	s_mov_b64 s[38:39], -1
                                        ; implicit-def: $vgpr5_vgpr6
.LBB95_283:
	s_mov_b64 s[36:37], 0
.LBB95_284:
	s_and_b64 vcc, exec, s[36:37]
	s_cbranch_vccz .LBB95_302
; %bb.285:
	s_cmp_lt_i32 s45, 27
	s_cbranch_scc1 .LBB95_288
; %bb.286:
	s_cmp_gt_i32 s45, 27
	s_cbranch_scc0 .LBB95_289
; %bb.287:
	global_load_dword v5, v[3:4], off
	s_waitcnt vmcnt(1)
	v_mov_b32_e32 v6, 0
	s_mov_b64 s[0:1], 0
	s_branch .LBB95_290
.LBB95_288:
	s_mov_b64 s[0:1], -1
                                        ; implicit-def: $vgpr5_vgpr6
	s_branch .LBB95_293
.LBB95_289:
	s_mov_b64 s[0:1], -1
                                        ; implicit-def: $vgpr5_vgpr6
.LBB95_290:
	s_andn2_b64 vcc, exec, s[0:1]
	s_cbranch_vccnz .LBB95_292
; %bb.291:
	global_load_ushort v5, v[3:4], off
	s_mov_b32 s0, 0
	s_waitcnt vmcnt(1)
	v_mov_b32_e32 v6, s0
	s_waitcnt vmcnt(0)
	v_and_b32_e32 v5, 0xffff, v5
.LBB95_292:
	s_mov_b64 s[0:1], 0
.LBB95_293:
	s_andn2_b64 vcc, exec, s[0:1]
	s_cbranch_vccnz .LBB95_301
; %bb.294:
	global_load_ubyte v7, v[3:4], off
	s_movk_i32 s0, 0x7f
	s_mov_b64 s[36:37], 0
	s_waitcnt vmcnt(0)
	v_cmp_lt_i16_e32 vcc, s0, v7
	s_and_saveexec_b64 s[0:1], vcc
	s_xor_b64 s[0:1], exec, s[0:1]
; %bb.295:
	s_movk_i32 s36, 0x80
	v_cmp_ne_u16_e32 vcc, s36, v7
	s_and_b64 s[36:37], vcc, exec
; %bb.296:
	s_andn2_saveexec_b64 s[0:1], s[0:1]
; %bb.297:
	v_cmp_ne_u16_e32 vcc, 0, v7
	s_andn2_b64 s[36:37], s[36:37], exec
	s_and_b64 s[48:49], vcc, exec
	s_or_b64 s[36:37], s[36:37], s[48:49]
; %bb.298:
	s_or_b64 exec, exec, s[0:1]
	v_mov_b32_e32 v5, 0
	v_mov_b32_e32 v6, 0
	s_and_saveexec_b64 s[0:1], s[36:37]
	s_cbranch_execz .LBB95_300
; %bb.299:
	v_and_b32_e32 v6, 0xffff, v7
	v_lshlrev_b32_e32 v5, 24, v7
	v_and_b32_e32 v7, 7, v6
	v_ffbh_u32_e32 v9, v7
	v_min_u32_e32 v9, 32, v9
	v_subrev_u32_e32 v11, 28, v9
	v_bfe_u32 v8, v6, 3, 4
	v_lshlrev_b32_e32 v6, v11, v6
	v_sub_u32_e32 v9, 29, v9
	v_and_b32_e32 v6, 7, v6
	v_cmp_eq_u32_e32 vcc, 0, v8
	v_cndmask_b32_e32 v8, v8, v9, vcc
	v_cndmask_b32_e32 v6, v7, v6, vcc
	v_mov_b32_e32 v7, 0x3b800000
	v_lshlrev_b32_e32 v6, 20, v6
	v_and_b32_e32 v5, 0x80000000, v5
	v_lshl_add_u32 v7, v8, 23, v7
	v_or3_b32 v5, v5, v7, v6
	v_trunc_f32_e32 v5, v5
	s_mov_b32 s36, 0x2f800000
	v_mul_f32_e64 v6, |v5|, s36
	v_floor_f32_e32 v6, v6
	s_mov_b32 s36, 0xcf800000
	v_fma_f32 v7, v6, s36, |v5|
	v_cvt_u32_f32_e32 v7, v7
	v_cvt_u32_f32_e32 v6, v6
	v_ashrrev_i32_e32 v8, 31, v5
	v_xor_b32_e32 v5, v7, v8
	v_xor_b32_e32 v6, v6, v8
	v_sub_co_u32_e32 v5, vcc, v5, v8
	v_subb_co_u32_e32 v6, vcc, v6, v8, vcc
.LBB95_300:
	s_or_b64 exec, exec, s[0:1]
.LBB95_301:
	s_mov_b64 s[0:1], -1
.LBB95_302:
	s_mov_b64 s[36:37], 0
.LBB95_303:
	s_and_b64 vcc, exec, s[36:37]
	s_cbranch_vccz .LBB95_334
; %bb.304:
	s_cmp_gt_i32 s45, 22
	s_cbranch_scc0 .LBB95_314
; %bb.305:
	s_cmp_lt_i32 s45, 24
	s_cbranch_scc1 .LBB95_315
; %bb.306:
	s_cmp_gt_i32 s45, 24
	s_cbranch_scc0 .LBB95_316
; %bb.307:
	global_load_ubyte v7, v[3:4], off
	s_movk_i32 s0, 0x7f
	s_mov_b64 s[36:37], 0
	s_waitcnt vmcnt(0)
	v_cmp_lt_i16_e32 vcc, s0, v7
	s_and_saveexec_b64 s[0:1], vcc
	s_xor_b64 s[0:1], exec, s[0:1]
; %bb.308:
	s_movk_i32 s36, 0x80
	v_cmp_ne_u16_e32 vcc, s36, v7
	s_and_b64 s[36:37], vcc, exec
; %bb.309:
	s_andn2_saveexec_b64 s[0:1], s[0:1]
; %bb.310:
	v_cmp_ne_u16_e32 vcc, 0, v7
	s_andn2_b64 s[36:37], s[36:37], exec
	s_and_b64 s[48:49], vcc, exec
	s_or_b64 s[36:37], s[36:37], s[48:49]
; %bb.311:
	s_or_b64 exec, exec, s[0:1]
	v_mov_b32_e32 v5, 0
	v_mov_b32_e32 v6, 0
	s_and_saveexec_b64 s[0:1], s[36:37]
	s_cbranch_execz .LBB95_313
; %bb.312:
	v_and_b32_e32 v6, 0xffff, v7
	v_lshlrev_b32_e32 v5, 24, v7
	v_and_b32_e32 v7, 3, v6
	v_ffbh_u32_e32 v9, v7
	v_min_u32_e32 v9, 32, v9
	v_subrev_u32_e32 v11, 29, v9
	v_bfe_u32 v8, v6, 2, 5
	v_lshlrev_b32_e32 v6, v11, v6
	v_sub_u32_e32 v9, 30, v9
	v_and_b32_e32 v6, 3, v6
	v_cmp_eq_u32_e32 vcc, 0, v8
	v_cndmask_b32_e32 v8, v8, v9, vcc
	v_cndmask_b32_e32 v6, v7, v6, vcc
	v_mov_b32_e32 v7, 0x37800000
	v_lshlrev_b32_e32 v6, 21, v6
	v_and_b32_e32 v5, 0x80000000, v5
	v_lshl_add_u32 v7, v8, 23, v7
	v_or3_b32 v5, v5, v7, v6
	v_trunc_f32_e32 v5, v5
	s_mov_b32 s36, 0x2f800000
	v_mul_f32_e64 v6, |v5|, s36
	v_floor_f32_e32 v6, v6
	s_mov_b32 s36, 0xcf800000
	v_fma_f32 v7, v6, s36, |v5|
	v_cvt_u32_f32_e32 v7, v7
	v_cvt_u32_f32_e32 v6, v6
	v_ashrrev_i32_e32 v8, 31, v5
	v_xor_b32_e32 v5, v7, v8
	v_xor_b32_e32 v6, v6, v8
	v_sub_co_u32_e32 v5, vcc, v5, v8
	v_subb_co_u32_e32 v6, vcc, v6, v8, vcc
.LBB95_313:
	s_or_b64 exec, exec, s[0:1]
	s_mov_b64 s[0:1], 0
	s_branch .LBB95_317
.LBB95_314:
	s_mov_b64 s[36:37], -1
                                        ; implicit-def: $vgpr5_vgpr6
	s_branch .LBB95_323
.LBB95_315:
	s_mov_b64 s[0:1], -1
                                        ; implicit-def: $vgpr5_vgpr6
	s_branch .LBB95_320
.LBB95_316:
	s_mov_b64 s[0:1], -1
                                        ; implicit-def: $vgpr5_vgpr6
.LBB95_317:
	s_and_b64 vcc, exec, s[0:1]
	s_cbranch_vccz .LBB95_319
; %bb.318:
	global_load_ubyte v5, v[3:4], off
	s_mov_b32 s0, 0x7f800000
	s_brev_b32 s1, 1
	s_mov_b32 s36, 0x2f800000
	s_mov_b32 s37, 0xcf800000
	s_waitcnt vmcnt(0)
	v_lshlrev_b32_e32 v5, 24, v5
	v_and_b32_e32 v6, 0x7f000000, v5
	v_ffbh_u32_e32 v7, v6
	v_min_u32_e32 v7, 32, v7
	v_sub_u32_e64 v7, v7, 4 clamp
	v_lshlrev_b32_e32 v9, v7, v6
	v_lshlrev_b32_e32 v7, 23, v7
	v_lshrrev_b32_e32 v9, 4, v9
	v_add_u32_e32 v8, 0x1000000, v6
	v_sub_u32_e32 v7, v9, v7
	v_ashrrev_i32_e32 v8, 8, v8
	v_add_u32_e32 v7, 0x3c000000, v7
	v_and_or_b32 v7, v8, s0, v7
	v_cmp_ne_u32_e32 vcc, 0, v6
	v_cndmask_b32_e32 v6, 0, v7, vcc
	v_and_or_b32 v5, v5, s1, v6
	v_trunc_f32_e32 v5, v5
	v_mul_f32_e64 v6, |v5|, s36
	v_floor_f32_e32 v6, v6
	v_fma_f32 v7, v6, s37, |v5|
	v_cvt_u32_f32_e32 v7, v7
	v_cvt_u32_f32_e32 v6, v6
	v_ashrrev_i32_e32 v8, 31, v5
	v_xor_b32_e32 v5, v7, v8
	v_xor_b32_e32 v6, v6, v8
	v_sub_co_u32_e32 v5, vcc, v5, v8
	v_subb_co_u32_e32 v6, vcc, v6, v8, vcc
.LBB95_319:
	s_mov_b64 s[0:1], 0
.LBB95_320:
	s_andn2_b64 vcc, exec, s[0:1]
	s_cbranch_vccnz .LBB95_322
; %bb.321:
	global_load_ubyte v5, v[3:4], off
	s_movk_i32 s0, 0x7f00
	s_brev_b32 s1, 16
	s_brev_b32 s36, 1
	s_mov_b32 s37, 0x2f800000
	s_mov_b32 s48, 0xcf800000
	s_waitcnt vmcnt(0)
	v_lshlrev_b16_e32 v6, 8, v5
	v_lshlrev_b32_e32 v5, 25, v5
	v_lshrrev_b32_e32 v7, 4, v5
	v_and_or_b32 v8, v6, s0, 0.5
	v_or_b32_e32 v7, 0x70000000, v7
	v_add_f32_e32 v8, -0.5, v8
	v_mul_f32_e32 v7, 0x7800000, v7
	v_cmp_gt_u32_e32 vcc, s1, v5
	v_bfe_i32 v6, v6, 0, 16
	v_cndmask_b32_e32 v5, v7, v8, vcc
	v_and_or_b32 v5, v6, s36, v5
	v_trunc_f32_e32 v5, v5
	v_mul_f32_e64 v6, |v5|, s37
	v_floor_f32_e32 v6, v6
	v_fma_f32 v7, v6, s48, |v5|
	v_cvt_u32_f32_e32 v7, v7
	v_cvt_u32_f32_e32 v6, v6
	v_ashrrev_i32_e32 v8, 31, v5
	v_xor_b32_e32 v5, v7, v8
	v_xor_b32_e32 v6, v6, v8
	v_sub_co_u32_e32 v5, vcc, v5, v8
	v_subb_co_u32_e32 v6, vcc, v6, v8, vcc
.LBB95_322:
	s_mov_b64 s[36:37], 0
	s_mov_b64 s[0:1], -1
.LBB95_323:
	s_andn2_b64 vcc, exec, s[36:37]
	s_cbranch_vccnz .LBB95_334
; %bb.324:
	s_cmp_gt_i32 s45, 14
	s_cbranch_scc0 .LBB95_327
; %bb.325:
	s_cmp_eq_u32 s45, 15
	s_cbranch_scc0 .LBB95_328
; %bb.326:
	global_load_ushort v5, v[3:4], off
	s_mov_b32 s0, 0x2f800000
	s_mov_b32 s1, 0xcf800000
	s_mov_b64 s[38:39], 0
	s_waitcnt vmcnt(0)
	v_lshlrev_b32_e32 v5, 16, v5
	v_trunc_f32_e32 v5, v5
	v_mul_f32_e64 v6, |v5|, s0
	v_floor_f32_e32 v6, v6
	v_fma_f32 v7, v6, s1, |v5|
	v_cvt_u32_f32_e32 v7, v7
	v_cvt_u32_f32_e32 v6, v6
	v_ashrrev_i32_e32 v8, 31, v5
	s_mov_b64 s[0:1], -1
	v_xor_b32_e32 v5, v7, v8
	v_xor_b32_e32 v6, v6, v8
	v_sub_co_u32_e32 v5, vcc, v5, v8
	v_subb_co_u32_e32 v6, vcc, v6, v8, vcc
	s_branch .LBB95_329
.LBB95_327:
	s_mov_b64 s[36:37], -1
                                        ; implicit-def: $vgpr5_vgpr6
	s_branch .LBB95_330
.LBB95_328:
	s_mov_b64 s[38:39], -1
                                        ; implicit-def: $vgpr5_vgpr6
.LBB95_329:
	s_mov_b64 s[36:37], 0
.LBB95_330:
	s_and_b64 vcc, exec, s[36:37]
	s_cbranch_vccz .LBB95_334
; %bb.331:
	s_cmp_eq_u32 s45, 11
	s_cbranch_scc0 .LBB95_333
; %bb.332:
	global_load_ubyte v5, v[3:4], off
	s_mov_b32 s36, 0
	s_mov_b64 s[0:1], -1
	s_waitcnt vmcnt(1)
	v_mov_b32_e32 v6, s36
	s_mov_b64 s[38:39], 0
	s_waitcnt vmcnt(0)
	v_cmp_ne_u16_e32 vcc, 0, v5
	v_cndmask_b32_e64 v5, 0, 1, vcc
	s_branch .LBB95_334
.LBB95_333:
	s_mov_b64 s[38:39], -1
                                        ; implicit-def: $vgpr5_vgpr6
.LBB95_334:
	s_branch .LBB95_31
.LBB95_335:
	s_and_b32 s36, 0xffff, s44
	s_cmp_lt_i32 s36, 5
	s_cbranch_scc1 .LBB95_340
; %bb.336:
	s_cmp_lt_i32 s36, 8
	s_cbranch_scc1 .LBB95_341
; %bb.337:
	;; [unrolled: 3-line block ×3, first 2 shown]
	s_cmp_gt_i32 s36, 9
	s_cbranch_scc0 .LBB95_343
; %bb.339:
	global_load_dwordx2 v[5:6], v[3:4], off
	s_movk_i32 s0, 0xffe0
	s_waitcnt vmcnt(0)
	v_trunc_f64_e32 v[5:6], v[5:6]
	v_ldexp_f64 v[7:8], v[5:6], s0
	s_mov_b32 s0, 0
	s_mov_b32 s1, 0xc1f00000
	v_floor_f64_e32 v[7:8], v[7:8]
	v_fma_f64 v[11:12], v[7:8], s[0:1], v[5:6]
	v_cvt_i32_f64_e32 v6, v[7:8]
	s_mov_b64 s[0:1], 0
	v_cvt_u32_f64_e32 v5, v[11:12]
	s_branch .LBB95_344
.LBB95_340:
	s_mov_b64 s[0:1], -1
                                        ; implicit-def: $vgpr5_vgpr6
	s_branch .LBB95_362
.LBB95_341:
	s_mov_b64 s[0:1], -1
                                        ; implicit-def: $vgpr5_vgpr6
	s_branch .LBB95_350
.LBB95_342:
	s_mov_b64 s[0:1], -1
                                        ; implicit-def: $vgpr5_vgpr6
	s_branch .LBB95_347
.LBB95_343:
	s_mov_b64 s[0:1], -1
                                        ; implicit-def: $vgpr5_vgpr6
.LBB95_344:
	s_andn2_b64 vcc, exec, s[0:1]
	s_cbranch_vccnz .LBB95_346
; %bb.345:
	global_load_dword v5, v[3:4], off
	s_mov_b32 s0, 0x2f800000
	s_mov_b32 s1, 0xcf800000
	s_waitcnt vmcnt(0)
	v_trunc_f32_e32 v5, v5
	v_mul_f32_e64 v6, |v5|, s0
	v_floor_f32_e32 v6, v6
	v_cvt_u32_f32_e32 v7, v6
	v_fma_f32 v6, v6, s1, |v5|
	v_cvt_u32_f32_e32 v6, v6
	v_ashrrev_i32_e32 v8, 31, v5
	v_xor_b32_e32 v7, v7, v8
	v_xor_b32_e32 v5, v6, v8
	v_sub_co_u32_e32 v5, vcc, v5, v8
	v_subb_co_u32_e32 v6, vcc, v7, v8, vcc
.LBB95_346:
	s_mov_b64 s[0:1], 0
.LBB95_347:
	s_andn2_b64 vcc, exec, s[0:1]
	s_cbranch_vccnz .LBB95_349
; %bb.348:
	global_load_dword v5, v[3:4], off
	s_waitcnt vmcnt(0)
	v_cvt_f32_f16_e32 v5, v5
	v_cvt_i32_f32_e32 v5, v5
	v_ashrrev_i32_e32 v6, 31, v5
.LBB95_349:
	s_mov_b64 s[0:1], 0
.LBB95_350:
	s_andn2_b64 vcc, exec, s[0:1]
	s_cbranch_vccnz .LBB95_361
; %bb.351:
	s_cmp_lt_i32 s36, 6
	s_cbranch_scc1 .LBB95_354
; %bb.352:
	s_cmp_gt_i32 s36, 6
	s_cbranch_scc0 .LBB95_355
; %bb.353:
	global_load_dwordx2 v[5:6], v[3:4], off
	s_movk_i32 s0, 0xffe0
	s_waitcnt vmcnt(0)
	v_trunc_f64_e32 v[5:6], v[5:6]
	v_ldexp_f64 v[7:8], v[5:6], s0
	s_mov_b32 s0, 0
	s_mov_b32 s1, 0xc1f00000
	v_floor_f64_e32 v[7:8], v[7:8]
	v_fma_f64 v[11:12], v[7:8], s[0:1], v[5:6]
	v_cvt_i32_f64_e32 v6, v[7:8]
	s_mov_b64 s[0:1], 0
	v_cvt_u32_f64_e32 v5, v[11:12]
	s_branch .LBB95_356
.LBB95_354:
	s_mov_b64 s[0:1], -1
                                        ; implicit-def: $vgpr5_vgpr6
	s_branch .LBB95_359
.LBB95_355:
	s_mov_b64 s[0:1], -1
                                        ; implicit-def: $vgpr5_vgpr6
.LBB95_356:
	s_andn2_b64 vcc, exec, s[0:1]
	s_cbranch_vccnz .LBB95_358
; %bb.357:
	global_load_dword v5, v[3:4], off
	s_mov_b32 s0, 0x2f800000
	s_mov_b32 s1, 0xcf800000
	s_waitcnt vmcnt(0)
	v_trunc_f32_e32 v5, v5
	v_mul_f32_e64 v6, |v5|, s0
	v_floor_f32_e32 v6, v6
	v_cvt_u32_f32_e32 v7, v6
	v_fma_f32 v6, v6, s1, |v5|
	v_cvt_u32_f32_e32 v6, v6
	v_ashrrev_i32_e32 v8, 31, v5
	v_xor_b32_e32 v7, v7, v8
	v_xor_b32_e32 v5, v6, v8
	v_sub_co_u32_e32 v5, vcc, v5, v8
	v_subb_co_u32_e32 v6, vcc, v7, v8, vcc
.LBB95_358:
	s_mov_b64 s[0:1], 0
.LBB95_359:
	s_andn2_b64 vcc, exec, s[0:1]
	s_cbranch_vccnz .LBB95_361
; %bb.360:
	global_load_ushort v5, v[3:4], off
	s_waitcnt vmcnt(0)
	v_cvt_f32_f16_e32 v5, v5
	v_cvt_i32_f32_e32 v5, v5
	v_ashrrev_i32_e32 v6, 31, v5
.LBB95_361:
	s_mov_b64 s[0:1], 0
.LBB95_362:
	s_andn2_b64 vcc, exec, s[0:1]
	s_cbranch_vccnz .LBB95_382
; %bb.363:
	s_cmp_lt_i32 s36, 2
	s_cbranch_scc1 .LBB95_367
; %bb.364:
	s_cmp_lt_i32 s36, 3
	s_cbranch_scc1 .LBB95_368
; %bb.365:
	s_cmp_gt_i32 s36, 3
	s_cbranch_scc0 .LBB95_369
; %bb.366:
	global_load_dwordx2 v[5:6], v[3:4], off
	s_mov_b64 s[0:1], 0
	s_branch .LBB95_370
.LBB95_367:
	s_mov_b64 s[0:1], -1
                                        ; implicit-def: $vgpr5_vgpr6
	s_branch .LBB95_376
.LBB95_368:
	s_mov_b64 s[0:1], -1
                                        ; implicit-def: $vgpr5_vgpr6
	s_branch .LBB95_373
.LBB95_369:
	s_mov_b64 s[0:1], -1
                                        ; implicit-def: $vgpr5_vgpr6
.LBB95_370:
	s_andn2_b64 vcc, exec, s[0:1]
	s_cbranch_vccnz .LBB95_372
; %bb.371:
	global_load_dword v5, v[3:4], off
	s_waitcnt vmcnt(0)
	v_ashrrev_i32_e32 v6, 31, v5
.LBB95_372:
	s_mov_b64 s[0:1], 0
.LBB95_373:
	s_andn2_b64 vcc, exec, s[0:1]
	s_cbranch_vccnz .LBB95_375
; %bb.374:
	global_load_ushort v5, v[3:4], off
	s_waitcnt vmcnt(0)
	v_bfe_i32 v5, v5, 0, 16
	v_ashrrev_i32_e32 v6, 31, v5
.LBB95_375:
	s_mov_b64 s[0:1], 0
.LBB95_376:
	s_andn2_b64 vcc, exec, s[0:1]
	s_cbranch_vccnz .LBB95_382
; %bb.377:
	s_cmp_gt_i32 s36, 0
	s_cbranch_scc0 .LBB95_379
; %bb.378:
	global_load_sbyte v5, v[3:4], off
	s_mov_b64 s[0:1], 0
	s_waitcnt vmcnt(0)
	v_bfe_i32 v5, v5, 0, 16
	v_ashrrev_i32_e32 v6, 31, v5
	s_branch .LBB95_380
.LBB95_379:
	s_mov_b64 s[0:1], -1
                                        ; implicit-def: $vgpr5_vgpr6
.LBB95_380:
	s_andn2_b64 vcc, exec, s[0:1]
	s_cbranch_vccnz .LBB95_382
; %bb.381:
	global_load_ubyte v3, v[3:4], off
	s_mov_b32 s0, 0
	s_waitcnt vmcnt(1)
	v_mov_b32_e32 v6, s0
	s_waitcnt vmcnt(0)
	v_and_b32_e32 v5, 0xffff, v3
.LBB95_382:
	s_branch .LBB95_32
.LBB95_383:
	s_mov_b64 s[0:1], 0
.LBB95_384:
                                        ; implicit-def: $vgpr10
	s_mov_b64 s[44:45], 0
.LBB95_385:
	s_and_b64 s[36:37], s[0:1], exec
	s_and_b64 s[38:39], s[38:39], exec
	;; [unrolled: 1-line block ×3, first 2 shown]
	s_orn2_b64 s[0:1], s[44:45], exec
.LBB95_386:
	s_or_b64 exec, exec, s[42:43]
	s_mov_b64 s[50:51], 0
	s_mov_b64 s[48:49], 0
                                        ; implicit-def: $sgpr73
                                        ; implicit-def: $vgpr4_vgpr5
                                        ; implicit-def: $vgpr0
                                        ; implicit-def: $vgpr3
                                        ; implicit-def: $vgpr1_vgpr2
	s_and_saveexec_b64 s[42:43], s[0:1]
	s_cbranch_execz .LBB95_394
; %bb.387:
	v_cmp_gt_i32_e32 vcc, s66, v10
	s_mov_b64 s[0:1], -1
	s_mov_b64 s[44:45], s[40:41]
	s_mov_b64 s[46:47], s[38:39]
	;; [unrolled: 1-line block ×3, first 2 shown]
	s_and_saveexec_b64 s[50:51], vcc
	s_cbranch_execz .LBB95_779
; %bb.388:
	s_andn2_b64 vcc, exec, s[20:21]
	s_cbranch_vccnz .LBB95_397
; %bb.389:
	s_andn2_b64 vcc, exec, s[34:35]
	s_cbranch_vccnz .LBB95_398
; %bb.390:
	s_add_i32 s0, s72, 1
	s_and_b32 s44, s0, 30
	s_add_u32 s0, s2, 0xffffffe8
	s_addc_u32 s1, s3, -1
	v_mov_b32_e32 v3, 0
	s_waitcnt vmcnt(0)
	v_mov_b32_e32 v5, 0
	v_mov_b32_e32 v0, 0
	;; [unrolled: 1-line block ×3, first 2 shown]
.LBB95_391:                             ; =>This Inner Loop Header: Depth=1
	s_load_dwordx4 s[52:55], s[0:1], 0x1c
	s_load_dwordx2 s[46:47], s[0:1], 0x2c
	s_load_dwordx2 s[48:49], s[0:1], 0xec
	s_load_dwordx4 s[56:59], s[0:1], 0xdc
	s_add_u32 s0, s0, 24
	s_waitcnt lgkmcnt(0)
	v_mul_hi_u32 v2, s53, v1
	s_addc_u32 s1, s1, 0
	s_add_i32 s44, s44, -2
	s_cmp_eq_u32 s44, 0
	v_add_u32_e32 v2, v1, v2
	v_lshrrev_b32_e32 v2, s54, v2
	v_mul_lo_u32 v4, v2, s52
	v_mul_hi_u32 v6, s46, v2
	v_sub_u32_e32 v4, v1, v4
	v_add_u32_e32 v1, v2, v6
	v_lshrrev_b32_e32 v1, s47, v1
	v_mul_lo_u32 v8, v1, s55
	v_mul_lo_u32 v6, v4, s56
	;; [unrolled: 1-line block ×4, first 2 shown]
	v_sub_u32_e32 v2, v2, v8
	v_mul_lo_u32 v8, v2, s59
	v_mul_lo_u32 v9, v2, s48
	v_mul_lo_u32 v2, v2, s49
	v_add3_u32 v0, v6, v0, v8
	v_add3_u32 v5, v7, v5, v9
	;; [unrolled: 1-line block ×3, first 2 shown]
	s_cbranch_scc0 .LBB95_391
; %bb.392:
	s_bitcmp1_b32 s72, 0
	s_cselect_b64 s[44:45], -1, 0
	s_and_b64 vcc, exec, s[44:45]
	s_cbranch_vccnz .LBB95_399
; %bb.393:
	s_load_dwordx2 s[44:45], s[0:1], 0x1c
	s_load_dword s48, s[0:1], 0x24
	s_load_dwordx2 s[46:47], s[0:1], 0xdc
	s_waitcnt lgkmcnt(0)
	v_mul_hi_u32 v2, s45, v1
	v_add_u32_e32 v2, v1, v2
	v_lshrrev_b32_e32 v2, s48, v2
	v_mul_lo_u32 v2, v2, s44
	s_load_dword s44, s[0:1], 0xe4
	v_sub_u32_e32 v2, v1, v2
	v_mad_u64_u32 v[0:1], s[0:1], v2, s46, v[0:1]
	v_mad_u64_u32 v[5:6], s[0:1], v2, s47, v[5:6]
	s_waitcnt lgkmcnt(0)
	v_mad_u64_u32 v[3:4], s[0:1], v2, s44, v[3:4]
	s_branch .LBB95_399
.LBB95_394:
	s_or_b64 exec, exec, s[42:43]
	s_waitcnt lgkmcnt(0)
	s_mov_b64 s[10:11], 0
	s_and_saveexec_b64 s[0:1], s[40:41]
	s_cbranch_execnz .LBB95_1265
.LBB95_395:
	s_or_b64 exec, exec, s[0:1]
	s_and_saveexec_b64 s[0:1], s[46:47]
	s_xor_b64 s[0:1], exec, s[0:1]
	s_cbranch_execz .LBB95_1266
.LBB95_396:
	s_waitcnt vmcnt(0)
	global_load_ubyte v1, v[4:5], off
	s_mov_b32 s12, 0
	v_mov_b32_e32 v2, s12
	s_or_b64 s[48:49], s[48:49], exec
	s_waitcnt vmcnt(0)
	v_cmp_ne_u16_e32 vcc, 0, v1
	v_cndmask_b32_e64 v1, 0, 1, vcc
	s_or_b64 exec, exec, s[0:1]
	s_and_saveexec_b64 s[0:1], s[50:51]
	s_cbranch_execz .LBB95_1312
	s_branch .LBB95_1267
.LBB95_397:
                                        ; implicit-def: $vgpr0
                                        ; implicit-def: $vgpr5
                                        ; implicit-def: $vgpr3
	s_andn2_b64 vcc, exec, s[0:1]
	s_cbranch_vccz .LBB95_400
	s_branch .LBB95_402
.LBB95_398:
	v_mov_b32_e32 v0, 0
	s_waitcnt vmcnt(0)
	v_mov_b32_e32 v5, 0
	v_mov_b32_e32 v3, 0
.LBB95_399:
	s_cbranch_execnz .LBB95_402
.LBB95_400:
	s_waitcnt lgkmcnt(0)
	v_mul_hi_u32 v0, s17, v10
	s_andn2_b64 vcc, exec, s[30:31]
	v_add_u32_e32 v0, v10, v0
	s_waitcnt vmcnt(0)
	v_lshrrev_b32_e32 v1, s18, v0
	v_mul_lo_u32 v0, v1, s16
	v_sub_u32_e32 v2, v10, v0
	v_mul_lo_u32 v0, v2, s12
	v_mul_lo_u32 v5, v2, s13
	;; [unrolled: 1-line block ×3, first 2 shown]
	s_cbranch_vccnz .LBB95_402
; %bb.401:
	v_mul_hi_u32 v2, s28, v1
	v_add_u32_e32 v2, v1, v2
	v_lshrrev_b32_e32 v2, s29, v2
	v_mul_lo_u32 v2, v2, s19
	v_sub_u32_e32 v2, v1, v2
	v_mad_u64_u32 v[0:1], s[0:1], v2, s15, v[0:1]
	v_mad_u64_u32 v[5:6], s[0:1], v2, s26, v[5:6]
	;; [unrolled: 1-line block ×3, first 2 shown]
.LBB95_402:
	s_waitcnt vmcnt(0) lgkmcnt(0)
	v_mov_b32_e32 v1, s11
	s_and_b32 s48, s71, 0xff
	v_add_co_u32_e32 v4, vcc, s10, v5
	s_cmp_lt_i32 s48, 11
	v_addc_co_u32_e32 v5, vcc, 0, v1, vcc
	s_cbranch_scc1 .LBB95_409
; %bb.403:
	s_and_b32 s49, 0xffff, s48
	s_cmp_gt_i32 s49, 25
	s_cbranch_scc0 .LBB95_418
; %bb.404:
	s_cmp_gt_i32 s49, 28
	s_cbranch_scc0 .LBB95_420
; %bb.405:
	;; [unrolled: 3-line block ×4, first 2 shown]
	s_cmp_eq_u32 s49, 46
	s_mov_b64 s[46:47], 0
	s_cbranch_scc0 .LBB95_428
; %bb.408:
	global_load_dword v1, v[4:5], off
	s_mov_b32 s0, 0x2f800000
	s_mov_b32 s1, 0xcf800000
	s_mov_b64 s[44:45], 0
	s_waitcnt vmcnt(0)
	v_lshlrev_b32_e32 v1, 16, v1
	v_trunc_f32_e32 v1, v1
	v_mul_f32_e64 v2, |v1|, s0
	v_floor_f32_e32 v2, v2
	v_fma_f32 v6, v2, s1, |v1|
	v_cvt_u32_f32_e32 v6, v6
	v_cvt_u32_f32_e32 v2, v2
	v_ashrrev_i32_e32 v7, 31, v1
	s_mov_b64 s[0:1], -1
	v_xor_b32_e32 v1, v6, v7
	v_xor_b32_e32 v2, v2, v7
	v_sub_co_u32_e32 v1, vcc, v1, v7
	v_subb_co_u32_e32 v2, vcc, v2, v7, vcc
	s_branch .LBB95_429
.LBB95_409:
	s_mov_b64 s[0:1], 0
                                        ; implicit-def: $vgpr1_vgpr2
	s_mov_b64 s[44:45], s[40:41]
	s_cbranch_execnz .LBB95_491
.LBB95_410:
	s_andn2_b64 vcc, exec, s[0:1]
	s_cbranch_vccnz .LBB95_539
.LBB95_411:
	v_mov_b32_e32 v4, s25
	s_and_b32 s52, s70, 0xff
	v_add_co_u32_e32 v3, vcc, s24, v3
	s_cmp_lt_i32 s52, 11
	v_addc_co_u32_e32 v4, vcc, 0, v4, vcc
	s_cbranch_scc1 .LBB95_419
; %bb.412:
	s_and_b32 s53, 0xffff, s52
	s_cmp_gt_i32 s53, 25
	s_cbranch_scc0 .LBB95_421
; %bb.413:
	s_cmp_gt_i32 s53, 28
	s_cbranch_scc0 .LBB95_423
; %bb.414:
	;; [unrolled: 3-line block ×4, first 2 shown]
	s_cmp_eq_u32 s53, 46
	s_mov_b64 s[48:49], 0
	s_cbranch_scc0 .LBB95_543
; %bb.417:
	global_load_dword v5, v[3:4], off
	s_mov_b32 s0, 0x2f800000
	s_mov_b32 s1, 0xcf800000
	s_mov_b64 s[46:47], 0
	s_waitcnt vmcnt(0)
	v_lshlrev_b32_e32 v5, 16, v5
	v_trunc_f32_e32 v5, v5
	v_mul_f32_e64 v6, |v5|, s0
	v_floor_f32_e32 v6, v6
	v_fma_f32 v7, v6, s1, |v5|
	v_cvt_u32_f32_e32 v7, v7
	v_cvt_u32_f32_e32 v6, v6
	v_ashrrev_i32_e32 v8, 31, v5
	s_mov_b64 s[0:1], -1
	v_xor_b32_e32 v5, v7, v8
	v_xor_b32_e32 v6, v6, v8
	v_sub_co_u32_e32 v5, vcc, v5, v8
	v_subb_co_u32_e32 v6, vcc, v6, v8, vcc
	s_branch .LBB95_544
.LBB95_418:
	s_mov_b64 s[46:47], -1
	s_mov_b64 s[0:1], 0
	s_mov_b64 s[44:45], s[40:41]
                                        ; implicit-def: $vgpr1_vgpr2
	s_branch .LBB95_459
.LBB95_419:
	s_mov_b64 s[48:49], -1
	s_mov_b64 s[0:1], 0
                                        ; implicit-def: $vgpr5_vgpr6
	s_mov_b64 s[46:47], s[38:39]
	s_branch .LBB95_605
.LBB95_420:
	s_mov_b64 s[46:47], -1
	s_mov_b64 s[0:1], 0
	s_mov_b64 s[44:45], s[40:41]
                                        ; implicit-def: $vgpr1_vgpr2
	s_branch .LBB95_440
.LBB95_421:
	s_mov_b64 s[48:49], -1
	s_mov_b64 s[0:1], 0
	s_mov_b64 s[46:47], s[38:39]
                                        ; implicit-def: $vgpr5_vgpr6
	s_branch .LBB95_573
.LBB95_422:
	s_mov_b64 s[46:47], -1
	s_mov_b64 s[0:1], 0
	s_mov_b64 s[44:45], s[40:41]
                                        ; implicit-def: $vgpr1_vgpr2
	s_branch .LBB95_435
.LBB95_423:
	s_mov_b64 s[48:49], -1
	s_mov_b64 s[0:1], 0
	s_mov_b64 s[46:47], s[38:39]
                                        ; implicit-def: $vgpr5_vgpr6
	s_branch .LBB95_554
.LBB95_424:
	s_mov_b64 s[46:47], -1
	s_mov_b64 s[0:1], 0
	s_mov_b64 s[44:45], s[40:41]
                                        ; implicit-def: $vgpr1_vgpr2
	s_branch .LBB95_429
.LBB95_425:
	s_mov_b64 s[48:49], -1
	s_mov_b64 s[0:1], 0
	s_mov_b64 s[46:47], s[38:39]
                                        ; implicit-def: $vgpr5_vgpr6
	s_branch .LBB95_549
.LBB95_426:
	s_andn2_saveexec_b64 s[48:49], s[48:49]
	s_cbranch_execz .LBB95_187
.LBB95_427:
	s_mov_b32 s52, 0x46000000
	v_add_f32_e64 v5, |v0|, s52
	v_and_b32_e32 v5, 0xff, v5
	v_cmp_ne_u32_e32 vcc, 0, v5
	s_andn2_b64 s[44:45], s[44:45], exec
	s_and_b64 s[52:53], vcc, exec
	s_or_b64 s[44:45], s[44:45], s[52:53]
	s_or_b64 exec, exec, s[48:49]
	v_mov_b32_e32 v6, 0
	s_and_saveexec_b64 s[48:49], s[44:45]
	s_cbranch_execnz .LBB95_188
	s_branch .LBB95_189
.LBB95_428:
	s_mov_b64 s[44:45], -1
                                        ; implicit-def: $vgpr1_vgpr2
	s_mov_b64 s[0:1], 0
.LBB95_429:
	s_and_b64 vcc, exec, s[46:47]
	s_cbranch_vccz .LBB95_434
; %bb.430:
	s_cmp_eq_u32 s49, 44
	s_cbranch_scc0 .LBB95_433
; %bb.431:
	global_load_ubyte v1, v[4:5], off
	s_mov_b32 s0, 0x2f800000
	s_mov_b32 s1, 0xcf800000
	s_mov_b64 s[44:45], 0
	s_waitcnt vmcnt(0)
	v_lshlrev_b32_e32 v2, 23, v1
	v_trunc_f32_e32 v2, v2
	v_mul_f32_e64 v6, |v2|, s0
	v_floor_f32_e32 v6, v6
	v_fma_f32 v7, v6, s1, |v2|
	v_cvt_u32_f32_e32 v7, v7
	v_cvt_u32_f32_e32 v6, v6
	v_ashrrev_i32_e32 v2, 31, v2
	s_mov_b64 s[0:1], -1
	v_xor_b32_e32 v7, v7, v2
	v_xor_b32_e32 v6, v6, v2
	v_sub_co_u32_e32 v7, vcc, v7, v2
	v_subb_co_u32_e32 v2, vcc, v6, v2, vcc
	v_cmp_ne_u32_e32 vcc, 0, v1
	v_cndmask_b32_e32 v2, 0, v2, vcc
	v_cndmask_b32_e32 v1, 0, v7, vcc
	s_branch .LBB95_434
.LBB95_432:
	s_mov_b64 s[48:49], -1
	s_mov_b64 s[0:1], 0
	s_mov_b64 s[46:47], s[38:39]
                                        ; implicit-def: $vgpr5_vgpr6
	s_branch .LBB95_544
.LBB95_433:
	s_mov_b64 s[44:45], -1
                                        ; implicit-def: $vgpr1_vgpr2
.LBB95_434:
	s_mov_b64 s[46:47], 0
.LBB95_435:
	s_and_b64 vcc, exec, s[46:47]
	s_cbranch_vccz .LBB95_439
; %bb.436:
	s_cmp_eq_u32 s49, 29
	s_cbranch_scc0 .LBB95_438
; %bb.437:
	global_load_dwordx2 v[1:2], v[4:5], off
	s_mov_b64 s[0:1], -1
	s_mov_b64 s[44:45], 0
	s_branch .LBB95_439
.LBB95_438:
	s_mov_b64 s[44:45], -1
                                        ; implicit-def: $vgpr1_vgpr2
.LBB95_439:
	s_mov_b64 s[46:47], 0
.LBB95_440:
	s_and_b64 vcc, exec, s[46:47]
	s_cbranch_vccz .LBB95_458
; %bb.441:
	s_cmp_lt_i32 s49, 27
	s_cbranch_scc1 .LBB95_444
; %bb.442:
	s_cmp_gt_i32 s49, 27
	s_cbranch_scc0 .LBB95_445
; %bb.443:
	global_load_dword v1, v[4:5], off
	s_waitcnt vmcnt(1)
	v_mov_b32_e32 v2, 0
	s_mov_b64 s[0:1], 0
	s_branch .LBB95_446
.LBB95_444:
	s_mov_b64 s[0:1], -1
                                        ; implicit-def: $vgpr1_vgpr2
	s_branch .LBB95_449
.LBB95_445:
	s_mov_b64 s[0:1], -1
                                        ; implicit-def: $vgpr1_vgpr2
.LBB95_446:
	s_andn2_b64 vcc, exec, s[0:1]
	s_cbranch_vccnz .LBB95_448
; %bb.447:
	global_load_ushort v1, v[4:5], off
	s_mov_b32 s0, 0
	s_waitcnt vmcnt(1)
	v_mov_b32_e32 v2, s0
	s_waitcnt vmcnt(0)
	v_and_b32_e32 v1, 0xffff, v1
.LBB95_448:
	s_mov_b64 s[0:1], 0
.LBB95_449:
	s_andn2_b64 vcc, exec, s[0:1]
	s_cbranch_vccnz .LBB95_457
; %bb.450:
	global_load_ubyte v6, v[4:5], off
	s_movk_i32 s0, 0x7f
	s_mov_b64 s[46:47], 0
	s_waitcnt vmcnt(0)
	v_cmp_lt_i16_e32 vcc, s0, v6
	s_and_saveexec_b64 s[0:1], vcc
	s_xor_b64 s[0:1], exec, s[0:1]
; %bb.451:
	s_movk_i32 s46, 0x80
	v_cmp_ne_u16_e32 vcc, s46, v6
	s_and_b64 s[46:47], vcc, exec
; %bb.452:
	s_andn2_saveexec_b64 s[0:1], s[0:1]
; %bb.453:
	v_cmp_ne_u16_e32 vcc, 0, v6
	s_andn2_b64 s[46:47], s[46:47], exec
	s_and_b64 s[52:53], vcc, exec
	s_or_b64 s[46:47], s[46:47], s[52:53]
; %bb.454:
	s_or_b64 exec, exec, s[0:1]
	v_mov_b32_e32 v1, 0
	v_mov_b32_e32 v2, 0
	s_and_saveexec_b64 s[0:1], s[46:47]
	s_cbranch_execz .LBB95_456
; %bb.455:
	v_and_b32_e32 v2, 0xffff, v6
	v_lshlrev_b32_e32 v1, 24, v6
	v_and_b32_e32 v6, 7, v2
	v_ffbh_u32_e32 v8, v6
	v_min_u32_e32 v8, 32, v8
	v_subrev_u32_e32 v9, 28, v8
	v_bfe_u32 v7, v2, 3, 4
	v_lshlrev_b32_e32 v2, v9, v2
	v_sub_u32_e32 v8, 29, v8
	v_and_b32_e32 v2, 7, v2
	v_cmp_eq_u32_e32 vcc, 0, v7
	v_cndmask_b32_e32 v7, v7, v8, vcc
	v_cndmask_b32_e32 v2, v6, v2, vcc
	v_mov_b32_e32 v6, 0x3b800000
	v_lshlrev_b32_e32 v2, 20, v2
	v_and_b32_e32 v1, 0x80000000, v1
	v_lshl_add_u32 v6, v7, 23, v6
	v_or3_b32 v1, v1, v6, v2
	v_trunc_f32_e32 v1, v1
	s_mov_b32 s46, 0x2f800000
	v_mul_f32_e64 v2, |v1|, s46
	v_floor_f32_e32 v2, v2
	s_mov_b32 s46, 0xcf800000
	v_fma_f32 v6, v2, s46, |v1|
	v_cvt_u32_f32_e32 v6, v6
	v_cvt_u32_f32_e32 v2, v2
	v_ashrrev_i32_e32 v7, 31, v1
	v_xor_b32_e32 v1, v6, v7
	v_xor_b32_e32 v2, v2, v7
	v_sub_co_u32_e32 v1, vcc, v1, v7
	v_subb_co_u32_e32 v2, vcc, v2, v7, vcc
.LBB95_456:
	s_or_b64 exec, exec, s[0:1]
.LBB95_457:
	s_mov_b64 s[0:1], -1
.LBB95_458:
	s_mov_b64 s[46:47], 0
.LBB95_459:
	s_and_b64 vcc, exec, s[46:47]
	s_cbranch_vccz .LBB95_490
; %bb.460:
	s_cmp_gt_i32 s49, 22
	s_cbranch_scc0 .LBB95_470
; %bb.461:
	s_cmp_lt_i32 s49, 24
	s_cbranch_scc1 .LBB95_471
; %bb.462:
	s_cmp_gt_i32 s49, 24
	s_cbranch_scc0 .LBB95_472
; %bb.463:
	global_load_ubyte v6, v[4:5], off
	s_movk_i32 s0, 0x7f
	s_mov_b64 s[46:47], 0
	s_waitcnt vmcnt(0)
	v_cmp_lt_i16_e32 vcc, s0, v6
	s_and_saveexec_b64 s[0:1], vcc
	s_xor_b64 s[0:1], exec, s[0:1]
; %bb.464:
	s_movk_i32 s46, 0x80
	v_cmp_ne_u16_e32 vcc, s46, v6
	s_and_b64 s[46:47], vcc, exec
; %bb.465:
	s_andn2_saveexec_b64 s[0:1], s[0:1]
; %bb.466:
	v_cmp_ne_u16_e32 vcc, 0, v6
	s_andn2_b64 s[46:47], s[46:47], exec
	s_and_b64 s[52:53], vcc, exec
	s_or_b64 s[46:47], s[46:47], s[52:53]
; %bb.467:
	s_or_b64 exec, exec, s[0:1]
	v_mov_b32_e32 v1, 0
	v_mov_b32_e32 v2, 0
	s_and_saveexec_b64 s[0:1], s[46:47]
	s_cbranch_execz .LBB95_469
; %bb.468:
	v_and_b32_e32 v2, 0xffff, v6
	v_lshlrev_b32_e32 v1, 24, v6
	v_and_b32_e32 v6, 3, v2
	v_ffbh_u32_e32 v8, v6
	v_min_u32_e32 v8, 32, v8
	v_subrev_u32_e32 v9, 29, v8
	v_bfe_u32 v7, v2, 2, 5
	v_lshlrev_b32_e32 v2, v9, v2
	v_sub_u32_e32 v8, 30, v8
	v_and_b32_e32 v2, 3, v2
	v_cmp_eq_u32_e32 vcc, 0, v7
	v_cndmask_b32_e32 v7, v7, v8, vcc
	v_cndmask_b32_e32 v2, v6, v2, vcc
	v_mov_b32_e32 v6, 0x37800000
	v_lshlrev_b32_e32 v2, 21, v2
	v_and_b32_e32 v1, 0x80000000, v1
	v_lshl_add_u32 v6, v7, 23, v6
	v_or3_b32 v1, v1, v6, v2
	v_trunc_f32_e32 v1, v1
	s_mov_b32 s46, 0x2f800000
	v_mul_f32_e64 v2, |v1|, s46
	v_floor_f32_e32 v2, v2
	s_mov_b32 s46, 0xcf800000
	v_fma_f32 v6, v2, s46, |v1|
	v_cvt_u32_f32_e32 v6, v6
	v_cvt_u32_f32_e32 v2, v2
	v_ashrrev_i32_e32 v7, 31, v1
	v_xor_b32_e32 v1, v6, v7
	v_xor_b32_e32 v2, v2, v7
	v_sub_co_u32_e32 v1, vcc, v1, v7
	v_subb_co_u32_e32 v2, vcc, v2, v7, vcc
.LBB95_469:
	s_or_b64 exec, exec, s[0:1]
	s_mov_b64 s[0:1], 0
	s_branch .LBB95_473
.LBB95_470:
	s_mov_b64 s[46:47], -1
                                        ; implicit-def: $vgpr1_vgpr2
	s_branch .LBB95_479
.LBB95_471:
	s_mov_b64 s[0:1], -1
                                        ; implicit-def: $vgpr1_vgpr2
	s_branch .LBB95_476
.LBB95_472:
	s_mov_b64 s[0:1], -1
                                        ; implicit-def: $vgpr1_vgpr2
.LBB95_473:
	s_and_b64 vcc, exec, s[0:1]
	s_cbranch_vccz .LBB95_475
; %bb.474:
	global_load_ubyte v1, v[4:5], off
	s_mov_b32 s0, 0x7f800000
	s_brev_b32 s1, 1
	s_mov_b32 s46, 0x2f800000
	s_mov_b32 s47, 0xcf800000
	s_waitcnt vmcnt(0)
	v_lshlrev_b32_e32 v1, 24, v1
	v_and_b32_e32 v2, 0x7f000000, v1
	v_ffbh_u32_e32 v6, v2
	v_min_u32_e32 v6, 32, v6
	v_sub_u32_e64 v6, v6, 4 clamp
	v_lshlrev_b32_e32 v8, v6, v2
	v_lshlrev_b32_e32 v6, 23, v6
	v_lshrrev_b32_e32 v8, 4, v8
	v_add_u32_e32 v7, 0x1000000, v2
	v_sub_u32_e32 v6, v8, v6
	v_ashrrev_i32_e32 v7, 8, v7
	v_add_u32_e32 v6, 0x3c000000, v6
	v_and_or_b32 v6, v7, s0, v6
	v_cmp_ne_u32_e32 vcc, 0, v2
	v_cndmask_b32_e32 v2, 0, v6, vcc
	v_and_or_b32 v1, v1, s1, v2
	v_trunc_f32_e32 v1, v1
	v_mul_f32_e64 v2, |v1|, s46
	v_floor_f32_e32 v2, v2
	v_fma_f32 v6, v2, s47, |v1|
	v_cvt_u32_f32_e32 v6, v6
	v_cvt_u32_f32_e32 v2, v2
	v_ashrrev_i32_e32 v7, 31, v1
	v_xor_b32_e32 v1, v6, v7
	v_xor_b32_e32 v2, v2, v7
	v_sub_co_u32_e32 v1, vcc, v1, v7
	v_subb_co_u32_e32 v2, vcc, v2, v7, vcc
.LBB95_475:
	s_mov_b64 s[0:1], 0
.LBB95_476:
	s_andn2_b64 vcc, exec, s[0:1]
	s_cbranch_vccnz .LBB95_478
; %bb.477:
	global_load_ubyte v1, v[4:5], off
	s_movk_i32 s0, 0x7f00
	s_brev_b32 s1, 16
	s_brev_b32 s46, 1
	s_mov_b32 s47, 0x2f800000
	s_mov_b32 s52, 0xcf800000
	s_waitcnt vmcnt(0)
	v_lshlrev_b16_e32 v2, 8, v1
	v_lshlrev_b32_e32 v1, 25, v1
	v_lshrrev_b32_e32 v6, 4, v1
	v_and_or_b32 v7, v2, s0, 0.5
	v_or_b32_e32 v6, 0x70000000, v6
	v_add_f32_e32 v7, -0.5, v7
	v_mul_f32_e32 v6, 0x7800000, v6
	v_cmp_gt_u32_e32 vcc, s1, v1
	v_bfe_i32 v2, v2, 0, 16
	v_cndmask_b32_e32 v1, v6, v7, vcc
	v_and_or_b32 v1, v2, s46, v1
	v_trunc_f32_e32 v1, v1
	v_mul_f32_e64 v2, |v1|, s47
	v_floor_f32_e32 v2, v2
	v_fma_f32 v6, v2, s52, |v1|
	v_cvt_u32_f32_e32 v6, v6
	v_cvt_u32_f32_e32 v2, v2
	v_ashrrev_i32_e32 v7, 31, v1
	v_xor_b32_e32 v1, v6, v7
	v_xor_b32_e32 v2, v2, v7
	v_sub_co_u32_e32 v1, vcc, v1, v7
	v_subb_co_u32_e32 v2, vcc, v2, v7, vcc
.LBB95_478:
	s_mov_b64 s[46:47], 0
	s_mov_b64 s[0:1], -1
.LBB95_479:
	s_andn2_b64 vcc, exec, s[46:47]
	s_cbranch_vccnz .LBB95_490
; %bb.480:
	s_cmp_gt_i32 s49, 14
	s_cbranch_scc0 .LBB95_483
; %bb.481:
	s_cmp_eq_u32 s49, 15
	s_cbranch_scc0 .LBB95_484
; %bb.482:
	global_load_ushort v1, v[4:5], off
	s_mov_b32 s0, 0x2f800000
	s_mov_b32 s1, 0xcf800000
	s_mov_b64 s[44:45], 0
	s_waitcnt vmcnt(0)
	v_lshlrev_b32_e32 v1, 16, v1
	v_trunc_f32_e32 v1, v1
	v_mul_f32_e64 v2, |v1|, s0
	v_floor_f32_e32 v2, v2
	v_fma_f32 v6, v2, s1, |v1|
	v_cvt_u32_f32_e32 v6, v6
	v_cvt_u32_f32_e32 v2, v2
	v_ashrrev_i32_e32 v7, 31, v1
	s_mov_b64 s[0:1], -1
	v_xor_b32_e32 v1, v6, v7
	v_xor_b32_e32 v2, v2, v7
	v_sub_co_u32_e32 v1, vcc, v1, v7
	v_subb_co_u32_e32 v2, vcc, v2, v7, vcc
	s_branch .LBB95_485
.LBB95_483:
	s_mov_b64 s[46:47], -1
                                        ; implicit-def: $vgpr1_vgpr2
	s_branch .LBB95_486
.LBB95_484:
	s_mov_b64 s[44:45], -1
                                        ; implicit-def: $vgpr1_vgpr2
.LBB95_485:
	s_mov_b64 s[46:47], 0
.LBB95_486:
	s_and_b64 vcc, exec, s[46:47]
	s_cbranch_vccz .LBB95_490
; %bb.487:
	s_cmp_eq_u32 s49, 11
	s_cbranch_scc0 .LBB95_489
; %bb.488:
	global_load_ubyte v1, v[4:5], off
	s_mov_b32 s44, 0
	s_mov_b64 s[0:1], -1
	s_waitcnt vmcnt(1)
	v_mov_b32_e32 v2, s44
	s_mov_b64 s[44:45], 0
	s_waitcnt vmcnt(0)
	v_cmp_ne_u16_e32 vcc, 0, v1
	v_cndmask_b32_e64 v1, 0, 1, vcc
	s_branch .LBB95_490
.LBB95_489:
	s_mov_b64 s[44:45], -1
                                        ; implicit-def: $vgpr1_vgpr2
.LBB95_490:
	s_branch .LBB95_410
.LBB95_491:
	s_and_b32 s46, 0xffff, s48
	s_cmp_lt_i32 s46, 5
	s_cbranch_scc1 .LBB95_496
; %bb.492:
	s_cmp_lt_i32 s46, 8
	s_cbranch_scc1 .LBB95_497
; %bb.493:
	;; [unrolled: 3-line block ×3, first 2 shown]
	s_cmp_gt_i32 s46, 9
	s_cbranch_scc0 .LBB95_499
; %bb.495:
	global_load_dwordx2 v[1:2], v[4:5], off
	s_movk_i32 s0, 0xffe0
	s_waitcnt vmcnt(0)
	v_trunc_f64_e32 v[1:2], v[1:2]
	v_ldexp_f64 v[6:7], v[1:2], s0
	s_mov_b32 s0, 0
	s_mov_b32 s1, 0xc1f00000
	v_floor_f64_e32 v[6:7], v[6:7]
	v_fma_f64 v[8:9], v[6:7], s[0:1], v[1:2]
	v_cvt_i32_f64_e32 v2, v[6:7]
	s_mov_b64 s[0:1], 0
	v_cvt_u32_f64_e32 v1, v[8:9]
	s_branch .LBB95_500
.LBB95_496:
	s_mov_b64 s[0:1], -1
                                        ; implicit-def: $vgpr1_vgpr2
	s_branch .LBB95_518
.LBB95_497:
	s_mov_b64 s[0:1], -1
                                        ; implicit-def: $vgpr1_vgpr2
	s_branch .LBB95_506
.LBB95_498:
	s_mov_b64 s[0:1], -1
                                        ; implicit-def: $vgpr1_vgpr2
	s_branch .LBB95_503
.LBB95_499:
	s_mov_b64 s[0:1], -1
                                        ; implicit-def: $vgpr1_vgpr2
.LBB95_500:
	s_andn2_b64 vcc, exec, s[0:1]
	s_cbranch_vccnz .LBB95_502
; %bb.501:
	global_load_dword v1, v[4:5], off
	s_mov_b32 s0, 0x2f800000
	s_mov_b32 s1, 0xcf800000
	s_waitcnt vmcnt(0)
	v_trunc_f32_e32 v1, v1
	v_mul_f32_e64 v2, |v1|, s0
	v_floor_f32_e32 v2, v2
	v_cvt_u32_f32_e32 v6, v2
	v_fma_f32 v2, v2, s1, |v1|
	v_cvt_u32_f32_e32 v2, v2
	v_ashrrev_i32_e32 v7, 31, v1
	v_xor_b32_e32 v6, v6, v7
	v_xor_b32_e32 v1, v2, v7
	v_sub_co_u32_e32 v1, vcc, v1, v7
	v_subb_co_u32_e32 v2, vcc, v6, v7, vcc
.LBB95_502:
	s_mov_b64 s[0:1], 0
.LBB95_503:
	s_andn2_b64 vcc, exec, s[0:1]
	s_cbranch_vccnz .LBB95_505
; %bb.504:
	global_load_dword v1, v[4:5], off
	s_waitcnt vmcnt(0)
	v_cvt_f32_f16_e32 v1, v1
	v_cvt_i32_f32_e32 v1, v1
	v_ashrrev_i32_e32 v2, 31, v1
.LBB95_505:
	s_mov_b64 s[0:1], 0
.LBB95_506:
	s_andn2_b64 vcc, exec, s[0:1]
	s_cbranch_vccnz .LBB95_517
; %bb.507:
	s_cmp_lt_i32 s46, 6
	s_cbranch_scc1 .LBB95_510
; %bb.508:
	s_cmp_gt_i32 s46, 6
	s_cbranch_scc0 .LBB95_511
; %bb.509:
	global_load_dwordx2 v[1:2], v[4:5], off
	s_movk_i32 s0, 0xffe0
	s_waitcnt vmcnt(0)
	v_trunc_f64_e32 v[1:2], v[1:2]
	v_ldexp_f64 v[6:7], v[1:2], s0
	s_mov_b32 s0, 0
	s_mov_b32 s1, 0xc1f00000
	v_floor_f64_e32 v[6:7], v[6:7]
	v_fma_f64 v[8:9], v[6:7], s[0:1], v[1:2]
	v_cvt_i32_f64_e32 v2, v[6:7]
	s_mov_b64 s[0:1], 0
	v_cvt_u32_f64_e32 v1, v[8:9]
	s_branch .LBB95_512
.LBB95_510:
	s_mov_b64 s[0:1], -1
                                        ; implicit-def: $vgpr1_vgpr2
	s_branch .LBB95_515
.LBB95_511:
	s_mov_b64 s[0:1], -1
                                        ; implicit-def: $vgpr1_vgpr2
.LBB95_512:
	s_andn2_b64 vcc, exec, s[0:1]
	s_cbranch_vccnz .LBB95_514
; %bb.513:
	global_load_dword v1, v[4:5], off
	s_mov_b32 s0, 0x2f800000
	s_mov_b32 s1, 0xcf800000
	s_waitcnt vmcnt(0)
	v_trunc_f32_e32 v1, v1
	v_mul_f32_e64 v2, |v1|, s0
	v_floor_f32_e32 v2, v2
	v_cvt_u32_f32_e32 v6, v2
	v_fma_f32 v2, v2, s1, |v1|
	v_cvt_u32_f32_e32 v2, v2
	v_ashrrev_i32_e32 v7, 31, v1
	v_xor_b32_e32 v6, v6, v7
	v_xor_b32_e32 v1, v2, v7
	v_sub_co_u32_e32 v1, vcc, v1, v7
	v_subb_co_u32_e32 v2, vcc, v6, v7, vcc
.LBB95_514:
	s_mov_b64 s[0:1], 0
.LBB95_515:
	s_andn2_b64 vcc, exec, s[0:1]
	s_cbranch_vccnz .LBB95_517
; %bb.516:
	global_load_ushort v1, v[4:5], off
	s_waitcnt vmcnt(0)
	v_cvt_f32_f16_e32 v1, v1
	v_cvt_i32_f32_e32 v1, v1
	v_ashrrev_i32_e32 v2, 31, v1
.LBB95_517:
	s_mov_b64 s[0:1], 0
.LBB95_518:
	s_andn2_b64 vcc, exec, s[0:1]
	s_cbranch_vccnz .LBB95_538
; %bb.519:
	s_cmp_lt_i32 s46, 2
	s_cbranch_scc1 .LBB95_523
; %bb.520:
	s_cmp_lt_i32 s46, 3
	s_cbranch_scc1 .LBB95_524
; %bb.521:
	s_cmp_gt_i32 s46, 3
	s_cbranch_scc0 .LBB95_525
; %bb.522:
	global_load_dwordx2 v[1:2], v[4:5], off
	s_mov_b64 s[0:1], 0
	s_branch .LBB95_526
.LBB95_523:
	s_mov_b64 s[0:1], -1
                                        ; implicit-def: $vgpr1_vgpr2
	s_branch .LBB95_532
.LBB95_524:
	s_mov_b64 s[0:1], -1
                                        ; implicit-def: $vgpr1_vgpr2
	s_branch .LBB95_529
.LBB95_525:
	s_mov_b64 s[0:1], -1
                                        ; implicit-def: $vgpr1_vgpr2
.LBB95_526:
	s_andn2_b64 vcc, exec, s[0:1]
	s_cbranch_vccnz .LBB95_528
; %bb.527:
	global_load_dword v1, v[4:5], off
	s_waitcnt vmcnt(0)
	v_ashrrev_i32_e32 v2, 31, v1
.LBB95_528:
	s_mov_b64 s[0:1], 0
.LBB95_529:
	s_andn2_b64 vcc, exec, s[0:1]
	s_cbranch_vccnz .LBB95_531
; %bb.530:
	global_load_ushort v1, v[4:5], off
	s_waitcnt vmcnt(0)
	v_bfe_i32 v1, v1, 0, 16
	v_ashrrev_i32_e32 v2, 31, v1
.LBB95_531:
	s_mov_b64 s[0:1], 0
.LBB95_532:
	s_andn2_b64 vcc, exec, s[0:1]
	s_cbranch_vccnz .LBB95_538
; %bb.533:
	s_cmp_gt_i32 s46, 0
	s_cbranch_scc0 .LBB95_535
; %bb.534:
	global_load_sbyte v1, v[4:5], off
	s_mov_b64 s[0:1], 0
	s_waitcnt vmcnt(0)
	v_bfe_i32 v1, v1, 0, 16
	v_ashrrev_i32_e32 v2, 31, v1
	s_branch .LBB95_536
.LBB95_535:
	s_mov_b64 s[0:1], -1
                                        ; implicit-def: $vgpr1_vgpr2
.LBB95_536:
	s_andn2_b64 vcc, exec, s[0:1]
	s_cbranch_vccnz .LBB95_538
; %bb.537:
	global_load_ubyte v1, v[4:5], off
	s_mov_b32 s0, 0
	s_waitcnt vmcnt(1)
	v_mov_b32_e32 v2, s0
	s_waitcnt vmcnt(0)
	v_and_b32_e32 v1, 0xffff, v1
.LBB95_538:
	s_branch .LBB95_411
.LBB95_539:
	s_mov_b64 s[52:53], 0
	s_mov_b64 s[0:1], s[36:37]
	;; [unrolled: 1-line block ×3, first 2 shown]
.LBB95_540:
                                        ; implicit-def: $vgpr10
	s_branch .LBB95_778
.LBB95_541:
	s_andn2_saveexec_b64 s[48:49], s[48:49]
	s_cbranch_execz .LBB95_200
.LBB95_542:
	s_mov_b32 s52, 0x42800000
	v_add_f32_e64 v5, |v0|, s52
	v_and_b32_e32 v5, 0xff, v5
	v_cmp_ne_u32_e32 vcc, 0, v5
	s_andn2_b64 s[44:45], s[44:45], exec
	s_and_b64 s[52:53], vcc, exec
	s_or_b64 s[44:45], s[44:45], s[52:53]
	s_or_b64 exec, exec, s[48:49]
	v_mov_b32_e32 v6, 0
	s_and_saveexec_b64 s[48:49], s[44:45]
	s_cbranch_execnz .LBB95_201
	s_branch .LBB95_202
.LBB95_543:
	s_mov_b64 s[46:47], -1
                                        ; implicit-def: $vgpr5_vgpr6
	s_mov_b64 s[0:1], 0
.LBB95_544:
	s_and_b64 vcc, exec, s[48:49]
	s_cbranch_vccz .LBB95_548
; %bb.545:
	s_cmp_eq_u32 s53, 44
	s_cbranch_scc0 .LBB95_547
; %bb.546:
	global_load_ubyte v5, v[3:4], off
	s_mov_b32 s0, 0x2f800000
	s_mov_b32 s1, 0xcf800000
	s_mov_b64 s[46:47], 0
	s_waitcnt vmcnt(0)
	v_lshlrev_b32_e32 v6, 23, v5
	v_trunc_f32_e32 v6, v6
	v_mul_f32_e64 v7, |v6|, s0
	v_floor_f32_e32 v7, v7
	v_fma_f32 v8, v7, s1, |v6|
	v_cvt_u32_f32_e32 v8, v8
	v_cvt_u32_f32_e32 v7, v7
	v_ashrrev_i32_e32 v6, 31, v6
	s_mov_b64 s[0:1], -1
	v_xor_b32_e32 v8, v8, v6
	v_xor_b32_e32 v7, v7, v6
	v_sub_co_u32_e32 v8, vcc, v8, v6
	v_subb_co_u32_e32 v6, vcc, v7, v6, vcc
	v_cmp_ne_u32_e32 vcc, 0, v5
	v_cndmask_b32_e32 v6, 0, v6, vcc
	v_cndmask_b32_e32 v5, 0, v8, vcc
	s_branch .LBB95_548
.LBB95_547:
	s_mov_b64 s[46:47], -1
                                        ; implicit-def: $vgpr5_vgpr6
.LBB95_548:
	s_mov_b64 s[48:49], 0
.LBB95_549:
	s_and_b64 vcc, exec, s[48:49]
	s_cbranch_vccz .LBB95_553
; %bb.550:
	s_cmp_eq_u32 s53, 29
	s_cbranch_scc0 .LBB95_552
; %bb.551:
	global_load_dwordx2 v[5:6], v[3:4], off
	s_mov_b64 s[0:1], -1
	s_mov_b64 s[46:47], 0
	s_branch .LBB95_553
.LBB95_552:
	s_mov_b64 s[46:47], -1
                                        ; implicit-def: $vgpr5_vgpr6
.LBB95_553:
	s_mov_b64 s[48:49], 0
.LBB95_554:
	s_and_b64 vcc, exec, s[48:49]
	s_cbranch_vccz .LBB95_572
; %bb.555:
	s_cmp_lt_i32 s53, 27
	s_cbranch_scc1 .LBB95_558
; %bb.556:
	s_cmp_gt_i32 s53, 27
	s_cbranch_scc0 .LBB95_559
; %bb.557:
	global_load_dword v5, v[3:4], off
	s_waitcnt vmcnt(1)
	v_mov_b32_e32 v6, 0
	s_mov_b64 s[0:1], 0
	s_branch .LBB95_560
.LBB95_558:
	s_mov_b64 s[0:1], -1
                                        ; implicit-def: $vgpr5_vgpr6
	s_branch .LBB95_563
.LBB95_559:
	s_mov_b64 s[0:1], -1
                                        ; implicit-def: $vgpr5_vgpr6
.LBB95_560:
	s_andn2_b64 vcc, exec, s[0:1]
	s_cbranch_vccnz .LBB95_562
; %bb.561:
	global_load_ushort v5, v[3:4], off
	s_mov_b32 s0, 0
	s_waitcnt vmcnt(1)
	v_mov_b32_e32 v6, s0
	s_waitcnt vmcnt(0)
	v_and_b32_e32 v5, 0xffff, v5
.LBB95_562:
	s_mov_b64 s[0:1], 0
.LBB95_563:
	s_andn2_b64 vcc, exec, s[0:1]
	s_cbranch_vccnz .LBB95_571
; %bb.564:
	global_load_ubyte v7, v[3:4], off
	s_movk_i32 s0, 0x7f
	s_mov_b64 s[48:49], 0
	s_waitcnt vmcnt(0)
	v_cmp_lt_i16_e32 vcc, s0, v7
	s_and_saveexec_b64 s[0:1], vcc
	s_xor_b64 s[0:1], exec, s[0:1]
; %bb.565:
	s_movk_i32 s48, 0x80
	v_cmp_ne_u16_e32 vcc, s48, v7
	s_and_b64 s[48:49], vcc, exec
; %bb.566:
	s_andn2_saveexec_b64 s[0:1], s[0:1]
; %bb.567:
	v_cmp_ne_u16_e32 vcc, 0, v7
	s_andn2_b64 s[48:49], s[48:49], exec
	s_and_b64 s[54:55], vcc, exec
	s_or_b64 s[48:49], s[48:49], s[54:55]
; %bb.568:
	s_or_b64 exec, exec, s[0:1]
	v_mov_b32_e32 v5, 0
	v_mov_b32_e32 v6, 0
	s_and_saveexec_b64 s[0:1], s[48:49]
	s_cbranch_execz .LBB95_570
; %bb.569:
	v_and_b32_e32 v6, 0xffff, v7
	v_lshlrev_b32_e32 v5, 24, v7
	v_and_b32_e32 v7, 7, v6
	v_ffbh_u32_e32 v9, v7
	v_min_u32_e32 v9, 32, v9
	v_subrev_u32_e32 v11, 28, v9
	v_bfe_u32 v8, v6, 3, 4
	v_lshlrev_b32_e32 v6, v11, v6
	v_sub_u32_e32 v9, 29, v9
	v_and_b32_e32 v6, 7, v6
	v_cmp_eq_u32_e32 vcc, 0, v8
	v_cndmask_b32_e32 v8, v8, v9, vcc
	v_cndmask_b32_e32 v6, v7, v6, vcc
	v_mov_b32_e32 v7, 0x3b800000
	v_lshlrev_b32_e32 v6, 20, v6
	v_and_b32_e32 v5, 0x80000000, v5
	v_lshl_add_u32 v7, v8, 23, v7
	v_or3_b32 v5, v5, v7, v6
	v_trunc_f32_e32 v5, v5
	s_mov_b32 s48, 0x2f800000
	v_mul_f32_e64 v6, |v5|, s48
	v_floor_f32_e32 v6, v6
	s_mov_b32 s48, 0xcf800000
	v_fma_f32 v7, v6, s48, |v5|
	v_cvt_u32_f32_e32 v7, v7
	v_cvt_u32_f32_e32 v6, v6
	v_ashrrev_i32_e32 v8, 31, v5
	v_xor_b32_e32 v5, v7, v8
	v_xor_b32_e32 v6, v6, v8
	v_sub_co_u32_e32 v5, vcc, v5, v8
	v_subb_co_u32_e32 v6, vcc, v6, v8, vcc
.LBB95_570:
	s_or_b64 exec, exec, s[0:1]
.LBB95_571:
	s_mov_b64 s[0:1], -1
.LBB95_572:
	s_mov_b64 s[48:49], 0
.LBB95_573:
	s_and_b64 vcc, exec, s[48:49]
	s_cbranch_vccz .LBB95_604
; %bb.574:
	s_cmp_gt_i32 s53, 22
	s_cbranch_scc0 .LBB95_584
; %bb.575:
	s_cmp_lt_i32 s53, 24
	s_cbranch_scc1 .LBB95_585
; %bb.576:
	s_cmp_gt_i32 s53, 24
	s_cbranch_scc0 .LBB95_586
; %bb.577:
	global_load_ubyte v7, v[3:4], off
	s_movk_i32 s0, 0x7f
	s_mov_b64 s[48:49], 0
	s_waitcnt vmcnt(0)
	v_cmp_lt_i16_e32 vcc, s0, v7
	s_and_saveexec_b64 s[0:1], vcc
	s_xor_b64 s[0:1], exec, s[0:1]
; %bb.578:
	s_movk_i32 s48, 0x80
	v_cmp_ne_u16_e32 vcc, s48, v7
	s_and_b64 s[48:49], vcc, exec
; %bb.579:
	s_andn2_saveexec_b64 s[0:1], s[0:1]
; %bb.580:
	v_cmp_ne_u16_e32 vcc, 0, v7
	s_andn2_b64 s[48:49], s[48:49], exec
	s_and_b64 s[54:55], vcc, exec
	s_or_b64 s[48:49], s[48:49], s[54:55]
; %bb.581:
	s_or_b64 exec, exec, s[0:1]
	v_mov_b32_e32 v5, 0
	v_mov_b32_e32 v6, 0
	s_and_saveexec_b64 s[0:1], s[48:49]
	s_cbranch_execz .LBB95_583
; %bb.582:
	v_and_b32_e32 v6, 0xffff, v7
	v_lshlrev_b32_e32 v5, 24, v7
	v_and_b32_e32 v7, 3, v6
	v_ffbh_u32_e32 v9, v7
	v_min_u32_e32 v9, 32, v9
	v_subrev_u32_e32 v11, 29, v9
	v_bfe_u32 v8, v6, 2, 5
	v_lshlrev_b32_e32 v6, v11, v6
	v_sub_u32_e32 v9, 30, v9
	v_and_b32_e32 v6, 3, v6
	v_cmp_eq_u32_e32 vcc, 0, v8
	v_cndmask_b32_e32 v8, v8, v9, vcc
	v_cndmask_b32_e32 v6, v7, v6, vcc
	v_mov_b32_e32 v7, 0x37800000
	v_lshlrev_b32_e32 v6, 21, v6
	v_and_b32_e32 v5, 0x80000000, v5
	v_lshl_add_u32 v7, v8, 23, v7
	v_or3_b32 v5, v5, v7, v6
	v_trunc_f32_e32 v5, v5
	s_mov_b32 s48, 0x2f800000
	v_mul_f32_e64 v6, |v5|, s48
	v_floor_f32_e32 v6, v6
	s_mov_b32 s48, 0xcf800000
	v_fma_f32 v7, v6, s48, |v5|
	v_cvt_u32_f32_e32 v7, v7
	v_cvt_u32_f32_e32 v6, v6
	v_ashrrev_i32_e32 v8, 31, v5
	v_xor_b32_e32 v5, v7, v8
	v_xor_b32_e32 v6, v6, v8
	v_sub_co_u32_e32 v5, vcc, v5, v8
	v_subb_co_u32_e32 v6, vcc, v6, v8, vcc
.LBB95_583:
	s_or_b64 exec, exec, s[0:1]
	s_mov_b64 s[0:1], 0
	s_branch .LBB95_587
.LBB95_584:
	s_mov_b64 s[48:49], -1
                                        ; implicit-def: $vgpr5_vgpr6
	s_branch .LBB95_593
.LBB95_585:
	s_mov_b64 s[0:1], -1
                                        ; implicit-def: $vgpr5_vgpr6
	s_branch .LBB95_590
.LBB95_586:
	s_mov_b64 s[0:1], -1
                                        ; implicit-def: $vgpr5_vgpr6
.LBB95_587:
	s_and_b64 vcc, exec, s[0:1]
	s_cbranch_vccz .LBB95_589
; %bb.588:
	global_load_ubyte v5, v[3:4], off
	s_mov_b32 s0, 0x7f800000
	s_brev_b32 s1, 1
	s_mov_b32 s48, 0x2f800000
	s_mov_b32 s49, 0xcf800000
	s_waitcnt vmcnt(0)
	v_lshlrev_b32_e32 v5, 24, v5
	v_and_b32_e32 v6, 0x7f000000, v5
	v_ffbh_u32_e32 v7, v6
	v_min_u32_e32 v7, 32, v7
	v_sub_u32_e64 v7, v7, 4 clamp
	v_lshlrev_b32_e32 v9, v7, v6
	v_lshlrev_b32_e32 v7, 23, v7
	v_lshrrev_b32_e32 v9, 4, v9
	v_add_u32_e32 v8, 0x1000000, v6
	v_sub_u32_e32 v7, v9, v7
	v_ashrrev_i32_e32 v8, 8, v8
	v_add_u32_e32 v7, 0x3c000000, v7
	v_and_or_b32 v7, v8, s0, v7
	v_cmp_ne_u32_e32 vcc, 0, v6
	v_cndmask_b32_e32 v6, 0, v7, vcc
	v_and_or_b32 v5, v5, s1, v6
	v_trunc_f32_e32 v5, v5
	v_mul_f32_e64 v6, |v5|, s48
	v_floor_f32_e32 v6, v6
	v_fma_f32 v7, v6, s49, |v5|
	v_cvt_u32_f32_e32 v7, v7
	v_cvt_u32_f32_e32 v6, v6
	v_ashrrev_i32_e32 v8, 31, v5
	v_xor_b32_e32 v5, v7, v8
	v_xor_b32_e32 v6, v6, v8
	v_sub_co_u32_e32 v5, vcc, v5, v8
	v_subb_co_u32_e32 v6, vcc, v6, v8, vcc
.LBB95_589:
	s_mov_b64 s[0:1], 0
.LBB95_590:
	s_andn2_b64 vcc, exec, s[0:1]
	s_cbranch_vccnz .LBB95_592
; %bb.591:
	global_load_ubyte v5, v[3:4], off
	s_movk_i32 s0, 0x7f00
	s_brev_b32 s1, 16
	s_brev_b32 s48, 1
	s_mov_b32 s49, 0x2f800000
	s_mov_b32 s54, 0xcf800000
	s_waitcnt vmcnt(0)
	v_lshlrev_b16_e32 v6, 8, v5
	v_lshlrev_b32_e32 v5, 25, v5
	v_lshrrev_b32_e32 v7, 4, v5
	v_and_or_b32 v8, v6, s0, 0.5
	v_or_b32_e32 v7, 0x70000000, v7
	v_add_f32_e32 v8, -0.5, v8
	v_mul_f32_e32 v7, 0x7800000, v7
	v_cmp_gt_u32_e32 vcc, s1, v5
	v_bfe_i32 v6, v6, 0, 16
	v_cndmask_b32_e32 v5, v7, v8, vcc
	v_and_or_b32 v5, v6, s48, v5
	v_trunc_f32_e32 v5, v5
	v_mul_f32_e64 v6, |v5|, s49
	v_floor_f32_e32 v6, v6
	v_fma_f32 v7, v6, s54, |v5|
	v_cvt_u32_f32_e32 v7, v7
	v_cvt_u32_f32_e32 v6, v6
	v_ashrrev_i32_e32 v8, 31, v5
	v_xor_b32_e32 v5, v7, v8
	v_xor_b32_e32 v6, v6, v8
	v_sub_co_u32_e32 v5, vcc, v5, v8
	v_subb_co_u32_e32 v6, vcc, v6, v8, vcc
.LBB95_592:
	s_mov_b64 s[48:49], 0
	s_mov_b64 s[0:1], -1
.LBB95_593:
	s_andn2_b64 vcc, exec, s[48:49]
	s_cbranch_vccnz .LBB95_604
; %bb.594:
	s_cmp_gt_i32 s53, 14
	s_cbranch_scc0 .LBB95_597
; %bb.595:
	s_cmp_eq_u32 s53, 15
	s_cbranch_scc0 .LBB95_598
; %bb.596:
	global_load_ushort v5, v[3:4], off
	s_mov_b32 s0, 0x2f800000
	s_mov_b32 s1, 0xcf800000
	s_mov_b64 s[46:47], 0
	s_waitcnt vmcnt(0)
	v_lshlrev_b32_e32 v5, 16, v5
	v_trunc_f32_e32 v5, v5
	v_mul_f32_e64 v6, |v5|, s0
	v_floor_f32_e32 v6, v6
	v_fma_f32 v7, v6, s1, |v5|
	v_cvt_u32_f32_e32 v7, v7
	v_cvt_u32_f32_e32 v6, v6
	v_ashrrev_i32_e32 v8, 31, v5
	s_mov_b64 s[0:1], -1
	v_xor_b32_e32 v5, v7, v8
	v_xor_b32_e32 v6, v6, v8
	v_sub_co_u32_e32 v5, vcc, v5, v8
	v_subb_co_u32_e32 v6, vcc, v6, v8, vcc
	s_branch .LBB95_599
.LBB95_597:
	s_mov_b64 s[48:49], -1
                                        ; implicit-def: $vgpr5_vgpr6
	s_branch .LBB95_600
.LBB95_598:
	s_mov_b64 s[46:47], -1
                                        ; implicit-def: $vgpr5_vgpr6
.LBB95_599:
	s_mov_b64 s[48:49], 0
.LBB95_600:
	s_and_b64 vcc, exec, s[48:49]
	s_cbranch_vccz .LBB95_604
; %bb.601:
	s_cmp_eq_u32 s53, 11
	s_cbranch_scc0 .LBB95_603
; %bb.602:
	global_load_ubyte v5, v[3:4], off
	s_mov_b32 s46, 0
	s_mov_b64 s[0:1], -1
	s_waitcnt vmcnt(1)
	v_mov_b32_e32 v6, s46
	s_mov_b64 s[46:47], 0
	s_waitcnt vmcnt(0)
	v_cmp_ne_u16_e32 vcc, 0, v5
	v_cndmask_b32_e64 v5, 0, 1, vcc
	s_branch .LBB95_604
.LBB95_603:
	s_mov_b64 s[46:47], -1
                                        ; implicit-def: $vgpr5_vgpr6
.LBB95_604:
	s_mov_b64 s[48:49], 0
.LBB95_605:
	s_and_b64 vcc, exec, s[48:49]
	s_cbranch_vccz .LBB95_654
; %bb.606:
	s_and_b32 s48, 0xffff, s52
	s_cmp_lt_i32 s48, 5
	s_cbranch_scc1 .LBB95_611
; %bb.607:
	s_cmp_lt_i32 s48, 8
	s_cbranch_scc1 .LBB95_612
; %bb.608:
	;; [unrolled: 3-line block ×3, first 2 shown]
	s_cmp_gt_i32 s48, 9
	s_cbranch_scc0 .LBB95_614
; %bb.610:
	global_load_dwordx2 v[5:6], v[3:4], off
	s_movk_i32 s0, 0xffe0
	s_waitcnt vmcnt(0)
	v_trunc_f64_e32 v[5:6], v[5:6]
	v_ldexp_f64 v[7:8], v[5:6], s0
	s_mov_b32 s0, 0
	s_mov_b32 s1, 0xc1f00000
	v_floor_f64_e32 v[7:8], v[7:8]
	v_fma_f64 v[11:12], v[7:8], s[0:1], v[5:6]
	v_cvt_i32_f64_e32 v6, v[7:8]
	s_mov_b64 s[0:1], 0
	v_cvt_u32_f64_e32 v5, v[11:12]
	s_branch .LBB95_615
.LBB95_611:
	s_mov_b64 s[0:1], -1
                                        ; implicit-def: $vgpr5_vgpr6
	s_branch .LBB95_633
.LBB95_612:
	s_mov_b64 s[0:1], -1
                                        ; implicit-def: $vgpr5_vgpr6
	s_branch .LBB95_621
.LBB95_613:
	s_mov_b64 s[0:1], -1
                                        ; implicit-def: $vgpr5_vgpr6
	s_branch .LBB95_618
.LBB95_614:
	s_mov_b64 s[0:1], -1
                                        ; implicit-def: $vgpr5_vgpr6
.LBB95_615:
	s_andn2_b64 vcc, exec, s[0:1]
	s_cbranch_vccnz .LBB95_617
; %bb.616:
	global_load_dword v5, v[3:4], off
	s_mov_b32 s0, 0x2f800000
	s_mov_b32 s1, 0xcf800000
	s_waitcnt vmcnt(0)
	v_trunc_f32_e32 v5, v5
	v_mul_f32_e64 v6, |v5|, s0
	v_floor_f32_e32 v6, v6
	v_cvt_u32_f32_e32 v7, v6
	v_fma_f32 v6, v6, s1, |v5|
	v_cvt_u32_f32_e32 v6, v6
	v_ashrrev_i32_e32 v8, 31, v5
	v_xor_b32_e32 v7, v7, v8
	v_xor_b32_e32 v5, v6, v8
	v_sub_co_u32_e32 v5, vcc, v5, v8
	v_subb_co_u32_e32 v6, vcc, v7, v8, vcc
.LBB95_617:
	s_mov_b64 s[0:1], 0
.LBB95_618:
	s_andn2_b64 vcc, exec, s[0:1]
	s_cbranch_vccnz .LBB95_620
; %bb.619:
	global_load_dword v5, v[3:4], off
	s_waitcnt vmcnt(0)
	v_cvt_f32_f16_e32 v5, v5
	v_cvt_i32_f32_e32 v5, v5
	v_ashrrev_i32_e32 v6, 31, v5
.LBB95_620:
	s_mov_b64 s[0:1], 0
.LBB95_621:
	s_andn2_b64 vcc, exec, s[0:1]
	s_cbranch_vccnz .LBB95_632
; %bb.622:
	s_cmp_lt_i32 s48, 6
	s_cbranch_scc1 .LBB95_625
; %bb.623:
	s_cmp_gt_i32 s48, 6
	s_cbranch_scc0 .LBB95_626
; %bb.624:
	global_load_dwordx2 v[5:6], v[3:4], off
	s_movk_i32 s0, 0xffe0
	s_waitcnt vmcnt(0)
	v_trunc_f64_e32 v[5:6], v[5:6]
	v_ldexp_f64 v[7:8], v[5:6], s0
	s_mov_b32 s0, 0
	s_mov_b32 s1, 0xc1f00000
	v_floor_f64_e32 v[7:8], v[7:8]
	v_fma_f64 v[11:12], v[7:8], s[0:1], v[5:6]
	v_cvt_i32_f64_e32 v6, v[7:8]
	s_mov_b64 s[0:1], 0
	v_cvt_u32_f64_e32 v5, v[11:12]
	s_branch .LBB95_627
.LBB95_625:
	s_mov_b64 s[0:1], -1
                                        ; implicit-def: $vgpr5_vgpr6
	s_branch .LBB95_630
.LBB95_626:
	s_mov_b64 s[0:1], -1
                                        ; implicit-def: $vgpr5_vgpr6
.LBB95_627:
	s_andn2_b64 vcc, exec, s[0:1]
	s_cbranch_vccnz .LBB95_629
; %bb.628:
	global_load_dword v5, v[3:4], off
	s_mov_b32 s0, 0x2f800000
	s_mov_b32 s1, 0xcf800000
	s_waitcnt vmcnt(0)
	v_trunc_f32_e32 v5, v5
	v_mul_f32_e64 v6, |v5|, s0
	v_floor_f32_e32 v6, v6
	v_cvt_u32_f32_e32 v7, v6
	v_fma_f32 v6, v6, s1, |v5|
	v_cvt_u32_f32_e32 v6, v6
	v_ashrrev_i32_e32 v8, 31, v5
	v_xor_b32_e32 v7, v7, v8
	v_xor_b32_e32 v5, v6, v8
	v_sub_co_u32_e32 v5, vcc, v5, v8
	v_subb_co_u32_e32 v6, vcc, v7, v8, vcc
.LBB95_629:
	s_mov_b64 s[0:1], 0
.LBB95_630:
	s_andn2_b64 vcc, exec, s[0:1]
	s_cbranch_vccnz .LBB95_632
; %bb.631:
	global_load_ushort v5, v[3:4], off
	s_waitcnt vmcnt(0)
	v_cvt_f32_f16_e32 v5, v5
	v_cvt_i32_f32_e32 v5, v5
	v_ashrrev_i32_e32 v6, 31, v5
.LBB95_632:
	s_mov_b64 s[0:1], 0
.LBB95_633:
	s_andn2_b64 vcc, exec, s[0:1]
	s_cbranch_vccnz .LBB95_653
; %bb.634:
	s_cmp_lt_i32 s48, 2
	s_cbranch_scc1 .LBB95_638
; %bb.635:
	s_cmp_lt_i32 s48, 3
	s_cbranch_scc1 .LBB95_639
; %bb.636:
	s_cmp_gt_i32 s48, 3
	s_cbranch_scc0 .LBB95_640
; %bb.637:
	global_load_dwordx2 v[5:6], v[3:4], off
	s_mov_b64 s[0:1], 0
	s_branch .LBB95_641
.LBB95_638:
	s_mov_b64 s[0:1], -1
                                        ; implicit-def: $vgpr5_vgpr6
	s_branch .LBB95_647
.LBB95_639:
	s_mov_b64 s[0:1], -1
                                        ; implicit-def: $vgpr5_vgpr6
	s_branch .LBB95_644
.LBB95_640:
	s_mov_b64 s[0:1], -1
                                        ; implicit-def: $vgpr5_vgpr6
.LBB95_641:
	s_andn2_b64 vcc, exec, s[0:1]
	s_cbranch_vccnz .LBB95_643
; %bb.642:
	global_load_dword v5, v[3:4], off
	s_waitcnt vmcnt(0)
	v_ashrrev_i32_e32 v6, 31, v5
.LBB95_643:
	s_mov_b64 s[0:1], 0
.LBB95_644:
	s_andn2_b64 vcc, exec, s[0:1]
	s_cbranch_vccnz .LBB95_646
; %bb.645:
	global_load_ushort v5, v[3:4], off
	s_waitcnt vmcnt(0)
	v_bfe_i32 v5, v5, 0, 16
	v_ashrrev_i32_e32 v6, 31, v5
.LBB95_646:
	s_mov_b64 s[0:1], 0
.LBB95_647:
	s_andn2_b64 vcc, exec, s[0:1]
	s_cbranch_vccnz .LBB95_653
; %bb.648:
	s_cmp_gt_i32 s48, 0
	s_cbranch_scc0 .LBB95_650
; %bb.649:
	global_load_sbyte v5, v[3:4], off
	s_mov_b64 s[0:1], 0
	s_waitcnt vmcnt(0)
	v_bfe_i32 v5, v5, 0, 16
	v_ashrrev_i32_e32 v6, 31, v5
	s_branch .LBB95_651
.LBB95_650:
	s_mov_b64 s[0:1], -1
                                        ; implicit-def: $vgpr5_vgpr6
.LBB95_651:
	s_andn2_b64 vcc, exec, s[0:1]
	s_cbranch_vccnz .LBB95_653
; %bb.652:
	global_load_ubyte v3, v[3:4], off
	s_mov_b32 s0, 0
	s_waitcnt vmcnt(1)
	v_mov_b32_e32 v6, s0
	s_waitcnt vmcnt(0)
	v_and_b32_e32 v5, 0xffff, v3
.LBB95_653:
	s_mov_b64 s[0:1], -1
.LBB95_654:
	s_andn2_b64 vcc, exec, s[0:1]
	s_cbranch_vccnz .LBB95_662
; %bb.655:
	s_waitcnt vmcnt(0)
	v_lshlrev_b64 v[1:2], v5, v[1:2]
	v_cmp_gt_u64_e32 vcc, 64, v[5:6]
	v_mov_b32_e32 v4, s9
	v_cndmask_b32_e32 v2, 0, v2, vcc
	v_cndmask_b32_e32 v1, 0, v1, vcc
	s_and_b32 s56, s69, 0xff
	v_add_co_u32_e32 v3, vcc, s8, v0
	s_cmp_lt_i32 s56, 11
	v_addc_co_u32_e32 v4, vcc, 0, v4, vcc
	s_cbranch_scc1 .LBB95_663
; %bb.656:
	s_and_b32 s57, 0xffff, s56
	s_cmp_gt_i32 s57, 25
	s_cbranch_scc0 .LBB95_664
; %bb.657:
	s_cmp_gt_i32 s57, 28
	s_cbranch_scc0 .LBB95_665
; %bb.658:
	;; [unrolled: 3-line block ×4, first 2 shown]
	s_mov_b64 s[52:53], 0
	s_mov_b64 s[0:1], -1
	s_cmp_eq_u32 s57, 46
	s_mov_b64 s[48:49], 0
	s_cbranch_scc0 .LBB95_668
; %bb.661:
	v_xor_b32_e32 v5, v1, v2
	v_ffbh_i32_e32 v0, v2
	v_ashrrev_i32_e32 v5, 31, v5
	v_add_u32_e32 v0, -1, v0
	v_add_u32_e32 v5, 32, v5
	v_min_u32_e32 v0, v0, v5
	v_lshlrev_b64 v[5:6], v0, v[1:2]
	v_sub_u32_e32 v0, 32, v0
	v_min_u32_e32 v5, 1, v5
	v_or_b32_e32 v5, v6, v5
	v_cvt_f32_i32_e32 v5, v5
	s_movk_i32 s0, 0x7fff
	s_mov_b64 s[48:49], -1
	v_ldexp_f32 v0, v5, v0
	v_bfe_u32 v5, v0, 16, 1
	v_add3_u32 v0, v0, v5, s0
	v_lshrrev_b32_e32 v0, 16, v0
	global_store_dword v[3:4], v0, off
	s_mov_b64 s[0:1], 0
	s_branch .LBB95_668
.LBB95_662:
	s_mov_b64 s[52:53], 0
                                        ; implicit-def: $vgpr10
	s_mov_b64 s[0:1], s[36:37]
	s_branch .LBB95_778
.LBB95_663:
	s_mov_b64 s[52:53], -1
	s_mov_b64 s[48:49], 0
	s_mov_b64 s[0:1], s[36:37]
	s_branch .LBB95_737
.LBB95_664:
	s_mov_b64 s[52:53], -1
	s_mov_b64 s[48:49], 0
	s_mov_b64 s[0:1], s[36:37]
	s_branch .LBB95_695
.LBB95_665:
	s_mov_b64 s[52:53], -1
	s_mov_b64 s[48:49], 0
	s_mov_b64 s[0:1], s[36:37]
	s_branch .LBB95_678
.LBB95_666:
	s_mov_b64 s[52:53], -1
	s_mov_b64 s[48:49], 0
	s_mov_b64 s[0:1], s[36:37]
	s_branch .LBB95_674
.LBB95_667:
	s_mov_b64 s[52:53], -1
	s_mov_b64 s[48:49], 0
	s_mov_b64 s[0:1], s[36:37]
.LBB95_668:
	s_and_b64 vcc, exec, s[52:53]
	s_cbranch_vccz .LBB95_673
; %bb.669:
	s_cmp_eq_u32 s57, 44
	s_mov_b64 s[0:1], -1
	s_cbranch_scc0 .LBB95_673
; %bb.670:
	v_xor_b32_e32 v5, v1, v2
	v_ffbh_i32_e32 v0, v2
	v_ashrrev_i32_e32 v5, 31, v5
	v_add_u32_e32 v0, -1, v0
	v_add_u32_e32 v5, 32, v5
	v_min_u32_e32 v0, v0, v5
	v_lshlrev_b64 v[5:6], v0, v[1:2]
	v_sub_u32_e32 v0, 32, v0
	v_min_u32_e32 v5, 1, v5
	v_or_b32_e32 v5, v6, v5
	v_cvt_f32_i32_e32 v5, v5
	s_movk_i32 s0, 0xff
	v_mov_b32_e32 v6, 0xff
	v_ldexp_f32 v0, v5, v0
	v_bfe_u32 v5, v0, 23, 8
	v_cmp_ne_u32_e32 vcc, s0, v5
	s_and_saveexec_b64 s[48:49], vcc
; %bb.671:
	s_mov_b32 s0, 0x3fffff
	v_lshrrev_b32_e32 v6, 23, v0
	v_and_b32_e32 v7, 0x400000, v0
	v_and_or_b32 v0, v0, s0, v5
	v_cmp_ne_u32_e32 vcc, 0, v7
	v_cmp_ne_u32_e64 s[0:1], 0, v0
	s_and_b64 s[0:1], vcc, s[0:1]
	v_cndmask_b32_e64 v0, 0, 1, s[0:1]
	v_add_u32_e32 v6, v6, v0
; %bb.672:
	s_or_b64 exec, exec, s[48:49]
	s_mov_b64 s[48:49], -1
	s_mov_b64 s[0:1], 0
	global_store_byte v[3:4], v6, off
.LBB95_673:
	s_mov_b64 s[52:53], 0
.LBB95_674:
	s_and_b64 vcc, exec, s[52:53]
	s_cbranch_vccz .LBB95_677
; %bb.675:
	s_cmp_eq_u32 s57, 29
	s_mov_b64 s[0:1], -1
	s_cbranch_scc0 .LBB95_677
; %bb.676:
	global_store_dwordx2 v[3:4], v[1:2], off
	s_mov_b64 s[48:49], -1
	s_mov_b64 s[0:1], 0
.LBB95_677:
	s_mov_b64 s[52:53], 0
.LBB95_678:
	s_and_b64 vcc, exec, s[52:53]
	s_cbranch_vccz .LBB95_694
; %bb.679:
	s_cmp_lt_i32 s57, 27
	s_mov_b64 s[48:49], -1
	s_cbranch_scc1 .LBB95_685
; %bb.680:
	s_cmp_gt_i32 s57, 27
	s_cbranch_scc0 .LBB95_682
; %bb.681:
	s_mov_b64 s[48:49], 0
	global_store_dword v[3:4], v1, off
.LBB95_682:
	s_andn2_b64 vcc, exec, s[48:49]
	s_cbranch_vccnz .LBB95_684
; %bb.683:
	global_store_short v[3:4], v1, off
.LBB95_684:
	s_mov_b64 s[48:49], 0
.LBB95_685:
	s_andn2_b64 vcc, exec, s[48:49]
	s_cbranch_vccnz .LBB95_693
; %bb.686:
	v_xor_b32_e32 v5, v1, v2
	v_ffbh_i32_e32 v0, v2
	v_ashrrev_i32_e32 v5, 31, v5
	v_add_u32_e32 v0, -1, v0
	v_add_u32_e32 v5, 32, v5
	v_min_u32_e32 v0, v0, v5
	v_lshlrev_b64 v[5:6], v0, v[1:2]
	v_sub_u32_e32 v0, 32, v0
	v_min_u32_e32 v5, 1, v5
	v_or_b32_e32 v5, v6, v5
	v_cvt_f32_i32_e32 v5, v5
	s_mov_b32 s48, 0x43800000
	v_mov_b32_e32 v6, 0x80
	v_ldexp_f32 v0, v5, v0
	v_and_b32_e32 v5, 0x7fffffff, v0
	v_cmp_gt_u32_e32 vcc, s48, v5
	s_and_saveexec_b64 s[48:49], vcc
	s_cbranch_execz .LBB95_692
; %bb.687:
	s_mov_b32 s52, 0x3bffffff
	v_cmp_lt_u32_e32 vcc, s52, v5
	s_mov_b64 s[52:53], 0
                                        ; implicit-def: $vgpr5
	s_and_saveexec_b64 s[54:55], vcc
	s_xor_b64 s[54:55], exec, s[54:55]
	s_cbranch_execz .LBB95_806
; %bb.688:
	v_bfe_u32 v5, v0, 20, 1
	s_mov_b32 s58, 0x487ffff
	v_add3_u32 v5, v0, v5, s58
	s_mov_b64 s[52:53], exec
	v_lshrrev_b32_e32 v5, 20, v5
	s_andn2_saveexec_b64 s[54:55], s[54:55]
	s_cbranch_execnz .LBB95_807
.LBB95_689:
	s_or_b64 exec, exec, s[54:55]
	v_mov_b32_e32 v6, 0
	s_and_saveexec_b64 s[54:55], s[52:53]
.LBB95_690:
	v_lshrrev_b32_e32 v0, 24, v0
	s_movk_i32 s52, 0x80
	v_and_or_b32 v6, v0, s52, v5
.LBB95_691:
	s_or_b64 exec, exec, s[54:55]
.LBB95_692:
	s_or_b64 exec, exec, s[48:49]
	global_store_byte v[3:4], v6, off
.LBB95_693:
	s_mov_b64 s[48:49], -1
.LBB95_694:
	s_mov_b64 s[52:53], 0
.LBB95_695:
	s_and_b64 vcc, exec, s[52:53]
	s_cbranch_vccz .LBB95_736
; %bb.696:
	s_cmp_gt_i32 s57, 22
	s_mov_b64 s[52:53], -1
	s_cbranch_scc0 .LBB95_728
; %bb.697:
	s_cmp_lt_i32 s57, 24
	s_mov_b64 s[48:49], -1
	s_cbranch_scc1 .LBB95_717
; %bb.698:
	s_cmp_gt_i32 s57, 24
	s_cbranch_scc0 .LBB95_706
; %bb.699:
	v_xor_b32_e32 v5, v1, v2
	v_ffbh_i32_e32 v0, v2
	v_ashrrev_i32_e32 v5, 31, v5
	v_add_u32_e32 v0, -1, v0
	v_add_u32_e32 v5, 32, v5
	v_min_u32_e32 v0, v0, v5
	v_lshlrev_b64 v[5:6], v0, v[1:2]
	v_sub_u32_e32 v0, 32, v0
	v_min_u32_e32 v5, 1, v5
	v_or_b32_e32 v5, v6, v5
	v_cvt_f32_i32_e32 v5, v5
	s_mov_b32 s48, 0x47800000
	v_mov_b32_e32 v6, 0x80
	v_ldexp_f32 v0, v5, v0
	v_and_b32_e32 v5, 0x7fffffff, v0
	v_cmp_gt_u32_e32 vcc, s48, v5
	s_and_saveexec_b64 s[48:49], vcc
	s_cbranch_execz .LBB95_705
; %bb.700:
	s_mov_b32 s52, 0x37ffffff
	v_cmp_lt_u32_e32 vcc, s52, v5
	s_mov_b64 s[52:53], 0
                                        ; implicit-def: $vgpr5
	s_and_saveexec_b64 s[54:55], vcc
	s_xor_b64 s[54:55], exec, s[54:55]
	s_cbranch_execz .LBB95_934
; %bb.701:
	v_bfe_u32 v5, v0, 21, 1
	s_mov_b32 s58, 0x88fffff
	v_add3_u32 v5, v0, v5, s58
	s_mov_b64 s[52:53], exec
	v_lshrrev_b32_e32 v5, 21, v5
	s_andn2_saveexec_b64 s[54:55], s[54:55]
	s_cbranch_execnz .LBB95_935
.LBB95_702:
	s_or_b64 exec, exec, s[54:55]
	v_mov_b32_e32 v6, 0
	s_and_saveexec_b64 s[54:55], s[52:53]
.LBB95_703:
	v_lshrrev_b32_e32 v0, 24, v0
	s_movk_i32 s52, 0x80
	v_and_or_b32 v6, v0, s52, v5
.LBB95_704:
	s_or_b64 exec, exec, s[54:55]
.LBB95_705:
	s_or_b64 exec, exec, s[48:49]
	s_mov_b64 s[48:49], 0
	global_store_byte v[3:4], v6, off
.LBB95_706:
	s_and_b64 vcc, exec, s[48:49]
	s_cbranch_vccz .LBB95_716
; %bb.707:
	v_xor_b32_e32 v5, v1, v2
	v_ffbh_i32_e32 v0, v2
	v_ashrrev_i32_e32 v5, 31, v5
	v_add_u32_e32 v0, -1, v0
	v_add_u32_e32 v5, 32, v5
	v_min_u32_e32 v0, v0, v5
	v_lshlrev_b64 v[5:6], v0, v[1:2]
	v_sub_u32_e32 v0, 32, v0
	v_min_u32_e32 v5, 1, v5
	v_or_b32_e32 v5, v6, v5
	v_cvt_f32_i32_e32 v5, v5
	s_mov_b32 s48, 0x43f00000
	v_ldexp_f32 v0, v5, v0
	v_and_b32_e32 v6, 0x7fffffff, v0
	v_cmp_gt_u32_e32 vcc, s48, v6
                                        ; implicit-def: $vgpr5
	s_and_saveexec_b64 s[48:49], vcc
	s_xor_b64 s[48:49], exec, s[48:49]
	s_cbranch_execz .LBB95_713
; %bb.708:
	s_mov_b32 s52, 0x3c7fffff
	v_cmp_lt_u32_e32 vcc, s52, v6
                                        ; implicit-def: $vgpr5
	s_and_saveexec_b64 s[52:53], vcc
	s_xor_b64 s[52:53], exec, s[52:53]
; %bb.709:
	v_bfe_u32 v5, v0, 20, 1
	s_mov_b32 s54, 0x407ffff
	v_add3_u32 v5, v0, v5, s54
	v_lshrrev_b32_e32 v6, 20, v5
	v_and_b32_e32 v5, 0xff00000, v5
	s_mov_b32 s54, 0x7f00000
	v_mov_b32_e32 v7, 0x7e
	v_cmp_ne_u32_e32 vcc, s54, v5
	v_cndmask_b32_e32 v5, v7, v6, vcc
; %bb.710:
	s_andn2_saveexec_b64 s[52:53], s[52:53]
; %bb.711:
	s_mov_b32 s54, 0x46800000
	v_add_f32_e64 v5, |v0|, s54
; %bb.712:
	s_or_b64 exec, exec, s[52:53]
                                        ; implicit-def: $vgpr6
.LBB95_713:
	s_andn2_saveexec_b64 s[48:49], s[48:49]
; %bb.714:
	s_mov_b32 s52, 0x7f800000
	v_mov_b32_e32 v5, 0x7e
	v_mov_b32_e32 v7, 0x7f
	v_cmp_lt_u32_e32 vcc, s52, v6
	v_cndmask_b32_e32 v5, v5, v7, vcc
; %bb.715:
	s_or_b64 exec, exec, s[48:49]
	v_lshrrev_b32_e32 v0, 24, v0
	s_movk_i32 s48, 0x80
	v_and_or_b32 v0, v0, s48, v5
	global_store_byte v[3:4], v0, off
.LBB95_716:
	s_mov_b64 s[48:49], 0
.LBB95_717:
	s_andn2_b64 vcc, exec, s[48:49]
	s_cbranch_vccnz .LBB95_727
; %bb.718:
	v_xor_b32_e32 v5, v1, v2
	v_ffbh_i32_e32 v0, v2
	v_ashrrev_i32_e32 v5, 31, v5
	v_add_u32_e32 v0, -1, v0
	v_add_u32_e32 v5, 32, v5
	v_min_u32_e32 v0, v0, v5
	v_lshlrev_b64 v[5:6], v0, v[1:2]
	v_sub_u32_e32 v0, 32, v0
	v_min_u32_e32 v5, 1, v5
	v_or_b32_e32 v5, v6, v5
	v_cvt_f32_i32_e32 v5, v5
	s_mov_b32 s48, 0x47800000
	v_ldexp_f32 v0, v5, v0
	v_and_b32_e32 v6, 0x7fffffff, v0
	v_cmp_gt_u32_e32 vcc, s48, v6
                                        ; implicit-def: $vgpr5
	s_and_saveexec_b64 s[48:49], vcc
	s_xor_b64 s[48:49], exec, s[48:49]
	s_cbranch_execz .LBB95_724
; %bb.719:
	s_mov_b32 s52, 0x387fffff
	v_cmp_lt_u32_e32 vcc, s52, v6
                                        ; implicit-def: $vgpr5
	s_and_saveexec_b64 s[52:53], vcc
	s_xor_b64 s[52:53], exec, s[52:53]
; %bb.720:
	v_bfe_u32 v5, v0, 21, 1
	s_mov_b32 s54, 0x80fffff
	v_add3_u32 v5, v0, v5, s54
	v_lshrrev_b32_e32 v5, 21, v5
; %bb.721:
	s_andn2_saveexec_b64 s[52:53], s[52:53]
; %bb.722:
	s_mov_b32 s54, 0x43000000
	v_add_f32_e64 v5, |v0|, s54
; %bb.723:
	s_or_b64 exec, exec, s[52:53]
                                        ; implicit-def: $vgpr6
.LBB95_724:
	s_andn2_saveexec_b64 s[48:49], s[48:49]
; %bb.725:
	s_mov_b32 s52, 0x7f800000
	v_mov_b32_e32 v5, 0x7c
	v_mov_b32_e32 v7, 0x7f
	v_cmp_lt_u32_e32 vcc, s52, v6
	v_cndmask_b32_e32 v5, v5, v7, vcc
; %bb.726:
	s_or_b64 exec, exec, s[48:49]
	v_lshrrev_b32_e32 v0, 24, v0
	s_movk_i32 s48, 0x80
	v_and_or_b32 v0, v0, s48, v5
	global_store_byte v[3:4], v0, off
.LBB95_727:
	s_mov_b64 s[52:53], 0
	s_mov_b64 s[48:49], -1
.LBB95_728:
	s_andn2_b64 vcc, exec, s[52:53]
	s_cbranch_vccnz .LBB95_736
; %bb.729:
	s_cmp_gt_i32 s57, 14
	s_mov_b64 s[52:53], -1
	s_cbranch_scc0 .LBB95_733
; %bb.730:
	s_cmp_eq_u32 s57, 15
	s_mov_b64 s[0:1], -1
	s_cbranch_scc0 .LBB95_732
; %bb.731:
	v_xor_b32_e32 v5, v1, v2
	v_ffbh_i32_e32 v0, v2
	v_ashrrev_i32_e32 v5, 31, v5
	v_add_u32_e32 v0, -1, v0
	v_add_u32_e32 v5, 32, v5
	v_min_u32_e32 v0, v0, v5
	v_lshlrev_b64 v[5:6], v0, v[1:2]
	v_sub_u32_e32 v0, 32, v0
	v_min_u32_e32 v5, 1, v5
	v_or_b32_e32 v5, v6, v5
	v_cvt_f32_i32_e32 v5, v5
	s_movk_i32 s0, 0x7fff
	s_mov_b64 s[48:49], -1
	v_ldexp_f32 v0, v5, v0
	v_bfe_u32 v5, v0, 16, 1
	v_add3_u32 v0, v0, v5, s0
	global_store_short_d16_hi v[3:4], v0, off
	s_mov_b64 s[0:1], 0
.LBB95_732:
	s_mov_b64 s[52:53], 0
.LBB95_733:
	s_and_b64 vcc, exec, s[52:53]
	s_cbranch_vccz .LBB95_736
; %bb.734:
	s_cmp_eq_u32 s57, 11
	s_mov_b64 s[0:1], -1
	s_cbranch_scc0 .LBB95_736
; %bb.735:
	v_cmp_ne_u64_e32 vcc, 0, v[1:2]
	s_mov_b64 s[0:1], 0
	v_cndmask_b32_e64 v0, 0, 1, vcc
	s_mov_b64 s[48:49], -1
	global_store_byte v[3:4], v0, off
.LBB95_736:
	s_mov_b64 s[52:53], 0
.LBB95_737:
	s_and_b64 vcc, exec, s[52:53]
	s_cbranch_vccz .LBB95_776
; %bb.738:
	s_and_b32 s52, 0xffff, s56
	s_cmp_lt_i32 s52, 5
	s_mov_b64 s[48:49], -1
	s_cbranch_scc1 .LBB95_759
; %bb.739:
	s_cmp_lt_i32 s52, 8
	s_cbranch_scc1 .LBB95_749
; %bb.740:
	s_cmp_lt_i32 s52, 9
	s_cbranch_scc1 .LBB95_746
; %bb.741:
	s_cmp_gt_i32 s52, 9
	s_cbranch_scc0 .LBB95_743
; %bb.742:
	v_cvt_f64_i32_e32 v[5:6], v2
	v_cvt_f64_u32_e32 v[7:8], v1
	s_mov_b64 s[48:49], 0
	v_ldexp_f64 v[5:6], v[5:6], 32
	v_add_f64 v[5:6], v[5:6], v[7:8]
	v_mov_b32_e32 v7, 0
	v_mov_b32_e32 v8, v7
	global_store_dwordx4 v[3:4], v[5:8], off
.LBB95_743:
	s_andn2_b64 vcc, exec, s[48:49]
	s_cbranch_vccnz .LBB95_745
; %bb.744:
	v_xor_b32_e32 v5, v1, v2
	v_ffbh_i32_e32 v0, v2
	v_ashrrev_i32_e32 v5, 31, v5
	v_add_u32_e32 v0, -1, v0
	v_add_u32_e32 v5, 32, v5
	v_min_u32_e32 v0, v0, v5
	v_lshlrev_b64 v[5:6], v0, v[1:2]
	v_sub_u32_e32 v0, 32, v0
	v_min_u32_e32 v5, 1, v5
	v_or_b32_e32 v5, v6, v5
	v_cvt_f32_i32_e32 v5, v5
	v_mov_b32_e32 v6, 0
	v_ldexp_f32 v5, v5, v0
	global_store_dwordx2 v[3:4], v[5:6], off
.LBB95_745:
	s_mov_b64 s[48:49], 0
.LBB95_746:
	s_andn2_b64 vcc, exec, s[48:49]
	s_cbranch_vccnz .LBB95_748
; %bb.747:
	v_xor_b32_e32 v5, v1, v2
	v_ffbh_i32_e32 v0, v2
	v_ashrrev_i32_e32 v5, 31, v5
	v_add_u32_e32 v0, -1, v0
	v_add_u32_e32 v5, 32, v5
	v_min_u32_e32 v0, v0, v5
	v_lshlrev_b64 v[5:6], v0, v[1:2]
	v_sub_u32_e32 v0, 32, v0
	v_min_u32_e32 v5, 1, v5
	v_or_b32_e32 v5, v6, v5
	v_cvt_f32_i32_e32 v5, v5
	v_ldexp_f32 v0, v5, v0
	v_cvt_f16_f32_e32 v0, v0
	global_store_dword v[3:4], v0, off
.LBB95_748:
	s_mov_b64 s[48:49], 0
.LBB95_749:
	s_andn2_b64 vcc, exec, s[48:49]
	s_cbranch_vccnz .LBB95_758
; %bb.750:
	s_cmp_lt_i32 s52, 6
	s_mov_b64 s[48:49], -1
	s_cbranch_scc1 .LBB95_756
; %bb.751:
	s_cmp_gt_i32 s52, 6
	s_cbranch_scc0 .LBB95_753
; %bb.752:
	v_cvt_f64_i32_e32 v[5:6], v2
	v_cvt_f64_u32_e32 v[7:8], v1
	s_mov_b64 s[48:49], 0
	v_ldexp_f64 v[5:6], v[5:6], 32
	v_add_f64 v[5:6], v[5:6], v[7:8]
	global_store_dwordx2 v[3:4], v[5:6], off
.LBB95_753:
	s_andn2_b64 vcc, exec, s[48:49]
	s_cbranch_vccnz .LBB95_755
; %bb.754:
	v_xor_b32_e32 v5, v1, v2
	v_ffbh_i32_e32 v0, v2
	v_ashrrev_i32_e32 v5, 31, v5
	v_add_u32_e32 v0, -1, v0
	v_add_u32_e32 v5, 32, v5
	v_min_u32_e32 v0, v0, v5
	v_lshlrev_b64 v[5:6], v0, v[1:2]
	v_sub_u32_e32 v0, 32, v0
	v_min_u32_e32 v5, 1, v5
	v_or_b32_e32 v5, v6, v5
	v_cvt_f32_i32_e32 v5, v5
	v_ldexp_f32 v0, v5, v0
	global_store_dword v[3:4], v0, off
.LBB95_755:
	s_mov_b64 s[48:49], 0
.LBB95_756:
	s_andn2_b64 vcc, exec, s[48:49]
	s_cbranch_vccnz .LBB95_758
; %bb.757:
	v_xor_b32_e32 v5, v1, v2
	v_ffbh_i32_e32 v0, v2
	v_ashrrev_i32_e32 v5, 31, v5
	v_add_u32_e32 v0, -1, v0
	v_add_u32_e32 v5, 32, v5
	v_min_u32_e32 v0, v0, v5
	v_lshlrev_b64 v[5:6], v0, v[1:2]
	v_sub_u32_e32 v0, 32, v0
	v_min_u32_e32 v5, 1, v5
	v_or_b32_e32 v5, v6, v5
	v_cvt_f32_i32_e32 v5, v5
	v_ldexp_f32 v0, v5, v0
	v_cvt_f16_f32_e32 v0, v0
	global_store_short v[3:4], v0, off
.LBB95_758:
	s_mov_b64 s[48:49], 0
.LBB95_759:
	s_andn2_b64 vcc, exec, s[48:49]
	s_cbranch_vccnz .LBB95_775
; %bb.760:
	s_cmp_lt_i32 s52, 2
	s_mov_b64 s[48:49], -1
	s_cbranch_scc1 .LBB95_770
; %bb.761:
	s_cmp_lt_i32 s52, 3
	s_cbranch_scc1 .LBB95_767
; %bb.762:
	s_cmp_gt_i32 s52, 3
	s_cbranch_scc0 .LBB95_764
; %bb.763:
	s_mov_b64 s[48:49], 0
	global_store_dwordx2 v[3:4], v[1:2], off
.LBB95_764:
	s_andn2_b64 vcc, exec, s[48:49]
	s_cbranch_vccnz .LBB95_766
; %bb.765:
	global_store_dword v[3:4], v1, off
.LBB95_766:
	s_mov_b64 s[48:49], 0
.LBB95_767:
	s_andn2_b64 vcc, exec, s[48:49]
	s_cbranch_vccnz .LBB95_769
; %bb.768:
	global_store_short v[3:4], v1, off
.LBB95_769:
	s_mov_b64 s[48:49], 0
.LBB95_770:
	s_andn2_b64 vcc, exec, s[48:49]
	s_cbranch_vccnz .LBB95_775
; %bb.771:
	s_cmp_gt_i32 s52, 0
	s_mov_b64 s[48:49], -1
	s_cbranch_scc0 .LBB95_773
; %bb.772:
	s_mov_b64 s[48:49], 0
	global_store_byte v[3:4], v1, off
.LBB95_773:
	s_andn2_b64 vcc, exec, s[48:49]
	s_cbranch_vccnz .LBB95_775
; %bb.774:
	global_store_byte v[3:4], v1, off
.LBB95_775:
	s_mov_b64 s[48:49], -1
.LBB95_776:
	s_andn2_b64 vcc, exec, s[48:49]
	s_cbranch_vccnz .LBB95_788
; %bb.777:
	v_add_u32_e32 v10, 0x80, v10
	s_mov_b64 s[52:53], -1
.LBB95_778:
	s_andn2_b64 s[48:49], s[36:37], exec
	s_and_b64 s[0:1], s[0:1], exec
	s_or_b64 s[48:49], s[48:49], s[0:1]
	s_andn2_b64 s[0:1], s[38:39], exec
	s_and_b64 s[46:47], s[46:47], exec
	s_or_b64 s[46:47], s[0:1], s[46:47]
	;; [unrolled: 3-line block ×3, first 2 shown]
	s_orn2_b64 s[0:1], s[52:53], exec
.LBB95_779:
	s_or_b64 exec, exec, s[50:51]
	s_mov_b64 s[52:53], 0
	s_mov_b64 s[54:55], 0
	;; [unrolled: 1-line block ×3, first 2 shown]
                                        ; implicit-def: $sgpr73
                                        ; implicit-def: $vgpr4_vgpr5
                                        ; implicit-def: $vgpr0
                                        ; implicit-def: $vgpr3
                                        ; implicit-def: $vgpr1_vgpr2
	s_and_saveexec_b64 s[50:51], s[0:1]
	s_cbranch_execz .LBB95_1264
; %bb.780:
	v_cmp_gt_i32_e32 vcc, s66, v10
	s_mov_b64 s[64:65], -1
	s_mov_b64 s[0:1], s[44:45]
	s_mov_b64 s[56:57], s[46:47]
	;; [unrolled: 1-line block ×3, first 2 shown]
	s_and_saveexec_b64 s[52:53], vcc
	s_cbranch_execz .LBB95_1172
; %bb.781:
	s_andn2_b64 vcc, exec, s[20:21]
	s_cbranch_vccnz .LBB95_787
; %bb.782:
	s_andn2_b64 vcc, exec, s[34:35]
	s_cbranch_vccnz .LBB95_789
; %bb.783:
	s_add_i32 s0, s72, 1
	s_and_b32 s54, s0, 30
	s_add_u32 s0, s2, 0xffffffe8
	s_addc_u32 s1, s3, -1
	v_mov_b32_e32 v3, 0
	s_waitcnt vmcnt(0)
	v_mov_b32_e32 v5, 0
	v_mov_b32_e32 v0, 0
	;; [unrolled: 1-line block ×3, first 2 shown]
.LBB95_784:                             ; =>This Inner Loop Header: Depth=1
	s_load_dwordx4 s[56:59], s[0:1], 0x1c
	s_load_dwordx2 s[64:65], s[0:1], 0x2c
	s_load_dwordx2 s[74:75], s[0:1], 0xec
	s_load_dwordx4 s[60:63], s[0:1], 0xdc
	s_add_u32 s0, s0, 24
	s_waitcnt lgkmcnt(0)
	v_mul_hi_u32 v2, s57, v1
	s_addc_u32 s1, s1, 0
	s_add_i32 s54, s54, -2
	s_cmp_eq_u32 s54, 0
	v_add_u32_e32 v2, v1, v2
	v_lshrrev_b32_e32 v2, s58, v2
	v_mul_lo_u32 v4, v2, s56
	v_mul_hi_u32 v6, s64, v2
	v_sub_u32_e32 v4, v1, v4
	v_add_u32_e32 v1, v2, v6
	v_lshrrev_b32_e32 v1, s65, v1
	v_mul_lo_u32 v8, v1, s59
	v_mul_lo_u32 v6, v4, s60
	;; [unrolled: 1-line block ×4, first 2 shown]
	v_sub_u32_e32 v2, v2, v8
	v_mul_lo_u32 v8, v2, s63
	v_mul_lo_u32 v9, v2, s74
	;; [unrolled: 1-line block ×3, first 2 shown]
	v_add3_u32 v0, v6, v0, v8
	v_add3_u32 v5, v7, v5, v9
	;; [unrolled: 1-line block ×3, first 2 shown]
	s_cbranch_scc0 .LBB95_784
; %bb.785:
	s_bitcmp1_b32 s72, 0
	s_cselect_b64 s[54:55], -1, 0
	s_and_b64 vcc, exec, s[54:55]
	s_cbranch_vccnz .LBB95_790
; %bb.786:
	s_load_dwordx2 s[54:55], s[0:1], 0x1c
	s_load_dword s58, s[0:1], 0x24
	s_load_dwordx2 s[56:57], s[0:1], 0xdc
	s_waitcnt lgkmcnt(0)
	v_mul_hi_u32 v2, s55, v1
	v_add_u32_e32 v2, v1, v2
	v_lshrrev_b32_e32 v2, s58, v2
	v_mul_lo_u32 v2, v2, s54
	s_load_dword s54, s[0:1], 0xe4
	v_sub_u32_e32 v2, v1, v2
	v_mad_u64_u32 v[0:1], s[0:1], v2, s56, v[0:1]
	v_mad_u64_u32 v[5:6], s[0:1], v2, s57, v[5:6]
	s_waitcnt lgkmcnt(0)
	v_mad_u64_u32 v[3:4], s[0:1], v2, s54, v[3:4]
	s_branch .LBB95_790
.LBB95_787:
	s_mov_b64 s[0:1], -1
                                        ; implicit-def: $vgpr0
                                        ; implicit-def: $vgpr5
                                        ; implicit-def: $vgpr3
	s_branch .LBB95_791
.LBB95_788:
	s_mov_b64 s[52:53], 0
	s_branch .LBB95_540
.LBB95_789:
	v_mov_b32_e32 v0, 0
	s_waitcnt vmcnt(0)
	v_mov_b32_e32 v5, 0
	v_mov_b32_e32 v3, 0
.LBB95_790:
	s_mov_b64 s[0:1], 0
.LBB95_791:
	s_andn2_b64 vcc, exec, s[0:1]
	s_cbranch_vccnz .LBB95_794
; %bb.792:
	s_waitcnt lgkmcnt(0)
	v_mul_hi_u32 v0, s17, v10
	s_andn2_b64 vcc, exec, s[30:31]
	v_add_u32_e32 v0, v10, v0
	s_waitcnt vmcnt(0)
	v_lshrrev_b32_e32 v1, s18, v0
	v_mul_lo_u32 v0, v1, s16
	v_sub_u32_e32 v2, v10, v0
	v_mul_lo_u32 v0, v2, s12
	v_mul_lo_u32 v5, v2, s13
	;; [unrolled: 1-line block ×3, first 2 shown]
	s_cbranch_vccnz .LBB95_794
; %bb.793:
	v_mul_hi_u32 v2, s28, v1
	v_add_u32_e32 v2, v1, v2
	v_lshrrev_b32_e32 v2, s29, v2
	v_mul_lo_u32 v2, v2, s19
	v_sub_u32_e32 v2, v1, v2
	v_mad_u64_u32 v[0:1], s[0:1], v2, s15, v[0:1]
	v_mad_u64_u32 v[5:6], s[0:1], v2, s26, v[5:6]
	;; [unrolled: 1-line block ×3, first 2 shown]
.LBB95_794:
	s_waitcnt vmcnt(0) lgkmcnt(0)
	v_mov_b32_e32 v1, s11
	s_and_b32 s58, s71, 0xff
	v_add_co_u32_e32 v4, vcc, s10, v5
	s_cmp_lt_i32 s58, 11
	v_addc_co_u32_e32 v5, vcc, 0, v1, vcc
	s_cbranch_scc1 .LBB95_801
; %bb.795:
	s_and_b32 s59, 0xffff, s58
	s_cmp_gt_i32 s59, 25
	s_cbranch_scc0 .LBB95_802
; %bb.796:
	s_cmp_gt_i32 s59, 28
	s_cbranch_scc0 .LBB95_803
; %bb.797:
	;; [unrolled: 3-line block ×4, first 2 shown]
	s_cmp_eq_u32 s59, 46
	s_mov_b64 s[56:57], 0
	s_cbranch_scc0 .LBB95_808
; %bb.800:
	global_load_dword v1, v[4:5], off
	s_mov_b32 s0, 0x2f800000
	s_mov_b32 s1, 0xcf800000
	s_mov_b64 s[54:55], 0
	s_waitcnt vmcnt(0)
	v_lshlrev_b32_e32 v1, 16, v1
	v_trunc_f32_e32 v1, v1
	v_mul_f32_e64 v2, |v1|, s0
	v_floor_f32_e32 v2, v2
	v_fma_f32 v6, v2, s1, |v1|
	v_cvt_u32_f32_e32 v6, v6
	v_cvt_u32_f32_e32 v2, v2
	v_ashrrev_i32_e32 v7, 31, v1
	s_mov_b64 s[0:1], -1
	v_xor_b32_e32 v1, v6, v7
	v_xor_b32_e32 v2, v2, v7
	v_sub_co_u32_e32 v1, vcc, v1, v7
	v_subb_co_u32_e32 v2, vcc, v2, v7, vcc
	s_branch .LBB95_809
.LBB95_801:
	s_mov_b64 s[56:57], -1
	s_mov_b64 s[0:1], 0
                                        ; implicit-def: $vgpr1_vgpr2
	s_mov_b64 s[54:55], s[44:45]
	s_branch .LBB95_870
.LBB95_802:
	s_mov_b64 s[56:57], -1
	s_mov_b64 s[0:1], 0
	s_mov_b64 s[54:55], s[44:45]
                                        ; implicit-def: $vgpr1_vgpr2
	s_branch .LBB95_838
.LBB95_803:
	s_mov_b64 s[56:57], -1
	s_mov_b64 s[0:1], 0
	s_mov_b64 s[54:55], s[44:45]
                                        ; implicit-def: $vgpr1_vgpr2
	s_branch .LBB95_819
.LBB95_804:
	s_mov_b64 s[56:57], -1
	s_mov_b64 s[0:1], 0
	s_mov_b64 s[54:55], s[44:45]
                                        ; implicit-def: $vgpr1_vgpr2
	s_branch .LBB95_814
.LBB95_805:
	s_mov_b64 s[56:57], -1
	s_mov_b64 s[0:1], 0
	s_mov_b64 s[54:55], s[44:45]
                                        ; implicit-def: $vgpr1_vgpr2
	s_branch .LBB95_809
.LBB95_806:
	s_andn2_saveexec_b64 s[54:55], s[54:55]
	s_cbranch_execz .LBB95_689
.LBB95_807:
	s_mov_b32 s58, 0x46000000
	v_add_f32_e64 v5, |v0|, s58
	v_and_b32_e32 v5, 0xff, v5
	v_cmp_ne_u32_e32 vcc, 0, v5
	s_andn2_b64 s[52:53], s[52:53], exec
	s_and_b64 s[58:59], vcc, exec
	s_or_b64 s[52:53], s[52:53], s[58:59]
	s_or_b64 exec, exec, s[54:55]
	v_mov_b32_e32 v6, 0
	s_and_saveexec_b64 s[54:55], s[52:53]
	s_cbranch_execnz .LBB95_690
	s_branch .LBB95_691
.LBB95_808:
	s_mov_b64 s[54:55], -1
                                        ; implicit-def: $vgpr1_vgpr2
	s_mov_b64 s[0:1], 0
.LBB95_809:
	s_and_b64 vcc, exec, s[56:57]
	s_cbranch_vccz .LBB95_813
; %bb.810:
	s_cmp_eq_u32 s59, 44
	s_cbranch_scc0 .LBB95_812
; %bb.811:
	global_load_ubyte v1, v[4:5], off
	s_mov_b32 s0, 0x2f800000
	s_mov_b32 s1, 0xcf800000
	s_mov_b64 s[54:55], 0
	s_waitcnt vmcnt(0)
	v_lshlrev_b32_e32 v2, 23, v1
	v_trunc_f32_e32 v2, v2
	v_mul_f32_e64 v6, |v2|, s0
	v_floor_f32_e32 v6, v6
	v_fma_f32 v7, v6, s1, |v2|
	v_cvt_u32_f32_e32 v7, v7
	v_cvt_u32_f32_e32 v6, v6
	v_ashrrev_i32_e32 v2, 31, v2
	s_mov_b64 s[0:1], -1
	v_xor_b32_e32 v7, v7, v2
	v_xor_b32_e32 v6, v6, v2
	v_sub_co_u32_e32 v7, vcc, v7, v2
	v_subb_co_u32_e32 v2, vcc, v6, v2, vcc
	v_cmp_ne_u32_e32 vcc, 0, v1
	v_cndmask_b32_e32 v2, 0, v2, vcc
	v_cndmask_b32_e32 v1, 0, v7, vcc
	s_branch .LBB95_813
.LBB95_812:
	s_mov_b64 s[54:55], -1
                                        ; implicit-def: $vgpr1_vgpr2
.LBB95_813:
	s_mov_b64 s[56:57], 0
.LBB95_814:
	s_and_b64 vcc, exec, s[56:57]
	s_cbranch_vccz .LBB95_818
; %bb.815:
	s_cmp_eq_u32 s59, 29
	s_cbranch_scc0 .LBB95_817
; %bb.816:
	global_load_dwordx2 v[1:2], v[4:5], off
	s_mov_b64 s[0:1], -1
	s_mov_b64 s[54:55], 0
	s_branch .LBB95_818
.LBB95_817:
	s_mov_b64 s[54:55], -1
                                        ; implicit-def: $vgpr1_vgpr2
.LBB95_818:
	s_mov_b64 s[56:57], 0
.LBB95_819:
	s_and_b64 vcc, exec, s[56:57]
	s_cbranch_vccz .LBB95_837
; %bb.820:
	s_cmp_lt_i32 s59, 27
	s_cbranch_scc1 .LBB95_823
; %bb.821:
	s_cmp_gt_i32 s59, 27
	s_cbranch_scc0 .LBB95_824
; %bb.822:
	global_load_dword v1, v[4:5], off
	s_waitcnt vmcnt(1)
	v_mov_b32_e32 v2, 0
	s_mov_b64 s[0:1], 0
	s_branch .LBB95_825
.LBB95_823:
	s_mov_b64 s[0:1], -1
                                        ; implicit-def: $vgpr1_vgpr2
	s_branch .LBB95_828
.LBB95_824:
	s_mov_b64 s[0:1], -1
                                        ; implicit-def: $vgpr1_vgpr2
.LBB95_825:
	s_andn2_b64 vcc, exec, s[0:1]
	s_cbranch_vccnz .LBB95_827
; %bb.826:
	global_load_ushort v1, v[4:5], off
	s_mov_b32 s0, 0
	s_waitcnt vmcnt(1)
	v_mov_b32_e32 v2, s0
	s_waitcnt vmcnt(0)
	v_and_b32_e32 v1, 0xffff, v1
.LBB95_827:
	s_mov_b64 s[0:1], 0
.LBB95_828:
	s_andn2_b64 vcc, exec, s[0:1]
	s_cbranch_vccnz .LBB95_836
; %bb.829:
	global_load_ubyte v6, v[4:5], off
	s_movk_i32 s0, 0x7f
	s_mov_b64 s[56:57], 0
	s_waitcnt vmcnt(0)
	v_cmp_lt_i16_e32 vcc, s0, v6
	s_and_saveexec_b64 s[0:1], vcc
	s_xor_b64 s[0:1], exec, s[0:1]
; %bb.830:
	s_movk_i32 s56, 0x80
	v_cmp_ne_u16_e32 vcc, s56, v6
	s_and_b64 s[56:57], vcc, exec
; %bb.831:
	s_andn2_saveexec_b64 s[0:1], s[0:1]
; %bb.832:
	v_cmp_ne_u16_e32 vcc, 0, v6
	s_andn2_b64 s[56:57], s[56:57], exec
	s_and_b64 s[60:61], vcc, exec
	s_or_b64 s[56:57], s[56:57], s[60:61]
; %bb.833:
	s_or_b64 exec, exec, s[0:1]
	v_mov_b32_e32 v1, 0
	v_mov_b32_e32 v2, 0
	s_and_saveexec_b64 s[0:1], s[56:57]
	s_cbranch_execz .LBB95_835
; %bb.834:
	v_and_b32_e32 v2, 0xffff, v6
	v_lshlrev_b32_e32 v1, 24, v6
	v_and_b32_e32 v6, 7, v2
	v_ffbh_u32_e32 v8, v6
	v_min_u32_e32 v8, 32, v8
	v_subrev_u32_e32 v9, 28, v8
	v_bfe_u32 v7, v2, 3, 4
	v_lshlrev_b32_e32 v2, v9, v2
	v_sub_u32_e32 v8, 29, v8
	v_and_b32_e32 v2, 7, v2
	v_cmp_eq_u32_e32 vcc, 0, v7
	v_cndmask_b32_e32 v7, v7, v8, vcc
	v_cndmask_b32_e32 v2, v6, v2, vcc
	v_mov_b32_e32 v6, 0x3b800000
	v_lshlrev_b32_e32 v2, 20, v2
	v_and_b32_e32 v1, 0x80000000, v1
	v_lshl_add_u32 v6, v7, 23, v6
	v_or3_b32 v1, v1, v6, v2
	v_trunc_f32_e32 v1, v1
	s_mov_b32 s56, 0x2f800000
	v_mul_f32_e64 v2, |v1|, s56
	v_floor_f32_e32 v2, v2
	s_mov_b32 s56, 0xcf800000
	v_fma_f32 v6, v2, s56, |v1|
	v_cvt_u32_f32_e32 v6, v6
	v_cvt_u32_f32_e32 v2, v2
	v_ashrrev_i32_e32 v7, 31, v1
	v_xor_b32_e32 v1, v6, v7
	v_xor_b32_e32 v2, v2, v7
	v_sub_co_u32_e32 v1, vcc, v1, v7
	v_subb_co_u32_e32 v2, vcc, v2, v7, vcc
.LBB95_835:
	s_or_b64 exec, exec, s[0:1]
.LBB95_836:
	s_mov_b64 s[0:1], -1
.LBB95_837:
	s_mov_b64 s[56:57], 0
.LBB95_838:
	s_and_b64 vcc, exec, s[56:57]
	s_cbranch_vccz .LBB95_869
; %bb.839:
	s_cmp_gt_i32 s59, 22
	s_cbranch_scc0 .LBB95_849
; %bb.840:
	s_cmp_lt_i32 s59, 24
	s_cbranch_scc1 .LBB95_850
; %bb.841:
	s_cmp_gt_i32 s59, 24
	s_cbranch_scc0 .LBB95_851
; %bb.842:
	global_load_ubyte v6, v[4:5], off
	s_movk_i32 s0, 0x7f
	s_mov_b64 s[56:57], 0
	s_waitcnt vmcnt(0)
	v_cmp_lt_i16_e32 vcc, s0, v6
	s_and_saveexec_b64 s[0:1], vcc
	s_xor_b64 s[0:1], exec, s[0:1]
; %bb.843:
	s_movk_i32 s56, 0x80
	v_cmp_ne_u16_e32 vcc, s56, v6
	s_and_b64 s[56:57], vcc, exec
; %bb.844:
	s_andn2_saveexec_b64 s[0:1], s[0:1]
; %bb.845:
	v_cmp_ne_u16_e32 vcc, 0, v6
	s_andn2_b64 s[56:57], s[56:57], exec
	s_and_b64 s[60:61], vcc, exec
	s_or_b64 s[56:57], s[56:57], s[60:61]
; %bb.846:
	s_or_b64 exec, exec, s[0:1]
	v_mov_b32_e32 v1, 0
	v_mov_b32_e32 v2, 0
	s_and_saveexec_b64 s[0:1], s[56:57]
	s_cbranch_execz .LBB95_848
; %bb.847:
	v_and_b32_e32 v2, 0xffff, v6
	v_lshlrev_b32_e32 v1, 24, v6
	v_and_b32_e32 v6, 3, v2
	v_ffbh_u32_e32 v8, v6
	v_min_u32_e32 v8, 32, v8
	v_subrev_u32_e32 v9, 29, v8
	v_bfe_u32 v7, v2, 2, 5
	v_lshlrev_b32_e32 v2, v9, v2
	v_sub_u32_e32 v8, 30, v8
	v_and_b32_e32 v2, 3, v2
	v_cmp_eq_u32_e32 vcc, 0, v7
	v_cndmask_b32_e32 v7, v7, v8, vcc
	v_cndmask_b32_e32 v2, v6, v2, vcc
	v_mov_b32_e32 v6, 0x37800000
	v_lshlrev_b32_e32 v2, 21, v2
	v_and_b32_e32 v1, 0x80000000, v1
	v_lshl_add_u32 v6, v7, 23, v6
	v_or3_b32 v1, v1, v6, v2
	v_trunc_f32_e32 v1, v1
	s_mov_b32 s56, 0x2f800000
	v_mul_f32_e64 v2, |v1|, s56
	v_floor_f32_e32 v2, v2
	s_mov_b32 s56, 0xcf800000
	v_fma_f32 v6, v2, s56, |v1|
	v_cvt_u32_f32_e32 v6, v6
	v_cvt_u32_f32_e32 v2, v2
	v_ashrrev_i32_e32 v7, 31, v1
	v_xor_b32_e32 v1, v6, v7
	v_xor_b32_e32 v2, v2, v7
	v_sub_co_u32_e32 v1, vcc, v1, v7
	v_subb_co_u32_e32 v2, vcc, v2, v7, vcc
.LBB95_848:
	s_or_b64 exec, exec, s[0:1]
	s_mov_b64 s[0:1], 0
	s_branch .LBB95_852
.LBB95_849:
	s_mov_b64 s[56:57], -1
                                        ; implicit-def: $vgpr1_vgpr2
	s_branch .LBB95_858
.LBB95_850:
	s_mov_b64 s[0:1], -1
                                        ; implicit-def: $vgpr1_vgpr2
	s_branch .LBB95_855
.LBB95_851:
	s_mov_b64 s[0:1], -1
                                        ; implicit-def: $vgpr1_vgpr2
.LBB95_852:
	s_and_b64 vcc, exec, s[0:1]
	s_cbranch_vccz .LBB95_854
; %bb.853:
	global_load_ubyte v1, v[4:5], off
	s_mov_b32 s0, 0x7f800000
	s_brev_b32 s1, 1
	s_mov_b32 s56, 0x2f800000
	s_mov_b32 s57, 0xcf800000
	s_waitcnt vmcnt(0)
	v_lshlrev_b32_e32 v1, 24, v1
	v_and_b32_e32 v2, 0x7f000000, v1
	v_ffbh_u32_e32 v6, v2
	v_min_u32_e32 v6, 32, v6
	v_sub_u32_e64 v6, v6, 4 clamp
	v_lshlrev_b32_e32 v8, v6, v2
	v_lshlrev_b32_e32 v6, 23, v6
	v_lshrrev_b32_e32 v8, 4, v8
	v_add_u32_e32 v7, 0x1000000, v2
	v_sub_u32_e32 v6, v8, v6
	v_ashrrev_i32_e32 v7, 8, v7
	v_add_u32_e32 v6, 0x3c000000, v6
	v_and_or_b32 v6, v7, s0, v6
	v_cmp_ne_u32_e32 vcc, 0, v2
	v_cndmask_b32_e32 v2, 0, v6, vcc
	v_and_or_b32 v1, v1, s1, v2
	v_trunc_f32_e32 v1, v1
	v_mul_f32_e64 v2, |v1|, s56
	v_floor_f32_e32 v2, v2
	v_fma_f32 v6, v2, s57, |v1|
	v_cvt_u32_f32_e32 v6, v6
	v_cvt_u32_f32_e32 v2, v2
	v_ashrrev_i32_e32 v7, 31, v1
	v_xor_b32_e32 v1, v6, v7
	v_xor_b32_e32 v2, v2, v7
	v_sub_co_u32_e32 v1, vcc, v1, v7
	v_subb_co_u32_e32 v2, vcc, v2, v7, vcc
.LBB95_854:
	s_mov_b64 s[0:1], 0
.LBB95_855:
	s_andn2_b64 vcc, exec, s[0:1]
	s_cbranch_vccnz .LBB95_857
; %bb.856:
	global_load_ubyte v1, v[4:5], off
	s_movk_i32 s0, 0x7f00
	s_brev_b32 s1, 16
	s_brev_b32 s56, 1
	s_mov_b32 s57, 0x2f800000
	s_mov_b32 s60, 0xcf800000
	s_waitcnt vmcnt(0)
	v_lshlrev_b16_e32 v2, 8, v1
	v_lshlrev_b32_e32 v1, 25, v1
	v_lshrrev_b32_e32 v6, 4, v1
	v_and_or_b32 v7, v2, s0, 0.5
	v_or_b32_e32 v6, 0x70000000, v6
	v_add_f32_e32 v7, -0.5, v7
	v_mul_f32_e32 v6, 0x7800000, v6
	v_cmp_gt_u32_e32 vcc, s1, v1
	v_bfe_i32 v2, v2, 0, 16
	v_cndmask_b32_e32 v1, v6, v7, vcc
	v_and_or_b32 v1, v2, s56, v1
	v_trunc_f32_e32 v1, v1
	v_mul_f32_e64 v2, |v1|, s57
	v_floor_f32_e32 v2, v2
	v_fma_f32 v6, v2, s60, |v1|
	v_cvt_u32_f32_e32 v6, v6
	v_cvt_u32_f32_e32 v2, v2
	v_ashrrev_i32_e32 v7, 31, v1
	v_xor_b32_e32 v1, v6, v7
	v_xor_b32_e32 v2, v2, v7
	v_sub_co_u32_e32 v1, vcc, v1, v7
	v_subb_co_u32_e32 v2, vcc, v2, v7, vcc
.LBB95_857:
	s_mov_b64 s[56:57], 0
	s_mov_b64 s[0:1], -1
.LBB95_858:
	s_andn2_b64 vcc, exec, s[56:57]
	s_cbranch_vccnz .LBB95_869
; %bb.859:
	s_cmp_gt_i32 s59, 14
	s_cbranch_scc0 .LBB95_862
; %bb.860:
	s_cmp_eq_u32 s59, 15
	s_cbranch_scc0 .LBB95_863
; %bb.861:
	global_load_ushort v1, v[4:5], off
	s_mov_b32 s0, 0x2f800000
	s_mov_b32 s1, 0xcf800000
	s_mov_b64 s[54:55], 0
	s_waitcnt vmcnt(0)
	v_lshlrev_b32_e32 v1, 16, v1
	v_trunc_f32_e32 v1, v1
	v_mul_f32_e64 v2, |v1|, s0
	v_floor_f32_e32 v2, v2
	v_fma_f32 v6, v2, s1, |v1|
	v_cvt_u32_f32_e32 v6, v6
	v_cvt_u32_f32_e32 v2, v2
	v_ashrrev_i32_e32 v7, 31, v1
	s_mov_b64 s[0:1], -1
	v_xor_b32_e32 v1, v6, v7
	v_xor_b32_e32 v2, v2, v7
	v_sub_co_u32_e32 v1, vcc, v1, v7
	v_subb_co_u32_e32 v2, vcc, v2, v7, vcc
	s_branch .LBB95_864
.LBB95_862:
	s_mov_b64 s[56:57], -1
                                        ; implicit-def: $vgpr1_vgpr2
	s_branch .LBB95_865
.LBB95_863:
	s_mov_b64 s[54:55], -1
                                        ; implicit-def: $vgpr1_vgpr2
.LBB95_864:
	s_mov_b64 s[56:57], 0
.LBB95_865:
	s_and_b64 vcc, exec, s[56:57]
	s_cbranch_vccz .LBB95_869
; %bb.866:
	s_cmp_eq_u32 s59, 11
	s_cbranch_scc0 .LBB95_868
; %bb.867:
	global_load_ubyte v1, v[4:5], off
	s_mov_b32 s54, 0
	s_mov_b64 s[0:1], -1
	s_waitcnt vmcnt(1)
	v_mov_b32_e32 v2, s54
	s_mov_b64 s[54:55], 0
	s_waitcnt vmcnt(0)
	v_cmp_ne_u16_e32 vcc, 0, v1
	v_cndmask_b32_e64 v1, 0, 1, vcc
	s_branch .LBB95_869
.LBB95_868:
	s_mov_b64 s[54:55], -1
                                        ; implicit-def: $vgpr1_vgpr2
.LBB95_869:
	s_mov_b64 s[56:57], 0
.LBB95_870:
	s_and_b64 vcc, exec, s[56:57]
	s_cbranch_vccz .LBB95_919
; %bb.871:
	s_and_b32 s56, 0xffff, s58
	s_cmp_lt_i32 s56, 5
	s_cbranch_scc1 .LBB95_876
; %bb.872:
	s_cmp_lt_i32 s56, 8
	s_cbranch_scc1 .LBB95_877
; %bb.873:
	;; [unrolled: 3-line block ×3, first 2 shown]
	s_cmp_gt_i32 s56, 9
	s_cbranch_scc0 .LBB95_879
; %bb.875:
	global_load_dwordx2 v[1:2], v[4:5], off
	s_movk_i32 s0, 0xffe0
	s_waitcnt vmcnt(0)
	v_trunc_f64_e32 v[1:2], v[1:2]
	v_ldexp_f64 v[6:7], v[1:2], s0
	s_mov_b32 s0, 0
	s_mov_b32 s1, 0xc1f00000
	v_floor_f64_e32 v[6:7], v[6:7]
	v_fma_f64 v[8:9], v[6:7], s[0:1], v[1:2]
	v_cvt_i32_f64_e32 v2, v[6:7]
	s_mov_b64 s[0:1], 0
	v_cvt_u32_f64_e32 v1, v[8:9]
	s_branch .LBB95_880
.LBB95_876:
	s_mov_b64 s[0:1], -1
                                        ; implicit-def: $vgpr1_vgpr2
	s_branch .LBB95_898
.LBB95_877:
	s_mov_b64 s[0:1], -1
                                        ; implicit-def: $vgpr1_vgpr2
	s_branch .LBB95_886
.LBB95_878:
	s_mov_b64 s[0:1], -1
                                        ; implicit-def: $vgpr1_vgpr2
	s_branch .LBB95_883
.LBB95_879:
	s_mov_b64 s[0:1], -1
                                        ; implicit-def: $vgpr1_vgpr2
.LBB95_880:
	s_andn2_b64 vcc, exec, s[0:1]
	s_cbranch_vccnz .LBB95_882
; %bb.881:
	global_load_dword v1, v[4:5], off
	s_mov_b32 s0, 0x2f800000
	s_mov_b32 s1, 0xcf800000
	s_waitcnt vmcnt(0)
	v_trunc_f32_e32 v1, v1
	v_mul_f32_e64 v2, |v1|, s0
	v_floor_f32_e32 v2, v2
	v_cvt_u32_f32_e32 v6, v2
	v_fma_f32 v2, v2, s1, |v1|
	v_cvt_u32_f32_e32 v2, v2
	v_ashrrev_i32_e32 v7, 31, v1
	v_xor_b32_e32 v6, v6, v7
	v_xor_b32_e32 v1, v2, v7
	v_sub_co_u32_e32 v1, vcc, v1, v7
	v_subb_co_u32_e32 v2, vcc, v6, v7, vcc
.LBB95_882:
	s_mov_b64 s[0:1], 0
.LBB95_883:
	s_andn2_b64 vcc, exec, s[0:1]
	s_cbranch_vccnz .LBB95_885
; %bb.884:
	global_load_dword v1, v[4:5], off
	s_waitcnt vmcnt(0)
	v_cvt_f32_f16_e32 v1, v1
	v_cvt_i32_f32_e32 v1, v1
	v_ashrrev_i32_e32 v2, 31, v1
.LBB95_885:
	s_mov_b64 s[0:1], 0
.LBB95_886:
	s_andn2_b64 vcc, exec, s[0:1]
	s_cbranch_vccnz .LBB95_897
; %bb.887:
	s_cmp_lt_i32 s56, 6
	s_cbranch_scc1 .LBB95_890
; %bb.888:
	s_cmp_gt_i32 s56, 6
	s_cbranch_scc0 .LBB95_891
; %bb.889:
	global_load_dwordx2 v[1:2], v[4:5], off
	s_movk_i32 s0, 0xffe0
	s_waitcnt vmcnt(0)
	v_trunc_f64_e32 v[1:2], v[1:2]
	v_ldexp_f64 v[6:7], v[1:2], s0
	s_mov_b32 s0, 0
	s_mov_b32 s1, 0xc1f00000
	v_floor_f64_e32 v[6:7], v[6:7]
	v_fma_f64 v[8:9], v[6:7], s[0:1], v[1:2]
	v_cvt_i32_f64_e32 v2, v[6:7]
	s_mov_b64 s[0:1], 0
	v_cvt_u32_f64_e32 v1, v[8:9]
	s_branch .LBB95_892
.LBB95_890:
	s_mov_b64 s[0:1], -1
                                        ; implicit-def: $vgpr1_vgpr2
	s_branch .LBB95_895
.LBB95_891:
	s_mov_b64 s[0:1], -1
                                        ; implicit-def: $vgpr1_vgpr2
.LBB95_892:
	s_andn2_b64 vcc, exec, s[0:1]
	s_cbranch_vccnz .LBB95_894
; %bb.893:
	global_load_dword v1, v[4:5], off
	s_mov_b32 s0, 0x2f800000
	s_mov_b32 s1, 0xcf800000
	s_waitcnt vmcnt(0)
	v_trunc_f32_e32 v1, v1
	v_mul_f32_e64 v2, |v1|, s0
	v_floor_f32_e32 v2, v2
	v_cvt_u32_f32_e32 v6, v2
	v_fma_f32 v2, v2, s1, |v1|
	v_cvt_u32_f32_e32 v2, v2
	v_ashrrev_i32_e32 v7, 31, v1
	v_xor_b32_e32 v6, v6, v7
	v_xor_b32_e32 v1, v2, v7
	v_sub_co_u32_e32 v1, vcc, v1, v7
	v_subb_co_u32_e32 v2, vcc, v6, v7, vcc
.LBB95_894:
	s_mov_b64 s[0:1], 0
.LBB95_895:
	s_andn2_b64 vcc, exec, s[0:1]
	s_cbranch_vccnz .LBB95_897
; %bb.896:
	global_load_ushort v1, v[4:5], off
	s_waitcnt vmcnt(0)
	v_cvt_f32_f16_e32 v1, v1
	v_cvt_i32_f32_e32 v1, v1
	v_ashrrev_i32_e32 v2, 31, v1
.LBB95_897:
	s_mov_b64 s[0:1], 0
.LBB95_898:
	s_andn2_b64 vcc, exec, s[0:1]
	s_cbranch_vccnz .LBB95_918
; %bb.899:
	s_cmp_lt_i32 s56, 2
	s_cbranch_scc1 .LBB95_903
; %bb.900:
	s_cmp_lt_i32 s56, 3
	s_cbranch_scc1 .LBB95_904
; %bb.901:
	s_cmp_gt_i32 s56, 3
	s_cbranch_scc0 .LBB95_905
; %bb.902:
	global_load_dwordx2 v[1:2], v[4:5], off
	s_mov_b64 s[0:1], 0
	s_branch .LBB95_906
.LBB95_903:
	s_mov_b64 s[0:1], -1
                                        ; implicit-def: $vgpr1_vgpr2
	s_branch .LBB95_912
.LBB95_904:
	s_mov_b64 s[0:1], -1
                                        ; implicit-def: $vgpr1_vgpr2
	s_branch .LBB95_909
.LBB95_905:
	s_mov_b64 s[0:1], -1
                                        ; implicit-def: $vgpr1_vgpr2
.LBB95_906:
	s_andn2_b64 vcc, exec, s[0:1]
	s_cbranch_vccnz .LBB95_908
; %bb.907:
	global_load_dword v1, v[4:5], off
	s_waitcnt vmcnt(0)
	v_ashrrev_i32_e32 v2, 31, v1
.LBB95_908:
	s_mov_b64 s[0:1], 0
.LBB95_909:
	s_andn2_b64 vcc, exec, s[0:1]
	s_cbranch_vccnz .LBB95_911
; %bb.910:
	global_load_ushort v1, v[4:5], off
	s_waitcnt vmcnt(0)
	v_bfe_i32 v1, v1, 0, 16
	v_ashrrev_i32_e32 v2, 31, v1
.LBB95_911:
	s_mov_b64 s[0:1], 0
.LBB95_912:
	s_andn2_b64 vcc, exec, s[0:1]
	s_cbranch_vccnz .LBB95_918
; %bb.913:
	s_cmp_gt_i32 s56, 0
	s_cbranch_scc0 .LBB95_915
; %bb.914:
	global_load_sbyte v1, v[4:5], off
	s_mov_b64 s[0:1], 0
	s_waitcnt vmcnt(0)
	v_bfe_i32 v1, v1, 0, 16
	v_ashrrev_i32_e32 v2, 31, v1
	s_branch .LBB95_916
.LBB95_915:
	s_mov_b64 s[0:1], -1
                                        ; implicit-def: $vgpr1_vgpr2
.LBB95_916:
	s_andn2_b64 vcc, exec, s[0:1]
	s_cbranch_vccnz .LBB95_918
; %bb.917:
	global_load_ubyte v1, v[4:5], off
	s_mov_b32 s0, 0
	s_waitcnt vmcnt(1)
	v_mov_b32_e32 v2, s0
	s_waitcnt vmcnt(0)
	v_and_b32_e32 v1, 0xffff, v1
.LBB95_918:
	s_mov_b64 s[0:1], -1
.LBB95_919:
	s_andn2_b64 vcc, exec, s[0:1]
	s_cbranch_vccnz .LBB95_927
; %bb.920:
	v_mov_b32_e32 v4, s25
	s_and_b32 s60, s70, 0xff
	v_add_co_u32_e32 v3, vcc, s24, v3
	s_cmp_lt_i32 s60, 11
	v_addc_co_u32_e32 v4, vcc, 0, v4, vcc
	s_cbranch_scc1 .LBB95_929
; %bb.921:
	s_and_b32 s61, 0xffff, s60
	s_cmp_gt_i32 s61, 25
	s_cbranch_scc0 .LBB95_930
; %bb.922:
	s_cmp_gt_i32 s61, 28
	s_cbranch_scc0 .LBB95_931
; %bb.923:
	;; [unrolled: 3-line block ×4, first 2 shown]
	s_cmp_eq_u32 s61, 46
	s_mov_b64 s[58:59], 0
	s_cbranch_scc0 .LBB95_936
; %bb.926:
	global_load_dword v5, v[3:4], off
	s_mov_b32 s0, 0x2f800000
	s_mov_b32 s1, 0xcf800000
	s_mov_b64 s[56:57], 0
	s_waitcnt vmcnt(0)
	v_lshlrev_b32_e32 v5, 16, v5
	v_trunc_f32_e32 v5, v5
	v_mul_f32_e64 v6, |v5|, s0
	v_floor_f32_e32 v6, v6
	v_fma_f32 v7, v6, s1, |v5|
	v_cvt_u32_f32_e32 v7, v7
	v_cvt_u32_f32_e32 v6, v6
	v_ashrrev_i32_e32 v8, 31, v5
	s_mov_b64 s[0:1], -1
	v_xor_b32_e32 v5, v7, v8
	v_xor_b32_e32 v6, v6, v8
	v_sub_co_u32_e32 v5, vcc, v5, v8
	v_subb_co_u32_e32 v6, vcc, v6, v8, vcc
	s_branch .LBB95_937
.LBB95_927:
	s_mov_b64 s[60:61], 0
	s_mov_b64 s[0:1], s[48:49]
	;; [unrolled: 1-line block ×3, first 2 shown]
.LBB95_928:
                                        ; implicit-def: $vgpr10
	s_branch .LBB95_1171
.LBB95_929:
	s_mov_b64 s[58:59], -1
	s_mov_b64 s[0:1], 0
                                        ; implicit-def: $vgpr5_vgpr6
	s_mov_b64 s[56:57], s[46:47]
	s_branch .LBB95_998
.LBB95_930:
	s_mov_b64 s[58:59], -1
	s_mov_b64 s[0:1], 0
	s_mov_b64 s[56:57], s[46:47]
                                        ; implicit-def: $vgpr5_vgpr6
	s_branch .LBB95_966
.LBB95_931:
	s_mov_b64 s[58:59], -1
	s_mov_b64 s[0:1], 0
	s_mov_b64 s[56:57], s[46:47]
                                        ; implicit-def: $vgpr5_vgpr6
	s_branch .LBB95_947
.LBB95_932:
	s_mov_b64 s[58:59], -1
	s_mov_b64 s[0:1], 0
	s_mov_b64 s[56:57], s[46:47]
                                        ; implicit-def: $vgpr5_vgpr6
	s_branch .LBB95_942
.LBB95_933:
	s_mov_b64 s[58:59], -1
	s_mov_b64 s[0:1], 0
	s_mov_b64 s[56:57], s[46:47]
                                        ; implicit-def: $vgpr5_vgpr6
	s_branch .LBB95_937
.LBB95_934:
	s_andn2_saveexec_b64 s[54:55], s[54:55]
	s_cbranch_execz .LBB95_702
.LBB95_935:
	s_mov_b32 s58, 0x42800000
	v_add_f32_e64 v5, |v0|, s58
	v_and_b32_e32 v5, 0xff, v5
	v_cmp_ne_u32_e32 vcc, 0, v5
	s_andn2_b64 s[52:53], s[52:53], exec
	s_and_b64 s[58:59], vcc, exec
	s_or_b64 s[52:53], s[52:53], s[58:59]
	s_or_b64 exec, exec, s[54:55]
	v_mov_b32_e32 v6, 0
	s_and_saveexec_b64 s[54:55], s[52:53]
	s_cbranch_execnz .LBB95_703
	s_branch .LBB95_704
.LBB95_936:
	s_mov_b64 s[56:57], -1
                                        ; implicit-def: $vgpr5_vgpr6
	s_mov_b64 s[0:1], 0
.LBB95_937:
	s_and_b64 vcc, exec, s[58:59]
	s_cbranch_vccz .LBB95_941
; %bb.938:
	s_cmp_eq_u32 s61, 44
	s_cbranch_scc0 .LBB95_940
; %bb.939:
	global_load_ubyte v5, v[3:4], off
	s_mov_b32 s0, 0x2f800000
	s_mov_b32 s1, 0xcf800000
	s_mov_b64 s[56:57], 0
	s_waitcnt vmcnt(0)
	v_lshlrev_b32_e32 v6, 23, v5
	v_trunc_f32_e32 v6, v6
	v_mul_f32_e64 v7, |v6|, s0
	v_floor_f32_e32 v7, v7
	v_fma_f32 v8, v7, s1, |v6|
	v_cvt_u32_f32_e32 v8, v8
	v_cvt_u32_f32_e32 v7, v7
	v_ashrrev_i32_e32 v6, 31, v6
	s_mov_b64 s[0:1], -1
	v_xor_b32_e32 v8, v8, v6
	v_xor_b32_e32 v7, v7, v6
	v_sub_co_u32_e32 v8, vcc, v8, v6
	v_subb_co_u32_e32 v6, vcc, v7, v6, vcc
	v_cmp_ne_u32_e32 vcc, 0, v5
	v_cndmask_b32_e32 v6, 0, v6, vcc
	v_cndmask_b32_e32 v5, 0, v8, vcc
	s_branch .LBB95_941
.LBB95_940:
	s_mov_b64 s[56:57], -1
                                        ; implicit-def: $vgpr5_vgpr6
.LBB95_941:
	s_mov_b64 s[58:59], 0
.LBB95_942:
	s_and_b64 vcc, exec, s[58:59]
	s_cbranch_vccz .LBB95_946
; %bb.943:
	s_cmp_eq_u32 s61, 29
	s_cbranch_scc0 .LBB95_945
; %bb.944:
	global_load_dwordx2 v[5:6], v[3:4], off
	s_mov_b64 s[0:1], -1
	s_mov_b64 s[56:57], 0
	s_branch .LBB95_946
.LBB95_945:
	s_mov_b64 s[56:57], -1
                                        ; implicit-def: $vgpr5_vgpr6
.LBB95_946:
	s_mov_b64 s[58:59], 0
.LBB95_947:
	s_and_b64 vcc, exec, s[58:59]
	s_cbranch_vccz .LBB95_965
; %bb.948:
	s_cmp_lt_i32 s61, 27
	s_cbranch_scc1 .LBB95_951
; %bb.949:
	s_cmp_gt_i32 s61, 27
	s_cbranch_scc0 .LBB95_952
; %bb.950:
	global_load_dword v5, v[3:4], off
	s_waitcnt vmcnt(1)
	v_mov_b32_e32 v6, 0
	s_mov_b64 s[0:1], 0
	s_branch .LBB95_953
.LBB95_951:
	s_mov_b64 s[0:1], -1
                                        ; implicit-def: $vgpr5_vgpr6
	s_branch .LBB95_956
.LBB95_952:
	s_mov_b64 s[0:1], -1
                                        ; implicit-def: $vgpr5_vgpr6
.LBB95_953:
	s_andn2_b64 vcc, exec, s[0:1]
	s_cbranch_vccnz .LBB95_955
; %bb.954:
	global_load_ushort v5, v[3:4], off
	s_mov_b32 s0, 0
	s_waitcnt vmcnt(1)
	v_mov_b32_e32 v6, s0
	s_waitcnt vmcnt(0)
	v_and_b32_e32 v5, 0xffff, v5
.LBB95_955:
	s_mov_b64 s[0:1], 0
.LBB95_956:
	s_andn2_b64 vcc, exec, s[0:1]
	s_cbranch_vccnz .LBB95_964
; %bb.957:
	global_load_ubyte v7, v[3:4], off
	s_movk_i32 s0, 0x7f
	s_mov_b64 s[58:59], 0
	s_waitcnt vmcnt(0)
	v_cmp_lt_i16_e32 vcc, s0, v7
	s_and_saveexec_b64 s[0:1], vcc
	s_xor_b64 s[0:1], exec, s[0:1]
; %bb.958:
	s_movk_i32 s58, 0x80
	v_cmp_ne_u16_e32 vcc, s58, v7
	s_and_b64 s[58:59], vcc, exec
; %bb.959:
	s_andn2_saveexec_b64 s[0:1], s[0:1]
; %bb.960:
	v_cmp_ne_u16_e32 vcc, 0, v7
	s_andn2_b64 s[58:59], s[58:59], exec
	s_and_b64 s[62:63], vcc, exec
	s_or_b64 s[58:59], s[58:59], s[62:63]
; %bb.961:
	s_or_b64 exec, exec, s[0:1]
	v_mov_b32_e32 v5, 0
	v_mov_b32_e32 v6, 0
	s_and_saveexec_b64 s[0:1], s[58:59]
	s_cbranch_execz .LBB95_963
; %bb.962:
	v_and_b32_e32 v6, 0xffff, v7
	v_lshlrev_b32_e32 v5, 24, v7
	v_and_b32_e32 v7, 7, v6
	v_ffbh_u32_e32 v9, v7
	v_min_u32_e32 v9, 32, v9
	v_subrev_u32_e32 v11, 28, v9
	v_bfe_u32 v8, v6, 3, 4
	v_lshlrev_b32_e32 v6, v11, v6
	v_sub_u32_e32 v9, 29, v9
	v_and_b32_e32 v6, 7, v6
	v_cmp_eq_u32_e32 vcc, 0, v8
	v_cndmask_b32_e32 v8, v8, v9, vcc
	v_cndmask_b32_e32 v6, v7, v6, vcc
	v_mov_b32_e32 v7, 0x3b800000
	v_lshlrev_b32_e32 v6, 20, v6
	v_and_b32_e32 v5, 0x80000000, v5
	v_lshl_add_u32 v7, v8, 23, v7
	v_or3_b32 v5, v5, v7, v6
	v_trunc_f32_e32 v5, v5
	s_mov_b32 s58, 0x2f800000
	v_mul_f32_e64 v6, |v5|, s58
	v_floor_f32_e32 v6, v6
	s_mov_b32 s58, 0xcf800000
	v_fma_f32 v7, v6, s58, |v5|
	v_cvt_u32_f32_e32 v7, v7
	v_cvt_u32_f32_e32 v6, v6
	v_ashrrev_i32_e32 v8, 31, v5
	v_xor_b32_e32 v5, v7, v8
	v_xor_b32_e32 v6, v6, v8
	v_sub_co_u32_e32 v5, vcc, v5, v8
	v_subb_co_u32_e32 v6, vcc, v6, v8, vcc
.LBB95_963:
	s_or_b64 exec, exec, s[0:1]
.LBB95_964:
	s_mov_b64 s[0:1], -1
.LBB95_965:
	s_mov_b64 s[58:59], 0
.LBB95_966:
	s_and_b64 vcc, exec, s[58:59]
	s_cbranch_vccz .LBB95_997
; %bb.967:
	s_cmp_gt_i32 s61, 22
	s_cbranch_scc0 .LBB95_977
; %bb.968:
	s_cmp_lt_i32 s61, 24
	s_cbranch_scc1 .LBB95_978
; %bb.969:
	s_cmp_gt_i32 s61, 24
	s_cbranch_scc0 .LBB95_979
; %bb.970:
	global_load_ubyte v7, v[3:4], off
	s_movk_i32 s0, 0x7f
	s_mov_b64 s[58:59], 0
	s_waitcnt vmcnt(0)
	v_cmp_lt_i16_e32 vcc, s0, v7
	s_and_saveexec_b64 s[0:1], vcc
	s_xor_b64 s[0:1], exec, s[0:1]
; %bb.971:
	s_movk_i32 s58, 0x80
	v_cmp_ne_u16_e32 vcc, s58, v7
	s_and_b64 s[58:59], vcc, exec
; %bb.972:
	s_andn2_saveexec_b64 s[0:1], s[0:1]
; %bb.973:
	v_cmp_ne_u16_e32 vcc, 0, v7
	s_andn2_b64 s[58:59], s[58:59], exec
	s_and_b64 s[62:63], vcc, exec
	s_or_b64 s[58:59], s[58:59], s[62:63]
; %bb.974:
	s_or_b64 exec, exec, s[0:1]
	v_mov_b32_e32 v5, 0
	v_mov_b32_e32 v6, 0
	s_and_saveexec_b64 s[0:1], s[58:59]
	s_cbranch_execz .LBB95_976
; %bb.975:
	v_and_b32_e32 v6, 0xffff, v7
	v_lshlrev_b32_e32 v5, 24, v7
	v_and_b32_e32 v7, 3, v6
	v_ffbh_u32_e32 v9, v7
	v_min_u32_e32 v9, 32, v9
	v_subrev_u32_e32 v11, 29, v9
	v_bfe_u32 v8, v6, 2, 5
	v_lshlrev_b32_e32 v6, v11, v6
	v_sub_u32_e32 v9, 30, v9
	v_and_b32_e32 v6, 3, v6
	v_cmp_eq_u32_e32 vcc, 0, v8
	v_cndmask_b32_e32 v8, v8, v9, vcc
	v_cndmask_b32_e32 v6, v7, v6, vcc
	v_mov_b32_e32 v7, 0x37800000
	v_lshlrev_b32_e32 v6, 21, v6
	v_and_b32_e32 v5, 0x80000000, v5
	v_lshl_add_u32 v7, v8, 23, v7
	v_or3_b32 v5, v5, v7, v6
	v_trunc_f32_e32 v5, v5
	s_mov_b32 s58, 0x2f800000
	v_mul_f32_e64 v6, |v5|, s58
	v_floor_f32_e32 v6, v6
	s_mov_b32 s58, 0xcf800000
	v_fma_f32 v7, v6, s58, |v5|
	v_cvt_u32_f32_e32 v7, v7
	v_cvt_u32_f32_e32 v6, v6
	v_ashrrev_i32_e32 v8, 31, v5
	v_xor_b32_e32 v5, v7, v8
	v_xor_b32_e32 v6, v6, v8
	v_sub_co_u32_e32 v5, vcc, v5, v8
	v_subb_co_u32_e32 v6, vcc, v6, v8, vcc
.LBB95_976:
	s_or_b64 exec, exec, s[0:1]
	s_mov_b64 s[0:1], 0
	s_branch .LBB95_980
.LBB95_977:
	s_mov_b64 s[58:59], -1
                                        ; implicit-def: $vgpr5_vgpr6
	s_branch .LBB95_986
.LBB95_978:
	s_mov_b64 s[0:1], -1
                                        ; implicit-def: $vgpr5_vgpr6
	s_branch .LBB95_983
.LBB95_979:
	s_mov_b64 s[0:1], -1
                                        ; implicit-def: $vgpr5_vgpr6
.LBB95_980:
	s_and_b64 vcc, exec, s[0:1]
	s_cbranch_vccz .LBB95_982
; %bb.981:
	global_load_ubyte v5, v[3:4], off
	s_mov_b32 s0, 0x7f800000
	s_brev_b32 s1, 1
	s_mov_b32 s58, 0x2f800000
	s_mov_b32 s59, 0xcf800000
	s_waitcnt vmcnt(0)
	v_lshlrev_b32_e32 v5, 24, v5
	v_and_b32_e32 v6, 0x7f000000, v5
	v_ffbh_u32_e32 v7, v6
	v_min_u32_e32 v7, 32, v7
	v_sub_u32_e64 v7, v7, 4 clamp
	v_lshlrev_b32_e32 v9, v7, v6
	v_lshlrev_b32_e32 v7, 23, v7
	v_lshrrev_b32_e32 v9, 4, v9
	v_add_u32_e32 v8, 0x1000000, v6
	v_sub_u32_e32 v7, v9, v7
	v_ashrrev_i32_e32 v8, 8, v8
	v_add_u32_e32 v7, 0x3c000000, v7
	v_and_or_b32 v7, v8, s0, v7
	v_cmp_ne_u32_e32 vcc, 0, v6
	v_cndmask_b32_e32 v6, 0, v7, vcc
	v_and_or_b32 v5, v5, s1, v6
	v_trunc_f32_e32 v5, v5
	v_mul_f32_e64 v6, |v5|, s58
	v_floor_f32_e32 v6, v6
	v_fma_f32 v7, v6, s59, |v5|
	v_cvt_u32_f32_e32 v7, v7
	v_cvt_u32_f32_e32 v6, v6
	v_ashrrev_i32_e32 v8, 31, v5
	v_xor_b32_e32 v5, v7, v8
	v_xor_b32_e32 v6, v6, v8
	v_sub_co_u32_e32 v5, vcc, v5, v8
	v_subb_co_u32_e32 v6, vcc, v6, v8, vcc
.LBB95_982:
	s_mov_b64 s[0:1], 0
.LBB95_983:
	s_andn2_b64 vcc, exec, s[0:1]
	s_cbranch_vccnz .LBB95_985
; %bb.984:
	global_load_ubyte v5, v[3:4], off
	s_movk_i32 s0, 0x7f00
	s_brev_b32 s1, 16
	s_brev_b32 s58, 1
	s_mov_b32 s59, 0x2f800000
	s_mov_b32 s62, 0xcf800000
	s_waitcnt vmcnt(0)
	v_lshlrev_b16_e32 v6, 8, v5
	v_lshlrev_b32_e32 v5, 25, v5
	v_lshrrev_b32_e32 v7, 4, v5
	v_and_or_b32 v8, v6, s0, 0.5
	v_or_b32_e32 v7, 0x70000000, v7
	v_add_f32_e32 v8, -0.5, v8
	v_mul_f32_e32 v7, 0x7800000, v7
	v_cmp_gt_u32_e32 vcc, s1, v5
	v_bfe_i32 v6, v6, 0, 16
	v_cndmask_b32_e32 v5, v7, v8, vcc
	v_and_or_b32 v5, v6, s58, v5
	v_trunc_f32_e32 v5, v5
	v_mul_f32_e64 v6, |v5|, s59
	v_floor_f32_e32 v6, v6
	v_fma_f32 v7, v6, s62, |v5|
	v_cvt_u32_f32_e32 v7, v7
	v_cvt_u32_f32_e32 v6, v6
	v_ashrrev_i32_e32 v8, 31, v5
	v_xor_b32_e32 v5, v7, v8
	v_xor_b32_e32 v6, v6, v8
	v_sub_co_u32_e32 v5, vcc, v5, v8
	v_subb_co_u32_e32 v6, vcc, v6, v8, vcc
.LBB95_985:
	s_mov_b64 s[58:59], 0
	s_mov_b64 s[0:1], -1
.LBB95_986:
	s_andn2_b64 vcc, exec, s[58:59]
	s_cbranch_vccnz .LBB95_997
; %bb.987:
	s_cmp_gt_i32 s61, 14
	s_cbranch_scc0 .LBB95_990
; %bb.988:
	s_cmp_eq_u32 s61, 15
	s_cbranch_scc0 .LBB95_991
; %bb.989:
	global_load_ushort v5, v[3:4], off
	s_mov_b32 s0, 0x2f800000
	s_mov_b32 s1, 0xcf800000
	s_mov_b64 s[56:57], 0
	s_waitcnt vmcnt(0)
	v_lshlrev_b32_e32 v5, 16, v5
	v_trunc_f32_e32 v5, v5
	v_mul_f32_e64 v6, |v5|, s0
	v_floor_f32_e32 v6, v6
	v_fma_f32 v7, v6, s1, |v5|
	v_cvt_u32_f32_e32 v7, v7
	v_cvt_u32_f32_e32 v6, v6
	v_ashrrev_i32_e32 v8, 31, v5
	s_mov_b64 s[0:1], -1
	v_xor_b32_e32 v5, v7, v8
	v_xor_b32_e32 v6, v6, v8
	v_sub_co_u32_e32 v5, vcc, v5, v8
	v_subb_co_u32_e32 v6, vcc, v6, v8, vcc
	s_branch .LBB95_992
.LBB95_990:
	s_mov_b64 s[58:59], -1
                                        ; implicit-def: $vgpr5_vgpr6
	s_branch .LBB95_993
.LBB95_991:
	s_mov_b64 s[56:57], -1
                                        ; implicit-def: $vgpr5_vgpr6
.LBB95_992:
	s_mov_b64 s[58:59], 0
.LBB95_993:
	s_and_b64 vcc, exec, s[58:59]
	s_cbranch_vccz .LBB95_997
; %bb.994:
	s_cmp_eq_u32 s61, 11
	s_cbranch_scc0 .LBB95_996
; %bb.995:
	global_load_ubyte v5, v[3:4], off
	s_mov_b32 s56, 0
	s_mov_b64 s[0:1], -1
	s_waitcnt vmcnt(1)
	v_mov_b32_e32 v6, s56
	s_mov_b64 s[56:57], 0
	s_waitcnt vmcnt(0)
	v_cmp_ne_u16_e32 vcc, 0, v5
	v_cndmask_b32_e64 v5, 0, 1, vcc
	s_branch .LBB95_997
.LBB95_996:
	s_mov_b64 s[56:57], -1
                                        ; implicit-def: $vgpr5_vgpr6
.LBB95_997:
	s_mov_b64 s[58:59], 0
.LBB95_998:
	s_and_b64 vcc, exec, s[58:59]
	s_cbranch_vccz .LBB95_1047
; %bb.999:
	s_and_b32 s58, 0xffff, s60
	s_cmp_lt_i32 s58, 5
	s_cbranch_scc1 .LBB95_1004
; %bb.1000:
	s_cmp_lt_i32 s58, 8
	s_cbranch_scc1 .LBB95_1005
; %bb.1001:
	;; [unrolled: 3-line block ×3, first 2 shown]
	s_cmp_gt_i32 s58, 9
	s_cbranch_scc0 .LBB95_1007
; %bb.1003:
	global_load_dwordx2 v[5:6], v[3:4], off
	s_movk_i32 s0, 0xffe0
	s_waitcnt vmcnt(0)
	v_trunc_f64_e32 v[5:6], v[5:6]
	v_ldexp_f64 v[7:8], v[5:6], s0
	s_mov_b32 s0, 0
	s_mov_b32 s1, 0xc1f00000
	v_floor_f64_e32 v[7:8], v[7:8]
	v_fma_f64 v[11:12], v[7:8], s[0:1], v[5:6]
	v_cvt_i32_f64_e32 v6, v[7:8]
	s_mov_b64 s[0:1], 0
	v_cvt_u32_f64_e32 v5, v[11:12]
	s_branch .LBB95_1008
.LBB95_1004:
	s_mov_b64 s[0:1], -1
                                        ; implicit-def: $vgpr5_vgpr6
	s_branch .LBB95_1026
.LBB95_1005:
	s_mov_b64 s[0:1], -1
                                        ; implicit-def: $vgpr5_vgpr6
	s_branch .LBB95_1014
.LBB95_1006:
	s_mov_b64 s[0:1], -1
                                        ; implicit-def: $vgpr5_vgpr6
	s_branch .LBB95_1011
.LBB95_1007:
	s_mov_b64 s[0:1], -1
                                        ; implicit-def: $vgpr5_vgpr6
.LBB95_1008:
	s_andn2_b64 vcc, exec, s[0:1]
	s_cbranch_vccnz .LBB95_1010
; %bb.1009:
	global_load_dword v5, v[3:4], off
	s_mov_b32 s0, 0x2f800000
	s_mov_b32 s1, 0xcf800000
	s_waitcnt vmcnt(0)
	v_trunc_f32_e32 v5, v5
	v_mul_f32_e64 v6, |v5|, s0
	v_floor_f32_e32 v6, v6
	v_cvt_u32_f32_e32 v7, v6
	v_fma_f32 v6, v6, s1, |v5|
	v_cvt_u32_f32_e32 v6, v6
	v_ashrrev_i32_e32 v8, 31, v5
	v_xor_b32_e32 v7, v7, v8
	v_xor_b32_e32 v5, v6, v8
	v_sub_co_u32_e32 v5, vcc, v5, v8
	v_subb_co_u32_e32 v6, vcc, v7, v8, vcc
.LBB95_1010:
	s_mov_b64 s[0:1], 0
.LBB95_1011:
	s_andn2_b64 vcc, exec, s[0:1]
	s_cbranch_vccnz .LBB95_1013
; %bb.1012:
	global_load_dword v5, v[3:4], off
	s_waitcnt vmcnt(0)
	v_cvt_f32_f16_e32 v5, v5
	v_cvt_i32_f32_e32 v5, v5
	v_ashrrev_i32_e32 v6, 31, v5
.LBB95_1013:
	s_mov_b64 s[0:1], 0
.LBB95_1014:
	s_andn2_b64 vcc, exec, s[0:1]
	s_cbranch_vccnz .LBB95_1025
; %bb.1015:
	s_cmp_lt_i32 s58, 6
	s_cbranch_scc1 .LBB95_1018
; %bb.1016:
	s_cmp_gt_i32 s58, 6
	s_cbranch_scc0 .LBB95_1019
; %bb.1017:
	global_load_dwordx2 v[5:6], v[3:4], off
	s_movk_i32 s0, 0xffe0
	s_waitcnt vmcnt(0)
	v_trunc_f64_e32 v[5:6], v[5:6]
	v_ldexp_f64 v[7:8], v[5:6], s0
	s_mov_b32 s0, 0
	s_mov_b32 s1, 0xc1f00000
	v_floor_f64_e32 v[7:8], v[7:8]
	v_fma_f64 v[11:12], v[7:8], s[0:1], v[5:6]
	v_cvt_i32_f64_e32 v6, v[7:8]
	s_mov_b64 s[0:1], 0
	v_cvt_u32_f64_e32 v5, v[11:12]
	s_branch .LBB95_1020
.LBB95_1018:
	s_mov_b64 s[0:1], -1
                                        ; implicit-def: $vgpr5_vgpr6
	s_branch .LBB95_1023
.LBB95_1019:
	s_mov_b64 s[0:1], -1
                                        ; implicit-def: $vgpr5_vgpr6
.LBB95_1020:
	s_andn2_b64 vcc, exec, s[0:1]
	s_cbranch_vccnz .LBB95_1022
; %bb.1021:
	global_load_dword v5, v[3:4], off
	s_mov_b32 s0, 0x2f800000
	s_mov_b32 s1, 0xcf800000
	s_waitcnt vmcnt(0)
	v_trunc_f32_e32 v5, v5
	v_mul_f32_e64 v6, |v5|, s0
	v_floor_f32_e32 v6, v6
	v_cvt_u32_f32_e32 v7, v6
	v_fma_f32 v6, v6, s1, |v5|
	v_cvt_u32_f32_e32 v6, v6
	v_ashrrev_i32_e32 v8, 31, v5
	v_xor_b32_e32 v7, v7, v8
	v_xor_b32_e32 v5, v6, v8
	v_sub_co_u32_e32 v5, vcc, v5, v8
	v_subb_co_u32_e32 v6, vcc, v7, v8, vcc
.LBB95_1022:
	s_mov_b64 s[0:1], 0
.LBB95_1023:
	s_andn2_b64 vcc, exec, s[0:1]
	s_cbranch_vccnz .LBB95_1025
; %bb.1024:
	global_load_ushort v5, v[3:4], off
	s_waitcnt vmcnt(0)
	v_cvt_f32_f16_e32 v5, v5
	v_cvt_i32_f32_e32 v5, v5
	v_ashrrev_i32_e32 v6, 31, v5
.LBB95_1025:
	s_mov_b64 s[0:1], 0
.LBB95_1026:
	s_andn2_b64 vcc, exec, s[0:1]
	s_cbranch_vccnz .LBB95_1046
; %bb.1027:
	s_cmp_lt_i32 s58, 2
	s_cbranch_scc1 .LBB95_1031
; %bb.1028:
	s_cmp_lt_i32 s58, 3
	s_cbranch_scc1 .LBB95_1032
; %bb.1029:
	s_cmp_gt_i32 s58, 3
	s_cbranch_scc0 .LBB95_1033
; %bb.1030:
	global_load_dwordx2 v[5:6], v[3:4], off
	s_mov_b64 s[0:1], 0
	s_branch .LBB95_1034
.LBB95_1031:
	s_mov_b64 s[0:1], -1
                                        ; implicit-def: $vgpr5_vgpr6
	s_branch .LBB95_1040
.LBB95_1032:
	s_mov_b64 s[0:1], -1
                                        ; implicit-def: $vgpr5_vgpr6
	s_branch .LBB95_1037
.LBB95_1033:
	s_mov_b64 s[0:1], -1
                                        ; implicit-def: $vgpr5_vgpr6
.LBB95_1034:
	s_andn2_b64 vcc, exec, s[0:1]
	s_cbranch_vccnz .LBB95_1036
; %bb.1035:
	global_load_dword v5, v[3:4], off
	s_waitcnt vmcnt(0)
	v_ashrrev_i32_e32 v6, 31, v5
.LBB95_1036:
	s_mov_b64 s[0:1], 0
.LBB95_1037:
	s_andn2_b64 vcc, exec, s[0:1]
	s_cbranch_vccnz .LBB95_1039
; %bb.1038:
	global_load_ushort v5, v[3:4], off
	s_waitcnt vmcnt(0)
	v_bfe_i32 v5, v5, 0, 16
	v_ashrrev_i32_e32 v6, 31, v5
.LBB95_1039:
	s_mov_b64 s[0:1], 0
.LBB95_1040:
	s_andn2_b64 vcc, exec, s[0:1]
	s_cbranch_vccnz .LBB95_1046
; %bb.1041:
	s_cmp_gt_i32 s58, 0
	s_cbranch_scc0 .LBB95_1043
; %bb.1042:
	global_load_sbyte v5, v[3:4], off
	s_mov_b64 s[0:1], 0
	s_waitcnt vmcnt(0)
	v_bfe_i32 v5, v5, 0, 16
	v_ashrrev_i32_e32 v6, 31, v5
	s_branch .LBB95_1044
.LBB95_1043:
	s_mov_b64 s[0:1], -1
                                        ; implicit-def: $vgpr5_vgpr6
.LBB95_1044:
	s_andn2_b64 vcc, exec, s[0:1]
	s_cbranch_vccnz .LBB95_1046
; %bb.1045:
	global_load_ubyte v3, v[3:4], off
	s_mov_b32 s0, 0
	s_waitcnt vmcnt(1)
	v_mov_b32_e32 v6, s0
	s_waitcnt vmcnt(0)
	v_and_b32_e32 v5, 0xffff, v3
.LBB95_1046:
	s_mov_b64 s[0:1], -1
.LBB95_1047:
	s_andn2_b64 vcc, exec, s[0:1]
	s_cbranch_vccnz .LBB95_1055
; %bb.1048:
	s_waitcnt vmcnt(0)
	v_lshlrev_b64 v[1:2], v5, v[1:2]
	v_cmp_gt_u64_e32 vcc, 64, v[5:6]
	v_mov_b32_e32 v4, s9
	v_cndmask_b32_e32 v2, 0, v2, vcc
	v_cndmask_b32_e32 v1, 0, v1, vcc
	s_and_b32 s64, s69, 0xff
	v_add_co_u32_e32 v3, vcc, s8, v0
	s_cmp_lt_i32 s64, 11
	v_addc_co_u32_e32 v4, vcc, 0, v4, vcc
	s_cbranch_scc1 .LBB95_1056
; %bb.1049:
	s_and_b32 s65, 0xffff, s64
	s_cmp_gt_i32 s65, 25
	s_cbranch_scc0 .LBB95_1057
; %bb.1050:
	s_cmp_gt_i32 s65, 28
	s_cbranch_scc0 .LBB95_1058
; %bb.1051:
	s_cmp_gt_i32 s65, 43
	s_cbranch_scc0 .LBB95_1059
; %bb.1052:
	s_cmp_gt_i32 s65, 45
	s_cbranch_scc0 .LBB95_1060
; %bb.1053:
	s_mov_b64 s[60:61], 0
	s_mov_b64 s[0:1], -1
	s_cmp_eq_u32 s65, 46
	s_mov_b64 s[58:59], 0
	s_cbranch_scc0 .LBB95_1061
; %bb.1054:
	v_xor_b32_e32 v5, v1, v2
	v_ffbh_i32_e32 v0, v2
	v_ashrrev_i32_e32 v5, 31, v5
	v_add_u32_e32 v0, -1, v0
	v_add_u32_e32 v5, 32, v5
	v_min_u32_e32 v0, v0, v5
	v_lshlrev_b64 v[5:6], v0, v[1:2]
	v_sub_u32_e32 v0, 32, v0
	v_min_u32_e32 v5, 1, v5
	v_or_b32_e32 v5, v6, v5
	v_cvt_f32_i32_e32 v5, v5
	s_movk_i32 s0, 0x7fff
	s_mov_b64 s[58:59], -1
	v_ldexp_f32 v0, v5, v0
	v_bfe_u32 v5, v0, 16, 1
	v_add3_u32 v0, v0, v5, s0
	v_lshrrev_b32_e32 v0, 16, v0
	global_store_dword v[3:4], v0, off
	s_mov_b64 s[0:1], 0
	s_branch .LBB95_1061
.LBB95_1055:
	s_mov_b64 s[60:61], 0
                                        ; implicit-def: $vgpr10
	s_mov_b64 s[0:1], s[48:49]
	s_branch .LBB95_1171
.LBB95_1056:
	s_mov_b64 s[60:61], -1
	s_mov_b64 s[58:59], 0
	s_mov_b64 s[0:1], s[48:49]
	s_branch .LBB95_1130
.LBB95_1057:
	s_mov_b64 s[60:61], -1
	s_mov_b64 s[58:59], 0
	s_mov_b64 s[0:1], s[48:49]
	s_branch .LBB95_1088
.LBB95_1058:
	s_mov_b64 s[60:61], -1
	s_mov_b64 s[58:59], 0
	s_mov_b64 s[0:1], s[48:49]
	s_branch .LBB95_1071
.LBB95_1059:
	s_mov_b64 s[60:61], -1
	s_mov_b64 s[58:59], 0
	s_mov_b64 s[0:1], s[48:49]
	s_branch .LBB95_1067
.LBB95_1060:
	s_mov_b64 s[60:61], -1
	s_mov_b64 s[58:59], 0
	s_mov_b64 s[0:1], s[48:49]
.LBB95_1061:
	s_and_b64 vcc, exec, s[60:61]
	s_cbranch_vccz .LBB95_1066
; %bb.1062:
	s_cmp_eq_u32 s65, 44
	s_mov_b64 s[0:1], -1
	s_cbranch_scc0 .LBB95_1066
; %bb.1063:
	v_xor_b32_e32 v5, v1, v2
	v_ffbh_i32_e32 v0, v2
	v_ashrrev_i32_e32 v5, 31, v5
	v_add_u32_e32 v0, -1, v0
	v_add_u32_e32 v5, 32, v5
	v_min_u32_e32 v0, v0, v5
	v_lshlrev_b64 v[5:6], v0, v[1:2]
	v_sub_u32_e32 v0, 32, v0
	v_min_u32_e32 v5, 1, v5
	v_or_b32_e32 v5, v6, v5
	v_cvt_f32_i32_e32 v5, v5
	s_movk_i32 s0, 0xff
	v_mov_b32_e32 v6, 0xff
	v_ldexp_f32 v0, v5, v0
	v_bfe_u32 v5, v0, 23, 8
	v_cmp_ne_u32_e32 vcc, s0, v5
	s_and_saveexec_b64 s[58:59], vcc
; %bb.1064:
	s_mov_b32 s0, 0x3fffff
	v_lshrrev_b32_e32 v6, 23, v0
	v_and_b32_e32 v7, 0x400000, v0
	v_and_or_b32 v0, v0, s0, v5
	v_cmp_ne_u32_e32 vcc, 0, v7
	v_cmp_ne_u32_e64 s[0:1], 0, v0
	s_and_b64 s[0:1], vcc, s[0:1]
	v_cndmask_b32_e64 v0, 0, 1, s[0:1]
	v_add_u32_e32 v6, v6, v0
; %bb.1065:
	s_or_b64 exec, exec, s[58:59]
	s_mov_b64 s[58:59], -1
	s_mov_b64 s[0:1], 0
	global_store_byte v[3:4], v6, off
.LBB95_1066:
	s_mov_b64 s[60:61], 0
.LBB95_1067:
	s_and_b64 vcc, exec, s[60:61]
	s_cbranch_vccz .LBB95_1070
; %bb.1068:
	s_cmp_eq_u32 s65, 29
	s_mov_b64 s[0:1], -1
	s_cbranch_scc0 .LBB95_1070
; %bb.1069:
	global_store_dwordx2 v[3:4], v[1:2], off
	s_mov_b64 s[58:59], -1
	s_mov_b64 s[0:1], 0
.LBB95_1070:
	s_mov_b64 s[60:61], 0
.LBB95_1071:
	s_and_b64 vcc, exec, s[60:61]
	s_cbranch_vccz .LBB95_1087
; %bb.1072:
	s_cmp_lt_i32 s65, 27
	s_mov_b64 s[58:59], -1
	s_cbranch_scc1 .LBB95_1078
; %bb.1073:
	s_cmp_gt_i32 s65, 27
	s_cbranch_scc0 .LBB95_1075
; %bb.1074:
	s_mov_b64 s[58:59], 0
	global_store_dword v[3:4], v1, off
.LBB95_1075:
	s_andn2_b64 vcc, exec, s[58:59]
	s_cbranch_vccnz .LBB95_1077
; %bb.1076:
	global_store_short v[3:4], v1, off
.LBB95_1077:
	s_mov_b64 s[58:59], 0
.LBB95_1078:
	s_andn2_b64 vcc, exec, s[58:59]
	s_cbranch_vccnz .LBB95_1086
; %bb.1079:
	v_xor_b32_e32 v5, v1, v2
	v_ffbh_i32_e32 v0, v2
	v_ashrrev_i32_e32 v5, 31, v5
	v_add_u32_e32 v0, -1, v0
	v_add_u32_e32 v5, 32, v5
	v_min_u32_e32 v0, v0, v5
	v_lshlrev_b64 v[5:6], v0, v[1:2]
	v_sub_u32_e32 v0, 32, v0
	v_min_u32_e32 v5, 1, v5
	v_or_b32_e32 v5, v6, v5
	v_cvt_f32_i32_e32 v5, v5
	s_mov_b32 s58, 0x43800000
	v_mov_b32_e32 v6, 0x80
	v_ldexp_f32 v0, v5, v0
	v_and_b32_e32 v5, 0x7fffffff, v0
	v_cmp_gt_u32_e32 vcc, s58, v5
	s_and_saveexec_b64 s[58:59], vcc
	s_cbranch_execz .LBB95_1085
; %bb.1080:
	s_mov_b32 s60, 0x3bffffff
	v_cmp_lt_u32_e32 vcc, s60, v5
	s_mov_b64 s[60:61], 0
                                        ; implicit-def: $vgpr5
	s_and_saveexec_b64 s[62:63], vcc
	s_xor_b64 s[62:63], exec, s[62:63]
	s_cbranch_execz .LBB95_1199
; %bb.1081:
	v_bfe_u32 v5, v0, 20, 1
	s_mov_b32 s67, 0x487ffff
	v_add3_u32 v5, v0, v5, s67
	s_mov_b64 s[60:61], exec
	v_lshrrev_b32_e32 v5, 20, v5
	s_andn2_saveexec_b64 s[62:63], s[62:63]
	s_cbranch_execnz .LBB95_1200
.LBB95_1082:
	s_or_b64 exec, exec, s[62:63]
	v_mov_b32_e32 v6, 0
	s_and_saveexec_b64 s[62:63], s[60:61]
.LBB95_1083:
	v_lshrrev_b32_e32 v0, 24, v0
	s_movk_i32 s60, 0x80
	v_and_or_b32 v6, v0, s60, v5
.LBB95_1084:
	s_or_b64 exec, exec, s[62:63]
.LBB95_1085:
	s_or_b64 exec, exec, s[58:59]
	global_store_byte v[3:4], v6, off
.LBB95_1086:
	s_mov_b64 s[58:59], -1
.LBB95_1087:
	s_mov_b64 s[60:61], 0
.LBB95_1088:
	s_and_b64 vcc, exec, s[60:61]
	s_cbranch_vccz .LBB95_1129
; %bb.1089:
	s_cmp_gt_i32 s65, 22
	s_mov_b64 s[60:61], -1
	s_cbranch_scc0 .LBB95_1121
; %bb.1090:
	s_cmp_lt_i32 s65, 24
	s_mov_b64 s[58:59], -1
	s_cbranch_scc1 .LBB95_1110
; %bb.1091:
	s_cmp_gt_i32 s65, 24
	s_cbranch_scc0 .LBB95_1099
; %bb.1092:
	v_xor_b32_e32 v5, v1, v2
	v_ffbh_i32_e32 v0, v2
	v_ashrrev_i32_e32 v5, 31, v5
	v_add_u32_e32 v0, -1, v0
	v_add_u32_e32 v5, 32, v5
	v_min_u32_e32 v0, v0, v5
	v_lshlrev_b64 v[5:6], v0, v[1:2]
	v_sub_u32_e32 v0, 32, v0
	v_min_u32_e32 v5, 1, v5
	v_or_b32_e32 v5, v6, v5
	v_cvt_f32_i32_e32 v5, v5
	s_mov_b32 s58, 0x47800000
	v_mov_b32_e32 v6, 0x80
	v_ldexp_f32 v0, v5, v0
	v_and_b32_e32 v5, 0x7fffffff, v0
	v_cmp_gt_u32_e32 vcc, s58, v5
	s_and_saveexec_b64 s[58:59], vcc
	s_cbranch_execz .LBB95_1098
; %bb.1093:
	s_mov_b32 s60, 0x37ffffff
	v_cmp_lt_u32_e32 vcc, s60, v5
	s_mov_b64 s[60:61], 0
                                        ; implicit-def: $vgpr5
	s_and_saveexec_b64 s[62:63], vcc
	s_xor_b64 s[62:63], exec, s[62:63]
	s_cbranch_execz .LBB95_2236
; %bb.1094:
	v_bfe_u32 v5, v0, 21, 1
	s_mov_b32 s67, 0x88fffff
	v_add3_u32 v5, v0, v5, s67
	s_mov_b64 s[60:61], exec
	v_lshrrev_b32_e32 v5, 21, v5
	s_andn2_saveexec_b64 s[62:63], s[62:63]
	s_cbranch_execnz .LBB95_2237
.LBB95_1095:
	s_or_b64 exec, exec, s[62:63]
	v_mov_b32_e32 v6, 0
	s_and_saveexec_b64 s[62:63], s[60:61]
.LBB95_1096:
	v_lshrrev_b32_e32 v0, 24, v0
	s_movk_i32 s60, 0x80
	v_and_or_b32 v6, v0, s60, v5
.LBB95_1097:
	s_or_b64 exec, exec, s[62:63]
.LBB95_1098:
	s_or_b64 exec, exec, s[58:59]
	s_mov_b64 s[58:59], 0
	global_store_byte v[3:4], v6, off
.LBB95_1099:
	s_and_b64 vcc, exec, s[58:59]
	s_cbranch_vccz .LBB95_1109
; %bb.1100:
	v_xor_b32_e32 v5, v1, v2
	v_ffbh_i32_e32 v0, v2
	v_ashrrev_i32_e32 v5, 31, v5
	v_add_u32_e32 v0, -1, v0
	v_add_u32_e32 v5, 32, v5
	v_min_u32_e32 v0, v0, v5
	v_lshlrev_b64 v[5:6], v0, v[1:2]
	v_sub_u32_e32 v0, 32, v0
	v_min_u32_e32 v5, 1, v5
	v_or_b32_e32 v5, v6, v5
	v_cvt_f32_i32_e32 v5, v5
	s_mov_b32 s58, 0x43f00000
	v_ldexp_f32 v0, v5, v0
	v_and_b32_e32 v6, 0x7fffffff, v0
	v_cmp_gt_u32_e32 vcc, s58, v6
                                        ; implicit-def: $vgpr5
	s_and_saveexec_b64 s[58:59], vcc
	s_xor_b64 s[58:59], exec, s[58:59]
	s_cbranch_execz .LBB95_1106
; %bb.1101:
	s_mov_b32 s60, 0x3c7fffff
	v_cmp_lt_u32_e32 vcc, s60, v6
                                        ; implicit-def: $vgpr5
	s_and_saveexec_b64 s[60:61], vcc
	s_xor_b64 s[60:61], exec, s[60:61]
; %bb.1102:
	v_bfe_u32 v5, v0, 20, 1
	s_mov_b32 s62, 0x407ffff
	v_add3_u32 v5, v0, v5, s62
	v_lshrrev_b32_e32 v6, 20, v5
	v_and_b32_e32 v5, 0xff00000, v5
	s_mov_b32 s62, 0x7f00000
	v_mov_b32_e32 v7, 0x7e
	v_cmp_ne_u32_e32 vcc, s62, v5
	v_cndmask_b32_e32 v5, v7, v6, vcc
; %bb.1103:
	s_andn2_saveexec_b64 s[60:61], s[60:61]
; %bb.1104:
	s_mov_b32 s62, 0x46800000
	v_add_f32_e64 v5, |v0|, s62
; %bb.1105:
	s_or_b64 exec, exec, s[60:61]
                                        ; implicit-def: $vgpr6
.LBB95_1106:
	s_andn2_saveexec_b64 s[58:59], s[58:59]
; %bb.1107:
	s_mov_b32 s60, 0x7f800000
	v_mov_b32_e32 v5, 0x7e
	v_mov_b32_e32 v7, 0x7f
	v_cmp_lt_u32_e32 vcc, s60, v6
	v_cndmask_b32_e32 v5, v5, v7, vcc
; %bb.1108:
	s_or_b64 exec, exec, s[58:59]
	v_lshrrev_b32_e32 v0, 24, v0
	s_movk_i32 s58, 0x80
	v_and_or_b32 v0, v0, s58, v5
	global_store_byte v[3:4], v0, off
.LBB95_1109:
	s_mov_b64 s[58:59], 0
.LBB95_1110:
	s_andn2_b64 vcc, exec, s[58:59]
	s_cbranch_vccnz .LBB95_1120
; %bb.1111:
	v_xor_b32_e32 v5, v1, v2
	v_ffbh_i32_e32 v0, v2
	v_ashrrev_i32_e32 v5, 31, v5
	v_add_u32_e32 v0, -1, v0
	v_add_u32_e32 v5, 32, v5
	v_min_u32_e32 v0, v0, v5
	v_lshlrev_b64 v[5:6], v0, v[1:2]
	v_sub_u32_e32 v0, 32, v0
	v_min_u32_e32 v5, 1, v5
	v_or_b32_e32 v5, v6, v5
	v_cvt_f32_i32_e32 v5, v5
	s_mov_b32 s58, 0x47800000
	v_ldexp_f32 v0, v5, v0
	v_and_b32_e32 v6, 0x7fffffff, v0
	v_cmp_gt_u32_e32 vcc, s58, v6
                                        ; implicit-def: $vgpr5
	s_and_saveexec_b64 s[58:59], vcc
	s_xor_b64 s[58:59], exec, s[58:59]
	s_cbranch_execz .LBB95_1117
; %bb.1112:
	s_mov_b32 s60, 0x387fffff
	v_cmp_lt_u32_e32 vcc, s60, v6
                                        ; implicit-def: $vgpr5
	s_and_saveexec_b64 s[60:61], vcc
	s_xor_b64 s[60:61], exec, s[60:61]
; %bb.1113:
	v_bfe_u32 v5, v0, 21, 1
	s_mov_b32 s62, 0x80fffff
	v_add3_u32 v5, v0, v5, s62
	v_lshrrev_b32_e32 v5, 21, v5
; %bb.1114:
	s_andn2_saveexec_b64 s[60:61], s[60:61]
; %bb.1115:
	s_mov_b32 s62, 0x43000000
	v_add_f32_e64 v5, |v0|, s62
; %bb.1116:
	s_or_b64 exec, exec, s[60:61]
                                        ; implicit-def: $vgpr6
.LBB95_1117:
	s_andn2_saveexec_b64 s[58:59], s[58:59]
; %bb.1118:
	s_mov_b32 s60, 0x7f800000
	v_mov_b32_e32 v5, 0x7c
	v_mov_b32_e32 v7, 0x7f
	v_cmp_lt_u32_e32 vcc, s60, v6
	v_cndmask_b32_e32 v5, v5, v7, vcc
; %bb.1119:
	s_or_b64 exec, exec, s[58:59]
	v_lshrrev_b32_e32 v0, 24, v0
	s_movk_i32 s58, 0x80
	v_and_or_b32 v0, v0, s58, v5
	global_store_byte v[3:4], v0, off
.LBB95_1120:
	s_mov_b64 s[60:61], 0
	s_mov_b64 s[58:59], -1
.LBB95_1121:
	s_andn2_b64 vcc, exec, s[60:61]
	s_cbranch_vccnz .LBB95_1129
; %bb.1122:
	s_cmp_gt_i32 s65, 14
	s_mov_b64 s[60:61], -1
	s_cbranch_scc0 .LBB95_1126
; %bb.1123:
	s_cmp_eq_u32 s65, 15
	s_mov_b64 s[0:1], -1
	s_cbranch_scc0 .LBB95_1125
; %bb.1124:
	v_xor_b32_e32 v5, v1, v2
	v_ffbh_i32_e32 v0, v2
	v_ashrrev_i32_e32 v5, 31, v5
	v_add_u32_e32 v0, -1, v0
	v_add_u32_e32 v5, 32, v5
	v_min_u32_e32 v0, v0, v5
	v_lshlrev_b64 v[5:6], v0, v[1:2]
	v_sub_u32_e32 v0, 32, v0
	v_min_u32_e32 v5, 1, v5
	v_or_b32_e32 v5, v6, v5
	v_cvt_f32_i32_e32 v5, v5
	s_movk_i32 s0, 0x7fff
	s_mov_b64 s[58:59], -1
	v_ldexp_f32 v0, v5, v0
	v_bfe_u32 v5, v0, 16, 1
	v_add3_u32 v0, v0, v5, s0
	global_store_short_d16_hi v[3:4], v0, off
	s_mov_b64 s[0:1], 0
.LBB95_1125:
	s_mov_b64 s[60:61], 0
.LBB95_1126:
	s_and_b64 vcc, exec, s[60:61]
	s_cbranch_vccz .LBB95_1129
; %bb.1127:
	s_cmp_eq_u32 s65, 11
	s_mov_b64 s[0:1], -1
	s_cbranch_scc0 .LBB95_1129
; %bb.1128:
	v_cmp_ne_u64_e32 vcc, 0, v[1:2]
	s_mov_b64 s[0:1], 0
	v_cndmask_b32_e64 v0, 0, 1, vcc
	s_mov_b64 s[58:59], -1
	global_store_byte v[3:4], v0, off
.LBB95_1129:
	s_mov_b64 s[60:61], 0
.LBB95_1130:
	s_and_b64 vcc, exec, s[60:61]
	s_cbranch_vccz .LBB95_1169
; %bb.1131:
	s_and_b32 s60, 0xffff, s64
	s_cmp_lt_i32 s60, 5
	s_mov_b64 s[58:59], -1
	s_cbranch_scc1 .LBB95_1152
; %bb.1132:
	s_cmp_lt_i32 s60, 8
	s_cbranch_scc1 .LBB95_1142
; %bb.1133:
	s_cmp_lt_i32 s60, 9
	s_cbranch_scc1 .LBB95_1139
; %bb.1134:
	s_cmp_gt_i32 s60, 9
	s_cbranch_scc0 .LBB95_1136
; %bb.1135:
	v_cvt_f64_i32_e32 v[5:6], v2
	v_cvt_f64_u32_e32 v[7:8], v1
	s_mov_b64 s[58:59], 0
	v_ldexp_f64 v[5:6], v[5:6], 32
	v_add_f64 v[5:6], v[5:6], v[7:8]
	v_mov_b32_e32 v7, 0
	v_mov_b32_e32 v8, v7
	global_store_dwordx4 v[3:4], v[5:8], off
.LBB95_1136:
	s_andn2_b64 vcc, exec, s[58:59]
	s_cbranch_vccnz .LBB95_1138
; %bb.1137:
	v_xor_b32_e32 v5, v1, v2
	v_ffbh_i32_e32 v0, v2
	v_ashrrev_i32_e32 v5, 31, v5
	v_add_u32_e32 v0, -1, v0
	v_add_u32_e32 v5, 32, v5
	v_min_u32_e32 v0, v0, v5
	v_lshlrev_b64 v[5:6], v0, v[1:2]
	v_sub_u32_e32 v0, 32, v0
	v_min_u32_e32 v5, 1, v5
	v_or_b32_e32 v5, v6, v5
	v_cvt_f32_i32_e32 v5, v5
	v_mov_b32_e32 v6, 0
	v_ldexp_f32 v5, v5, v0
	global_store_dwordx2 v[3:4], v[5:6], off
.LBB95_1138:
	s_mov_b64 s[58:59], 0
.LBB95_1139:
	s_andn2_b64 vcc, exec, s[58:59]
	s_cbranch_vccnz .LBB95_1141
; %bb.1140:
	v_xor_b32_e32 v5, v1, v2
	v_ffbh_i32_e32 v0, v2
	v_ashrrev_i32_e32 v5, 31, v5
	v_add_u32_e32 v0, -1, v0
	v_add_u32_e32 v5, 32, v5
	v_min_u32_e32 v0, v0, v5
	v_lshlrev_b64 v[5:6], v0, v[1:2]
	v_sub_u32_e32 v0, 32, v0
	v_min_u32_e32 v5, 1, v5
	v_or_b32_e32 v5, v6, v5
	v_cvt_f32_i32_e32 v5, v5
	v_ldexp_f32 v0, v5, v0
	v_cvt_f16_f32_e32 v0, v0
	global_store_dword v[3:4], v0, off
.LBB95_1141:
	s_mov_b64 s[58:59], 0
.LBB95_1142:
	s_andn2_b64 vcc, exec, s[58:59]
	s_cbranch_vccnz .LBB95_1151
; %bb.1143:
	s_cmp_lt_i32 s60, 6
	s_mov_b64 s[58:59], -1
	s_cbranch_scc1 .LBB95_1149
; %bb.1144:
	s_cmp_gt_i32 s60, 6
	s_cbranch_scc0 .LBB95_1146
; %bb.1145:
	v_cvt_f64_i32_e32 v[5:6], v2
	v_cvt_f64_u32_e32 v[7:8], v1
	s_mov_b64 s[58:59], 0
	v_ldexp_f64 v[5:6], v[5:6], 32
	v_add_f64 v[5:6], v[5:6], v[7:8]
	global_store_dwordx2 v[3:4], v[5:6], off
.LBB95_1146:
	s_andn2_b64 vcc, exec, s[58:59]
	s_cbranch_vccnz .LBB95_1148
; %bb.1147:
	v_xor_b32_e32 v5, v1, v2
	v_ffbh_i32_e32 v0, v2
	v_ashrrev_i32_e32 v5, 31, v5
	v_add_u32_e32 v0, -1, v0
	v_add_u32_e32 v5, 32, v5
	v_min_u32_e32 v0, v0, v5
	v_lshlrev_b64 v[5:6], v0, v[1:2]
	v_sub_u32_e32 v0, 32, v0
	v_min_u32_e32 v5, 1, v5
	v_or_b32_e32 v5, v6, v5
	v_cvt_f32_i32_e32 v5, v5
	v_ldexp_f32 v0, v5, v0
	global_store_dword v[3:4], v0, off
.LBB95_1148:
	s_mov_b64 s[58:59], 0
.LBB95_1149:
	s_andn2_b64 vcc, exec, s[58:59]
	s_cbranch_vccnz .LBB95_1151
; %bb.1150:
	v_xor_b32_e32 v5, v1, v2
	v_ffbh_i32_e32 v0, v2
	v_ashrrev_i32_e32 v5, 31, v5
	v_add_u32_e32 v0, -1, v0
	v_add_u32_e32 v5, 32, v5
	v_min_u32_e32 v0, v0, v5
	v_lshlrev_b64 v[5:6], v0, v[1:2]
	v_sub_u32_e32 v0, 32, v0
	v_min_u32_e32 v5, 1, v5
	v_or_b32_e32 v5, v6, v5
	v_cvt_f32_i32_e32 v5, v5
	v_ldexp_f32 v0, v5, v0
	v_cvt_f16_f32_e32 v0, v0
	global_store_short v[3:4], v0, off
.LBB95_1151:
	s_mov_b64 s[58:59], 0
.LBB95_1152:
	s_andn2_b64 vcc, exec, s[58:59]
	s_cbranch_vccnz .LBB95_1168
; %bb.1153:
	s_cmp_lt_i32 s60, 2
	s_mov_b64 s[58:59], -1
	s_cbranch_scc1 .LBB95_1163
; %bb.1154:
	s_cmp_lt_i32 s60, 3
	s_cbranch_scc1 .LBB95_1160
; %bb.1155:
	s_cmp_gt_i32 s60, 3
	s_cbranch_scc0 .LBB95_1157
; %bb.1156:
	s_mov_b64 s[58:59], 0
	global_store_dwordx2 v[3:4], v[1:2], off
.LBB95_1157:
	s_andn2_b64 vcc, exec, s[58:59]
	s_cbranch_vccnz .LBB95_1159
; %bb.1158:
	global_store_dword v[3:4], v1, off
.LBB95_1159:
	s_mov_b64 s[58:59], 0
.LBB95_1160:
	s_andn2_b64 vcc, exec, s[58:59]
	s_cbranch_vccnz .LBB95_1162
; %bb.1161:
	global_store_short v[3:4], v1, off
.LBB95_1162:
	s_mov_b64 s[58:59], 0
.LBB95_1163:
	s_andn2_b64 vcc, exec, s[58:59]
	s_cbranch_vccnz .LBB95_1168
; %bb.1164:
	s_cmp_gt_i32 s60, 0
	s_mov_b64 s[58:59], -1
	s_cbranch_scc0 .LBB95_1166
; %bb.1165:
	s_mov_b64 s[58:59], 0
	global_store_byte v[3:4], v1, off
.LBB95_1166:
	s_andn2_b64 vcc, exec, s[58:59]
	s_cbranch_vccnz .LBB95_1168
; %bb.1167:
	global_store_byte v[3:4], v1, off
.LBB95_1168:
	s_mov_b64 s[58:59], -1
.LBB95_1169:
	s_andn2_b64 vcc, exec, s[58:59]
	s_cbranch_vccnz .LBB95_1181
; %bb.1170:
	v_add_u32_e32 v10, 0x80, v10
	s_mov_b64 s[60:61], -1
.LBB95_1171:
	s_andn2_b64 s[58:59], s[48:49], exec
	s_and_b64 s[0:1], s[0:1], exec
	s_or_b64 s[58:59], s[58:59], s[0:1]
	s_andn2_b64 s[0:1], s[46:47], exec
	s_and_b64 s[56:57], s[56:57], exec
	s_or_b64 s[56:57], s[0:1], s[56:57]
	;; [unrolled: 3-line block ×3, first 2 shown]
	s_orn2_b64 s[64:65], s[60:61], exec
.LBB95_1172:
	s_or_b64 exec, exec, s[52:53]
	s_mov_b64 s[60:61], 0
	s_mov_b64 s[54:55], 0
	;; [unrolled: 1-line block ×3, first 2 shown]
                                        ; implicit-def: $sgpr73
                                        ; implicit-def: $vgpr4_vgpr5
                                        ; implicit-def: $vgpr0
                                        ; implicit-def: $vgpr3
                                        ; implicit-def: $vgpr1_vgpr2
	s_and_saveexec_b64 s[52:53], s[64:65]
	s_cbranch_execz .LBB95_1263
; %bb.1173:
	v_cmp_gt_i32_e32 vcc, s66, v10
	s_mov_b64 s[64:65], s[0:1]
	s_mov_b64 s[66:67], 0
                                        ; implicit-def: $sgpr73
                                        ; implicit-def: $vgpr4_vgpr5
                                        ; implicit-def: $vgpr0
                                        ; implicit-def: $vgpr3
                                        ; implicit-def: $vgpr1_vgpr2
	s_and_saveexec_b64 s[54:55], vcc
	s_cbranch_execz .LBB95_1262
; %bb.1174:
	s_andn2_b64 vcc, exec, s[20:21]
	s_cbranch_vccnz .LBB95_1180
; %bb.1175:
	s_andn2_b64 vcc, exec, s[34:35]
	s_cbranch_vccnz .LBB95_1182
; %bb.1176:
	s_add_i32 s34, s72, 1
	s_and_b32 s60, s34, 30
	s_add_u32 s34, s2, 0xffffffe8
	s_addc_u32 s35, s3, -1
	v_mov_b32_e32 v3, 0
	s_waitcnt vmcnt(0)
	v_mov_b32_e32 v5, 0
	v_mov_b32_e32 v0, 0
	;; [unrolled: 1-line block ×3, first 2 shown]
.LBB95_1177:                            ; =>This Inner Loop Header: Depth=1
	s_load_dwordx4 s[64:67], s[34:35], 0x1c
	s_load_dwordx2 s[62:63], s[34:35], 0x2c
	s_load_dwordx2 s[74:75], s[34:35], 0xec
	s_load_dwordx4 s[76:79], s[34:35], 0xdc
	s_add_u32 s34, s34, 24
	s_waitcnt lgkmcnt(0)
	v_mul_hi_u32 v2, s65, v1
	s_addc_u32 s35, s35, 0
	s_add_i32 s60, s60, -2
	s_cmp_eq_u32 s60, 0
	v_add_u32_e32 v2, v1, v2
	v_lshrrev_b32_e32 v2, s66, v2
	v_mul_lo_u32 v4, v2, s64
	v_mul_hi_u32 v6, s62, v2
	v_sub_u32_e32 v4, v1, v4
	v_add_u32_e32 v1, v2, v6
	v_lshrrev_b32_e32 v1, s63, v1
	v_mul_lo_u32 v8, v1, s67
	v_mul_lo_u32 v6, v4, s76
	;; [unrolled: 1-line block ×4, first 2 shown]
	v_sub_u32_e32 v2, v2, v8
	v_mul_lo_u32 v8, v2, s79
	v_mul_lo_u32 v9, v2, s74
	;; [unrolled: 1-line block ×3, first 2 shown]
	v_add3_u32 v0, v6, v0, v8
	v_add3_u32 v5, v7, v5, v9
	;; [unrolled: 1-line block ×3, first 2 shown]
	s_cbranch_scc0 .LBB95_1177
; %bb.1178:
	s_bitcmp1_b32 s72, 0
	s_cselect_b64 s[60:61], -1, 0
	s_and_b64 vcc, exec, s[60:61]
	s_cbranch_vccnz .LBB95_1183
; %bb.1179:
	s_load_dwordx2 s[60:61], s[34:35], 0x1c
	s_load_dword s64, s[34:35], 0x24
	s_load_dwordx2 s[62:63], s[34:35], 0xdc
	s_waitcnt lgkmcnt(0)
	v_mul_hi_u32 v2, s61, v1
	v_add_u32_e32 v2, v1, v2
	v_lshrrev_b32_e32 v2, s64, v2
	v_mul_lo_u32 v2, v2, s60
	s_load_dword s60, s[34:35], 0xe4
	v_sub_u32_e32 v2, v1, v2
	v_mad_u64_u32 v[0:1], s[34:35], v2, s62, v[0:1]
	v_mad_u64_u32 v[5:6], s[34:35], v2, s63, v[5:6]
	s_waitcnt lgkmcnt(0)
	v_mad_u64_u32 v[3:4], s[34:35], v2, s60, v[3:4]
	s_branch .LBB95_1183
.LBB95_1180:
	s_mov_b64 s[34:35], -1
                                        ; implicit-def: $vgpr0
                                        ; implicit-def: $vgpr5
                                        ; implicit-def: $vgpr3
	s_branch .LBB95_1184
.LBB95_1181:
	s_mov_b64 s[60:61], 0
	s_branch .LBB95_928
.LBB95_1182:
	v_mov_b32_e32 v0, 0
	s_waitcnt vmcnt(0)
	v_mov_b32_e32 v5, 0
	v_mov_b32_e32 v3, 0
.LBB95_1183:
	s_mov_b64 s[34:35], 0
.LBB95_1184:
	s_andn2_b64 vcc, exec, s[34:35]
	s_cbranch_vccnz .LBB95_1187
; %bb.1185:
	s_waitcnt lgkmcnt(0)
	v_mul_hi_u32 v0, s17, v10
	s_andn2_b64 vcc, exec, s[30:31]
	v_add_u32_e32 v0, v10, v0
	s_waitcnt vmcnt(0)
	v_lshrrev_b32_e32 v1, s18, v0
	v_mul_lo_u32 v0, v1, s16
	v_sub_u32_e32 v2, v10, v0
	v_mul_lo_u32 v0, v2, s12
	v_mul_lo_u32 v5, v2, s13
	;; [unrolled: 1-line block ×3, first 2 shown]
	s_cbranch_vccnz .LBB95_1187
; %bb.1186:
	v_mul_hi_u32 v2, s28, v1
	v_add_u32_e32 v2, v1, v2
	v_lshrrev_b32_e32 v2, s29, v2
	v_mul_lo_u32 v2, v2, s19
	v_sub_u32_e32 v2, v1, v2
	v_mad_u64_u32 v[0:1], s[12:13], v2, s15, v[0:1]
	v_mad_u64_u32 v[5:6], s[12:13], v2, s26, v[5:6]
	;; [unrolled: 1-line block ×3, first 2 shown]
.LBB95_1187:
	s_waitcnt vmcnt(0) lgkmcnt(0)
	v_mov_b32_e32 v1, s11
	s_and_b32 s73, s71, 0xff
	v_add_co_u32_e32 v4, vcc, s10, v5
	s_cmp_lt_i32 s73, 11
	v_addc_co_u32_e32 v5, vcc, 0, v1, vcc
	s_cbranch_scc1 .LBB95_1194
; %bb.1188:
	s_and_b32 s18, 0xffff, s73
	s_cmp_gt_i32 s18, 25
	s_mov_b64 s[12:13], 0
	s_cbranch_scc0 .LBB95_1195
; %bb.1189:
	s_cmp_gt_i32 s18, 28
	s_cbranch_scc0 .LBB95_1196
; %bb.1190:
	s_cmp_gt_i32 s18, 43
	;; [unrolled: 3-line block ×3, first 2 shown]
	s_cbranch_scc0 .LBB95_1198
; %bb.1192:
	s_cmp_eq_u32 s18, 46
	s_mov_b64 s[16:17], 0
	s_cbranch_scc0 .LBB95_1201
; %bb.1193:
	global_load_dword v1, v[4:5], off
	s_mov_b32 s10, 0x2f800000
	s_mov_b32 s11, 0xcf800000
	s_mov_b64 s[14:15], -1
	s_waitcnt vmcnt(0)
	v_lshlrev_b32_e32 v1, 16, v1
	v_trunc_f32_e32 v1, v1
	v_mul_f32_e64 v2, |v1|, s10
	v_floor_f32_e32 v2, v2
	v_fma_f32 v6, v2, s11, |v1|
	v_cvt_u32_f32_e32 v6, v6
	v_cvt_u32_f32_e32 v2, v2
	v_ashrrev_i32_e32 v7, 31, v1
	s_mov_b64 s[10:11], 0
	v_xor_b32_e32 v1, v6, v7
	v_xor_b32_e32 v2, v2, v7
	v_sub_co_u32_e32 v1, vcc, v1, v7
	v_subb_co_u32_e32 v2, vcc, v2, v7, vcc
	s_branch .LBB95_1202
.LBB95_1194:
	s_mov_b64 s[16:17], -1
	s_mov_b64 s[14:15], 0
	s_mov_b64 s[12:13], 0
	s_mov_b64 s[10:11], s[0:1]
                                        ; implicit-def: $vgpr1_vgpr2
	s_branch .LBB95_1261
.LBB95_1195:
	s_mov_b64 s[16:17], -1
	s_mov_b64 s[14:15], 0
	s_mov_b64 s[10:11], s[0:1]
                                        ; implicit-def: $vgpr1_vgpr2
	s_branch .LBB95_1231
.LBB95_1196:
	s_mov_b64 s[16:17], -1
	s_mov_b64 s[14:15], 0
	s_mov_b64 s[10:11], s[0:1]
                                        ; implicit-def: $vgpr1_vgpr2
	s_branch .LBB95_1212
.LBB95_1197:
	s_mov_b64 s[16:17], -1
	s_mov_b64 s[14:15], 0
	s_mov_b64 s[10:11], s[0:1]
                                        ; implicit-def: $vgpr1_vgpr2
	s_branch .LBB95_1207
.LBB95_1198:
	s_mov_b64 s[16:17], -1
	s_mov_b64 s[14:15], 0
	s_mov_b64 s[10:11], s[0:1]
                                        ; implicit-def: $vgpr1_vgpr2
	s_branch .LBB95_1202
.LBB95_1199:
	s_andn2_saveexec_b64 s[62:63], s[62:63]
	s_cbranch_execz .LBB95_1082
.LBB95_1200:
	s_mov_b32 s67, 0x46000000
	v_add_f32_e64 v5, |v0|, s67
	v_and_b32_e32 v5, 0xff, v5
	v_cmp_ne_u32_e32 vcc, 0, v5
	s_andn2_b64 s[60:61], s[60:61], exec
	s_and_b64 s[74:75], vcc, exec
	s_or_b64 s[60:61], s[60:61], s[74:75]
	s_or_b64 exec, exec, s[62:63]
	v_mov_b32_e32 v6, 0
	s_and_saveexec_b64 s[62:63], s[60:61]
	s_cbranch_execnz .LBB95_1083
	s_branch .LBB95_1084
.LBB95_1201:
	s_mov_b64 s[10:11], -1
                                        ; implicit-def: $vgpr1_vgpr2
	s_mov_b64 s[14:15], 0
.LBB95_1202:
	s_and_b64 vcc, exec, s[16:17]
	s_cbranch_vccz .LBB95_1206
; %bb.1203:
	s_cmp_eq_u32 s18, 44
	s_cbranch_scc0 .LBB95_1205
; %bb.1204:
	global_load_ubyte v1, v[4:5], off
	s_mov_b32 s10, 0x2f800000
	s_mov_b32 s11, 0xcf800000
	s_mov_b64 s[14:15], -1
	s_waitcnt vmcnt(0)
	v_lshlrev_b32_e32 v2, 23, v1
	v_trunc_f32_e32 v2, v2
	v_mul_f32_e64 v6, |v2|, s10
	v_floor_f32_e32 v6, v6
	v_fma_f32 v7, v6, s11, |v2|
	v_cvt_u32_f32_e32 v7, v7
	v_cvt_u32_f32_e32 v6, v6
	v_ashrrev_i32_e32 v2, 31, v2
	s_mov_b64 s[10:11], 0
	v_xor_b32_e32 v7, v7, v2
	v_xor_b32_e32 v6, v6, v2
	v_sub_co_u32_e32 v7, vcc, v7, v2
	v_subb_co_u32_e32 v2, vcc, v6, v2, vcc
	v_cmp_ne_u32_e32 vcc, 0, v1
	v_cndmask_b32_e32 v2, 0, v2, vcc
	v_cndmask_b32_e32 v1, 0, v7, vcc
	s_branch .LBB95_1206
.LBB95_1205:
	s_mov_b64 s[10:11], -1
                                        ; implicit-def: $vgpr1_vgpr2
.LBB95_1206:
	s_mov_b64 s[16:17], 0
.LBB95_1207:
	s_and_b64 vcc, exec, s[16:17]
	s_cbranch_vccz .LBB95_1211
; %bb.1208:
	s_cmp_eq_u32 s18, 29
	s_cbranch_scc0 .LBB95_1210
; %bb.1209:
	global_load_dwordx2 v[1:2], v[4:5], off
	s_mov_b64 s[10:11], 0
	s_mov_b64 s[14:15], -1
	s_branch .LBB95_1211
.LBB95_1210:
	s_mov_b64 s[10:11], -1
                                        ; implicit-def: $vgpr1_vgpr2
.LBB95_1211:
	s_mov_b64 s[16:17], 0
.LBB95_1212:
	s_and_b64 vcc, exec, s[16:17]
	s_cbranch_vccz .LBB95_1230
; %bb.1213:
	s_cmp_lt_i32 s18, 27
	s_cbranch_scc1 .LBB95_1216
; %bb.1214:
	s_cmp_gt_i32 s18, 27
	s_cbranch_scc0 .LBB95_1217
; %bb.1215:
	global_load_dword v1, v[4:5], off
	s_waitcnt vmcnt(1)
	v_mov_b32_e32 v2, 0
	s_mov_b64 s[14:15], 0
	s_branch .LBB95_1218
.LBB95_1216:
	s_mov_b64 s[14:15], -1
                                        ; implicit-def: $vgpr1_vgpr2
	s_branch .LBB95_1221
.LBB95_1217:
	s_mov_b64 s[14:15], -1
                                        ; implicit-def: $vgpr1_vgpr2
.LBB95_1218:
	s_andn2_b64 vcc, exec, s[14:15]
	s_cbranch_vccnz .LBB95_1220
; %bb.1219:
	global_load_ushort v1, v[4:5], off
	s_mov_b32 s14, 0
	s_waitcnt vmcnt(1)
	v_mov_b32_e32 v2, s14
	s_waitcnt vmcnt(0)
	v_and_b32_e32 v1, 0xffff, v1
.LBB95_1220:
	s_mov_b64 s[14:15], 0
.LBB95_1221:
	s_andn2_b64 vcc, exec, s[14:15]
	s_cbranch_vccnz .LBB95_1229
; %bb.1222:
	global_load_ubyte v6, v[4:5], off
	s_movk_i32 s14, 0x7f
	s_mov_b64 s[16:17], 0
	s_waitcnt vmcnt(0)
	v_cmp_lt_i16_e32 vcc, s14, v6
	s_and_saveexec_b64 s[14:15], vcc
	s_xor_b64 s[14:15], exec, s[14:15]
; %bb.1223:
	s_movk_i32 s16, 0x80
	v_cmp_ne_u16_e32 vcc, s16, v6
	s_and_b64 s[16:17], vcc, exec
; %bb.1224:
	s_andn2_saveexec_b64 s[14:15], s[14:15]
; %bb.1225:
	v_cmp_ne_u16_e32 vcc, 0, v6
	s_andn2_b64 s[16:17], s[16:17], exec
	s_and_b64 s[26:27], vcc, exec
	s_or_b64 s[16:17], s[16:17], s[26:27]
; %bb.1226:
	s_or_b64 exec, exec, s[14:15]
	v_mov_b32_e32 v1, 0
	v_mov_b32_e32 v2, 0
	s_and_saveexec_b64 s[14:15], s[16:17]
	s_cbranch_execz .LBB95_1228
; %bb.1227:
	v_and_b32_e32 v2, 0xffff, v6
	v_lshlrev_b32_e32 v1, 24, v6
	v_and_b32_e32 v6, 7, v2
	v_ffbh_u32_e32 v8, v6
	v_min_u32_e32 v8, 32, v8
	v_subrev_u32_e32 v9, 28, v8
	v_bfe_u32 v7, v2, 3, 4
	v_lshlrev_b32_e32 v2, v9, v2
	v_sub_u32_e32 v8, 29, v8
	v_and_b32_e32 v2, 7, v2
	v_cmp_eq_u32_e32 vcc, 0, v7
	v_cndmask_b32_e32 v7, v7, v8, vcc
	v_cndmask_b32_e32 v2, v6, v2, vcc
	v_mov_b32_e32 v6, 0x3b800000
	v_lshlrev_b32_e32 v2, 20, v2
	v_and_b32_e32 v1, 0x80000000, v1
	v_lshl_add_u32 v6, v7, 23, v6
	v_or3_b32 v1, v1, v6, v2
	v_trunc_f32_e32 v1, v1
	s_mov_b32 s16, 0x2f800000
	v_mul_f32_e64 v2, |v1|, s16
	v_floor_f32_e32 v2, v2
	s_mov_b32 s16, 0xcf800000
	v_fma_f32 v6, v2, s16, |v1|
	v_cvt_u32_f32_e32 v6, v6
	v_cvt_u32_f32_e32 v2, v2
	v_ashrrev_i32_e32 v7, 31, v1
	v_xor_b32_e32 v1, v6, v7
	v_xor_b32_e32 v2, v2, v7
	v_sub_co_u32_e32 v1, vcc, v1, v7
	v_subb_co_u32_e32 v2, vcc, v2, v7, vcc
.LBB95_1228:
	s_or_b64 exec, exec, s[14:15]
.LBB95_1229:
	s_mov_b64 s[14:15], -1
.LBB95_1230:
	s_mov_b64 s[16:17], 0
.LBB95_1231:
	s_and_b64 vcc, exec, s[16:17]
	s_cbranch_vccz .LBB95_1260
; %bb.1232:
	s_cmp_gt_i32 s18, 22
	s_cbranch_scc0 .LBB95_1242
; %bb.1233:
	s_cmp_lt_i32 s18, 24
	s_cbranch_scc1 .LBB95_1243
; %bb.1234:
	s_cmp_gt_i32 s18, 24
	s_cbranch_scc0 .LBB95_1244
; %bb.1235:
	global_load_ubyte v6, v[4:5], off
	s_movk_i32 s12, 0x7f
	s_mov_b64 s[14:15], 0
	s_waitcnt vmcnt(0)
	v_cmp_lt_i16_e32 vcc, s12, v6
	s_and_saveexec_b64 s[12:13], vcc
	s_xor_b64 s[12:13], exec, s[12:13]
; %bb.1236:
	s_movk_i32 s14, 0x80
	v_cmp_ne_u16_e32 vcc, s14, v6
	s_and_b64 s[14:15], vcc, exec
; %bb.1237:
	s_andn2_saveexec_b64 s[12:13], s[12:13]
; %bb.1238:
	v_cmp_ne_u16_e32 vcc, 0, v6
	s_andn2_b64 s[14:15], s[14:15], exec
	s_and_b64 s[16:17], vcc, exec
	s_or_b64 s[14:15], s[14:15], s[16:17]
; %bb.1239:
	s_or_b64 exec, exec, s[12:13]
	v_mov_b32_e32 v1, 0
	v_mov_b32_e32 v2, 0
	s_and_saveexec_b64 s[12:13], s[14:15]
	s_cbranch_execz .LBB95_1241
; %bb.1240:
	v_and_b32_e32 v2, 0xffff, v6
	v_lshlrev_b32_e32 v1, 24, v6
	v_and_b32_e32 v6, 3, v2
	v_ffbh_u32_e32 v8, v6
	v_min_u32_e32 v8, 32, v8
	v_subrev_u32_e32 v9, 29, v8
	v_bfe_u32 v7, v2, 2, 5
	v_lshlrev_b32_e32 v2, v9, v2
	v_sub_u32_e32 v8, 30, v8
	v_and_b32_e32 v2, 3, v2
	v_cmp_eq_u32_e32 vcc, 0, v7
	v_cndmask_b32_e32 v7, v7, v8, vcc
	v_cndmask_b32_e32 v2, v6, v2, vcc
	v_mov_b32_e32 v6, 0x37800000
	v_lshlrev_b32_e32 v2, 21, v2
	v_and_b32_e32 v1, 0x80000000, v1
	v_lshl_add_u32 v6, v7, 23, v6
	v_or3_b32 v1, v1, v6, v2
	v_trunc_f32_e32 v1, v1
	s_mov_b32 s14, 0x2f800000
	v_mul_f32_e64 v2, |v1|, s14
	v_floor_f32_e32 v2, v2
	s_mov_b32 s14, 0xcf800000
	v_fma_f32 v6, v2, s14, |v1|
	v_cvt_u32_f32_e32 v6, v6
	v_cvt_u32_f32_e32 v2, v2
	v_ashrrev_i32_e32 v7, 31, v1
	v_xor_b32_e32 v1, v6, v7
	v_xor_b32_e32 v2, v2, v7
	v_sub_co_u32_e32 v1, vcc, v1, v7
	v_subb_co_u32_e32 v2, vcc, v2, v7, vcc
.LBB95_1241:
	s_or_b64 exec, exec, s[12:13]
	s_mov_b64 s[12:13], 0
	s_branch .LBB95_1245
.LBB95_1242:
	s_mov_b64 s[12:13], -1
                                        ; implicit-def: $vgpr1_vgpr2
	s_branch .LBB95_1251
.LBB95_1243:
	s_mov_b64 s[12:13], -1
                                        ; implicit-def: $vgpr1_vgpr2
	s_branch .LBB95_1248
.LBB95_1244:
	s_mov_b64 s[12:13], -1
                                        ; implicit-def: $vgpr1_vgpr2
.LBB95_1245:
	s_and_b64 vcc, exec, s[12:13]
	s_cbranch_vccz .LBB95_1247
; %bb.1246:
	global_load_ubyte v1, v[4:5], off
	s_mov_b32 s12, 0x7f800000
	s_brev_b32 s13, 1
	s_mov_b32 s14, 0x2f800000
	s_mov_b32 s15, 0xcf800000
	s_waitcnt vmcnt(0)
	v_lshlrev_b32_e32 v1, 24, v1
	v_and_b32_e32 v2, 0x7f000000, v1
	v_ffbh_u32_e32 v6, v2
	v_min_u32_e32 v6, 32, v6
	v_sub_u32_e64 v6, v6, 4 clamp
	v_lshlrev_b32_e32 v8, v6, v2
	v_lshlrev_b32_e32 v6, 23, v6
	v_lshrrev_b32_e32 v8, 4, v8
	v_add_u32_e32 v7, 0x1000000, v2
	v_sub_u32_e32 v6, v8, v6
	v_ashrrev_i32_e32 v7, 8, v7
	v_add_u32_e32 v6, 0x3c000000, v6
	v_and_or_b32 v6, v7, s12, v6
	v_cmp_ne_u32_e32 vcc, 0, v2
	v_cndmask_b32_e32 v2, 0, v6, vcc
	v_and_or_b32 v1, v1, s13, v2
	v_trunc_f32_e32 v1, v1
	v_mul_f32_e64 v2, |v1|, s14
	v_floor_f32_e32 v2, v2
	v_fma_f32 v6, v2, s15, |v1|
	v_cvt_u32_f32_e32 v6, v6
	v_cvt_u32_f32_e32 v2, v2
	v_ashrrev_i32_e32 v7, 31, v1
	v_xor_b32_e32 v1, v6, v7
	v_xor_b32_e32 v2, v2, v7
	v_sub_co_u32_e32 v1, vcc, v1, v7
	v_subb_co_u32_e32 v2, vcc, v2, v7, vcc
.LBB95_1247:
	s_mov_b64 s[12:13], 0
.LBB95_1248:
	s_andn2_b64 vcc, exec, s[12:13]
	s_cbranch_vccnz .LBB95_1250
; %bb.1249:
	global_load_ubyte v1, v[4:5], off
	s_movk_i32 s12, 0x7f00
	s_brev_b32 s13, 16
	s_brev_b32 s14, 1
	s_mov_b32 s15, 0x2f800000
	s_mov_b32 s16, 0xcf800000
	s_waitcnt vmcnt(0)
	v_lshlrev_b16_e32 v2, 8, v1
	v_lshlrev_b32_e32 v1, 25, v1
	v_lshrrev_b32_e32 v6, 4, v1
	v_and_or_b32 v7, v2, s12, 0.5
	v_or_b32_e32 v6, 0x70000000, v6
	v_add_f32_e32 v7, -0.5, v7
	v_mul_f32_e32 v6, 0x7800000, v6
	v_cmp_gt_u32_e32 vcc, s13, v1
	v_bfe_i32 v2, v2, 0, 16
	v_cndmask_b32_e32 v1, v6, v7, vcc
	v_and_or_b32 v1, v2, s14, v1
	v_trunc_f32_e32 v1, v1
	v_mul_f32_e64 v2, |v1|, s15
	v_floor_f32_e32 v2, v2
	v_fma_f32 v6, v2, s16, |v1|
	v_cvt_u32_f32_e32 v6, v6
	v_cvt_u32_f32_e32 v2, v2
	v_ashrrev_i32_e32 v7, 31, v1
	v_xor_b32_e32 v1, v6, v7
	v_xor_b32_e32 v2, v2, v7
	v_sub_co_u32_e32 v1, vcc, v1, v7
	v_subb_co_u32_e32 v2, vcc, v2, v7, vcc
.LBB95_1250:
	s_mov_b64 s[12:13], 0
	s_mov_b64 s[14:15], -1
.LBB95_1251:
	s_andn2_b64 vcc, exec, s[12:13]
	s_mov_b64 s[12:13], 0
	s_cbranch_vccnz .LBB95_1260
; %bb.1252:
	s_cmp_gt_i32 s18, 14
	s_cbranch_scc0 .LBB95_1255
; %bb.1253:
	s_cmp_eq_u32 s18, 15
	s_cbranch_scc0 .LBB95_1256
; %bb.1254:
	global_load_ushort v1, v[4:5], off
	s_mov_b32 s10, 0x2f800000
	s_mov_b32 s11, 0xcf800000
	s_mov_b64 s[14:15], -1
	s_waitcnt vmcnt(0)
	v_lshlrev_b32_e32 v1, 16, v1
	v_trunc_f32_e32 v1, v1
	v_mul_f32_e64 v2, |v1|, s10
	v_floor_f32_e32 v2, v2
	v_fma_f32 v6, v2, s11, |v1|
	v_cvt_u32_f32_e32 v6, v6
	v_cvt_u32_f32_e32 v2, v2
	v_ashrrev_i32_e32 v7, 31, v1
	s_mov_b64 s[10:11], 0
	v_xor_b32_e32 v1, v6, v7
	v_xor_b32_e32 v2, v2, v7
	v_sub_co_u32_e32 v1, vcc, v1, v7
	v_subb_co_u32_e32 v2, vcc, v2, v7, vcc
	s_branch .LBB95_1257
.LBB95_1255:
	s_mov_b64 s[16:17], -1
                                        ; implicit-def: $vgpr1_vgpr2
	s_branch .LBB95_1258
.LBB95_1256:
	s_mov_b64 s[10:11], -1
                                        ; implicit-def: $vgpr1_vgpr2
.LBB95_1257:
	s_mov_b64 s[16:17], 0
.LBB95_1258:
	s_and_b64 vcc, exec, s[16:17]
	s_cbranch_vccz .LBB95_1260
; %bb.1259:
	s_cmp_lg_u32 s18, 11
	s_cselect_b64 s[16:17], -1, 0
	s_andn2_b64 s[10:11], s[10:11], exec
	s_and_b64 s[16:17], s[16:17], exec
	s_mov_b64 s[12:13], -1
	s_or_b64 s[10:11], s[10:11], s[16:17]
.LBB95_1260:
	s_mov_b64 s[16:17], 0
.LBB95_1261:
	s_and_b64 s[60:61], s[12:13], exec
	s_andn2_b64 s[12:13], s[0:1], exec
	s_and_b64 s[10:11], s[10:11], exec
	s_and_b64 s[62:63], s[14:15], exec
	;; [unrolled: 1-line block ×3, first 2 shown]
	s_or_b64 s[64:65], s[12:13], s[10:11]
.LBB95_1262:
	s_or_b64 exec, exec, s[54:55]
	s_andn2_b64 s[0:1], s[0:1], exec
	s_waitcnt lgkmcnt(0)
	s_and_b64 s[10:11], s[64:65], exec
	s_and_b64 s[62:63], s[62:63], exec
	;; [unrolled: 1-line block ×4, first 2 shown]
	s_or_b64 s[0:1], s[0:1], s[10:11]
.LBB95_1263:
	s_or_b64 exec, exec, s[52:53]
	s_waitcnt lgkmcnt(0)
	s_andn2_b64 s[10:11], s[48:49], exec
	s_and_b64 s[12:13], s[58:59], exec
	s_or_b64 s[48:49], s[10:11], s[12:13]
	s_andn2_b64 s[10:11], s[46:47], exec
	s_and_b64 s[12:13], s[56:57], exec
	s_or_b64 s[46:47], s[10:11], s[12:13]
	s_andn2_b64 s[10:11], s[44:45], exec
	s_and_b64 s[0:1], s[0:1], exec
	s_and_b64 s[56:57], s[62:63], exec
	;; [unrolled: 1-line block ×4, first 2 shown]
	s_or_b64 s[44:45], s[10:11], s[0:1]
.LBB95_1264:
	s_or_b64 exec, exec, s[50:51]
	s_andn2_b64 s[0:1], s[36:37], exec
	s_waitcnt lgkmcnt(0)
	s_and_b64 s[10:11], s[48:49], exec
	s_or_b64 s[36:37], s[0:1], s[10:11]
	s_andn2_b64 s[0:1], s[38:39], exec
	s_and_b64 s[10:11], s[46:47], exec
	s_or_b64 s[38:39], s[0:1], s[10:11]
	s_andn2_b64 s[0:1], s[40:41], exec
	s_and_b64 s[10:11], s[44:45], exec
	s_and_b64 s[48:49], s[56:57], exec
	s_and_b64 s[50:51], s[54:55], exec
	s_and_b64 s[46:47], s[52:53], exec
	s_or_b64 s[40:41], s[0:1], s[10:11]
	s_or_b64 exec, exec, s[42:43]
	s_mov_b64 s[10:11], 0
	s_and_saveexec_b64 s[0:1], s[40:41]
	s_cbranch_execz .LBB95_395
.LBB95_1265:
	s_mov_b64 s[10:11], exec
	s_andn2_b64 s[46:47], s[46:47], exec
	s_trap 2
	s_or_b64 exec, exec, s[0:1]
	s_and_saveexec_b64 s[0:1], s[46:47]
	s_xor_b64 s[0:1], exec, s[0:1]
	s_cbranch_execnz .LBB95_396
.LBB95_1266:
	s_or_b64 exec, exec, s[0:1]
	s_and_saveexec_b64 s[0:1], s[50:51]
	s_cbranch_execz .LBB95_1312
.LBB95_1267:
	s_sext_i32_i16 s12, s73
	s_cmp_lt_i32 s12, 5
	s_cbranch_scc1 .LBB95_1272
; %bb.1268:
	s_cmp_lt_i32 s12, 8
	s_cbranch_scc1 .LBB95_1273
; %bb.1269:
	;; [unrolled: 3-line block ×3, first 2 shown]
	s_cmp_gt_i32 s12, 9
	s_cbranch_scc0 .LBB95_1275
; %bb.1271:
	s_waitcnt vmcnt(0)
	global_load_dwordx2 v[1:2], v[4:5], off
	s_movk_i32 s12, 0xffe0
	s_waitcnt vmcnt(0)
	v_trunc_f64_e32 v[1:2], v[1:2]
	v_ldexp_f64 v[6:7], v[1:2], s12
	s_mov_b32 s12, 0
	s_mov_b32 s13, 0xc1f00000
	v_floor_f64_e32 v[6:7], v[6:7]
	v_fma_f64 v[8:9], v[6:7], s[12:13], v[1:2]
	v_cvt_i32_f64_e32 v2, v[6:7]
	s_mov_b64 s[12:13], 0
	v_cvt_u32_f64_e32 v1, v[8:9]
	s_branch .LBB95_1276
.LBB95_1272:
                                        ; implicit-def: $vgpr1_vgpr2
	s_branch .LBB95_1293
.LBB95_1273:
                                        ; implicit-def: $vgpr1_vgpr2
	s_branch .LBB95_1282
.LBB95_1274:
	s_mov_b64 s[12:13], -1
                                        ; implicit-def: $vgpr1_vgpr2
	s_branch .LBB95_1279
.LBB95_1275:
	s_mov_b64 s[12:13], -1
                                        ; implicit-def: $vgpr1_vgpr2
.LBB95_1276:
	s_andn2_b64 vcc, exec, s[12:13]
	s_cbranch_vccnz .LBB95_1278
; %bb.1277:
	s_waitcnt vmcnt(0)
	global_load_dword v1, v[4:5], off
	s_mov_b32 s12, 0x2f800000
	s_mov_b32 s13, 0xcf800000
	s_waitcnt vmcnt(0)
	v_trunc_f32_e32 v1, v1
	v_mul_f32_e64 v2, |v1|, s12
	v_floor_f32_e32 v2, v2
	v_cvt_u32_f32_e32 v6, v2
	v_fma_f32 v2, v2, s13, |v1|
	v_cvt_u32_f32_e32 v2, v2
	v_ashrrev_i32_e32 v7, 31, v1
	v_xor_b32_e32 v6, v6, v7
	v_xor_b32_e32 v1, v2, v7
	v_sub_co_u32_e32 v1, vcc, v1, v7
	v_subb_co_u32_e32 v2, vcc, v6, v7, vcc
.LBB95_1278:
	s_mov_b64 s[12:13], 0
.LBB95_1279:
	s_andn2_b64 vcc, exec, s[12:13]
	s_cbranch_vccnz .LBB95_1281
; %bb.1280:
	s_waitcnt vmcnt(0)
	global_load_dword v1, v[4:5], off
	s_waitcnt vmcnt(0)
	v_cvt_f32_f16_e32 v1, v1
	v_cvt_i32_f32_e32 v1, v1
	v_ashrrev_i32_e32 v2, 31, v1
.LBB95_1281:
	s_cbranch_execnz .LBB95_1292
.LBB95_1282:
	s_sext_i32_i16 s12, s73
	s_cmp_lt_i32 s12, 6
	s_cbranch_scc1 .LBB95_1285
; %bb.1283:
	s_cmp_gt_i32 s12, 6
	s_cbranch_scc0 .LBB95_1286
; %bb.1284:
	s_waitcnt vmcnt(0)
	global_load_dwordx2 v[1:2], v[4:5], off
	s_movk_i32 s12, 0xffe0
	s_waitcnt vmcnt(0)
	v_trunc_f64_e32 v[1:2], v[1:2]
	v_ldexp_f64 v[6:7], v[1:2], s12
	s_mov_b32 s12, 0
	s_mov_b32 s13, 0xc1f00000
	v_floor_f64_e32 v[6:7], v[6:7]
	v_fma_f64 v[8:9], v[6:7], s[12:13], v[1:2]
	v_cvt_i32_f64_e32 v2, v[6:7]
	s_mov_b64 s[12:13], 0
	v_cvt_u32_f64_e32 v1, v[8:9]
	s_branch .LBB95_1287
.LBB95_1285:
	s_mov_b64 s[12:13], -1
                                        ; implicit-def: $vgpr1_vgpr2
	s_branch .LBB95_1290
.LBB95_1286:
	s_mov_b64 s[12:13], -1
                                        ; implicit-def: $vgpr1_vgpr2
.LBB95_1287:
	s_andn2_b64 vcc, exec, s[12:13]
	s_cbranch_vccnz .LBB95_1289
; %bb.1288:
	s_waitcnt vmcnt(0)
	global_load_dword v1, v[4:5], off
	s_mov_b32 s12, 0x2f800000
	s_mov_b32 s13, 0xcf800000
	s_waitcnt vmcnt(0)
	v_trunc_f32_e32 v1, v1
	v_mul_f32_e64 v2, |v1|, s12
	v_floor_f32_e32 v2, v2
	v_cvt_u32_f32_e32 v6, v2
	v_fma_f32 v2, v2, s13, |v1|
	v_cvt_u32_f32_e32 v2, v2
	v_ashrrev_i32_e32 v7, 31, v1
	v_xor_b32_e32 v6, v6, v7
	v_xor_b32_e32 v1, v2, v7
	v_sub_co_u32_e32 v1, vcc, v1, v7
	v_subb_co_u32_e32 v2, vcc, v6, v7, vcc
.LBB95_1289:
	s_mov_b64 s[12:13], 0
.LBB95_1290:
	s_andn2_b64 vcc, exec, s[12:13]
	s_cbranch_vccnz .LBB95_1292
; %bb.1291:
	s_waitcnt vmcnt(0)
	global_load_ushort v1, v[4:5], off
	s_waitcnt vmcnt(0)
	v_cvt_f32_f16_e32 v1, v1
	v_cvt_i32_f32_e32 v1, v1
	v_ashrrev_i32_e32 v2, 31, v1
.LBB95_1292:
	s_cbranch_execnz .LBB95_1311
.LBB95_1293:
	s_sext_i32_i16 s12, s73
	s_cmp_lt_i32 s12, 2
	s_cbranch_scc1 .LBB95_1297
; %bb.1294:
	s_cmp_lt_i32 s12, 3
	s_cbranch_scc1 .LBB95_1298
; %bb.1295:
	s_cmp_gt_i32 s12, 3
	s_cbranch_scc0 .LBB95_1299
; %bb.1296:
	s_waitcnt vmcnt(0)
	global_load_dwordx2 v[1:2], v[4:5], off
	s_mov_b64 s[12:13], 0
	s_branch .LBB95_1300
.LBB95_1297:
                                        ; implicit-def: $vgpr1_vgpr2
	s_branch .LBB95_1306
.LBB95_1298:
	s_mov_b64 s[12:13], -1
                                        ; implicit-def: $vgpr1_vgpr2
	s_branch .LBB95_1303
.LBB95_1299:
	s_mov_b64 s[12:13], -1
                                        ; implicit-def: $vgpr1_vgpr2
.LBB95_1300:
	s_andn2_b64 vcc, exec, s[12:13]
	s_cbranch_vccnz .LBB95_1302
; %bb.1301:
	s_waitcnt vmcnt(0)
	global_load_dword v1, v[4:5], off
	s_waitcnt vmcnt(0)
	v_ashrrev_i32_e32 v2, 31, v1
.LBB95_1302:
	s_mov_b64 s[12:13], 0
.LBB95_1303:
	s_andn2_b64 vcc, exec, s[12:13]
	s_cbranch_vccnz .LBB95_1305
; %bb.1304:
	s_waitcnt vmcnt(0)
	global_load_ushort v1, v[4:5], off
	s_waitcnt vmcnt(0)
	v_bfe_i32 v1, v1, 0, 16
	v_ashrrev_i32_e32 v2, 31, v1
.LBB95_1305:
	s_cbranch_execnz .LBB95_1311
.LBB95_1306:
	s_sext_i32_i16 s12, s73
	s_cmp_gt_i32 s12, 0
	s_cbranch_scc0 .LBB95_1308
; %bb.1307:
	s_waitcnt vmcnt(0)
	global_load_sbyte v1, v[4:5], off
	s_mov_b64 s[12:13], 0
	s_waitcnt vmcnt(0)
	v_bfe_i32 v1, v1, 0, 16
	v_ashrrev_i32_e32 v2, 31, v1
	s_branch .LBB95_1309
.LBB95_1308:
	s_mov_b64 s[12:13], -1
                                        ; implicit-def: $vgpr1_vgpr2
.LBB95_1309:
	s_andn2_b64 vcc, exec, s[12:13]
	s_cbranch_vccnz .LBB95_1311
; %bb.1310:
	s_waitcnt vmcnt(0)
	global_load_ubyte v1, v[4:5], off
	s_mov_b32 s12, 0
	v_mov_b32_e32 v2, s12
	s_waitcnt vmcnt(0)
	v_and_b32_e32 v1, 0xffff, v1
.LBB95_1311:
	s_or_b64 s[48:49], s[48:49], exec
.LBB95_1312:
	s_or_b64 exec, exec, s[0:1]
	s_mov_b64 s[16:17], 0
	s_mov_b64 s[18:19], 0
	;; [unrolled: 1-line block ×3, first 2 shown]
                                        ; implicit-def: $sgpr26
                                        ; implicit-def: $vgpr4_vgpr5
                                        ; implicit-def: $vgpr7_vgpr8
	s_and_saveexec_b64 s[0:1], s[48:49]
	s_cbranch_execz .LBB95_1320
; %bb.1313:
	s_waitcnt vmcnt(0)
	v_mov_b32_e32 v5, s25
	s_and_b32 s26, s70, 0xff
	v_add_co_u32_e32 v4, vcc, s24, v3
	s_cmp_lt_i32 s26, 11
	v_addc_co_u32_e32 v5, vcc, 0, v5, vcc
	s_cbranch_scc1 .LBB95_1323
; %bb.1314:
	s_and_b32 s24, 0xffff, s26
	s_cmp_gt_i32 s24, 25
	s_cbranch_scc0 .LBB95_1324
; %bb.1315:
	s_cmp_gt_i32 s24, 28
	s_cbranch_scc0 .LBB95_1325
; %bb.1316:
	s_cmp_gt_i32 s24, 43
	s_cbranch_scc0 .LBB95_1326
; %bb.1317:
	s_cmp_gt_i32 s24, 45
	s_cbranch_scc0 .LBB95_1327
; %bb.1318:
	s_cmp_eq_u32 s24, 46
	s_cbranch_scc0 .LBB95_1328
; %bb.1319:
	global_load_dword v3, v[4:5], off
	s_mov_b32 s12, 0x2f800000
	s_mov_b32 s13, 0xcf800000
	s_mov_b64 s[14:15], -1
	s_waitcnt vmcnt(0)
	v_lshlrev_b32_e32 v3, 16, v3
	v_trunc_f32_e32 v3, v3
	v_mul_f32_e64 v6, |v3|, s12
	v_floor_f32_e32 v6, v6
	v_fma_f32 v7, v6, s13, |v3|
	v_cvt_u32_f32_e32 v7, v7
	v_cvt_u32_f32_e32 v6, v6
	v_ashrrev_i32_e32 v3, 31, v3
	s_mov_b64 s[12:13], 0
	v_xor_b32_e32 v7, v7, v3
	v_xor_b32_e32 v6, v6, v3
	v_sub_co_u32_e32 v7, vcc, v7, v3
	v_subb_co_u32_e32 v8, vcc, v6, v3, vcc
	s_branch .LBB95_1330
.LBB95_1320:
	s_or_b64 exec, exec, s[0:1]
	s_and_saveexec_b64 s[0:1], s[38:39]
	s_cbranch_execnz .LBB95_1389
.LBB95_1321:
	s_or_b64 exec, exec, s[0:1]
	s_and_saveexec_b64 s[0:1], s[16:17]
	s_xor_b64 s[0:1], exec, s[0:1]
	s_cbranch_execz .LBB95_1390
.LBB95_1322:
	s_waitcnt vmcnt(0)
	global_load_ubyte v3, v[4:5], off
	s_mov_b32 s12, 0
	v_mov_b32_e32 v8, s12
	s_or_b64 s[14:15], s[14:15], exec
	s_waitcnt vmcnt(0)
	v_cmp_ne_u16_e32 vcc, 0, v3
	v_cndmask_b32_e64 v7, 0, 1, vcc
	s_or_b64 exec, exec, s[0:1]
	s_and_saveexec_b64 s[0:1], s[18:19]
	s_cbranch_execz .LBB95_1436
	s_branch .LBB95_1391
.LBB95_1323:
	s_mov_b64 s[18:19], -1
                                        ; implicit-def: $vgpr7_vgpr8
	s_mov_b64 s[12:13], s[38:39]
	s_branch .LBB95_1388
.LBB95_1324:
	s_mov_b64 s[12:13], s[38:39]
                                        ; implicit-def: $vgpr7_vgpr8
	s_cbranch_execnz .LBB95_1359
	s_branch .LBB95_1387
.LBB95_1325:
	s_mov_b64 s[18:19], -1
	s_mov_b64 s[12:13], s[38:39]
                                        ; implicit-def: $vgpr7_vgpr8
	s_branch .LBB95_1340
.LBB95_1326:
	s_mov_b64 s[18:19], -1
	s_mov_b64 s[12:13], s[38:39]
                                        ; implicit-def: $vgpr7_vgpr8
	s_branch .LBB95_1335
.LBB95_1327:
	s_mov_b64 s[18:19], -1
	s_mov_b64 s[12:13], s[38:39]
	s_branch .LBB95_1329
.LBB95_1328:
	s_mov_b64 s[12:13], -1
.LBB95_1329:
                                        ; implicit-def: $vgpr7_vgpr8
.LBB95_1330:
	s_and_b64 vcc, exec, s[18:19]
	s_cbranch_vccz .LBB95_1334
; %bb.1331:
	s_cmp_eq_u32 s24, 44
	s_cbranch_scc0 .LBB95_1333
; %bb.1332:
	global_load_ubyte v3, v[4:5], off
	s_mov_b32 s12, 0x2f800000
	s_mov_b32 s13, 0xcf800000
	s_mov_b64 s[14:15], -1
	s_waitcnt vmcnt(0)
	v_lshlrev_b32_e32 v6, 23, v3
	v_trunc_f32_e32 v6, v6
	v_mul_f32_e64 v7, |v6|, s12
	v_floor_f32_e32 v7, v7
	v_fma_f32 v8, v7, s13, |v6|
	v_cvt_u32_f32_e32 v8, v8
	v_cvt_u32_f32_e32 v7, v7
	v_ashrrev_i32_e32 v6, 31, v6
	s_mov_b64 s[12:13], 0
	v_xor_b32_e32 v8, v8, v6
	v_xor_b32_e32 v7, v7, v6
	v_sub_co_u32_e32 v9, vcc, v8, v6
	v_subb_co_u32_e32 v6, vcc, v7, v6, vcc
	v_cmp_ne_u32_e32 vcc, 0, v3
	v_cndmask_b32_e32 v8, 0, v6, vcc
	v_cndmask_b32_e32 v7, 0, v9, vcc
	s_branch .LBB95_1334
.LBB95_1333:
	s_mov_b64 s[12:13], -1
                                        ; implicit-def: $vgpr7_vgpr8
.LBB95_1334:
	s_mov_b64 s[18:19], 0
.LBB95_1335:
	s_and_b64 vcc, exec, s[18:19]
	s_cbranch_vccz .LBB95_1339
; %bb.1336:
	s_cmp_eq_u32 s24, 29
	s_cbranch_scc0 .LBB95_1338
; %bb.1337:
	global_load_dwordx2 v[7:8], v[4:5], off
	s_mov_b64 s[12:13], 0
	s_mov_b64 s[14:15], -1
	s_branch .LBB95_1339
.LBB95_1338:
	s_mov_b64 s[12:13], -1
                                        ; implicit-def: $vgpr7_vgpr8
.LBB95_1339:
	s_mov_b64 s[18:19], 0
.LBB95_1340:
	s_and_b64 vcc, exec, s[18:19]
	s_cbranch_vccz .LBB95_1358
; %bb.1341:
	s_cmp_lt_i32 s24, 27
	s_cbranch_scc1 .LBB95_1344
; %bb.1342:
	s_cmp_gt_i32 s24, 27
	s_cbranch_scc0 .LBB95_1345
; %bb.1343:
	global_load_dword v7, v[4:5], off
	s_waitcnt vmcnt(1)
	v_mov_b32_e32 v8, 0
	s_mov_b64 s[14:15], 0
	s_branch .LBB95_1346
.LBB95_1344:
	s_mov_b64 s[14:15], -1
                                        ; implicit-def: $vgpr7_vgpr8
	s_branch .LBB95_1349
.LBB95_1345:
	s_mov_b64 s[14:15], -1
                                        ; implicit-def: $vgpr7_vgpr8
.LBB95_1346:
	s_andn2_b64 vcc, exec, s[14:15]
	s_cbranch_vccnz .LBB95_1348
; %bb.1347:
	global_load_ushort v3, v[4:5], off
	s_mov_b32 s14, 0
	s_waitcnt vmcnt(1)
	v_mov_b32_e32 v8, s14
	s_waitcnt vmcnt(0)
	v_and_b32_e32 v7, 0xffff, v3
.LBB95_1348:
	s_mov_b64 s[14:15], 0
.LBB95_1349:
	s_andn2_b64 vcc, exec, s[14:15]
	s_cbranch_vccnz .LBB95_1357
; %bb.1350:
	global_load_ubyte v3, v[4:5], off
	s_movk_i32 s14, 0x7f
	s_mov_b64 s[18:19], 0
	s_waitcnt vmcnt(0)
	v_cmp_lt_i16_e32 vcc, s14, v3
	s_and_saveexec_b64 s[14:15], vcc
	s_xor_b64 s[14:15], exec, s[14:15]
; %bb.1351:
	s_movk_i32 s18, 0x80
	v_cmp_ne_u16_e32 vcc, s18, v3
	s_and_b64 s[18:19], vcc, exec
; %bb.1352:
	s_andn2_saveexec_b64 s[14:15], s[14:15]
; %bb.1353:
	v_cmp_ne_u16_e32 vcc, 0, v3
	s_andn2_b64 s[18:19], s[18:19], exec
	s_and_b64 s[28:29], vcc, exec
	s_or_b64 s[18:19], s[18:19], s[28:29]
; %bb.1354:
	s_or_b64 exec, exec, s[14:15]
	v_mov_b32_e32 v7, 0
	v_mov_b32_e32 v8, 0
	s_and_saveexec_b64 s[14:15], s[18:19]
	s_cbranch_execz .LBB95_1356
; %bb.1355:
	v_lshlrev_b32_e32 v6, 24, v3
	v_and_b32_e32 v3, 0xffff, v3
	v_and_b32_e32 v7, 7, v3
	v_ffbh_u32_e32 v9, v7
	v_min_u32_e32 v9, 32, v9
	v_subrev_u32_e32 v10, 28, v9
	v_bfe_u32 v8, v3, 3, 4
	v_lshlrev_b32_e32 v3, v10, v3
	v_sub_u32_e32 v9, 29, v9
	v_and_b32_e32 v3, 7, v3
	v_cmp_eq_u32_e32 vcc, 0, v8
	v_cndmask_b32_e32 v8, v8, v9, vcc
	v_cndmask_b32_e32 v3, v7, v3, vcc
	v_mov_b32_e32 v7, 0x3b800000
	v_lshlrev_b32_e32 v3, 20, v3
	v_and_b32_e32 v6, 0x80000000, v6
	v_lshl_add_u32 v7, v8, 23, v7
	v_or3_b32 v3, v6, v7, v3
	v_trunc_f32_e32 v3, v3
	s_mov_b32 s18, 0x2f800000
	v_mul_f32_e64 v6, |v3|, s18
	v_floor_f32_e32 v6, v6
	s_mov_b32 s18, 0xcf800000
	v_fma_f32 v7, v6, s18, |v3|
	v_cvt_u32_f32_e32 v7, v7
	v_cvt_u32_f32_e32 v6, v6
	v_ashrrev_i32_e32 v3, 31, v3
	v_xor_b32_e32 v7, v7, v3
	v_xor_b32_e32 v6, v6, v3
	v_sub_co_u32_e32 v7, vcc, v7, v3
	v_subb_co_u32_e32 v8, vcc, v6, v3, vcc
.LBB95_1356:
	s_or_b64 exec, exec, s[14:15]
.LBB95_1357:
	s_mov_b64 s[14:15], -1
.LBB95_1358:
	s_branch .LBB95_1387
.LBB95_1359:
	s_cmp_gt_i32 s24, 22
	s_cbranch_scc0 .LBB95_1369
; %bb.1360:
	s_cmp_lt_i32 s24, 24
	s_cbranch_scc1 .LBB95_1370
; %bb.1361:
	s_cmp_gt_i32 s24, 24
	s_cbranch_scc0 .LBB95_1371
; %bb.1362:
	global_load_ubyte v3, v[4:5], off
	s_movk_i32 s14, 0x7f
	s_waitcnt vmcnt(0)
	v_cmp_lt_i16_e32 vcc, s14, v3
	s_and_saveexec_b64 s[14:15], vcc
	s_xor_b64 s[14:15], exec, s[14:15]
; %bb.1363:
	s_movk_i32 s16, 0x80
	v_cmp_ne_u16_e32 vcc, s16, v3
	s_and_b64 s[16:17], vcc, exec
; %bb.1364:
	s_andn2_saveexec_b64 s[14:15], s[14:15]
; %bb.1365:
	v_cmp_ne_u16_e32 vcc, 0, v3
	s_andn2_b64 s[16:17], s[16:17], exec
	s_and_b64 s[18:19], vcc, exec
	s_or_b64 s[16:17], s[16:17], s[18:19]
; %bb.1366:
	s_or_b64 exec, exec, s[14:15]
	v_mov_b32_e32 v7, 0
	v_mov_b32_e32 v8, 0
	s_and_saveexec_b64 s[14:15], s[16:17]
	s_cbranch_execz .LBB95_1368
; %bb.1367:
	v_lshlrev_b32_e32 v6, 24, v3
	v_and_b32_e32 v3, 0xffff, v3
	v_and_b32_e32 v7, 3, v3
	v_ffbh_u32_e32 v9, v7
	v_min_u32_e32 v9, 32, v9
	v_subrev_u32_e32 v10, 29, v9
	v_bfe_u32 v8, v3, 2, 5
	v_lshlrev_b32_e32 v3, v10, v3
	v_sub_u32_e32 v9, 30, v9
	v_and_b32_e32 v3, 3, v3
	v_cmp_eq_u32_e32 vcc, 0, v8
	v_cndmask_b32_e32 v8, v8, v9, vcc
	v_cndmask_b32_e32 v3, v7, v3, vcc
	v_mov_b32_e32 v7, 0x37800000
	v_lshlrev_b32_e32 v3, 21, v3
	v_and_b32_e32 v6, 0x80000000, v6
	v_lshl_add_u32 v7, v8, 23, v7
	v_or3_b32 v3, v6, v7, v3
	v_trunc_f32_e32 v3, v3
	s_mov_b32 s16, 0x2f800000
	v_mul_f32_e64 v6, |v3|, s16
	v_floor_f32_e32 v6, v6
	s_mov_b32 s16, 0xcf800000
	v_fma_f32 v7, v6, s16, |v3|
	v_cvt_u32_f32_e32 v7, v7
	v_cvt_u32_f32_e32 v6, v6
	v_ashrrev_i32_e32 v3, 31, v3
	v_xor_b32_e32 v7, v7, v3
	v_xor_b32_e32 v6, v6, v3
	v_sub_co_u32_e32 v7, vcc, v7, v3
	v_subb_co_u32_e32 v8, vcc, v6, v3, vcc
.LBB95_1368:
	s_or_b64 exec, exec, s[14:15]
	s_mov_b64 s[14:15], 0
	s_branch .LBB95_1372
.LBB95_1369:
	s_mov_b64 s[16:17], -1
                                        ; implicit-def: $vgpr7_vgpr8
	s_branch .LBB95_1378
.LBB95_1370:
	s_mov_b64 s[14:15], -1
                                        ; implicit-def: $vgpr7_vgpr8
	s_branch .LBB95_1375
.LBB95_1371:
	s_mov_b64 s[14:15], -1
                                        ; implicit-def: $vgpr7_vgpr8
.LBB95_1372:
	s_and_b64 vcc, exec, s[14:15]
	s_cbranch_vccz .LBB95_1374
; %bb.1373:
	global_load_ubyte v3, v[4:5], off
	s_mov_b32 s14, 0x7f800000
	s_brev_b32 s15, 1
	s_mov_b32 s16, 0x2f800000
	s_mov_b32 s17, 0xcf800000
	s_waitcnt vmcnt(0)
	v_lshlrev_b32_e32 v3, 24, v3
	v_and_b32_e32 v6, 0x7f000000, v3
	v_ffbh_u32_e32 v7, v6
	v_min_u32_e32 v7, 32, v7
	v_sub_u32_e64 v7, v7, 4 clamp
	v_lshlrev_b32_e32 v9, v7, v6
	v_lshlrev_b32_e32 v7, 23, v7
	v_lshrrev_b32_e32 v9, 4, v9
	v_add_u32_e32 v8, 0x1000000, v6
	v_sub_u32_e32 v7, v9, v7
	v_ashrrev_i32_e32 v8, 8, v8
	v_add_u32_e32 v7, 0x3c000000, v7
	v_and_or_b32 v7, v8, s14, v7
	v_cmp_ne_u32_e32 vcc, 0, v6
	v_cndmask_b32_e32 v6, 0, v7, vcc
	v_and_or_b32 v3, v3, s15, v6
	v_trunc_f32_e32 v3, v3
	v_mul_f32_e64 v6, |v3|, s16
	v_floor_f32_e32 v6, v6
	v_fma_f32 v7, v6, s17, |v3|
	v_cvt_u32_f32_e32 v7, v7
	v_cvt_u32_f32_e32 v6, v6
	v_ashrrev_i32_e32 v3, 31, v3
	v_xor_b32_e32 v7, v7, v3
	v_xor_b32_e32 v6, v6, v3
	v_sub_co_u32_e32 v7, vcc, v7, v3
	v_subb_co_u32_e32 v8, vcc, v6, v3, vcc
.LBB95_1374:
	s_mov_b64 s[14:15], 0
.LBB95_1375:
	s_andn2_b64 vcc, exec, s[14:15]
	s_cbranch_vccnz .LBB95_1377
; %bb.1376:
	global_load_ubyte v3, v[4:5], off
	s_movk_i32 s14, 0x7f00
	s_brev_b32 s15, 16
	s_brev_b32 s16, 1
	s_mov_b32 s17, 0x2f800000
	s_mov_b32 s18, 0xcf800000
	s_waitcnt vmcnt(0)
	v_lshlrev_b16_e32 v6, 8, v3
	v_lshlrev_b32_e32 v3, 25, v3
	v_lshrrev_b32_e32 v7, 4, v3
	v_and_or_b32 v8, v6, s14, 0.5
	v_or_b32_e32 v7, 0x70000000, v7
	v_add_f32_e32 v8, -0.5, v8
	v_mul_f32_e32 v7, 0x7800000, v7
	v_cmp_gt_u32_e32 vcc, s15, v3
	v_bfe_i32 v6, v6, 0, 16
	v_cndmask_b32_e32 v3, v7, v8, vcc
	v_and_or_b32 v3, v6, s16, v3
	v_trunc_f32_e32 v3, v3
	v_mul_f32_e64 v6, |v3|, s17
	v_floor_f32_e32 v6, v6
	v_fma_f32 v7, v6, s18, |v3|
	v_cvt_u32_f32_e32 v7, v7
	v_cvt_u32_f32_e32 v6, v6
	v_ashrrev_i32_e32 v3, 31, v3
	v_xor_b32_e32 v7, v7, v3
	v_xor_b32_e32 v6, v6, v3
	v_sub_co_u32_e32 v7, vcc, v7, v3
	v_subb_co_u32_e32 v8, vcc, v6, v3, vcc
.LBB95_1377:
	s_mov_b64 s[16:17], 0
	s_mov_b64 s[14:15], -1
.LBB95_1378:
	s_andn2_b64 vcc, exec, s[16:17]
	s_mov_b64 s[16:17], 0
	s_cbranch_vccnz .LBB95_1387
; %bb.1379:
	s_cmp_gt_i32 s24, 14
	s_cbranch_scc0 .LBB95_1382
; %bb.1380:
	s_cmp_eq_u32 s24, 15
	s_cbranch_scc0 .LBB95_1383
; %bb.1381:
	global_load_ushort v3, v[4:5], off
	s_mov_b32 s12, 0x2f800000
	s_mov_b32 s13, 0xcf800000
	s_mov_b64 s[14:15], -1
	s_waitcnt vmcnt(0)
	v_lshlrev_b32_e32 v3, 16, v3
	v_trunc_f32_e32 v3, v3
	v_mul_f32_e64 v6, |v3|, s12
	v_floor_f32_e32 v6, v6
	v_fma_f32 v7, v6, s13, |v3|
	v_cvt_u32_f32_e32 v7, v7
	v_cvt_u32_f32_e32 v6, v6
	v_ashrrev_i32_e32 v3, 31, v3
	s_mov_b64 s[12:13], 0
	v_xor_b32_e32 v7, v7, v3
	v_xor_b32_e32 v6, v6, v3
	v_sub_co_u32_e32 v7, vcc, v7, v3
	v_subb_co_u32_e32 v8, vcc, v6, v3, vcc
	s_branch .LBB95_1384
.LBB95_1382:
	s_mov_b64 s[18:19], -1
                                        ; implicit-def: $vgpr7_vgpr8
	s_branch .LBB95_1385
.LBB95_1383:
	s_mov_b64 s[12:13], -1
                                        ; implicit-def: $vgpr7_vgpr8
.LBB95_1384:
	s_mov_b64 s[18:19], 0
.LBB95_1385:
	s_and_b64 vcc, exec, s[18:19]
	s_cbranch_vccz .LBB95_1387
; %bb.1386:
	s_cmp_lg_u32 s24, 11
	s_cselect_b64 s[18:19], -1, 0
	s_andn2_b64 s[12:13], s[12:13], exec
	s_and_b64 s[18:19], s[18:19], exec
	s_mov_b64 s[16:17], -1
	s_or_b64 s[12:13], s[12:13], s[18:19]
.LBB95_1387:
	s_mov_b64 s[18:19], 0
.LBB95_1388:
	s_andn2_b64 s[24:25], s[38:39], exec
	s_and_b64 s[12:13], s[12:13], exec
	s_and_b64 s[14:15], s[14:15], exec
	;; [unrolled: 1-line block ×4, first 2 shown]
	s_or_b64 s[38:39], s[24:25], s[12:13]
	s_or_b64 exec, exec, s[0:1]
	s_and_saveexec_b64 s[0:1], s[38:39]
	s_cbranch_execz .LBB95_1321
.LBB95_1389:
	s_or_b64 s[10:11], s[10:11], exec
	s_andn2_b64 s[16:17], s[16:17], exec
	s_trap 2
	s_or_b64 exec, exec, s[0:1]
	s_and_saveexec_b64 s[0:1], s[16:17]
	s_xor_b64 s[0:1], exec, s[0:1]
	s_cbranch_execnz .LBB95_1322
.LBB95_1390:
	s_or_b64 exec, exec, s[0:1]
	s_and_saveexec_b64 s[0:1], s[18:19]
	s_cbranch_execz .LBB95_1436
.LBB95_1391:
	s_sext_i32_i16 s12, s26
	s_cmp_lt_i32 s12, 5
	s_cbranch_scc1 .LBB95_1396
; %bb.1392:
	s_cmp_lt_i32 s12, 8
	s_cbranch_scc1 .LBB95_1397
; %bb.1393:
	;; [unrolled: 3-line block ×3, first 2 shown]
	s_cmp_gt_i32 s12, 9
	s_cbranch_scc0 .LBB95_1399
; %bb.1395:
	s_waitcnt vmcnt(0)
	global_load_dwordx2 v[6:7], v[4:5], off
	s_movk_i32 s12, 0xffe0
	s_waitcnt vmcnt(0)
	v_trunc_f64_e32 v[6:7], v[6:7]
	v_ldexp_f64 v[8:9], v[6:7], s12
	s_mov_b32 s12, 0
	s_mov_b32 s13, 0xc1f00000
	v_floor_f64_e32 v[8:9], v[8:9]
	v_fma_f64 v[6:7], v[8:9], s[12:13], v[6:7]
	v_cvt_i32_f64_e32 v8, v[8:9]
	s_mov_b64 s[12:13], 0
	v_cvt_u32_f64_e32 v7, v[6:7]
	s_branch .LBB95_1400
.LBB95_1396:
                                        ; implicit-def: $vgpr7_vgpr8
	s_branch .LBB95_1417
.LBB95_1397:
                                        ; implicit-def: $vgpr7_vgpr8
	s_branch .LBB95_1406
.LBB95_1398:
	s_mov_b64 s[12:13], -1
                                        ; implicit-def: $vgpr7_vgpr8
	s_branch .LBB95_1403
.LBB95_1399:
	s_mov_b64 s[12:13], -1
                                        ; implicit-def: $vgpr7_vgpr8
.LBB95_1400:
	s_andn2_b64 vcc, exec, s[12:13]
	s_cbranch_vccnz .LBB95_1402
; %bb.1401:
	s_waitcnt vmcnt(0)
	global_load_dword v3, v[4:5], off
	s_mov_b32 s12, 0x2f800000
	s_mov_b32 s13, 0xcf800000
	s_waitcnt vmcnt(0)
	v_trunc_f32_e32 v3, v3
	v_mul_f32_e64 v6, |v3|, s12
	v_floor_f32_e32 v6, v6
	v_cvt_u32_f32_e32 v7, v6
	v_fma_f32 v6, v6, s13, |v3|
	v_cvt_u32_f32_e32 v6, v6
	v_ashrrev_i32_e32 v3, 31, v3
	v_xor_b32_e32 v8, v7, v3
	v_xor_b32_e32 v6, v6, v3
	v_sub_co_u32_e32 v7, vcc, v6, v3
	v_subb_co_u32_e32 v8, vcc, v8, v3, vcc
.LBB95_1402:
	s_mov_b64 s[12:13], 0
.LBB95_1403:
	s_andn2_b64 vcc, exec, s[12:13]
	s_cbranch_vccnz .LBB95_1405
; %bb.1404:
	s_waitcnt vmcnt(0)
	global_load_dword v3, v[4:5], off
	s_waitcnt vmcnt(0)
	v_cvt_f32_f16_e32 v3, v3
	v_cvt_i32_f32_e32 v7, v3
	v_ashrrev_i32_e32 v8, 31, v7
.LBB95_1405:
	s_cbranch_execnz .LBB95_1416
.LBB95_1406:
	s_sext_i32_i16 s12, s26
	s_cmp_lt_i32 s12, 6
	s_cbranch_scc1 .LBB95_1409
; %bb.1407:
	s_cmp_gt_i32 s12, 6
	s_cbranch_scc0 .LBB95_1410
; %bb.1408:
	s_waitcnt vmcnt(0)
	global_load_dwordx2 v[6:7], v[4:5], off
	s_movk_i32 s12, 0xffe0
	s_waitcnt vmcnt(0)
	v_trunc_f64_e32 v[6:7], v[6:7]
	v_ldexp_f64 v[8:9], v[6:7], s12
	s_mov_b32 s12, 0
	s_mov_b32 s13, 0xc1f00000
	v_floor_f64_e32 v[8:9], v[8:9]
	v_fma_f64 v[6:7], v[8:9], s[12:13], v[6:7]
	v_cvt_i32_f64_e32 v8, v[8:9]
	s_mov_b64 s[12:13], 0
	v_cvt_u32_f64_e32 v7, v[6:7]
	s_branch .LBB95_1411
.LBB95_1409:
	s_mov_b64 s[12:13], -1
                                        ; implicit-def: $vgpr7_vgpr8
	s_branch .LBB95_1414
.LBB95_1410:
	s_mov_b64 s[12:13], -1
                                        ; implicit-def: $vgpr7_vgpr8
.LBB95_1411:
	s_andn2_b64 vcc, exec, s[12:13]
	s_cbranch_vccnz .LBB95_1413
; %bb.1412:
	s_waitcnt vmcnt(0)
	global_load_dword v3, v[4:5], off
	s_mov_b32 s12, 0x2f800000
	s_mov_b32 s13, 0xcf800000
	s_waitcnt vmcnt(0)
	v_trunc_f32_e32 v3, v3
	v_mul_f32_e64 v6, |v3|, s12
	v_floor_f32_e32 v6, v6
	v_cvt_u32_f32_e32 v7, v6
	v_fma_f32 v6, v6, s13, |v3|
	v_cvt_u32_f32_e32 v6, v6
	v_ashrrev_i32_e32 v3, 31, v3
	v_xor_b32_e32 v8, v7, v3
	v_xor_b32_e32 v6, v6, v3
	v_sub_co_u32_e32 v7, vcc, v6, v3
	v_subb_co_u32_e32 v8, vcc, v8, v3, vcc
.LBB95_1413:
	s_mov_b64 s[12:13], 0
.LBB95_1414:
	s_andn2_b64 vcc, exec, s[12:13]
	s_cbranch_vccnz .LBB95_1416
; %bb.1415:
	s_waitcnt vmcnt(0)
	global_load_ushort v3, v[4:5], off
	s_waitcnt vmcnt(0)
	v_cvt_f32_f16_e32 v3, v3
	v_cvt_i32_f32_e32 v7, v3
	v_ashrrev_i32_e32 v8, 31, v7
.LBB95_1416:
	s_cbranch_execnz .LBB95_1435
.LBB95_1417:
	s_sext_i32_i16 s12, s26
	s_cmp_lt_i32 s12, 2
	s_cbranch_scc1 .LBB95_1421
; %bb.1418:
	s_cmp_lt_i32 s12, 3
	s_cbranch_scc1 .LBB95_1422
; %bb.1419:
	s_cmp_gt_i32 s12, 3
	s_cbranch_scc0 .LBB95_1423
; %bb.1420:
	s_waitcnt vmcnt(0)
	global_load_dwordx2 v[7:8], v[4:5], off
	s_mov_b64 s[12:13], 0
	s_branch .LBB95_1424
.LBB95_1421:
                                        ; implicit-def: $vgpr7_vgpr8
	s_branch .LBB95_1430
.LBB95_1422:
	s_mov_b64 s[12:13], -1
                                        ; implicit-def: $vgpr7_vgpr8
	s_branch .LBB95_1427
.LBB95_1423:
	s_mov_b64 s[12:13], -1
                                        ; implicit-def: $vgpr7_vgpr8
.LBB95_1424:
	s_andn2_b64 vcc, exec, s[12:13]
	s_cbranch_vccnz .LBB95_1426
; %bb.1425:
	s_waitcnt vmcnt(0)
	global_load_dword v7, v[4:5], off
	s_waitcnt vmcnt(0)
	v_ashrrev_i32_e32 v8, 31, v7
.LBB95_1426:
	s_mov_b64 s[12:13], 0
.LBB95_1427:
	s_andn2_b64 vcc, exec, s[12:13]
	s_cbranch_vccnz .LBB95_1429
; %bb.1428:
	s_waitcnt vmcnt(0)
	global_load_ushort v3, v[4:5], off
	s_waitcnt vmcnt(0)
	v_bfe_i32 v7, v3, 0, 16
	v_ashrrev_i32_e32 v8, 31, v7
.LBB95_1429:
	s_cbranch_execnz .LBB95_1435
.LBB95_1430:
	s_sext_i32_i16 s12, s26
	s_cmp_gt_i32 s12, 0
	s_cbranch_scc0 .LBB95_1432
; %bb.1431:
	s_waitcnt vmcnt(0)
	global_load_sbyte v3, v[4:5], off
	s_mov_b64 s[12:13], 0
	s_waitcnt vmcnt(0)
	v_bfe_i32 v7, v3, 0, 16
	v_ashrrev_i32_e32 v8, 31, v7
	s_branch .LBB95_1433
.LBB95_1432:
	s_mov_b64 s[12:13], -1
                                        ; implicit-def: $vgpr7_vgpr8
.LBB95_1433:
	s_andn2_b64 vcc, exec, s[12:13]
	s_cbranch_vccnz .LBB95_1435
; %bb.1434:
	s_waitcnt vmcnt(0)
	global_load_ubyte v3, v[4:5], off
	s_mov_b32 s12, 0
	v_mov_b32_e32 v8, s12
	s_waitcnt vmcnt(0)
	v_and_b32_e32 v7, 0xffff, v3
.LBB95_1435:
	s_or_b64 s[14:15], s[14:15], exec
.LBB95_1436:
	s_or_b64 exec, exec, s[0:1]
	s_mov_b64 s[18:19], 0
	s_mov_b64 s[16:17], 0
                                        ; implicit-def: $sgpr24
                                        ; implicit-def: $vgpr5_vgpr6
                                        ; implicit-def: $vgpr3_vgpr4
	s_and_saveexec_b64 s[12:13], s[14:15]
	s_cbranch_execz .LBB95_1444
; %bb.1437:
	s_waitcnt vmcnt(0)
	v_lshlrev_b64 v[1:2], v7, v[1:2]
	v_cmp_gt_u64_e32 vcc, 64, v[7:8]
	s_and_b32 s24, s69, 0xff
	v_cndmask_b32_e32 v4, 0, v2, vcc
	v_cndmask_b32_e32 v3, 0, v1, vcc
	v_mov_b32_e32 v1, s9
	v_add_co_u32_e32 v5, vcc, s8, v0
	s_cmp_lt_i32 s24, 11
	v_addc_co_u32_e32 v6, vcc, 0, v1, vcc
	s_cbranch_scc1 .LBB95_1447
; %bb.1438:
	s_and_b32 s25, 0xffff, s24
	s_mov_b64 s[14:15], -1
	s_cmp_gt_i32 s25, 25
	s_mov_b64 s[0:1], s[36:37]
	s_cbranch_scc0 .LBB95_1475
; %bb.1439:
	s_mov_b64 s[8:9], -1
	s_cmp_gt_i32 s25, 28
	s_mov_b64 s[0:1], s[36:37]
	s_cbranch_scc0 .LBB95_1459
; %bb.1440:
	s_cmp_gt_i32 s25, 43
	s_mov_b64 s[0:1], s[36:37]
	s_cbranch_scc0 .LBB95_1455
; %bb.1441:
	;; [unrolled: 4-line block ×3, first 2 shown]
	s_cmp_eq_u32 s25, 46
	s_mov_b64 s[0:1], -1
	s_cbranch_scc0 .LBB95_1448
; %bb.1443:
	v_xor_b32_e32 v1, v3, v4
	v_ffbh_i32_e32 v0, v4
	v_ashrrev_i32_e32 v1, 31, v1
	v_add_u32_e32 v0, -1, v0
	v_add_u32_e32 v1, 32, v1
	v_min_u32_e32 v2, v0, v1
	v_lshlrev_b64 v[0:1], v2, v[3:4]
	s_movk_i32 s0, 0x7fff
	v_min_u32_e32 v0, 1, v0
	v_or_b32_e32 v0, v1, v0
	v_cvt_f32_i32_e32 v0, v0
	v_sub_u32_e32 v1, 32, v2
	s_mov_b64 s[8:9], 0
	v_ldexp_f32 v0, v0, v1
	v_bfe_u32 v1, v0, 16, 1
	v_add3_u32 v0, v0, v1, s0
	v_lshrrev_b32_e32 v0, 16, v0
	global_store_dword v[5:6], v0, off
	s_mov_b64 s[0:1], 0
	s_branch .LBB95_1449
.LBB95_1444:
	s_or_b64 exec, exec, s[12:13]
	s_and_saveexec_b64 s[0:1], s[36:37]
	s_cbranch_execnz .LBB95_1517
.LBB95_1445:
	s_or_b64 exec, exec, s[0:1]
	s_and_saveexec_b64 s[0:1], s[18:19]
	s_xor_b64 s[0:1], exec, s[0:1]
	s_cbranch_execz .LBB95_1518
.LBB95_1446:
	v_cmp_ne_u64_e32 vcc, 0, v[3:4]
	v_cndmask_b32_e64 v0, 0, 1, vcc
	s_waitcnt vmcnt(0)
	global_store_byte v[5:6], v0, off
	s_or_b64 exec, exec, s[0:1]
	s_and_saveexec_b64 s[0:1], s[16:17]
	s_xor_b64 s[0:1], exec, s[0:1]
	s_cbranch_execz .LBB95_1556
	s_branch .LBB95_1519
.LBB95_1447:
	s_mov_b64 s[14:15], 0
	s_mov_b64 s[8:9], -1
	s_mov_b64 s[0:1], s[36:37]
	s_branch .LBB95_1516
.LBB95_1448:
	s_mov_b64 s[8:9], 0
.LBB95_1449:
	s_and_b64 vcc, exec, s[8:9]
	s_cbranch_vccz .LBB95_1454
; %bb.1450:
	s_cmp_eq_u32 s25, 44
	s_mov_b64 s[0:1], -1
	s_cbranch_scc0 .LBB95_1454
; %bb.1451:
	v_xor_b32_e32 v1, v3, v4
	v_ffbh_i32_e32 v0, v4
	v_ashrrev_i32_e32 v1, 31, v1
	v_add_u32_e32 v0, -1, v0
	v_add_u32_e32 v1, 32, v1
	v_min_u32_e32 v2, v0, v1
	v_lshlrev_b64 v[0:1], v2, v[3:4]
	s_movk_i32 s0, 0xff
	v_min_u32_e32 v0, 1, v0
	v_or_b32_e32 v0, v1, v0
	v_cvt_f32_i32_e32 v0, v0
	v_sub_u32_e32 v1, 32, v2
	v_mov_b32_e32 v2, 0xff
	v_ldexp_f32 v0, v0, v1
	v_bfe_u32 v1, v0, 23, 8
	v_cmp_ne_u32_e32 vcc, s0, v1
	s_and_saveexec_b64 s[8:9], vcc
; %bb.1452:
	s_mov_b32 s0, 0x3fffff
	v_lshrrev_b32_e32 v2, 23, v0
	v_and_b32_e32 v7, 0x400000, v0
	v_and_or_b32 v0, v0, s0, v1
	v_cmp_ne_u32_e32 vcc, 0, v7
	v_cmp_ne_u32_e64 s[0:1], 0, v0
	s_and_b64 s[0:1], vcc, s[0:1]
	v_cndmask_b32_e64 v0, 0, 1, s[0:1]
	v_add_u32_e32 v2, v2, v0
; %bb.1453:
	s_or_b64 exec, exec, s[8:9]
	s_mov_b64 s[0:1], 0
	global_store_byte v[5:6], v2, off
.LBB95_1454:
	s_mov_b64 s[8:9], 0
.LBB95_1455:
	s_and_b64 vcc, exec, s[8:9]
	s_cbranch_vccz .LBB95_1458
; %bb.1456:
	s_cmp_eq_u32 s25, 29
	s_mov_b64 s[0:1], -1
	s_cbranch_scc0 .LBB95_1458
; %bb.1457:
	global_store_dwordx2 v[5:6], v[3:4], off
	s_mov_b64 s[0:1], 0
.LBB95_1458:
	s_mov_b64 s[8:9], 0
.LBB95_1459:
	s_and_b64 vcc, exec, s[8:9]
	s_cbranch_vccz .LBB95_1474
; %bb.1460:
	s_cmp_lt_i32 s25, 27
	s_mov_b64 s[8:9], -1
	s_cbranch_scc1 .LBB95_1466
; %bb.1461:
	s_cmp_gt_i32 s25, 27
	s_cbranch_scc0 .LBB95_1463
; %bb.1462:
	s_mov_b64 s[8:9], 0
	global_store_dword v[5:6], v3, off
.LBB95_1463:
	s_andn2_b64 vcc, exec, s[8:9]
	s_cbranch_vccnz .LBB95_1465
; %bb.1464:
	global_store_short v[5:6], v3, off
.LBB95_1465:
	s_mov_b64 s[8:9], 0
.LBB95_1466:
	s_andn2_b64 vcc, exec, s[8:9]
	s_cbranch_vccnz .LBB95_1474
; %bb.1467:
	v_xor_b32_e32 v1, v3, v4
	v_ffbh_i32_e32 v0, v4
	v_ashrrev_i32_e32 v1, 31, v1
	v_add_u32_e32 v0, -1, v0
	v_add_u32_e32 v1, 32, v1
	v_min_u32_e32 v2, v0, v1
	v_lshlrev_b64 v[0:1], v2, v[3:4]
	s_mov_b32 s8, 0x43800000
	v_min_u32_e32 v0, 1, v0
	v_or_b32_e32 v0, v1, v0
	v_cvt_f32_i32_e32 v0, v0
	v_sub_u32_e32 v1, 32, v2
	v_mov_b32_e32 v2, 0x80
	v_ldexp_f32 v0, v0, v1
	v_and_b32_e32 v1, 0x7fffffff, v0
	v_cmp_gt_u32_e32 vcc, s8, v1
	s_and_saveexec_b64 s[8:9], vcc
	s_cbranch_execz .LBB95_1473
; %bb.1468:
	s_mov_b32 s14, 0x3bffffff
	v_cmp_lt_u32_e32 vcc, s14, v1
	s_mov_b64 s[14:15], 0
                                        ; implicit-def: $vgpr1
	s_and_saveexec_b64 s[16:17], vcc
	s_xor_b64 s[16:17], exec, s[16:17]
	s_cbranch_execz .LBB95_1615
; %bb.1469:
	v_bfe_u32 v1, v0, 20, 1
	s_mov_b32 s18, 0x487ffff
	v_add3_u32 v1, v0, v1, s18
	s_mov_b64 s[14:15], exec
	v_lshrrev_b32_e32 v1, 20, v1
	s_andn2_saveexec_b64 s[16:17], s[16:17]
	s_cbranch_execnz .LBB95_1616
.LBB95_1470:
	s_or_b64 exec, exec, s[16:17]
	v_mov_b32_e32 v2, 0
	s_and_saveexec_b64 s[16:17], s[14:15]
.LBB95_1471:
	v_lshrrev_b32_e32 v0, 24, v0
	s_movk_i32 s14, 0x80
	v_and_or_b32 v2, v0, s14, v1
.LBB95_1472:
	s_or_b64 exec, exec, s[16:17]
.LBB95_1473:
	s_or_b64 exec, exec, s[8:9]
	global_store_byte v[5:6], v2, off
.LBB95_1474:
	s_mov_b64 s[14:15], 0
.LBB95_1475:
	s_mov_b64 s[8:9], 0
	s_and_b64 vcc, exec, s[14:15]
	s_cbranch_vccz .LBB95_1515
; %bb.1476:
	s_cmp_gt_i32 s25, 22
	s_mov_b64 s[14:15], -1
	s_cbranch_scc0 .LBB95_1508
; %bb.1477:
	s_cmp_lt_i32 s25, 24
	s_cbranch_scc1 .LBB95_1497
; %bb.1478:
	s_cmp_gt_i32 s25, 24
	s_cbranch_scc0 .LBB95_1486
; %bb.1479:
	v_xor_b32_e32 v1, v3, v4
	v_ffbh_i32_e32 v0, v4
	v_ashrrev_i32_e32 v1, 31, v1
	v_add_u32_e32 v0, -1, v0
	v_add_u32_e32 v1, 32, v1
	v_min_u32_e32 v2, v0, v1
	v_lshlrev_b64 v[0:1], v2, v[3:4]
	s_mov_b32 s14, 0x47800000
	v_min_u32_e32 v0, 1, v0
	v_or_b32_e32 v0, v1, v0
	v_cvt_f32_i32_e32 v0, v0
	v_sub_u32_e32 v1, 32, v2
	v_mov_b32_e32 v2, 0x80
	v_ldexp_f32 v0, v0, v1
	v_and_b32_e32 v1, 0x7fffffff, v0
	v_cmp_gt_u32_e32 vcc, s14, v1
	s_and_saveexec_b64 s[14:15], vcc
	s_cbranch_execz .LBB95_1485
; %bb.1480:
	s_mov_b32 s16, 0x37ffffff
	v_cmp_lt_u32_e32 vcc, s16, v1
	s_mov_b64 s[16:17], 0
                                        ; implicit-def: $vgpr1
	s_and_saveexec_b64 s[18:19], vcc
	s_xor_b64 s[18:19], exec, s[18:19]
	s_cbranch_execz .LBB95_1735
; %bb.1481:
	v_bfe_u32 v1, v0, 21, 1
	s_mov_b32 s26, 0x88fffff
	v_add3_u32 v1, v0, v1, s26
	s_mov_b64 s[16:17], exec
	v_lshrrev_b32_e32 v1, 21, v1
	s_andn2_saveexec_b64 s[18:19], s[18:19]
	s_cbranch_execnz .LBB95_1736
.LBB95_1482:
	s_or_b64 exec, exec, s[18:19]
	v_mov_b32_e32 v2, 0
	s_and_saveexec_b64 s[18:19], s[16:17]
.LBB95_1483:
	v_lshrrev_b32_e32 v0, 24, v0
	s_movk_i32 s16, 0x80
	v_and_or_b32 v2, v0, s16, v1
.LBB95_1484:
	s_or_b64 exec, exec, s[18:19]
.LBB95_1485:
	s_or_b64 exec, exec, s[14:15]
	s_mov_b64 s[14:15], 0
	global_store_byte v[5:6], v2, off
.LBB95_1486:
	s_and_b64 vcc, exec, s[14:15]
	s_cbranch_vccz .LBB95_1496
; %bb.1487:
	v_xor_b32_e32 v1, v3, v4
	v_ffbh_i32_e32 v0, v4
	v_ashrrev_i32_e32 v1, 31, v1
	v_add_u32_e32 v0, -1, v0
	v_add_u32_e32 v1, 32, v1
	v_min_u32_e32 v2, v0, v1
	v_lshlrev_b64 v[0:1], v2, v[3:4]
	s_mov_b32 s14, 0x43f00000
	v_min_u32_e32 v0, 1, v0
	v_or_b32_e32 v0, v1, v0
	v_cvt_f32_i32_e32 v0, v0
	v_sub_u32_e32 v1, 32, v2
	v_ldexp_f32 v0, v0, v1
	v_and_b32_e32 v2, 0x7fffffff, v0
	v_cmp_gt_u32_e32 vcc, s14, v2
                                        ; implicit-def: $vgpr1
	s_and_saveexec_b64 s[14:15], vcc
	s_xor_b64 s[14:15], exec, s[14:15]
	s_cbranch_execz .LBB95_1493
; %bb.1488:
	s_mov_b32 s16, 0x3c7fffff
	v_cmp_lt_u32_e32 vcc, s16, v2
                                        ; implicit-def: $vgpr1
	s_and_saveexec_b64 s[16:17], vcc
	s_xor_b64 s[16:17], exec, s[16:17]
; %bb.1489:
	v_bfe_u32 v1, v0, 20, 1
	s_mov_b32 s18, 0x407ffff
	v_add3_u32 v1, v0, v1, s18
	v_lshrrev_b32_e32 v2, 20, v1
	v_and_b32_e32 v1, 0xff00000, v1
	s_mov_b32 s18, 0x7f00000
	v_mov_b32_e32 v7, 0x7e
	v_cmp_ne_u32_e32 vcc, s18, v1
	v_cndmask_b32_e32 v1, v7, v2, vcc
; %bb.1490:
	s_andn2_saveexec_b64 s[16:17], s[16:17]
; %bb.1491:
	s_mov_b32 s18, 0x46800000
	v_add_f32_e64 v1, |v0|, s18
; %bb.1492:
	s_or_b64 exec, exec, s[16:17]
                                        ; implicit-def: $vgpr2
.LBB95_1493:
	s_andn2_saveexec_b64 s[14:15], s[14:15]
; %bb.1494:
	s_mov_b32 s16, 0x7f800000
	v_mov_b32_e32 v1, 0x7e
	v_mov_b32_e32 v7, 0x7f
	v_cmp_lt_u32_e32 vcc, s16, v2
	v_cndmask_b32_e32 v1, v1, v7, vcc
; %bb.1495:
	s_or_b64 exec, exec, s[14:15]
	v_lshrrev_b32_e32 v0, 24, v0
	s_movk_i32 s14, 0x80
	v_and_or_b32 v0, v0, s14, v1
	global_store_byte v[5:6], v0, off
.LBB95_1496:
	s_mov_b64 s[14:15], 0
.LBB95_1497:
	s_andn2_b64 vcc, exec, s[14:15]
	s_cbranch_vccnz .LBB95_1507
; %bb.1498:
	v_xor_b32_e32 v1, v3, v4
	v_ffbh_i32_e32 v0, v4
	v_ashrrev_i32_e32 v1, 31, v1
	v_add_u32_e32 v0, -1, v0
	v_add_u32_e32 v1, 32, v1
	v_min_u32_e32 v2, v0, v1
	v_lshlrev_b64 v[0:1], v2, v[3:4]
	s_mov_b32 s14, 0x47800000
	v_min_u32_e32 v0, 1, v0
	v_or_b32_e32 v0, v1, v0
	v_cvt_f32_i32_e32 v0, v0
	v_sub_u32_e32 v1, 32, v2
	v_ldexp_f32 v0, v0, v1
	v_and_b32_e32 v2, 0x7fffffff, v0
	v_cmp_gt_u32_e32 vcc, s14, v2
                                        ; implicit-def: $vgpr1
	s_and_saveexec_b64 s[14:15], vcc
	s_xor_b64 s[14:15], exec, s[14:15]
	s_cbranch_execz .LBB95_1504
; %bb.1499:
	s_mov_b32 s16, 0x387fffff
	v_cmp_lt_u32_e32 vcc, s16, v2
                                        ; implicit-def: $vgpr1
	s_and_saveexec_b64 s[16:17], vcc
	s_xor_b64 s[16:17], exec, s[16:17]
; %bb.1500:
	v_bfe_u32 v1, v0, 21, 1
	s_mov_b32 s18, 0x80fffff
	v_add3_u32 v1, v0, v1, s18
	v_lshrrev_b32_e32 v1, 21, v1
; %bb.1501:
	s_andn2_saveexec_b64 s[16:17], s[16:17]
; %bb.1502:
	s_mov_b32 s18, 0x43000000
	v_add_f32_e64 v1, |v0|, s18
; %bb.1503:
	s_or_b64 exec, exec, s[16:17]
                                        ; implicit-def: $vgpr2
.LBB95_1504:
	s_andn2_saveexec_b64 s[14:15], s[14:15]
; %bb.1505:
	s_mov_b32 s16, 0x7f800000
	v_mov_b32_e32 v1, 0x7c
	v_mov_b32_e32 v7, 0x7f
	v_cmp_lt_u32_e32 vcc, s16, v2
	v_cndmask_b32_e32 v1, v1, v7, vcc
; %bb.1506:
	s_or_b64 exec, exec, s[14:15]
	v_lshrrev_b32_e32 v0, 24, v0
	s_movk_i32 s14, 0x80
	v_and_or_b32 v0, v0, s14, v1
	global_store_byte v[5:6], v0, off
.LBB95_1507:
	s_mov_b64 s[14:15], 0
.LBB95_1508:
	s_andn2_b64 vcc, exec, s[14:15]
	s_mov_b64 s[14:15], 0
	s_cbranch_vccnz .LBB95_1516
; %bb.1509:
	s_cmp_gt_i32 s25, 14
	s_mov_b64 s[16:17], -1
	s_cbranch_scc0 .LBB95_1513
; %bb.1510:
	s_cmp_eq_u32 s25, 15
	s_mov_b64 s[0:1], -1
	s_cbranch_scc0 .LBB95_1512
; %bb.1511:
	v_xor_b32_e32 v1, v3, v4
	v_ffbh_i32_e32 v0, v4
	v_ashrrev_i32_e32 v1, 31, v1
	v_add_u32_e32 v0, -1, v0
	v_add_u32_e32 v1, 32, v1
	v_min_u32_e32 v2, v0, v1
	v_lshlrev_b64 v[0:1], v2, v[3:4]
	s_movk_i32 s0, 0x7fff
	v_min_u32_e32 v0, 1, v0
	v_or_b32_e32 v0, v1, v0
	v_cvt_f32_i32_e32 v0, v0
	v_sub_u32_e32 v1, 32, v2
	v_ldexp_f32 v0, v0, v1
	v_bfe_u32 v1, v0, 16, 1
	v_add3_u32 v0, v0, v1, s0
	global_store_short_d16_hi v[5:6], v0, off
	s_mov_b64 s[0:1], 0
.LBB95_1512:
	s_mov_b64 s[16:17], 0
.LBB95_1513:
	s_and_b64 vcc, exec, s[16:17]
	s_cbranch_vccz .LBB95_1516
; %bb.1514:
	s_cmp_lg_u32 s25, 11
	s_cselect_b64 s[16:17], -1, 0
	s_andn2_b64 s[0:1], s[0:1], exec
	s_and_b64 s[16:17], s[16:17], exec
	s_mov_b64 s[14:15], -1
	s_or_b64 s[0:1], s[0:1], s[16:17]
	s_branch .LBB95_1516
.LBB95_1515:
	s_mov_b64 s[14:15], 0
.LBB95_1516:
	s_and_b64 s[16:17], s[8:9], exec
	s_andn2_b64 s[8:9], s[36:37], exec
	s_and_b64 s[0:1], s[0:1], exec
	s_and_b64 s[18:19], s[14:15], exec
	s_or_b64 s[36:37], s[8:9], s[0:1]
	s_or_b64 exec, exec, s[12:13]
	s_and_saveexec_b64 s[0:1], s[36:37]
	s_cbranch_execz .LBB95_1445
.LBB95_1517:
	s_or_b64 s[10:11], s[10:11], exec
	s_andn2_b64 s[18:19], s[18:19], exec
	s_trap 2
	s_or_b64 exec, exec, s[0:1]
	s_and_saveexec_b64 s[0:1], s[18:19]
	s_xor_b64 s[0:1], exec, s[0:1]
	s_cbranch_execnz .LBB95_1446
.LBB95_1518:
	s_or_b64 exec, exec, s[0:1]
	s_and_saveexec_b64 s[0:1], s[16:17]
	s_xor_b64 s[0:1], exec, s[0:1]
	s_cbranch_execz .LBB95_1556
.LBB95_1519:
	s_sext_i32_i16 s12, s24
	s_cmp_lt_i32 s12, 5
	s_mov_b64 s[8:9], -1
	s_cbranch_scc1 .LBB95_1540
; %bb.1520:
	s_cmp_lt_i32 s12, 8
	s_cbranch_scc1 .LBB95_1530
; %bb.1521:
	s_cmp_lt_i32 s12, 9
	s_cbranch_scc1 .LBB95_1527
; %bb.1522:
	s_cmp_gt_i32 s12, 9
	s_cbranch_scc0 .LBB95_1524
; %bb.1523:
	s_waitcnt vmcnt(0)
	v_cvt_f64_i32_e32 v[0:1], v4
	v_cvt_f64_u32_e32 v[7:8], v3
	v_mov_b32_e32 v9, 0
	v_mov_b32_e32 v10, v9
	v_ldexp_f64 v[0:1], v[0:1], 32
	s_mov_b64 s[8:9], 0
	v_add_f64 v[7:8], v[0:1], v[7:8]
	global_store_dwordx4 v[5:6], v[7:10], off
.LBB95_1524:
	s_andn2_b64 vcc, exec, s[8:9]
	s_cbranch_vccnz .LBB95_1526
; %bb.1525:
	s_waitcnt vmcnt(0)
	v_xor_b32_e32 v1, v3, v4
	v_ffbh_i32_e32 v0, v4
	v_ashrrev_i32_e32 v1, 31, v1
	v_add_u32_e32 v0, -1, v0
	v_add_u32_e32 v1, 32, v1
	v_min_u32_e32 v2, v0, v1
	v_lshlrev_b64 v[0:1], v2, v[3:4]
	v_min_u32_e32 v0, 1, v0
	v_or_b32_e32 v0, v1, v0
	v_cvt_f32_i32_e32 v0, v0
	v_sub_u32_e32 v1, 32, v2
	v_ldexp_f32 v0, v0, v1
	v_mov_b32_e32 v1, 0
	global_store_dwordx2 v[5:6], v[0:1], off
.LBB95_1526:
	s_mov_b64 s[8:9], 0
.LBB95_1527:
	s_andn2_b64 vcc, exec, s[8:9]
	s_cbranch_vccnz .LBB95_1529
; %bb.1528:
	s_waitcnt vmcnt(0)
	v_xor_b32_e32 v1, v3, v4
	v_ffbh_i32_e32 v0, v4
	v_ashrrev_i32_e32 v1, 31, v1
	v_add_u32_e32 v0, -1, v0
	v_add_u32_e32 v1, 32, v1
	v_min_u32_e32 v2, v0, v1
	v_lshlrev_b64 v[0:1], v2, v[3:4]
	v_min_u32_e32 v0, 1, v0
	v_or_b32_e32 v0, v1, v0
	v_cvt_f32_i32_e32 v0, v0
	v_sub_u32_e32 v1, 32, v2
	v_ldexp_f32 v0, v0, v1
	v_cvt_f16_f32_e32 v0, v0
	global_store_dword v[5:6], v0, off
.LBB95_1529:
	s_mov_b64 s[8:9], 0
.LBB95_1530:
	s_andn2_b64 vcc, exec, s[8:9]
	s_cbranch_vccnz .LBB95_1539
; %bb.1531:
	s_sext_i32_i16 s12, s24
	s_cmp_lt_i32 s12, 6
	s_mov_b64 s[8:9], -1
	s_cbranch_scc1 .LBB95_1537
; %bb.1532:
	s_cmp_gt_i32 s12, 6
	s_cbranch_scc0 .LBB95_1534
; %bb.1533:
	s_waitcnt vmcnt(0)
	v_cvt_f64_i32_e32 v[0:1], v4
	v_cvt_f64_u32_e32 v[7:8], v3
	s_mov_b64 s[8:9], 0
	v_ldexp_f64 v[0:1], v[0:1], 32
	v_add_f64 v[0:1], v[0:1], v[7:8]
	global_store_dwordx2 v[5:6], v[0:1], off
.LBB95_1534:
	s_andn2_b64 vcc, exec, s[8:9]
	s_cbranch_vccnz .LBB95_1536
; %bb.1535:
	s_waitcnt vmcnt(0)
	v_xor_b32_e32 v1, v3, v4
	v_ffbh_i32_e32 v0, v4
	v_ashrrev_i32_e32 v1, 31, v1
	v_add_u32_e32 v0, -1, v0
	v_add_u32_e32 v1, 32, v1
	v_min_u32_e32 v2, v0, v1
	v_lshlrev_b64 v[0:1], v2, v[3:4]
	v_min_u32_e32 v0, 1, v0
	v_or_b32_e32 v0, v1, v0
	v_cvt_f32_i32_e32 v0, v0
	v_sub_u32_e32 v1, 32, v2
	v_ldexp_f32 v0, v0, v1
	global_store_dword v[5:6], v0, off
.LBB95_1536:
	s_mov_b64 s[8:9], 0
.LBB95_1537:
	s_andn2_b64 vcc, exec, s[8:9]
	s_cbranch_vccnz .LBB95_1539
; %bb.1538:
	s_waitcnt vmcnt(0)
	v_xor_b32_e32 v1, v3, v4
	v_ffbh_i32_e32 v0, v4
	v_ashrrev_i32_e32 v1, 31, v1
	v_add_u32_e32 v0, -1, v0
	v_add_u32_e32 v1, 32, v1
	v_min_u32_e32 v2, v0, v1
	v_lshlrev_b64 v[0:1], v2, v[3:4]
	v_min_u32_e32 v0, 1, v0
	v_or_b32_e32 v0, v1, v0
	v_cvt_f32_i32_e32 v0, v0
	v_sub_u32_e32 v1, 32, v2
	v_ldexp_f32 v0, v0, v1
	v_cvt_f16_f32_e32 v0, v0
	global_store_short v[5:6], v0, off
.LBB95_1539:
	s_mov_b64 s[8:9], 0
.LBB95_1540:
	s_andn2_b64 vcc, exec, s[8:9]
	s_cbranch_vccnz .LBB95_1556
; %bb.1541:
	s_sext_i32_i16 s12, s24
	s_cmp_lt_i32 s12, 2
	s_mov_b64 s[8:9], -1
	s_cbranch_scc1 .LBB95_1551
; %bb.1542:
	s_cmp_lt_i32 s12, 3
	s_cbranch_scc1 .LBB95_1548
; %bb.1543:
	s_cmp_gt_i32 s12, 3
	s_cbranch_scc0 .LBB95_1545
; %bb.1544:
	s_mov_b64 s[8:9], 0
	s_waitcnt vmcnt(0)
	global_store_dwordx2 v[5:6], v[3:4], off
.LBB95_1545:
	s_andn2_b64 vcc, exec, s[8:9]
	s_cbranch_vccnz .LBB95_1547
; %bb.1546:
	s_waitcnt vmcnt(0)
	global_store_dword v[5:6], v3, off
.LBB95_1547:
	s_mov_b64 s[8:9], 0
.LBB95_1548:
	s_andn2_b64 vcc, exec, s[8:9]
	s_cbranch_vccnz .LBB95_1550
; %bb.1549:
	s_waitcnt vmcnt(0)
	global_store_short v[5:6], v3, off
.LBB95_1550:
	s_mov_b64 s[8:9], 0
.LBB95_1551:
	s_andn2_b64 vcc, exec, s[8:9]
	s_cbranch_vccnz .LBB95_1556
; %bb.1552:
	s_sext_i32_i16 s8, s24
	s_cmp_gt_i32 s8, 0
	s_mov_b64 s[8:9], -1
	s_cbranch_scc0 .LBB95_1554
; %bb.1553:
	s_mov_b64 s[8:9], 0
	s_waitcnt vmcnt(0)
	global_store_byte v[5:6], v3, off
.LBB95_1554:
	s_andn2_b64 vcc, exec, s[8:9]
	s_cbranch_vccnz .LBB95_1556
; %bb.1555:
	s_waitcnt vmcnt(0)
	global_store_byte v[5:6], v3, off
.LBB95_1556:
	s_or_b64 exec, exec, s[0:1]
	s_and_b64 s[12:13], s[10:11], exec
                                        ; implicit-def: $vgpr21
                                        ; implicit-def: $vgpr10
.LBB95_1557:
	s_or_saveexec_b64 s[14:15], s[22:23]
	s_mov_b64 s[0:1], 0
                                        ; implicit-def: $vgpr0_vgpr1
                                        ; implicit-def: $sgpr18
                                        ; implicit-def: $vgpr2_vgpr3
	s_xor_b64 exec, exec, s[14:15]
	s_cbranch_execz .LBB95_3038
; %bb.1558:
	v_cndmask_b32_e64 v0, 0, 1, s[20:21]
	v_cmp_ne_u32_e64 s[0:1], 1, v0
	s_andn2_b64 vcc, exec, s[20:21]
	s_cbranch_vccnz .LBB95_1564
; %bb.1559:
	s_cmp_lg_u32 s33, 0
	s_cbranch_scc0 .LBB95_1565
; %bb.1560:
	s_min_u32 s8, s68, 15
	s_add_i32 s6, s8, 1
	s_and_b32 s9, s6, 30
	s_add_u32 s6, s2, 0xffffffe8
	s_addc_u32 s7, s3, -1
	v_mov_b32_e32 v11, 0
	s_waitcnt vmcnt(0)
	v_mov_b32_e32 v8, 0
	v_mov_b32_e32 v6, 0
	;; [unrolled: 1-line block ×3, first 2 shown]
.LBB95_1561:                            ; =>This Inner Loop Header: Depth=1
	s_load_dwordx4 s[16:19], s[6:7], 0x1c
	s_load_dwordx2 s[10:11], s[6:7], 0x2c
	s_load_dwordx2 s[24:25], s[6:7], 0xec
	s_load_dwordx4 s[20:23], s[6:7], 0xdc
	s_add_u32 s6, s6, 24
	s_waitcnt lgkmcnt(0)
	v_mul_hi_u32 v1, s17, v0
	s_addc_u32 s7, s7, 0
	s_add_i32 s9, s9, -2
	s_cmp_lg_u32 s9, 0
	v_add_u32_e32 v1, v0, v1
	v_lshrrev_b32_e32 v1, s18, v1
	v_mul_lo_u32 v2, v1, s16
	v_mul_hi_u32 v3, s10, v1
	v_sub_u32_e32 v2, v0, v2
	v_add_u32_e32 v0, v1, v3
	v_lshrrev_b32_e32 v0, s11, v0
	v_mul_lo_u32 v5, v0, s19
	v_mul_lo_u32 v3, v2, s20
	;; [unrolled: 1-line block ×4, first 2 shown]
	v_sub_u32_e32 v1, v1, v5
	v_mul_lo_u32 v5, v1, s23
	v_mul_lo_u32 v7, v1, s24
	v_mul_lo_u32 v1, v1, s25
	v_add3_u32 v6, v3, v6, v5
	v_add3_u32 v8, v4, v8, v7
	;; [unrolled: 1-line block ×3, first 2 shown]
	s_cbranch_scc1 .LBB95_1561
; %bb.1562:
	s_bitcmp1_b32 s8, 0
	s_cselect_b64 s[8:9], -1, 0
	s_and_b64 vcc, exec, s[8:9]
	s_cbranch_vccnz .LBB95_1566
; %bb.1563:
	s_load_dwordx2 s[8:9], s[6:7], 0x1c
	s_load_dword s16, s[6:7], 0x24
	s_load_dwordx2 s[10:11], s[6:7], 0xdc
	s_waitcnt lgkmcnt(0)
	v_mul_hi_u32 v1, s9, v0
	v_add_u32_e32 v1, v0, v1
	v_lshrrev_b32_e32 v1, s16, v1
	v_mul_lo_u32 v1, v1, s8
	s_load_dword s8, s[6:7], 0xe4
	v_sub_u32_e32 v0, v0, v1
	v_mad_u64_u32 v[6:7], s[6:7], v0, s10, v[6:7]
	v_mad_u64_u32 v[8:9], s[6:7], v0, s11, v[8:9]
	s_waitcnt lgkmcnt(0)
	v_mad_u64_u32 v[11:12], s[6:7], v0, s8, v[11:12]
	s_cbranch_execz .LBB95_1567
	s_branch .LBB95_1569
.LBB95_1564:
                                        ; implicit-def: $vgpr6
                                        ; implicit-def: $vgpr8
                                        ; implicit-def: $vgpr11
	s_branch .LBB95_1567
.LBB95_1565:
	s_waitcnt vmcnt(0)
	v_mov_b32_e32 v6, 0
	v_mov_b32_e32 v8, 0
	;; [unrolled: 1-line block ×3, first 2 shown]
.LBB95_1566:
	s_cbranch_execnz .LBB95_1569
.LBB95_1567:
	s_load_dwordx4 s[8:11], s[2:3], 0x4
	s_load_dwordx4 s[16:19], s[2:3], 0xc4
	s_cmp_lt_u32 s33, 2
	s_waitcnt lgkmcnt(0)
	v_mul_hi_u32 v0, s9, v10
	v_add_u32_e32 v0, v10, v0
	v_lshrrev_b32_e32 v0, s10, v0
	s_waitcnt vmcnt(0)
	v_mul_lo_u32 v1, v0, s8
	v_sub_u32_e32 v1, v10, v1
	v_mul_lo_u32 v6, v1, s16
	v_mul_lo_u32 v8, v1, s17
	;; [unrolled: 1-line block ×3, first 2 shown]
	s_cbranch_scc1 .LBB95_1569
; %bb.1568:
	s_load_dwordx4 s[8:11], s[2:3], 0x10
	s_load_dwordx4 s[16:19], s[2:3], 0xd0
	s_waitcnt lgkmcnt(0)
	v_mul_hi_u32 v1, s9, v0
	v_add_u32_e32 v1, v0, v1
	v_lshrrev_b32_e32 v1, s10, v1
	v_mul_lo_u32 v1, v1, s8
	v_sub_u32_e32 v0, v0, v1
	v_mad_u64_u32 v[6:7], s[6:7], v0, s16, v[6:7]
	v_mad_u64_u32 v[8:9], s[6:7], v0, s17, v[8:9]
	;; [unrolled: 1-line block ×3, first 2 shown]
.LBB95_1569:
	s_and_b64 vcc, exec, s[0:1]
	v_add_u32_e32 v0, 0x80, v10
	s_cbranch_vccnz .LBB95_1575
; %bb.1570:
	s_cmp_lg_u32 s33, 0
	s_cbranch_scc0 .LBB95_1576
; %bb.1571:
	s_min_u32 s8, s68, 15
	s_add_i32 s6, s8, 1
	s_and_b32 s9, s6, 30
	s_add_u32 s6, s2, 0xffffffe8
	s_addc_u32 s7, s3, -1
	v_mov_b32_e32 v16, 0
	v_mov_b32_e32 v12, 0
	;; [unrolled: 1-line block ×3, first 2 shown]
	s_waitcnt vmcnt(0)
	v_mov_b32_e32 v1, v0
.LBB95_1572:                            ; =>This Inner Loop Header: Depth=1
	s_load_dwordx4 s[16:19], s[6:7], 0x1c
	s_load_dwordx2 s[10:11], s[6:7], 0x2c
	s_load_dwordx2 s[24:25], s[6:7], 0xec
	s_load_dwordx4 s[20:23], s[6:7], 0xdc
	s_add_u32 s6, s6, 24
	s_waitcnt lgkmcnt(0)
	v_mul_hi_u32 v2, s17, v1
	s_addc_u32 s7, s7, 0
	s_add_i32 s9, s9, -2
	s_cmp_lg_u32 s9, 0
	v_add_u32_e32 v2, v1, v2
	v_lshrrev_b32_e32 v2, s18, v2
	v_mul_lo_u32 v3, v2, s16
	v_mul_hi_u32 v5, s10, v2
	v_sub_u32_e32 v3, v1, v3
	v_add_u32_e32 v1, v2, v5
	v_lshrrev_b32_e32 v1, s11, v1
	v_mul_lo_u32 v9, v1, s19
	v_mul_lo_u32 v5, v3, s20
	;; [unrolled: 1-line block ×4, first 2 shown]
	v_sub_u32_e32 v2, v2, v9
	v_mul_lo_u32 v9, v2, s23
	v_mul_lo_u32 v13, v2, s24
	;; [unrolled: 1-line block ×3, first 2 shown]
	v_add3_u32 v4, v5, v4, v9
	v_add3_u32 v12, v7, v12, v13
	;; [unrolled: 1-line block ×3, first 2 shown]
	s_cbranch_scc1 .LBB95_1572
; %bb.1573:
	s_bitcmp1_b32 s8, 0
	s_cselect_b64 s[8:9], -1, 0
	s_and_b64 vcc, exec, s[8:9]
	s_cbranch_vccnz .LBB95_1577
; %bb.1574:
	s_load_dwordx2 s[8:9], s[6:7], 0x1c
	s_load_dword s16, s[6:7], 0x24
	s_load_dwordx2 s[10:11], s[6:7], 0xdc
	s_waitcnt lgkmcnt(0)
	v_mul_hi_u32 v2, s9, v1
	v_add_u32_e32 v2, v1, v2
	v_lshrrev_b32_e32 v2, s16, v2
	v_mul_lo_u32 v2, v2, s8
	s_load_dword s8, s[6:7], 0xe4
	v_sub_u32_e32 v1, v1, v2
	v_mad_u64_u32 v[4:5], s[6:7], v1, s10, v[4:5]
	v_mad_u64_u32 v[12:13], s[6:7], v1, s11, v[12:13]
	s_waitcnt lgkmcnt(0)
	v_mad_u64_u32 v[16:17], s[6:7], v1, s8, v[16:17]
	s_cbranch_execz .LBB95_1578
	s_branch .LBB95_1580
.LBB95_1575:
                                        ; implicit-def: $vgpr4
                                        ; implicit-def: $vgpr12
                                        ; implicit-def: $vgpr16
	s_branch .LBB95_1578
.LBB95_1576:
	v_mov_b32_e32 v4, 0
	v_mov_b32_e32 v12, 0
	;; [unrolled: 1-line block ×3, first 2 shown]
.LBB95_1577:
	s_cbranch_execnz .LBB95_1580
.LBB95_1578:
	s_load_dwordx4 s[8:11], s[2:3], 0x4
	s_load_dwordx4 s[16:19], s[2:3], 0xc4
	s_cmp_lt_u32 s33, 2
	s_waitcnt vmcnt(0) lgkmcnt(0)
	v_mul_hi_u32 v1, s9, v0
	v_add_u32_e32 v1, v0, v1
	v_lshrrev_b32_e32 v1, s10, v1
	v_mul_lo_u32 v2, v1, s8
	v_sub_u32_e32 v0, v0, v2
	v_mul_lo_u32 v4, v0, s16
	v_mul_lo_u32 v12, v0, s17
	;; [unrolled: 1-line block ×3, first 2 shown]
	s_cbranch_scc1 .LBB95_1580
; %bb.1579:
	s_load_dwordx4 s[8:11], s[2:3], 0x10
	s_load_dwordx4 s[16:19], s[2:3], 0xd0
	s_waitcnt lgkmcnt(0)
	v_mul_hi_u32 v0, s9, v1
	v_add_u32_e32 v0, v1, v0
	v_lshrrev_b32_e32 v0, s10, v0
	v_mul_lo_u32 v0, v0, s8
	v_sub_u32_e32 v0, v1, v0
	v_mad_u64_u32 v[4:5], s[6:7], v0, s16, v[4:5]
	v_mad_u64_u32 v[12:13], s[6:7], v0, s17, v[12:13]
	;; [unrolled: 1-line block ×3, first 2 shown]
.LBB95_1580:
	s_and_b64 vcc, exec, s[0:1]
	v_add_u32_e32 v0, 0x100, v10
	s_cbranch_vccnz .LBB95_1586
; %bb.1581:
	s_cmp_lg_u32 s33, 0
	s_cbranch_scc0 .LBB95_1587
; %bb.1582:
	s_min_u32 s8, s68, 15
	s_add_i32 s6, s8, 1
	s_and_b32 s9, s6, 30
	s_add_u32 s6, s2, 0xffffffe8
	s_addc_u32 s7, s3, -1
	v_mov_b32_e32 v19, 0
	v_mov_b32_e32 v17, 0
	s_waitcnt vmcnt(0)
	v_mov_b32_e32 v2, 0
	v_mov_b32_e32 v1, v0
.LBB95_1583:                            ; =>This Inner Loop Header: Depth=1
	s_load_dwordx4 s[16:19], s[6:7], 0x1c
	s_load_dwordx2 s[10:11], s[6:7], 0x2c
	s_load_dwordx2 s[24:25], s[6:7], 0xec
	s_load_dwordx4 s[20:23], s[6:7], 0xdc
	s_add_u32 s6, s6, 24
	s_waitcnt lgkmcnt(0)
	v_mul_hi_u32 v3, s17, v1
	s_addc_u32 s7, s7, 0
	s_add_i32 s9, s9, -2
	s_cmp_lg_u32 s9, 0
	v_add_u32_e32 v3, v1, v3
	v_lshrrev_b32_e32 v3, s18, v3
	v_mul_lo_u32 v5, v3, s16
	v_mul_hi_u32 v7, s10, v3
	v_sub_u32_e32 v5, v1, v5
	v_add_u32_e32 v1, v3, v7
	v_lshrrev_b32_e32 v1, s11, v1
	v_mul_lo_u32 v10, v1, s19
	v_mul_lo_u32 v7, v5, s20
	;; [unrolled: 1-line block ×4, first 2 shown]
	v_sub_u32_e32 v3, v3, v10
	v_mul_lo_u32 v10, v3, s23
	v_mul_lo_u32 v13, v3, s24
	;; [unrolled: 1-line block ×3, first 2 shown]
	v_add3_u32 v2, v7, v2, v10
	v_add3_u32 v17, v9, v17, v13
	;; [unrolled: 1-line block ×3, first 2 shown]
	s_cbranch_scc1 .LBB95_1583
; %bb.1584:
	s_bitcmp1_b32 s8, 0
	s_cselect_b64 s[8:9], -1, 0
	s_and_b64 vcc, exec, s[8:9]
	s_cbranch_vccnz .LBB95_1588
; %bb.1585:
	s_load_dwordx2 s[8:9], s[6:7], 0x1c
	s_load_dword s16, s[6:7], 0x24
	s_load_dwordx2 s[10:11], s[6:7], 0xdc
	s_waitcnt lgkmcnt(0)
	v_mul_hi_u32 v3, s9, v1
	v_add_u32_e32 v3, v1, v3
	v_lshrrev_b32_e32 v3, s16, v3
	v_mul_lo_u32 v3, v3, s8
	s_load_dword s8, s[6:7], 0xe4
	v_sub_u32_e32 v1, v1, v3
	v_mad_u64_u32 v[2:3], s[6:7], v1, s10, v[2:3]
	v_mad_u64_u32 v[17:18], s[6:7], v1, s11, v[17:18]
	s_waitcnt lgkmcnt(0)
	v_mad_u64_u32 v[19:20], s[6:7], v1, s8, v[19:20]
	s_cbranch_execz .LBB95_1589
	s_branch .LBB95_1591
.LBB95_1586:
                                        ; implicit-def: $vgpr2
                                        ; implicit-def: $vgpr17
                                        ; implicit-def: $vgpr19
	s_branch .LBB95_1589
.LBB95_1587:
	s_waitcnt vmcnt(0)
	v_mov_b32_e32 v2, 0
	v_mov_b32_e32 v17, 0
	;; [unrolled: 1-line block ×3, first 2 shown]
.LBB95_1588:
	s_cbranch_execnz .LBB95_1591
.LBB95_1589:
	s_load_dwordx4 s[8:11], s[2:3], 0x4
	s_load_dwordx4 s[16:19], s[2:3], 0xc4
	s_cmp_lt_u32 s33, 2
	s_waitcnt vmcnt(0) lgkmcnt(0)
	v_mul_hi_u32 v1, s9, v0
	v_add_u32_e32 v1, v0, v1
	v_lshrrev_b32_e32 v1, s10, v1
	v_mul_lo_u32 v2, v1, s8
	v_sub_u32_e32 v0, v0, v2
	v_mul_lo_u32 v2, v0, s16
	v_mul_lo_u32 v17, v0, s17
	;; [unrolled: 1-line block ×3, first 2 shown]
	s_cbranch_scc1 .LBB95_1591
; %bb.1590:
	s_load_dwordx4 s[8:11], s[2:3], 0x10
	s_load_dwordx4 s[16:19], s[2:3], 0xd0
	s_waitcnt lgkmcnt(0)
	v_mul_hi_u32 v0, s9, v1
	v_add_u32_e32 v0, v1, v0
	v_lshrrev_b32_e32 v0, s10, v0
	v_mul_lo_u32 v0, v0, s8
	v_sub_u32_e32 v0, v1, v0
	v_mad_u64_u32 v[2:3], s[6:7], v0, s16, v[2:3]
	v_mad_u64_u32 v[17:18], s[6:7], v0, s17, v[17:18]
	;; [unrolled: 1-line block ×3, first 2 shown]
.LBB95_1591:
	s_and_b64 vcc, exec, s[0:1]
	s_cbranch_vccnz .LBB95_1597
; %bb.1592:
	s_cmp_lg_u32 s33, 0
	s_cbranch_scc0 .LBB95_1598
; %bb.1593:
	s_min_u32 s6, s68, 15
	s_add_i32 s0, s6, 1
	s_and_b32 s7, s0, 30
	s_add_u32 s0, s2, 0xffffffe8
	s_addc_u32 s1, s3, -1
	v_mov_b32_e32 v9, 0
	v_mov_b32_e32 v14, 0
	;; [unrolled: 1-line block ×3, first 2 shown]
	s_waitcnt vmcnt(0)
	v_mov_b32_e32 v1, v21
.LBB95_1594:                            ; =>This Inner Loop Header: Depth=1
	s_load_dwordx4 s[8:11], s[0:1], 0x1c
	s_load_dwordx2 s[20:21], s[0:1], 0x2c
	s_load_dwordx2 s[22:23], s[0:1], 0xec
	s_load_dwordx4 s[16:19], s[0:1], 0xdc
	s_add_u32 s0, s0, 24
	s_waitcnt lgkmcnt(0)
	v_mul_hi_u32 v3, s9, v1
	s_addc_u32 s1, s1, 0
	s_add_i32 s7, s7, -2
	s_cmp_lg_u32 s7, 0
	v_add_u32_e32 v3, v1, v3
	v_lshrrev_b32_e32 v3, s10, v3
	v_mul_lo_u32 v5, v3, s8
	v_mul_hi_u32 v7, s20, v3
	v_sub_u32_e32 v5, v1, v5
	v_add_u32_e32 v1, v3, v7
	v_lshrrev_b32_e32 v1, s21, v1
	v_mul_lo_u32 v13, v1, s11
	v_mul_lo_u32 v7, v5, s16
	;; [unrolled: 1-line block ×4, first 2 shown]
	v_sub_u32_e32 v3, v3, v13
	v_mul_lo_u32 v13, v3, s19
	v_mul_lo_u32 v15, v3, s22
	;; [unrolled: 1-line block ×3, first 2 shown]
	v_add3_u32 v0, v7, v0, v13
	v_add3_u32 v14, v10, v14, v15
	;; [unrolled: 1-line block ×3, first 2 shown]
	s_cbranch_scc1 .LBB95_1594
; %bb.1595:
	s_bitcmp1_b32 s6, 0
	s_cselect_b64 s[6:7], -1, 0
	s_and_b64 vcc, exec, s[6:7]
	s_cbranch_vccnz .LBB95_1599
; %bb.1596:
	s_load_dwordx2 s[6:7], s[0:1], 0x1c
	s_load_dword s10, s[0:1], 0x24
	s_load_dwordx2 s[8:9], s[0:1], 0xdc
	s_waitcnt lgkmcnt(0)
	v_mul_hi_u32 v3, s7, v1
	v_add_u32_e32 v3, v1, v3
	v_lshrrev_b32_e32 v3, s10, v3
	v_mul_lo_u32 v3, v3, s6
	s_load_dword s6, s[0:1], 0xe4
	v_sub_u32_e32 v3, v1, v3
	v_mad_u64_u32 v[0:1], s[0:1], v3, s8, v[0:1]
	v_mad_u64_u32 v[14:15], s[0:1], v3, s9, v[14:15]
	s_waitcnt lgkmcnt(0)
	v_mad_u64_u32 v[9:10], s[0:1], v3, s6, v[9:10]
	s_cbranch_execz .LBB95_1600
	s_branch .LBB95_1602
.LBB95_1597:
                                        ; implicit-def: $vgpr0
                                        ; implicit-def: $vgpr14
                                        ; implicit-def: $vgpr9
	s_branch .LBB95_1600
.LBB95_1598:
	v_mov_b32_e32 v0, 0
	v_mov_b32_e32 v14, 0
	;; [unrolled: 1-line block ×3, first 2 shown]
.LBB95_1599:
	s_cbranch_execnz .LBB95_1602
.LBB95_1600:
	s_load_dwordx4 s[8:11], s[2:3], 0x4
	s_load_dwordx4 s[16:19], s[2:3], 0xc4
	s_cmp_lt_u32 s33, 2
	s_waitcnt lgkmcnt(0)
	v_mul_hi_u32 v0, s9, v21
	v_add_u32_e32 v0, v21, v0
	s_waitcnt vmcnt(0)
	v_lshrrev_b32_e32 v1, s10, v0
	v_mul_lo_u32 v0, v1, s8
	v_sub_u32_e32 v3, v21, v0
	v_mul_lo_u32 v0, v3, s16
	v_mul_lo_u32 v14, v3, s17
	;; [unrolled: 1-line block ×3, first 2 shown]
	s_cbranch_scc1 .LBB95_1602
; %bb.1601:
	s_load_dwordx4 s[8:11], s[2:3], 0x10
	s_load_dwordx4 s[16:19], s[2:3], 0xd0
	s_waitcnt lgkmcnt(0)
	v_mul_hi_u32 v3, s9, v1
	v_add_u32_e32 v3, v1, v3
	v_lshrrev_b32_e32 v3, s10, v3
	v_mul_lo_u32 v3, v3, s8
	v_sub_u32_e32 v3, v1, v3
	v_mad_u64_u32 v[0:1], s[0:1], v3, s16, v[0:1]
	v_mad_u64_u32 v[14:15], s[0:1], v3, s17, v[14:15]
	v_mad_u64_u32 v[9:10], s[0:1], v3, s18, v[9:10]
.LBB95_1602:
	s_load_dwordx4 s[8:11], s[2:3], 0x188
	s_load_dword s20, s[4:5], 0x1a8
	s_waitcnt vmcnt(0) lgkmcnt(0)
	v_mov_b32_e32 v1, s11
	s_bfe_u32 s18, s20, 0x80010
	v_add_co_u32_e32 v20, vcc, s10, v8
	s_cmp_lt_i32 s18, 11
	v_addc_co_u32_e32 v21, vcc, 0, v1, vcc
	s_cbranch_scc1 .LBB95_1609
; %bb.1603:
	s_and_b32 s19, 0xffff, s18
	s_cmp_gt_i32 s19, 25
	s_mov_b64 s[6:7], 0
	s_cbranch_scc0 .LBB95_1611
; %bb.1604:
	s_cmp_gt_i32 s19, 28
	s_cbranch_scc0 .LBB95_1612
; %bb.1605:
	s_cmp_gt_i32 s19, 43
	;; [unrolled: 3-line block ×3, first 2 shown]
	s_cbranch_scc0 .LBB95_1614
; %bb.1607:
	s_cmp_eq_u32 s19, 46
	s_mov_b64 s[4:5], 0
	s_cbranch_scc0 .LBB95_1617
; %bb.1608:
	global_load_dword v1, v[20:21], off
	s_mov_b32 s0, 0x2f800000
	s_mov_b32 s1, 0xcf800000
	s_mov_b64 s[16:17], -1
	s_waitcnt vmcnt(0)
	v_lshlrev_b32_e32 v1, 16, v1
	v_trunc_f32_e32 v1, v1
	v_mul_f32_e64 v3, |v1|, s0
	v_floor_f32_e32 v3, v3
	v_fma_f32 v5, v3, s1, |v1|
	v_cvt_u32_f32_e32 v5, v5
	v_cvt_u32_f32_e32 v3, v3
	v_ashrrev_i32_e32 v1, 31, v1
	s_mov_b64 s[0:1], 0
	v_xor_b32_e32 v5, v5, v1
	v_xor_b32_e32 v3, v3, v1
	v_sub_co_u32_e32 v7, vcc, v5, v1
	v_subb_co_u32_e32 v8, vcc, v3, v1, vcc
	s_branch .LBB95_1618
.LBB95_1609:
	s_mov_b64 s[16:17], 0
                                        ; implicit-def: $vgpr7_vgpr8
	s_mov_b64 s[4:5], s[12:13]
	s_cbranch_execnz .LBB95_1676
.LBB95_1610:
	s_andn2_b64 vcc, exec, s[16:17]
	s_cbranch_vccz .LBB95_1721
	s_branch .LBB95_3036
.LBB95_1611:
	s_mov_b64 s[16:17], 0
	s_mov_b64 s[0:1], 0
                                        ; implicit-def: $vgpr7_vgpr8
	s_cbranch_execnz .LBB95_1645
	s_branch .LBB95_1672
.LBB95_1612:
	s_mov_b64 s[16:17], 0
	s_mov_b64 s[0:1], 0
                                        ; implicit-def: $vgpr7_vgpr8
	s_cbranch_execz .LBB95_1644
	s_branch .LBB95_1627
.LBB95_1613:
	s_mov_b64 s[16:17], 0
	s_mov_b64 s[0:1], 0
                                        ; implicit-def: $vgpr7_vgpr8
	s_cbranch_execnz .LBB95_1623
	s_branch .LBB95_1626
.LBB95_1614:
	s_mov_b64 s[4:5], -1
	s_mov_b64 s[16:17], 0
	s_mov_b64 s[0:1], 0
                                        ; implicit-def: $vgpr7_vgpr8
	s_branch .LBB95_1618
.LBB95_1615:
	s_andn2_saveexec_b64 s[16:17], s[16:17]
	s_cbranch_execz .LBB95_1470
.LBB95_1616:
	s_mov_b32 s18, 0x46000000
	v_add_f32_e64 v1, |v0|, s18
	v_and_b32_e32 v1, 0xff, v1
	v_cmp_ne_u32_e32 vcc, 0, v1
	s_andn2_b64 s[14:15], s[14:15], exec
	s_and_b64 s[18:19], vcc, exec
	s_or_b64 s[14:15], s[14:15], s[18:19]
	s_or_b64 exec, exec, s[16:17]
	v_mov_b32_e32 v2, 0
	s_and_saveexec_b64 s[16:17], s[14:15]
	s_cbranch_execnz .LBB95_1471
	s_branch .LBB95_1472
.LBB95_1617:
	s_mov_b64 s[0:1], -1
                                        ; implicit-def: $vgpr7_vgpr8
	s_mov_b64 s[16:17], 0
.LBB95_1618:
	s_and_b64 vcc, exec, s[4:5]
	s_cbranch_vccz .LBB95_1621
; %bb.1619:
	s_cmp_eq_u32 s19, 44
	s_cbranch_scc0 .LBB95_1622
; %bb.1620:
	global_load_ubyte v1, v[20:21], off
	s_mov_b32 s0, 0x2f800000
	s_mov_b32 s1, 0xcf800000
	s_mov_b64 s[16:17], -1
	s_waitcnt vmcnt(0)
	v_lshlrev_b32_e32 v3, 23, v1
	v_trunc_f32_e32 v3, v3
	v_mul_f32_e64 v5, |v3|, s0
	v_floor_f32_e32 v5, v5
	v_fma_f32 v7, v5, s1, |v3|
	v_cvt_u32_f32_e32 v7, v7
	v_cvt_u32_f32_e32 v5, v5
	v_ashrrev_i32_e32 v3, 31, v3
	s_mov_b64 s[0:1], 0
	v_xor_b32_e32 v7, v7, v3
	v_xor_b32_e32 v5, v5, v3
	v_sub_co_u32_e32 v7, vcc, v7, v3
	v_subb_co_u32_e32 v3, vcc, v5, v3, vcc
	v_cmp_ne_u32_e32 vcc, 0, v1
	v_cndmask_b32_e32 v8, 0, v3, vcc
	v_cndmask_b32_e32 v7, 0, v7, vcc
.LBB95_1621:
	s_branch .LBB95_1626
.LBB95_1622:
	s_mov_b64 s[0:1], -1
                                        ; implicit-def: $vgpr7_vgpr8
	s_branch .LBB95_1626
.LBB95_1623:
	s_cmp_eq_u32 s19, 29
	s_cbranch_scc0 .LBB95_1625
; %bb.1624:
	global_load_dwordx2 v[7:8], v[20:21], off
	s_mov_b64 s[0:1], 0
	s_mov_b64 s[16:17], -1
	s_branch .LBB95_1626
.LBB95_1625:
	s_mov_b64 s[0:1], -1
                                        ; implicit-def: $vgpr7_vgpr8
.LBB95_1626:
	s_branch .LBB95_1644
.LBB95_1627:
	s_cmp_lt_i32 s19, 27
	s_cbranch_scc1 .LBB95_1630
; %bb.1628:
	s_cmp_gt_i32 s19, 27
	s_cbranch_scc0 .LBB95_1631
; %bb.1629:
	global_load_dword v7, v[20:21], off
	s_waitcnt vmcnt(1)
	v_mov_b32_e32 v8, 0
	s_mov_b64 s[4:5], 0
	s_branch .LBB95_1632
.LBB95_1630:
	s_mov_b64 s[4:5], -1
                                        ; implicit-def: $vgpr7_vgpr8
	s_branch .LBB95_1635
.LBB95_1631:
	s_mov_b64 s[4:5], -1
                                        ; implicit-def: $vgpr7_vgpr8
.LBB95_1632:
	s_andn2_b64 vcc, exec, s[4:5]
	s_cbranch_vccnz .LBB95_1634
; %bb.1633:
	global_load_ushort v1, v[20:21], off
	s_mov_b32 s4, 0
	s_waitcnt vmcnt(1)
	v_mov_b32_e32 v8, s4
	s_waitcnt vmcnt(0)
	v_and_b32_e32 v7, 0xffff, v1
.LBB95_1634:
	s_mov_b64 s[4:5], 0
.LBB95_1635:
	s_andn2_b64 vcc, exec, s[4:5]
	s_cbranch_vccnz .LBB95_1643
; %bb.1636:
	global_load_ubyte v1, v[20:21], off
	s_movk_i32 s4, 0x7f
	s_mov_b64 s[16:17], 0
	s_waitcnt vmcnt(0)
	v_cmp_lt_i16_e32 vcc, s4, v1
	s_and_saveexec_b64 s[4:5], vcc
	s_xor_b64 s[4:5], exec, s[4:5]
; %bb.1637:
	s_movk_i32 s16, 0x80
	v_cmp_ne_u16_e32 vcc, s16, v1
	s_and_b64 s[16:17], vcc, exec
; %bb.1638:
	s_andn2_saveexec_b64 s[4:5], s[4:5]
; %bb.1639:
	v_cmp_ne_u16_e32 vcc, 0, v1
	s_andn2_b64 s[16:17], s[16:17], exec
	s_and_b64 s[22:23], vcc, exec
	s_or_b64 s[16:17], s[16:17], s[22:23]
; %bb.1640:
	s_or_b64 exec, exec, s[4:5]
	v_mov_b32_e32 v7, 0
	v_mov_b32_e32 v8, 0
	s_and_saveexec_b64 s[4:5], s[16:17]
	s_cbranch_execz .LBB95_1642
; %bb.1641:
	v_lshlrev_b32_e32 v3, 24, v1
	v_and_b32_e32 v1, 0xffff, v1
	v_and_b32_e32 v5, 7, v1
	v_ffbh_u32_e32 v8, v5
	v_min_u32_e32 v8, 32, v8
	v_subrev_u32_e32 v10, 28, v8
	v_bfe_u32 v7, v1, 3, 4
	v_lshlrev_b32_e32 v1, v10, v1
	v_sub_u32_e32 v8, 29, v8
	v_and_b32_e32 v1, 7, v1
	v_cmp_eq_u32_e32 vcc, 0, v7
	v_cndmask_b32_e32 v7, v7, v8, vcc
	v_cndmask_b32_e32 v1, v5, v1, vcc
	v_mov_b32_e32 v5, 0x3b800000
	v_lshlrev_b32_e32 v1, 20, v1
	v_and_b32_e32 v3, 0x80000000, v3
	v_lshl_add_u32 v5, v7, 23, v5
	v_or3_b32 v1, v3, v5, v1
	v_trunc_f32_e32 v1, v1
	s_mov_b32 s16, 0x2f800000
	v_mul_f32_e64 v3, |v1|, s16
	v_floor_f32_e32 v3, v3
	s_mov_b32 s16, 0xcf800000
	v_fma_f32 v5, v3, s16, |v1|
	v_cvt_u32_f32_e32 v5, v5
	v_cvt_u32_f32_e32 v3, v3
	v_ashrrev_i32_e32 v1, 31, v1
	v_xor_b32_e32 v5, v5, v1
	v_xor_b32_e32 v3, v3, v1
	v_sub_co_u32_e32 v7, vcc, v5, v1
	v_subb_co_u32_e32 v8, vcc, v3, v1, vcc
.LBB95_1642:
	s_or_b64 exec, exec, s[4:5]
.LBB95_1643:
	s_mov_b64 s[16:17], -1
.LBB95_1644:
	s_branch .LBB95_1672
.LBB95_1645:
	s_cmp_gt_i32 s19, 22
	s_cbranch_scc0 .LBB95_1655
; %bb.1646:
	s_cmp_lt_i32 s19, 24
	s_cbranch_scc1 .LBB95_1656
; %bb.1647:
	s_cmp_gt_i32 s19, 24
	s_cbranch_scc0 .LBB95_1657
; %bb.1648:
	global_load_ubyte v1, v[20:21], off
	s_movk_i32 s4, 0x7f
	s_waitcnt vmcnt(0)
	v_cmp_lt_i16_e32 vcc, s4, v1
	s_and_saveexec_b64 s[4:5], vcc
	s_xor_b64 s[4:5], exec, s[4:5]
; %bb.1649:
	s_movk_i32 s6, 0x80
	v_cmp_ne_u16_e32 vcc, s6, v1
	s_and_b64 s[6:7], vcc, exec
; %bb.1650:
	s_andn2_saveexec_b64 s[4:5], s[4:5]
; %bb.1651:
	v_cmp_ne_u16_e32 vcc, 0, v1
	s_andn2_b64 s[6:7], s[6:7], exec
	s_and_b64 s[16:17], vcc, exec
	s_or_b64 s[6:7], s[6:7], s[16:17]
; %bb.1652:
	s_or_b64 exec, exec, s[4:5]
	v_mov_b32_e32 v7, 0
	v_mov_b32_e32 v8, 0
	s_and_saveexec_b64 s[4:5], s[6:7]
	s_cbranch_execz .LBB95_1654
; %bb.1653:
	v_lshlrev_b32_e32 v3, 24, v1
	v_and_b32_e32 v1, 0xffff, v1
	v_and_b32_e32 v5, 3, v1
	v_ffbh_u32_e32 v8, v5
	v_min_u32_e32 v8, 32, v8
	v_subrev_u32_e32 v10, 29, v8
	v_bfe_u32 v7, v1, 2, 5
	v_lshlrev_b32_e32 v1, v10, v1
	v_sub_u32_e32 v8, 30, v8
	v_and_b32_e32 v1, 3, v1
	v_cmp_eq_u32_e32 vcc, 0, v7
	v_cndmask_b32_e32 v7, v7, v8, vcc
	v_cndmask_b32_e32 v1, v5, v1, vcc
	v_mov_b32_e32 v5, 0x37800000
	v_lshlrev_b32_e32 v1, 21, v1
	v_and_b32_e32 v3, 0x80000000, v3
	v_lshl_add_u32 v5, v7, 23, v5
	v_or3_b32 v1, v3, v5, v1
	v_trunc_f32_e32 v1, v1
	s_mov_b32 s6, 0x2f800000
	v_mul_f32_e64 v3, |v1|, s6
	v_floor_f32_e32 v3, v3
	s_mov_b32 s6, 0xcf800000
	v_fma_f32 v5, v3, s6, |v1|
	v_cvt_u32_f32_e32 v5, v5
	v_cvt_u32_f32_e32 v3, v3
	v_ashrrev_i32_e32 v1, 31, v1
	v_xor_b32_e32 v5, v5, v1
	v_xor_b32_e32 v3, v3, v1
	v_sub_co_u32_e32 v7, vcc, v5, v1
	v_subb_co_u32_e32 v8, vcc, v3, v1, vcc
.LBB95_1654:
	s_or_b64 exec, exec, s[4:5]
	s_mov_b64 s[4:5], 0
	s_branch .LBB95_1658
.LBB95_1655:
                                        ; implicit-def: $vgpr7_vgpr8
	s_mov_b64 s[6:7], 0
	s_branch .LBB95_1664
.LBB95_1656:
	s_mov_b64 s[4:5], -1
                                        ; implicit-def: $vgpr7_vgpr8
	s_branch .LBB95_1661
.LBB95_1657:
	s_mov_b64 s[4:5], -1
                                        ; implicit-def: $vgpr7_vgpr8
.LBB95_1658:
	s_and_b64 vcc, exec, s[4:5]
	s_cbranch_vccz .LBB95_1660
; %bb.1659:
	global_load_ubyte v1, v[20:21], off
	s_mov_b32 s4, 0x7f800000
	s_brev_b32 s5, 1
	s_mov_b32 s6, 0x2f800000
	s_mov_b32 s7, 0xcf800000
	s_waitcnt vmcnt(0)
	v_lshlrev_b32_e32 v1, 24, v1
	v_and_b32_e32 v3, 0x7f000000, v1
	v_ffbh_u32_e32 v5, v3
	v_min_u32_e32 v5, 32, v5
	v_sub_u32_e64 v5, v5, 4 clamp
	v_lshlrev_b32_e32 v8, v5, v3
	v_lshlrev_b32_e32 v5, 23, v5
	v_lshrrev_b32_e32 v8, 4, v8
	v_add_u32_e32 v7, 0x1000000, v3
	v_sub_u32_e32 v5, v8, v5
	v_ashrrev_i32_e32 v7, 8, v7
	v_add_u32_e32 v5, 0x3c000000, v5
	v_and_or_b32 v5, v7, s4, v5
	v_cmp_ne_u32_e32 vcc, 0, v3
	v_cndmask_b32_e32 v3, 0, v5, vcc
	v_and_or_b32 v1, v1, s5, v3
	v_trunc_f32_e32 v1, v1
	v_mul_f32_e64 v3, |v1|, s6
	v_floor_f32_e32 v3, v3
	v_fma_f32 v5, v3, s7, |v1|
	v_cvt_u32_f32_e32 v5, v5
	v_cvt_u32_f32_e32 v3, v3
	v_ashrrev_i32_e32 v1, 31, v1
	v_xor_b32_e32 v5, v5, v1
	v_xor_b32_e32 v3, v3, v1
	v_sub_co_u32_e32 v7, vcc, v5, v1
	v_subb_co_u32_e32 v8, vcc, v3, v1, vcc
.LBB95_1660:
	s_mov_b64 s[4:5], 0
.LBB95_1661:
	s_andn2_b64 vcc, exec, s[4:5]
	s_cbranch_vccnz .LBB95_1663
; %bb.1662:
	global_load_ubyte v1, v[20:21], off
	s_movk_i32 s4, 0x7f00
	s_brev_b32 s5, 16
	s_brev_b32 s6, 1
	s_mov_b32 s7, 0x2f800000
	s_mov_b32 s16, 0xcf800000
	s_waitcnt vmcnt(0)
	v_lshlrev_b16_e32 v3, 8, v1
	v_lshlrev_b32_e32 v1, 25, v1
	v_lshrrev_b32_e32 v5, 4, v1
	v_and_or_b32 v7, v3, s4, 0.5
	v_or_b32_e32 v5, 0x70000000, v5
	v_add_f32_e32 v7, -0.5, v7
	v_mul_f32_e32 v5, 0x7800000, v5
	v_cmp_gt_u32_e32 vcc, s5, v1
	v_bfe_i32 v3, v3, 0, 16
	v_cndmask_b32_e32 v1, v5, v7, vcc
	v_and_or_b32 v1, v3, s6, v1
	v_trunc_f32_e32 v1, v1
	v_mul_f32_e64 v3, |v1|, s7
	v_floor_f32_e32 v3, v3
	v_fma_f32 v5, v3, s16, |v1|
	v_cvt_u32_f32_e32 v5, v5
	v_cvt_u32_f32_e32 v3, v3
	v_ashrrev_i32_e32 v1, 31, v1
	v_xor_b32_e32 v5, v5, v1
	v_xor_b32_e32 v3, v3, v1
	v_sub_co_u32_e32 v7, vcc, v5, v1
	v_subb_co_u32_e32 v8, vcc, v3, v1, vcc
.LBB95_1663:
	s_mov_b64 s[16:17], -1
	s_mov_b64 s[6:7], 0
	s_cbranch_execnz .LBB95_1672
.LBB95_1664:
	s_cmp_gt_i32 s19, 14
	s_cbranch_scc0 .LBB95_1667
; %bb.1665:
	s_cmp_eq_u32 s19, 15
	s_cbranch_scc0 .LBB95_1668
; %bb.1666:
	global_load_ushort v1, v[20:21], off
	s_mov_b32 s0, 0x2f800000
	s_mov_b32 s1, 0xcf800000
	s_mov_b64 s[16:17], -1
	s_waitcnt vmcnt(0)
	v_lshlrev_b32_e32 v1, 16, v1
	v_trunc_f32_e32 v1, v1
	v_mul_f32_e64 v3, |v1|, s0
	v_floor_f32_e32 v3, v3
	v_fma_f32 v5, v3, s1, |v1|
	v_cvt_u32_f32_e32 v5, v5
	v_cvt_u32_f32_e32 v3, v3
	v_ashrrev_i32_e32 v1, 31, v1
	s_mov_b64 s[0:1], 0
	v_xor_b32_e32 v5, v5, v1
	v_xor_b32_e32 v3, v3, v1
	v_sub_co_u32_e32 v7, vcc, v5, v1
	v_subb_co_u32_e32 v8, vcc, v3, v1, vcc
	s_branch .LBB95_1669
.LBB95_1667:
	s_mov_b64 s[4:5], -1
                                        ; implicit-def: $vgpr7_vgpr8
	s_branch .LBB95_1670
.LBB95_1668:
	s_mov_b64 s[0:1], -1
                                        ; implicit-def: $vgpr7_vgpr8
.LBB95_1669:
	s_mov_b64 s[4:5], 0
.LBB95_1670:
	s_and_b64 vcc, exec, s[4:5]
	s_cbranch_vccz .LBB95_1672
; %bb.1671:
	s_cmp_lg_u32 s19, 11
	s_mov_b64 s[6:7], -1
	s_cselect_b64 s[0:1], -1, 0
.LBB95_1672:
	s_and_b64 vcc, exec, s[0:1]
	s_mov_b64 s[4:5], s[12:13]
	s_cbranch_vccnz .LBB95_1733
; %bb.1673:
	s_andn2_b64 vcc, exec, s[6:7]
	s_cbranch_vccnz .LBB95_1675
.LBB95_1674:
	global_load_ubyte v1, v[20:21], off
	s_mov_b32 s0, 0
	s_waitcnt vmcnt(1)
	v_mov_b32_e32 v8, s0
	s_mov_b64 s[16:17], -1
	s_waitcnt vmcnt(0)
	v_cmp_ne_u16_e32 vcc, 0, v1
	v_cndmask_b32_e64 v7, 0, 1, vcc
.LBB95_1675:
	s_branch .LBB95_1610
.LBB95_1676:
	s_and_b32 s6, 0xffff, s18
	s_cmp_lt_i32 s6, 5
	s_cbranch_scc1 .LBB95_1681
; %bb.1677:
	s_cmp_lt_i32 s6, 8
	s_cbranch_scc1 .LBB95_1682
; %bb.1678:
	;; [unrolled: 3-line block ×3, first 2 shown]
	s_cmp_gt_i32 s6, 9
	s_cbranch_scc0 .LBB95_1684
; %bb.1680:
	global_load_dwordx2 v[7:8], v[20:21], off
	s_movk_i32 s0, 0xffe0
	s_waitcnt vmcnt(0)
	v_trunc_f64_e32 v[7:8], v[7:8]
	v_ldexp_f64 v[22:23], v[7:8], s0
	s_mov_b32 s0, 0
	s_mov_b32 s1, 0xc1f00000
	v_floor_f64_e32 v[22:23], v[22:23]
	v_fma_f64 v[24:25], v[22:23], s[0:1], v[7:8]
	v_cvt_i32_f64_e32 v8, v[22:23]
	s_mov_b64 s[0:1], 0
	v_cvt_u32_f64_e32 v7, v[24:25]
	s_branch .LBB95_1685
.LBB95_1681:
                                        ; implicit-def: $vgpr7_vgpr8
	s_branch .LBB95_1702
.LBB95_1682:
                                        ; implicit-def: $vgpr7_vgpr8
	s_branch .LBB95_1691
.LBB95_1683:
	s_mov_b64 s[0:1], -1
                                        ; implicit-def: $vgpr7_vgpr8
	s_branch .LBB95_1688
.LBB95_1684:
	s_mov_b64 s[0:1], -1
                                        ; implicit-def: $vgpr7_vgpr8
.LBB95_1685:
	s_andn2_b64 vcc, exec, s[0:1]
	s_cbranch_vccnz .LBB95_1687
; %bb.1686:
	global_load_dword v1, v[20:21], off
	s_mov_b32 s0, 0x2f800000
	s_mov_b32 s1, 0xcf800000
	s_waitcnt vmcnt(0)
	v_trunc_f32_e32 v1, v1
	v_mul_f32_e64 v3, |v1|, s0
	v_floor_f32_e32 v3, v3
	v_cvt_u32_f32_e32 v5, v3
	v_fma_f32 v3, v3, s1, |v1|
	v_cvt_u32_f32_e32 v3, v3
	v_ashrrev_i32_e32 v1, 31, v1
	v_xor_b32_e32 v5, v5, v1
	v_xor_b32_e32 v3, v3, v1
	v_sub_co_u32_e32 v7, vcc, v3, v1
	v_subb_co_u32_e32 v8, vcc, v5, v1, vcc
.LBB95_1687:
	s_mov_b64 s[0:1], 0
.LBB95_1688:
	s_andn2_b64 vcc, exec, s[0:1]
	s_cbranch_vccnz .LBB95_1690
; %bb.1689:
	global_load_dword v1, v[20:21], off
	s_waitcnt vmcnt(0)
	v_cvt_f32_f16_e32 v1, v1
	v_cvt_i32_f32_e32 v7, v1
	v_ashrrev_i32_e32 v8, 31, v7
.LBB95_1690:
	s_cbranch_execnz .LBB95_1701
.LBB95_1691:
	s_cmp_lt_i32 s6, 6
	s_cbranch_scc1 .LBB95_1694
; %bb.1692:
	s_cmp_gt_i32 s6, 6
	s_cbranch_scc0 .LBB95_1695
; %bb.1693:
	global_load_dwordx2 v[7:8], v[20:21], off
	s_movk_i32 s0, 0xffe0
	s_waitcnt vmcnt(0)
	v_trunc_f64_e32 v[7:8], v[7:8]
	v_ldexp_f64 v[22:23], v[7:8], s0
	s_mov_b32 s0, 0
	s_mov_b32 s1, 0xc1f00000
	v_floor_f64_e32 v[22:23], v[22:23]
	v_fma_f64 v[24:25], v[22:23], s[0:1], v[7:8]
	v_cvt_i32_f64_e32 v8, v[22:23]
	s_mov_b64 s[0:1], 0
	v_cvt_u32_f64_e32 v7, v[24:25]
	s_branch .LBB95_1696
.LBB95_1694:
	s_mov_b64 s[0:1], -1
                                        ; implicit-def: $vgpr7_vgpr8
	s_branch .LBB95_1699
.LBB95_1695:
	s_mov_b64 s[0:1], -1
                                        ; implicit-def: $vgpr7_vgpr8
.LBB95_1696:
	s_andn2_b64 vcc, exec, s[0:1]
	s_cbranch_vccnz .LBB95_1698
; %bb.1697:
	global_load_dword v1, v[20:21], off
	s_mov_b32 s0, 0x2f800000
	s_mov_b32 s1, 0xcf800000
	s_waitcnt vmcnt(0)
	v_trunc_f32_e32 v1, v1
	v_mul_f32_e64 v3, |v1|, s0
	v_floor_f32_e32 v3, v3
	v_cvt_u32_f32_e32 v5, v3
	v_fma_f32 v3, v3, s1, |v1|
	v_cvt_u32_f32_e32 v3, v3
	v_ashrrev_i32_e32 v1, 31, v1
	v_xor_b32_e32 v5, v5, v1
	v_xor_b32_e32 v3, v3, v1
	v_sub_co_u32_e32 v7, vcc, v3, v1
	v_subb_co_u32_e32 v8, vcc, v5, v1, vcc
.LBB95_1698:
	s_mov_b64 s[0:1], 0
.LBB95_1699:
	s_andn2_b64 vcc, exec, s[0:1]
	s_cbranch_vccnz .LBB95_1701
; %bb.1700:
	global_load_ushort v1, v[20:21], off
	s_waitcnt vmcnt(0)
	v_cvt_f32_f16_e32 v1, v1
	v_cvt_i32_f32_e32 v7, v1
	v_ashrrev_i32_e32 v8, 31, v7
.LBB95_1701:
	s_cbranch_execnz .LBB95_1720
.LBB95_1702:
	s_cmp_lt_i32 s6, 2
	s_cbranch_scc1 .LBB95_1706
; %bb.1703:
	s_cmp_lt_i32 s6, 3
	s_cbranch_scc1 .LBB95_1707
; %bb.1704:
	s_cmp_gt_i32 s6, 3
	s_cbranch_scc0 .LBB95_1708
; %bb.1705:
	global_load_dwordx2 v[7:8], v[20:21], off
	s_mov_b64 s[0:1], 0
	s_branch .LBB95_1709
.LBB95_1706:
                                        ; implicit-def: $vgpr7_vgpr8
	s_branch .LBB95_1715
.LBB95_1707:
	s_mov_b64 s[0:1], -1
                                        ; implicit-def: $vgpr7_vgpr8
	s_branch .LBB95_1712
.LBB95_1708:
	s_mov_b64 s[0:1], -1
                                        ; implicit-def: $vgpr7_vgpr8
.LBB95_1709:
	s_andn2_b64 vcc, exec, s[0:1]
	s_cbranch_vccnz .LBB95_1711
; %bb.1710:
	global_load_dword v7, v[20:21], off
	s_waitcnt vmcnt(0)
	v_ashrrev_i32_e32 v8, 31, v7
.LBB95_1711:
	s_mov_b64 s[0:1], 0
.LBB95_1712:
	s_andn2_b64 vcc, exec, s[0:1]
	s_cbranch_vccnz .LBB95_1714
; %bb.1713:
	global_load_ushort v1, v[20:21], off
	s_waitcnt vmcnt(0)
	v_bfe_i32 v7, v1, 0, 16
	v_ashrrev_i32_e32 v8, 31, v7
.LBB95_1714:
	s_cbranch_execnz .LBB95_1720
.LBB95_1715:
	s_cmp_gt_i32 s6, 0
	s_cbranch_scc0 .LBB95_1717
; %bb.1716:
	global_load_sbyte v1, v[20:21], off
	s_mov_b64 s[0:1], 0
	s_waitcnt vmcnt(0)
	v_bfe_i32 v7, v1, 0, 16
	v_ashrrev_i32_e32 v8, 31, v7
	s_branch .LBB95_1718
.LBB95_1717:
	s_mov_b64 s[0:1], -1
                                        ; implicit-def: $vgpr7_vgpr8
.LBB95_1718:
	s_andn2_b64 vcc, exec, s[0:1]
	s_cbranch_vccnz .LBB95_1720
; %bb.1719:
	global_load_ubyte v1, v[20:21], off
	s_mov_b32 s0, 0
	s_waitcnt vmcnt(1)
	v_mov_b32_e32 v8, s0
	s_waitcnt vmcnt(0)
	v_and_b32_e32 v7, 0xffff, v1
.LBB95_1720:
.LBB95_1721:
	s_load_dwordx2 s[0:1], s[2:3], 0x198
	s_lshr_b32 s21, s20, 24
	s_cmp_lt_i32 s21, 11
	s_waitcnt lgkmcnt(0)
	v_mov_b32_e32 v1, s1
	v_add_co_u32_e32 v20, vcc, s0, v11
	v_addc_co_u32_e32 v21, vcc, 0, v1, vcc
	s_cbranch_scc1 .LBB95_1728
; %bb.1722:
	s_and_b32 s22, 0xffff, s21
	s_cmp_gt_i32 s22, 25
	s_mov_b64 s[6:7], 0
	s_cbranch_scc0 .LBB95_1730
; %bb.1723:
	s_cmp_gt_i32 s22, 28
	s_cbranch_scc0 .LBB95_1731
; %bb.1724:
	s_cmp_gt_i32 s22, 43
	;; [unrolled: 3-line block ×3, first 2 shown]
	s_cbranch_scc0 .LBB95_1734
; %bb.1726:
	s_cmp_eq_u32 s22, 46
	s_mov_b64 s[18:19], 0
	s_cbranch_scc0 .LBB95_1737
; %bb.1727:
	global_load_dword v1, v[20:21], off
	s_mov_b32 s2, 0x2f800000
	s_mov_b32 s3, 0xcf800000
	s_mov_b64 s[16:17], -1
	s_waitcnt vmcnt(0)
	v_lshlrev_b32_e32 v1, 16, v1
	v_trunc_f32_e32 v1, v1
	v_mul_f32_e64 v3, |v1|, s2
	v_floor_f32_e32 v3, v3
	v_fma_f32 v5, v3, s3, |v1|
	v_cvt_u32_f32_e32 v5, v5
	v_cvt_u32_f32_e32 v3, v3
	v_ashrrev_i32_e32 v1, 31, v1
	s_mov_b64 s[2:3], 0
	v_xor_b32_e32 v5, v5, v1
	v_xor_b32_e32 v3, v3, v1
	v_sub_co_u32_e32 v10, vcc, v5, v1
	v_subb_co_u32_e32 v11, vcc, v3, v1, vcc
	s_branch .LBB95_1738
.LBB95_1728:
	s_mov_b64 s[16:17], 0
                                        ; implicit-def: $vgpr10_vgpr11
	s_cbranch_execnz .LBB95_1799
.LBB95_1729:
	s_andn2_b64 vcc, exec, s[16:17]
	s_cbranch_vccnz .LBB95_3036
	s_branch .LBB95_1846
.LBB95_1730:
	s_mov_b64 s[16:17], 0
	s_mov_b64 s[2:3], 0
                                        ; implicit-def: $vgpr10_vgpr11
	s_cbranch_execnz .LBB95_1767
	s_branch .LBB95_1795
.LBB95_1731:
	s_mov_b64 s[18:19], -1
	s_mov_b64 s[16:17], 0
	s_mov_b64 s[2:3], 0
                                        ; implicit-def: $vgpr10_vgpr11
	s_branch .LBB95_1748
.LBB95_1732:
	s_mov_b64 s[18:19], -1
	s_mov_b64 s[16:17], 0
	s_mov_b64 s[2:3], 0
                                        ; implicit-def: $vgpr10_vgpr11
	s_branch .LBB95_1743
.LBB95_1733:
	s_or_b64 s[4:5], s[12:13], exec
	s_trap 2
	s_cbranch_execz .LBB95_1674
	s_branch .LBB95_1675
.LBB95_1734:
	s_mov_b64 s[18:19], -1
	s_mov_b64 s[16:17], 0
	s_mov_b64 s[2:3], 0
                                        ; implicit-def: $vgpr10_vgpr11
	s_branch .LBB95_1738
.LBB95_1735:
	s_andn2_saveexec_b64 s[18:19], s[18:19]
	s_cbranch_execz .LBB95_1482
.LBB95_1736:
	s_mov_b32 s26, 0x42800000
	v_add_f32_e64 v1, |v0|, s26
	v_and_b32_e32 v1, 0xff, v1
	v_cmp_ne_u32_e32 vcc, 0, v1
	s_andn2_b64 s[16:17], s[16:17], exec
	s_and_b64 s[26:27], vcc, exec
	s_or_b64 s[16:17], s[16:17], s[26:27]
	s_or_b64 exec, exec, s[18:19]
	v_mov_b32_e32 v2, 0
	s_and_saveexec_b64 s[18:19], s[16:17]
	s_cbranch_execnz .LBB95_1483
	s_branch .LBB95_1484
.LBB95_1737:
	s_mov_b64 s[2:3], -1
                                        ; implicit-def: $vgpr10_vgpr11
	s_mov_b64 s[16:17], 0
.LBB95_1738:
	s_and_b64 vcc, exec, s[18:19]
	s_cbranch_vccz .LBB95_1742
; %bb.1739:
	s_cmp_eq_u32 s22, 44
	s_cbranch_scc0 .LBB95_1741
; %bb.1740:
	global_load_ubyte v1, v[20:21], off
	s_mov_b32 s2, 0x2f800000
	s_mov_b32 s3, 0xcf800000
	s_mov_b64 s[16:17], -1
	s_waitcnt vmcnt(0)
	v_lshlrev_b32_e32 v3, 23, v1
	v_trunc_f32_e32 v3, v3
	v_mul_f32_e64 v5, |v3|, s2
	v_floor_f32_e32 v5, v5
	v_fma_f32 v10, v5, s3, |v3|
	v_cvt_u32_f32_e32 v10, v10
	v_cvt_u32_f32_e32 v5, v5
	v_ashrrev_i32_e32 v3, 31, v3
	s_mov_b64 s[2:3], 0
	v_xor_b32_e32 v10, v10, v3
	v_xor_b32_e32 v5, v5, v3
	v_sub_co_u32_e32 v10, vcc, v10, v3
	v_subb_co_u32_e32 v3, vcc, v5, v3, vcc
	v_cmp_ne_u32_e32 vcc, 0, v1
	v_cndmask_b32_e32 v11, 0, v3, vcc
	v_cndmask_b32_e32 v10, 0, v10, vcc
	s_branch .LBB95_1742
.LBB95_1741:
	s_mov_b64 s[2:3], -1
                                        ; implicit-def: $vgpr10_vgpr11
.LBB95_1742:
	s_mov_b64 s[18:19], 0
.LBB95_1743:
	s_and_b64 vcc, exec, s[18:19]
	s_cbranch_vccz .LBB95_1747
; %bb.1744:
	s_cmp_eq_u32 s22, 29
	s_cbranch_scc0 .LBB95_1746
; %bb.1745:
	global_load_dwordx2 v[10:11], v[20:21], off
	s_mov_b64 s[2:3], 0
	s_mov_b64 s[16:17], -1
	s_branch .LBB95_1747
.LBB95_1746:
	s_mov_b64 s[2:3], -1
                                        ; implicit-def: $vgpr10_vgpr11
.LBB95_1747:
	s_mov_b64 s[18:19], 0
.LBB95_1748:
	s_and_b64 vcc, exec, s[18:19]
	s_cbranch_vccz .LBB95_1766
; %bb.1749:
	s_cmp_lt_i32 s22, 27
	s_cbranch_scc1 .LBB95_1752
; %bb.1750:
	s_cmp_gt_i32 s22, 27
	s_cbranch_scc0 .LBB95_1753
; %bb.1751:
	global_load_dword v10, v[20:21], off
	s_waitcnt vmcnt(1)
	v_mov_b32_e32 v11, 0
	s_mov_b64 s[16:17], 0
	s_branch .LBB95_1754
.LBB95_1752:
	s_mov_b64 s[16:17], -1
                                        ; implicit-def: $vgpr10_vgpr11
	s_branch .LBB95_1757
.LBB95_1753:
	s_mov_b64 s[16:17], -1
                                        ; implicit-def: $vgpr10_vgpr11
.LBB95_1754:
	s_andn2_b64 vcc, exec, s[16:17]
	s_cbranch_vccnz .LBB95_1756
; %bb.1755:
	global_load_ushort v1, v[20:21], off
	s_mov_b32 s16, 0
	s_waitcnt vmcnt(1)
	v_mov_b32_e32 v11, s16
	s_waitcnt vmcnt(0)
	v_and_b32_e32 v10, 0xffff, v1
.LBB95_1756:
	s_mov_b64 s[16:17], 0
.LBB95_1757:
	s_andn2_b64 vcc, exec, s[16:17]
	s_cbranch_vccnz .LBB95_1765
; %bb.1758:
	global_load_ubyte v1, v[20:21], off
	s_movk_i32 s16, 0x7f
	s_mov_b64 s[18:19], 0
	s_waitcnt vmcnt(0)
	v_cmp_lt_i16_e32 vcc, s16, v1
	s_and_saveexec_b64 s[16:17], vcc
	s_xor_b64 s[16:17], exec, s[16:17]
; %bb.1759:
	s_movk_i32 s18, 0x80
	v_cmp_ne_u16_e32 vcc, s18, v1
	s_and_b64 s[18:19], vcc, exec
; %bb.1760:
	s_andn2_saveexec_b64 s[16:17], s[16:17]
; %bb.1761:
	v_cmp_ne_u16_e32 vcc, 0, v1
	s_andn2_b64 s[18:19], s[18:19], exec
	s_and_b64 s[24:25], vcc, exec
	s_or_b64 s[18:19], s[18:19], s[24:25]
; %bb.1762:
	s_or_b64 exec, exec, s[16:17]
	v_mov_b32_e32 v10, 0
	v_mov_b32_e32 v11, 0
	s_and_saveexec_b64 s[16:17], s[18:19]
	s_cbranch_execz .LBB95_1764
; %bb.1763:
	v_lshlrev_b32_e32 v3, 24, v1
	v_and_b32_e32 v1, 0xffff, v1
	v_and_b32_e32 v5, 7, v1
	v_ffbh_u32_e32 v11, v5
	v_min_u32_e32 v11, 32, v11
	v_subrev_u32_e32 v13, 28, v11
	v_bfe_u32 v10, v1, 3, 4
	v_lshlrev_b32_e32 v1, v13, v1
	v_sub_u32_e32 v11, 29, v11
	v_and_b32_e32 v1, 7, v1
	v_cmp_eq_u32_e32 vcc, 0, v10
	v_cndmask_b32_e32 v10, v10, v11, vcc
	v_cndmask_b32_e32 v1, v5, v1, vcc
	v_mov_b32_e32 v5, 0x3b800000
	v_lshlrev_b32_e32 v1, 20, v1
	v_and_b32_e32 v3, 0x80000000, v3
	v_lshl_add_u32 v5, v10, 23, v5
	v_or3_b32 v1, v3, v5, v1
	v_trunc_f32_e32 v1, v1
	s_mov_b32 s18, 0x2f800000
	v_mul_f32_e64 v3, |v1|, s18
	v_floor_f32_e32 v3, v3
	s_mov_b32 s18, 0xcf800000
	v_fma_f32 v5, v3, s18, |v1|
	v_cvt_u32_f32_e32 v5, v5
	v_cvt_u32_f32_e32 v3, v3
	v_ashrrev_i32_e32 v1, 31, v1
	v_xor_b32_e32 v5, v5, v1
	v_xor_b32_e32 v3, v3, v1
	v_sub_co_u32_e32 v10, vcc, v5, v1
	v_subb_co_u32_e32 v11, vcc, v3, v1, vcc
.LBB95_1764:
	s_or_b64 exec, exec, s[16:17]
.LBB95_1765:
	s_mov_b64 s[16:17], -1
.LBB95_1766:
	s_branch .LBB95_1795
.LBB95_1767:
	s_cmp_gt_i32 s22, 22
	s_cbranch_scc0 .LBB95_1777
; %bb.1768:
	s_cmp_lt_i32 s22, 24
	s_cbranch_scc1 .LBB95_1778
; %bb.1769:
	s_cmp_gt_i32 s22, 24
	s_cbranch_scc0 .LBB95_1779
; %bb.1770:
	global_load_ubyte v1, v[20:21], off
	s_movk_i32 s6, 0x7f
	s_mov_b64 s[16:17], 0
	s_waitcnt vmcnt(0)
	v_cmp_lt_i16_e32 vcc, s6, v1
	s_and_saveexec_b64 s[6:7], vcc
	s_xor_b64 s[6:7], exec, s[6:7]
; %bb.1771:
	s_movk_i32 s16, 0x80
	v_cmp_ne_u16_e32 vcc, s16, v1
	s_and_b64 s[16:17], vcc, exec
; %bb.1772:
	s_andn2_saveexec_b64 s[6:7], s[6:7]
; %bb.1773:
	v_cmp_ne_u16_e32 vcc, 0, v1
	s_andn2_b64 s[16:17], s[16:17], exec
	s_and_b64 s[18:19], vcc, exec
	s_or_b64 s[16:17], s[16:17], s[18:19]
; %bb.1774:
	s_or_b64 exec, exec, s[6:7]
	v_mov_b32_e32 v10, 0
	v_mov_b32_e32 v11, 0
	s_and_saveexec_b64 s[6:7], s[16:17]
	s_cbranch_execz .LBB95_1776
; %bb.1775:
	v_lshlrev_b32_e32 v3, 24, v1
	v_and_b32_e32 v1, 0xffff, v1
	v_and_b32_e32 v5, 3, v1
	v_ffbh_u32_e32 v11, v5
	v_min_u32_e32 v11, 32, v11
	v_subrev_u32_e32 v13, 29, v11
	v_bfe_u32 v10, v1, 2, 5
	v_lshlrev_b32_e32 v1, v13, v1
	v_sub_u32_e32 v11, 30, v11
	v_and_b32_e32 v1, 3, v1
	v_cmp_eq_u32_e32 vcc, 0, v10
	v_cndmask_b32_e32 v10, v10, v11, vcc
	v_cndmask_b32_e32 v1, v5, v1, vcc
	v_mov_b32_e32 v5, 0x37800000
	v_lshlrev_b32_e32 v1, 21, v1
	v_and_b32_e32 v3, 0x80000000, v3
	v_lshl_add_u32 v5, v10, 23, v5
	v_or3_b32 v1, v3, v5, v1
	v_trunc_f32_e32 v1, v1
	s_mov_b32 s16, 0x2f800000
	v_mul_f32_e64 v3, |v1|, s16
	v_floor_f32_e32 v3, v3
	s_mov_b32 s16, 0xcf800000
	v_fma_f32 v5, v3, s16, |v1|
	v_cvt_u32_f32_e32 v5, v5
	v_cvt_u32_f32_e32 v3, v3
	v_ashrrev_i32_e32 v1, 31, v1
	v_xor_b32_e32 v5, v5, v1
	v_xor_b32_e32 v3, v3, v1
	v_sub_co_u32_e32 v10, vcc, v5, v1
	v_subb_co_u32_e32 v11, vcc, v3, v1, vcc
.LBB95_1776:
	s_or_b64 exec, exec, s[6:7]
	s_mov_b64 s[6:7], 0
	s_branch .LBB95_1780
.LBB95_1777:
	s_mov_b64 s[6:7], -1
                                        ; implicit-def: $vgpr10_vgpr11
	s_branch .LBB95_1786
.LBB95_1778:
	s_mov_b64 s[6:7], -1
                                        ; implicit-def: $vgpr10_vgpr11
	s_branch .LBB95_1783
.LBB95_1779:
	s_mov_b64 s[6:7], -1
                                        ; implicit-def: $vgpr10_vgpr11
.LBB95_1780:
	s_and_b64 vcc, exec, s[6:7]
	s_cbranch_vccz .LBB95_1782
; %bb.1781:
	global_load_ubyte v1, v[20:21], off
	s_mov_b32 s6, 0x7f800000
	s_brev_b32 s7, 1
	s_mov_b32 s16, 0x2f800000
	s_mov_b32 s17, 0xcf800000
	s_waitcnt vmcnt(0)
	v_lshlrev_b32_e32 v1, 24, v1
	v_and_b32_e32 v3, 0x7f000000, v1
	v_ffbh_u32_e32 v5, v3
	v_min_u32_e32 v5, 32, v5
	v_sub_u32_e64 v5, v5, 4 clamp
	v_lshlrev_b32_e32 v11, v5, v3
	v_lshlrev_b32_e32 v5, 23, v5
	v_lshrrev_b32_e32 v11, 4, v11
	v_add_u32_e32 v10, 0x1000000, v3
	v_sub_u32_e32 v5, v11, v5
	v_ashrrev_i32_e32 v10, 8, v10
	v_add_u32_e32 v5, 0x3c000000, v5
	v_and_or_b32 v5, v10, s6, v5
	v_cmp_ne_u32_e32 vcc, 0, v3
	v_cndmask_b32_e32 v3, 0, v5, vcc
	v_and_or_b32 v1, v1, s7, v3
	v_trunc_f32_e32 v1, v1
	v_mul_f32_e64 v3, |v1|, s16
	v_floor_f32_e32 v3, v3
	v_fma_f32 v5, v3, s17, |v1|
	v_cvt_u32_f32_e32 v5, v5
	v_cvt_u32_f32_e32 v3, v3
	v_ashrrev_i32_e32 v1, 31, v1
	v_xor_b32_e32 v5, v5, v1
	v_xor_b32_e32 v3, v3, v1
	v_sub_co_u32_e32 v10, vcc, v5, v1
	v_subb_co_u32_e32 v11, vcc, v3, v1, vcc
.LBB95_1782:
	s_mov_b64 s[6:7], 0
.LBB95_1783:
	s_andn2_b64 vcc, exec, s[6:7]
	s_cbranch_vccnz .LBB95_1785
; %bb.1784:
	global_load_ubyte v1, v[20:21], off
	s_movk_i32 s6, 0x7f00
	s_brev_b32 s7, 16
	s_brev_b32 s16, 1
	s_mov_b32 s17, 0x2f800000
	s_mov_b32 s18, 0xcf800000
	s_waitcnt vmcnt(0)
	v_lshlrev_b16_e32 v3, 8, v1
	v_lshlrev_b32_e32 v1, 25, v1
	v_lshrrev_b32_e32 v5, 4, v1
	v_and_or_b32 v10, v3, s6, 0.5
	v_or_b32_e32 v5, 0x70000000, v5
	v_add_f32_e32 v10, -0.5, v10
	v_mul_f32_e32 v5, 0x7800000, v5
	v_cmp_gt_u32_e32 vcc, s7, v1
	v_bfe_i32 v3, v3, 0, 16
	v_cndmask_b32_e32 v1, v5, v10, vcc
	v_and_or_b32 v1, v3, s16, v1
	v_trunc_f32_e32 v1, v1
	v_mul_f32_e64 v3, |v1|, s17
	v_floor_f32_e32 v3, v3
	v_fma_f32 v5, v3, s18, |v1|
	v_cvt_u32_f32_e32 v5, v5
	v_cvt_u32_f32_e32 v3, v3
	v_ashrrev_i32_e32 v1, 31, v1
	v_xor_b32_e32 v5, v5, v1
	v_xor_b32_e32 v3, v3, v1
	v_sub_co_u32_e32 v10, vcc, v5, v1
	v_subb_co_u32_e32 v11, vcc, v3, v1, vcc
.LBB95_1785:
	s_mov_b64 s[6:7], 0
	s_mov_b64 s[16:17], -1
.LBB95_1786:
	s_andn2_b64 vcc, exec, s[6:7]
	s_mov_b64 s[6:7], 0
	s_cbranch_vccnz .LBB95_1795
; %bb.1787:
	s_cmp_gt_i32 s22, 14
	s_cbranch_scc0 .LBB95_1790
; %bb.1788:
	s_cmp_eq_u32 s22, 15
	s_cbranch_scc0 .LBB95_1791
; %bb.1789:
	global_load_ushort v1, v[20:21], off
	s_mov_b32 s2, 0x2f800000
	s_mov_b32 s3, 0xcf800000
	s_mov_b64 s[16:17], -1
	s_waitcnt vmcnt(0)
	v_lshlrev_b32_e32 v1, 16, v1
	v_trunc_f32_e32 v1, v1
	v_mul_f32_e64 v3, |v1|, s2
	v_floor_f32_e32 v3, v3
	v_fma_f32 v5, v3, s3, |v1|
	v_cvt_u32_f32_e32 v5, v5
	v_cvt_u32_f32_e32 v3, v3
	v_ashrrev_i32_e32 v1, 31, v1
	s_mov_b64 s[2:3], 0
	v_xor_b32_e32 v5, v5, v1
	v_xor_b32_e32 v3, v3, v1
	v_sub_co_u32_e32 v10, vcc, v5, v1
	v_subb_co_u32_e32 v11, vcc, v3, v1, vcc
	s_branch .LBB95_1792
.LBB95_1790:
	s_mov_b64 s[18:19], -1
                                        ; implicit-def: $vgpr10_vgpr11
	s_branch .LBB95_1793
.LBB95_1791:
	s_mov_b64 s[2:3], -1
                                        ; implicit-def: $vgpr10_vgpr11
.LBB95_1792:
	s_mov_b64 s[18:19], 0
.LBB95_1793:
	s_and_b64 vcc, exec, s[18:19]
	s_cbranch_vccz .LBB95_1795
; %bb.1794:
	s_cmp_lg_u32 s22, 11
	s_mov_b64 s[6:7], -1
	s_cselect_b64 s[2:3], -1, 0
.LBB95_1795:
	s_and_b64 vcc, exec, s[2:3]
	s_cbranch_vccnz .LBB95_1858
; %bb.1796:
	s_andn2_b64 vcc, exec, s[6:7]
	s_cbranch_vccnz .LBB95_1798
.LBB95_1797:
	global_load_ubyte v1, v[20:21], off
	s_mov_b32 s2, 0
	s_waitcnt vmcnt(1)
	v_mov_b32_e32 v11, s2
	s_mov_b64 s[16:17], -1
	s_waitcnt vmcnt(0)
	v_cmp_ne_u16_e32 vcc, 0, v1
	v_cndmask_b32_e64 v10, 0, 1, vcc
.LBB95_1798:
	s_branch .LBB95_1729
.LBB95_1799:
	s_and_b32 s6, 0xffff, s21
	s_cmp_lt_i32 s6, 5
	s_cbranch_scc1 .LBB95_1804
; %bb.1800:
	s_cmp_lt_i32 s6, 8
	s_cbranch_scc1 .LBB95_1805
; %bb.1801:
	;; [unrolled: 3-line block ×3, first 2 shown]
	s_cmp_gt_i32 s6, 9
	s_cbranch_scc0 .LBB95_1807
; %bb.1803:
	global_load_dwordx2 v[10:11], v[20:21], off
	s_movk_i32 s2, 0xffe0
	s_waitcnt vmcnt(0)
	v_trunc_f64_e32 v[10:11], v[10:11]
	v_ldexp_f64 v[22:23], v[10:11], s2
	s_mov_b32 s2, 0
	s_mov_b32 s3, 0xc1f00000
	v_floor_f64_e32 v[22:23], v[22:23]
	v_fma_f64 v[24:25], v[22:23], s[2:3], v[10:11]
	v_cvt_i32_f64_e32 v11, v[22:23]
	s_mov_b64 s[2:3], 0
	v_cvt_u32_f64_e32 v10, v[24:25]
	s_branch .LBB95_1808
.LBB95_1804:
                                        ; implicit-def: $vgpr10_vgpr11
	s_branch .LBB95_1826
.LBB95_1805:
	s_mov_b64 s[2:3], -1
                                        ; implicit-def: $vgpr10_vgpr11
	s_branch .LBB95_1814
.LBB95_1806:
	s_mov_b64 s[2:3], -1
                                        ; implicit-def: $vgpr10_vgpr11
	s_branch .LBB95_1811
.LBB95_1807:
	s_mov_b64 s[2:3], -1
                                        ; implicit-def: $vgpr10_vgpr11
.LBB95_1808:
	s_andn2_b64 vcc, exec, s[2:3]
	s_cbranch_vccnz .LBB95_1810
; %bb.1809:
	global_load_dword v1, v[20:21], off
	s_mov_b32 s2, 0x2f800000
	s_mov_b32 s3, 0xcf800000
	s_waitcnt vmcnt(0)
	v_trunc_f32_e32 v1, v1
	v_mul_f32_e64 v3, |v1|, s2
	v_floor_f32_e32 v3, v3
	v_cvt_u32_f32_e32 v5, v3
	v_fma_f32 v3, v3, s3, |v1|
	v_cvt_u32_f32_e32 v3, v3
	v_ashrrev_i32_e32 v1, 31, v1
	v_xor_b32_e32 v5, v5, v1
	v_xor_b32_e32 v3, v3, v1
	v_sub_co_u32_e32 v10, vcc, v3, v1
	v_subb_co_u32_e32 v11, vcc, v5, v1, vcc
.LBB95_1810:
	s_mov_b64 s[2:3], 0
.LBB95_1811:
	s_andn2_b64 vcc, exec, s[2:3]
	s_cbranch_vccnz .LBB95_1813
; %bb.1812:
	global_load_dword v1, v[20:21], off
	s_waitcnt vmcnt(0)
	v_cvt_f32_f16_e32 v1, v1
	v_cvt_i32_f32_e32 v10, v1
	v_ashrrev_i32_e32 v11, 31, v10
.LBB95_1813:
	s_mov_b64 s[2:3], 0
.LBB95_1814:
	s_andn2_b64 vcc, exec, s[2:3]
	s_cbranch_vccnz .LBB95_1825
; %bb.1815:
	s_cmp_lt_i32 s6, 6
	s_cbranch_scc1 .LBB95_1818
; %bb.1816:
	s_cmp_gt_i32 s6, 6
	s_cbranch_scc0 .LBB95_1819
; %bb.1817:
	global_load_dwordx2 v[10:11], v[20:21], off
	s_movk_i32 s2, 0xffe0
	s_waitcnt vmcnt(0)
	v_trunc_f64_e32 v[10:11], v[10:11]
	v_ldexp_f64 v[22:23], v[10:11], s2
	s_mov_b32 s2, 0
	s_mov_b32 s3, 0xc1f00000
	v_floor_f64_e32 v[22:23], v[22:23]
	v_fma_f64 v[24:25], v[22:23], s[2:3], v[10:11]
	v_cvt_i32_f64_e32 v11, v[22:23]
	s_mov_b64 s[2:3], 0
	v_cvt_u32_f64_e32 v10, v[24:25]
	s_branch .LBB95_1820
.LBB95_1818:
	s_mov_b64 s[2:3], -1
                                        ; implicit-def: $vgpr10_vgpr11
	s_branch .LBB95_1823
.LBB95_1819:
	s_mov_b64 s[2:3], -1
                                        ; implicit-def: $vgpr10_vgpr11
.LBB95_1820:
	s_andn2_b64 vcc, exec, s[2:3]
	s_cbranch_vccnz .LBB95_1822
; %bb.1821:
	global_load_dword v1, v[20:21], off
	s_mov_b32 s2, 0x2f800000
	s_mov_b32 s3, 0xcf800000
	s_waitcnt vmcnt(0)
	v_trunc_f32_e32 v1, v1
	v_mul_f32_e64 v3, |v1|, s2
	v_floor_f32_e32 v3, v3
	v_cvt_u32_f32_e32 v5, v3
	v_fma_f32 v3, v3, s3, |v1|
	v_cvt_u32_f32_e32 v3, v3
	v_ashrrev_i32_e32 v1, 31, v1
	v_xor_b32_e32 v5, v5, v1
	v_xor_b32_e32 v3, v3, v1
	v_sub_co_u32_e32 v10, vcc, v3, v1
	v_subb_co_u32_e32 v11, vcc, v5, v1, vcc
.LBB95_1822:
	s_mov_b64 s[2:3], 0
.LBB95_1823:
	s_andn2_b64 vcc, exec, s[2:3]
	s_cbranch_vccnz .LBB95_1825
; %bb.1824:
	global_load_ushort v1, v[20:21], off
	s_waitcnt vmcnt(0)
	v_cvt_f32_f16_e32 v1, v1
	v_cvt_i32_f32_e32 v10, v1
	v_ashrrev_i32_e32 v11, 31, v10
.LBB95_1825:
	s_cbranch_execnz .LBB95_1845
.LBB95_1826:
	s_cmp_lt_i32 s6, 2
	s_cbranch_scc1 .LBB95_1830
; %bb.1827:
	s_cmp_lt_i32 s6, 3
	s_cbranch_scc1 .LBB95_1831
; %bb.1828:
	s_cmp_gt_i32 s6, 3
	s_cbranch_scc0 .LBB95_1832
; %bb.1829:
	global_load_dwordx2 v[10:11], v[20:21], off
	s_mov_b64 s[2:3], 0
	s_branch .LBB95_1833
.LBB95_1830:
	s_mov_b64 s[2:3], -1
                                        ; implicit-def: $vgpr10_vgpr11
	s_branch .LBB95_1839
.LBB95_1831:
	s_mov_b64 s[2:3], -1
                                        ; implicit-def: $vgpr10_vgpr11
	s_branch .LBB95_1836
.LBB95_1832:
	s_mov_b64 s[2:3], -1
                                        ; implicit-def: $vgpr10_vgpr11
.LBB95_1833:
	s_andn2_b64 vcc, exec, s[2:3]
	s_cbranch_vccnz .LBB95_1835
; %bb.1834:
	global_load_dword v10, v[20:21], off
	s_waitcnt vmcnt(0)
	v_ashrrev_i32_e32 v11, 31, v10
.LBB95_1835:
	s_mov_b64 s[2:3], 0
.LBB95_1836:
	s_andn2_b64 vcc, exec, s[2:3]
	s_cbranch_vccnz .LBB95_1838
; %bb.1837:
	global_load_ushort v1, v[20:21], off
	s_waitcnt vmcnt(0)
	v_bfe_i32 v10, v1, 0, 16
	v_ashrrev_i32_e32 v11, 31, v10
.LBB95_1838:
	s_mov_b64 s[2:3], 0
.LBB95_1839:
	s_andn2_b64 vcc, exec, s[2:3]
	s_cbranch_vccnz .LBB95_1845
; %bb.1840:
	s_cmp_gt_i32 s6, 0
	s_cbranch_scc0 .LBB95_1842
; %bb.1841:
	global_load_sbyte v1, v[20:21], off
	s_mov_b64 s[2:3], 0
	s_waitcnt vmcnt(0)
	v_bfe_i32 v10, v1, 0, 16
	v_ashrrev_i32_e32 v11, 31, v10
	s_branch .LBB95_1843
.LBB95_1842:
	s_mov_b64 s[2:3], -1
                                        ; implicit-def: $vgpr10_vgpr11
.LBB95_1843:
	s_andn2_b64 vcc, exec, s[2:3]
	s_cbranch_vccnz .LBB95_1845
; %bb.1844:
	global_load_ubyte v1, v[20:21], off
	s_mov_b32 s2, 0
	s_waitcnt vmcnt(1)
	v_mov_b32_e32 v11, s2
	s_waitcnt vmcnt(0)
	v_and_b32_e32 v10, 0xffff, v1
.LBB95_1845:
.LBB95_1846:
	s_lshr_b32 s2, s20, 16
	v_mov_b32_e32 v1, s11
	s_and_b32 s22, s2, 0xff
	v_add_co_u32_e32 v20, vcc, s10, v12
	s_cmp_lt_i32 s22, 11
	v_addc_co_u32_e32 v21, vcc, 0, v1, vcc
	s_cbranch_scc1 .LBB95_1853
; %bb.1847:
	s_and_b32 s23, 0xffff, s22
	s_cmp_gt_i32 s23, 25
	s_mov_b64 s[6:7], 0
	s_cbranch_scc0 .LBB95_1855
; %bb.1848:
	s_cmp_gt_i32 s23, 28
	s_cbranch_scc0 .LBB95_1856
; %bb.1849:
	s_cmp_gt_i32 s23, 43
	;; [unrolled: 3-line block ×3, first 2 shown]
	s_cbranch_scc0 .LBB95_1859
; %bb.1851:
	s_cmp_eq_u32 s23, 46
	s_mov_b64 s[18:19], 0
	s_cbranch_scc0 .LBB95_1860
; %bb.1852:
	global_load_dword v1, v[20:21], off
	s_mov_b32 s2, 0x2f800000
	s_mov_b32 s3, 0xcf800000
	s_mov_b64 s[16:17], -1
	s_waitcnt vmcnt(0)
	v_lshlrev_b32_e32 v1, 16, v1
	v_trunc_f32_e32 v1, v1
	v_mul_f32_e64 v3, |v1|, s2
	v_floor_f32_e32 v3, v3
	v_fma_f32 v5, v3, s3, |v1|
	v_cvt_u32_f32_e32 v5, v5
	v_cvt_u32_f32_e32 v3, v3
	v_ashrrev_i32_e32 v1, 31, v1
	s_mov_b64 s[2:3], 0
	v_xor_b32_e32 v5, v5, v1
	v_xor_b32_e32 v3, v3, v1
	v_sub_co_u32_e32 v12, vcc, v5, v1
	v_subb_co_u32_e32 v13, vcc, v3, v1, vcc
	s_branch .LBB95_1861
.LBB95_1853:
	s_mov_b64 s[16:17], 0
                                        ; implicit-def: $vgpr12_vgpr13
	s_cbranch_execnz .LBB95_1923
.LBB95_1854:
	s_andn2_b64 vcc, exec, s[16:17]
	s_cbranch_vccnz .LBB95_3036
	s_branch .LBB95_1971
.LBB95_1855:
	s_mov_b64 s[18:19], -1
	s_mov_b64 s[16:17], 0
	s_mov_b64 s[2:3], 0
                                        ; implicit-def: $vgpr12_vgpr13
	s_branch .LBB95_1890
.LBB95_1856:
	s_mov_b64 s[18:19], -1
	s_mov_b64 s[16:17], 0
	s_mov_b64 s[2:3], 0
                                        ; implicit-def: $vgpr12_vgpr13
	s_branch .LBB95_1871
.LBB95_1857:
	s_mov_b64 s[18:19], -1
	s_mov_b64 s[16:17], 0
	s_mov_b64 s[2:3], 0
                                        ; implicit-def: $vgpr12_vgpr13
	s_branch .LBB95_1866
.LBB95_1858:
	s_trap 2
	s_or_b64 s[4:5], s[4:5], exec
	s_cbranch_execz .LBB95_1797
	s_branch .LBB95_1798
.LBB95_1859:
	s_mov_b64 s[18:19], -1
	s_mov_b64 s[16:17], 0
	s_mov_b64 s[2:3], 0
                                        ; implicit-def: $vgpr12_vgpr13
	s_branch .LBB95_1861
.LBB95_1860:
	s_mov_b64 s[2:3], -1
                                        ; implicit-def: $vgpr12_vgpr13
	s_mov_b64 s[16:17], 0
.LBB95_1861:
	s_and_b64 vcc, exec, s[18:19]
	s_cbranch_vccz .LBB95_1865
; %bb.1862:
	s_cmp_eq_u32 s23, 44
	s_cbranch_scc0 .LBB95_1864
; %bb.1863:
	global_load_ubyte v1, v[20:21], off
	s_mov_b32 s2, 0x2f800000
	s_mov_b32 s3, 0xcf800000
	s_mov_b64 s[16:17], -1
	s_waitcnt vmcnt(0)
	v_lshlrev_b32_e32 v3, 23, v1
	v_trunc_f32_e32 v3, v3
	v_mul_f32_e64 v5, |v3|, s2
	v_floor_f32_e32 v5, v5
	v_fma_f32 v12, v5, s3, |v3|
	v_cvt_u32_f32_e32 v12, v12
	v_cvt_u32_f32_e32 v5, v5
	v_ashrrev_i32_e32 v3, 31, v3
	s_mov_b64 s[2:3], 0
	v_xor_b32_e32 v12, v12, v3
	v_xor_b32_e32 v5, v5, v3
	v_sub_co_u32_e32 v12, vcc, v12, v3
	v_subb_co_u32_e32 v3, vcc, v5, v3, vcc
	v_cmp_ne_u32_e32 vcc, 0, v1
	v_cndmask_b32_e32 v13, 0, v3, vcc
	v_cndmask_b32_e32 v12, 0, v12, vcc
	s_branch .LBB95_1865
.LBB95_1864:
	s_mov_b64 s[2:3], -1
                                        ; implicit-def: $vgpr12_vgpr13
.LBB95_1865:
	s_mov_b64 s[18:19], 0
.LBB95_1866:
	s_and_b64 vcc, exec, s[18:19]
	s_cbranch_vccz .LBB95_1870
; %bb.1867:
	s_cmp_eq_u32 s23, 29
	s_cbranch_scc0 .LBB95_1869
; %bb.1868:
	global_load_dwordx2 v[12:13], v[20:21], off
	s_mov_b64 s[2:3], 0
	s_mov_b64 s[16:17], -1
	s_branch .LBB95_1870
.LBB95_1869:
	s_mov_b64 s[2:3], -1
                                        ; implicit-def: $vgpr12_vgpr13
.LBB95_1870:
	s_mov_b64 s[18:19], 0
.LBB95_1871:
	s_and_b64 vcc, exec, s[18:19]
	s_cbranch_vccz .LBB95_1889
; %bb.1872:
	s_cmp_lt_i32 s23, 27
	s_cbranch_scc1 .LBB95_1875
; %bb.1873:
	s_cmp_gt_i32 s23, 27
	s_cbranch_scc0 .LBB95_1876
; %bb.1874:
	global_load_dword v12, v[20:21], off
	s_waitcnt vmcnt(1)
	v_mov_b32_e32 v13, 0
	s_mov_b64 s[16:17], 0
	s_branch .LBB95_1877
.LBB95_1875:
	s_mov_b64 s[16:17], -1
                                        ; implicit-def: $vgpr12_vgpr13
	s_branch .LBB95_1880
.LBB95_1876:
	s_mov_b64 s[16:17], -1
                                        ; implicit-def: $vgpr12_vgpr13
.LBB95_1877:
	s_andn2_b64 vcc, exec, s[16:17]
	s_cbranch_vccnz .LBB95_1879
; %bb.1878:
	global_load_ushort v1, v[20:21], off
	s_mov_b32 s16, 0
	s_waitcnt vmcnt(1)
	v_mov_b32_e32 v13, s16
	s_waitcnt vmcnt(0)
	v_and_b32_e32 v12, 0xffff, v1
.LBB95_1879:
	s_mov_b64 s[16:17], 0
.LBB95_1880:
	s_andn2_b64 vcc, exec, s[16:17]
	s_cbranch_vccnz .LBB95_1888
; %bb.1881:
	global_load_ubyte v1, v[20:21], off
	s_movk_i32 s16, 0x7f
	s_mov_b64 s[18:19], 0
	s_waitcnt vmcnt(0)
	v_cmp_lt_i16_e32 vcc, s16, v1
	s_and_saveexec_b64 s[16:17], vcc
	s_xor_b64 s[16:17], exec, s[16:17]
; %bb.1882:
	s_movk_i32 s18, 0x80
	v_cmp_ne_u16_e32 vcc, s18, v1
	s_and_b64 s[18:19], vcc, exec
; %bb.1883:
	s_andn2_saveexec_b64 s[16:17], s[16:17]
; %bb.1884:
	v_cmp_ne_u16_e32 vcc, 0, v1
	s_andn2_b64 s[18:19], s[18:19], exec
	s_and_b64 s[24:25], vcc, exec
	s_or_b64 s[18:19], s[18:19], s[24:25]
; %bb.1885:
	s_or_b64 exec, exec, s[16:17]
	v_mov_b32_e32 v12, 0
	v_mov_b32_e32 v13, 0
	s_and_saveexec_b64 s[16:17], s[18:19]
	s_cbranch_execz .LBB95_1887
; %bb.1886:
	v_lshlrev_b32_e32 v3, 24, v1
	v_and_b32_e32 v1, 0xffff, v1
	v_and_b32_e32 v5, 7, v1
	v_ffbh_u32_e32 v13, v5
	v_min_u32_e32 v13, 32, v13
	v_subrev_u32_e32 v15, 28, v13
	v_bfe_u32 v12, v1, 3, 4
	v_lshlrev_b32_e32 v1, v15, v1
	v_sub_u32_e32 v13, 29, v13
	v_and_b32_e32 v1, 7, v1
	v_cmp_eq_u32_e32 vcc, 0, v12
	v_cndmask_b32_e32 v12, v12, v13, vcc
	v_cndmask_b32_e32 v1, v5, v1, vcc
	v_mov_b32_e32 v5, 0x3b800000
	v_lshlrev_b32_e32 v1, 20, v1
	v_and_b32_e32 v3, 0x80000000, v3
	v_lshl_add_u32 v5, v12, 23, v5
	v_or3_b32 v1, v3, v5, v1
	v_trunc_f32_e32 v1, v1
	s_mov_b32 s18, 0x2f800000
	v_mul_f32_e64 v3, |v1|, s18
	v_floor_f32_e32 v3, v3
	s_mov_b32 s18, 0xcf800000
	v_fma_f32 v5, v3, s18, |v1|
	v_cvt_u32_f32_e32 v5, v5
	v_cvt_u32_f32_e32 v3, v3
	v_ashrrev_i32_e32 v1, 31, v1
	v_xor_b32_e32 v5, v5, v1
	v_xor_b32_e32 v3, v3, v1
	v_sub_co_u32_e32 v12, vcc, v5, v1
	v_subb_co_u32_e32 v13, vcc, v3, v1, vcc
.LBB95_1887:
	s_or_b64 exec, exec, s[16:17]
.LBB95_1888:
	s_mov_b64 s[16:17], -1
.LBB95_1889:
	s_mov_b64 s[18:19], 0
.LBB95_1890:
	s_and_b64 vcc, exec, s[18:19]
	s_cbranch_vccz .LBB95_1919
; %bb.1891:
	s_cmp_gt_i32 s23, 22
	s_cbranch_scc0 .LBB95_1901
; %bb.1892:
	s_cmp_lt_i32 s23, 24
	s_cbranch_scc1 .LBB95_1902
; %bb.1893:
	s_cmp_gt_i32 s23, 24
	s_cbranch_scc0 .LBB95_1903
; %bb.1894:
	global_load_ubyte v1, v[20:21], off
	s_movk_i32 s6, 0x7f
	s_mov_b64 s[16:17], 0
	s_waitcnt vmcnt(0)
	v_cmp_lt_i16_e32 vcc, s6, v1
	s_and_saveexec_b64 s[6:7], vcc
	s_xor_b64 s[6:7], exec, s[6:7]
; %bb.1895:
	s_movk_i32 s16, 0x80
	v_cmp_ne_u16_e32 vcc, s16, v1
	s_and_b64 s[16:17], vcc, exec
; %bb.1896:
	s_andn2_saveexec_b64 s[6:7], s[6:7]
; %bb.1897:
	v_cmp_ne_u16_e32 vcc, 0, v1
	s_andn2_b64 s[16:17], s[16:17], exec
	s_and_b64 s[18:19], vcc, exec
	s_or_b64 s[16:17], s[16:17], s[18:19]
; %bb.1898:
	s_or_b64 exec, exec, s[6:7]
	v_mov_b32_e32 v12, 0
	v_mov_b32_e32 v13, 0
	s_and_saveexec_b64 s[6:7], s[16:17]
	s_cbranch_execz .LBB95_1900
; %bb.1899:
	v_lshlrev_b32_e32 v3, 24, v1
	v_and_b32_e32 v1, 0xffff, v1
	v_and_b32_e32 v5, 3, v1
	v_ffbh_u32_e32 v13, v5
	v_min_u32_e32 v13, 32, v13
	v_subrev_u32_e32 v15, 29, v13
	v_bfe_u32 v12, v1, 2, 5
	v_lshlrev_b32_e32 v1, v15, v1
	v_sub_u32_e32 v13, 30, v13
	v_and_b32_e32 v1, 3, v1
	v_cmp_eq_u32_e32 vcc, 0, v12
	v_cndmask_b32_e32 v12, v12, v13, vcc
	v_cndmask_b32_e32 v1, v5, v1, vcc
	v_mov_b32_e32 v5, 0x37800000
	v_lshlrev_b32_e32 v1, 21, v1
	v_and_b32_e32 v3, 0x80000000, v3
	v_lshl_add_u32 v5, v12, 23, v5
	v_or3_b32 v1, v3, v5, v1
	v_trunc_f32_e32 v1, v1
	s_mov_b32 s16, 0x2f800000
	v_mul_f32_e64 v3, |v1|, s16
	v_floor_f32_e32 v3, v3
	s_mov_b32 s16, 0xcf800000
	v_fma_f32 v5, v3, s16, |v1|
	v_cvt_u32_f32_e32 v5, v5
	v_cvt_u32_f32_e32 v3, v3
	v_ashrrev_i32_e32 v1, 31, v1
	v_xor_b32_e32 v5, v5, v1
	v_xor_b32_e32 v3, v3, v1
	v_sub_co_u32_e32 v12, vcc, v5, v1
	v_subb_co_u32_e32 v13, vcc, v3, v1, vcc
.LBB95_1900:
	s_or_b64 exec, exec, s[6:7]
	s_mov_b64 s[6:7], 0
	s_branch .LBB95_1904
.LBB95_1901:
	s_mov_b64 s[6:7], -1
                                        ; implicit-def: $vgpr12_vgpr13
	s_branch .LBB95_1910
.LBB95_1902:
	s_mov_b64 s[6:7], -1
                                        ; implicit-def: $vgpr12_vgpr13
	s_branch .LBB95_1907
.LBB95_1903:
	s_mov_b64 s[6:7], -1
                                        ; implicit-def: $vgpr12_vgpr13
.LBB95_1904:
	s_and_b64 vcc, exec, s[6:7]
	s_cbranch_vccz .LBB95_1906
; %bb.1905:
	global_load_ubyte v1, v[20:21], off
	s_mov_b32 s6, 0x7f800000
	s_brev_b32 s7, 1
	s_mov_b32 s16, 0x2f800000
	s_mov_b32 s17, 0xcf800000
	s_waitcnt vmcnt(0)
	v_lshlrev_b32_e32 v1, 24, v1
	v_and_b32_e32 v3, 0x7f000000, v1
	v_ffbh_u32_e32 v5, v3
	v_min_u32_e32 v5, 32, v5
	v_sub_u32_e64 v5, v5, 4 clamp
	v_lshlrev_b32_e32 v13, v5, v3
	v_lshlrev_b32_e32 v5, 23, v5
	v_lshrrev_b32_e32 v13, 4, v13
	v_add_u32_e32 v12, 0x1000000, v3
	v_sub_u32_e32 v5, v13, v5
	v_ashrrev_i32_e32 v12, 8, v12
	v_add_u32_e32 v5, 0x3c000000, v5
	v_and_or_b32 v5, v12, s6, v5
	v_cmp_ne_u32_e32 vcc, 0, v3
	v_cndmask_b32_e32 v3, 0, v5, vcc
	v_and_or_b32 v1, v1, s7, v3
	v_trunc_f32_e32 v1, v1
	v_mul_f32_e64 v3, |v1|, s16
	v_floor_f32_e32 v3, v3
	v_fma_f32 v5, v3, s17, |v1|
	v_cvt_u32_f32_e32 v5, v5
	v_cvt_u32_f32_e32 v3, v3
	v_ashrrev_i32_e32 v1, 31, v1
	v_xor_b32_e32 v5, v5, v1
	v_xor_b32_e32 v3, v3, v1
	v_sub_co_u32_e32 v12, vcc, v5, v1
	v_subb_co_u32_e32 v13, vcc, v3, v1, vcc
.LBB95_1906:
	s_mov_b64 s[6:7], 0
.LBB95_1907:
	s_andn2_b64 vcc, exec, s[6:7]
	s_cbranch_vccnz .LBB95_1909
; %bb.1908:
	global_load_ubyte v1, v[20:21], off
	s_movk_i32 s6, 0x7f00
	s_brev_b32 s7, 16
	s_brev_b32 s16, 1
	s_mov_b32 s17, 0x2f800000
	s_mov_b32 s18, 0xcf800000
	s_waitcnt vmcnt(0)
	v_lshlrev_b16_e32 v3, 8, v1
	v_lshlrev_b32_e32 v1, 25, v1
	v_lshrrev_b32_e32 v5, 4, v1
	v_and_or_b32 v12, v3, s6, 0.5
	v_or_b32_e32 v5, 0x70000000, v5
	v_add_f32_e32 v12, -0.5, v12
	v_mul_f32_e32 v5, 0x7800000, v5
	v_cmp_gt_u32_e32 vcc, s7, v1
	v_bfe_i32 v3, v3, 0, 16
	v_cndmask_b32_e32 v1, v5, v12, vcc
	v_and_or_b32 v1, v3, s16, v1
	v_trunc_f32_e32 v1, v1
	v_mul_f32_e64 v3, |v1|, s17
	v_floor_f32_e32 v3, v3
	v_fma_f32 v5, v3, s18, |v1|
	v_cvt_u32_f32_e32 v5, v5
	v_cvt_u32_f32_e32 v3, v3
	v_ashrrev_i32_e32 v1, 31, v1
	v_xor_b32_e32 v5, v5, v1
	v_xor_b32_e32 v3, v3, v1
	v_sub_co_u32_e32 v12, vcc, v5, v1
	v_subb_co_u32_e32 v13, vcc, v3, v1, vcc
.LBB95_1909:
	s_mov_b64 s[6:7], 0
	s_mov_b64 s[16:17], -1
.LBB95_1910:
	s_andn2_b64 vcc, exec, s[6:7]
	s_mov_b64 s[6:7], 0
	s_cbranch_vccnz .LBB95_1919
; %bb.1911:
	s_cmp_gt_i32 s23, 14
	s_cbranch_scc0 .LBB95_1914
; %bb.1912:
	s_cmp_eq_u32 s23, 15
	s_cbranch_scc0 .LBB95_1915
; %bb.1913:
	global_load_ushort v1, v[20:21], off
	s_mov_b32 s2, 0x2f800000
	s_mov_b32 s3, 0xcf800000
	s_mov_b64 s[16:17], -1
	s_waitcnt vmcnt(0)
	v_lshlrev_b32_e32 v1, 16, v1
	v_trunc_f32_e32 v1, v1
	v_mul_f32_e64 v3, |v1|, s2
	v_floor_f32_e32 v3, v3
	v_fma_f32 v5, v3, s3, |v1|
	v_cvt_u32_f32_e32 v5, v5
	v_cvt_u32_f32_e32 v3, v3
	v_ashrrev_i32_e32 v1, 31, v1
	s_mov_b64 s[2:3], 0
	v_xor_b32_e32 v5, v5, v1
	v_xor_b32_e32 v3, v3, v1
	v_sub_co_u32_e32 v12, vcc, v5, v1
	v_subb_co_u32_e32 v13, vcc, v3, v1, vcc
	s_branch .LBB95_1916
.LBB95_1914:
	s_mov_b64 s[18:19], -1
                                        ; implicit-def: $vgpr12_vgpr13
	s_branch .LBB95_1917
.LBB95_1915:
	s_mov_b64 s[2:3], -1
                                        ; implicit-def: $vgpr12_vgpr13
.LBB95_1916:
	s_mov_b64 s[18:19], 0
.LBB95_1917:
	s_and_b64 vcc, exec, s[18:19]
	s_cbranch_vccz .LBB95_1919
; %bb.1918:
	s_cmp_lg_u32 s23, 11
	s_mov_b64 s[6:7], -1
	s_cselect_b64 s[2:3], -1, 0
.LBB95_1919:
	s_and_b64 vcc, exec, s[2:3]
	s_cbranch_vccnz .LBB95_1982
; %bb.1920:
	s_andn2_b64 vcc, exec, s[6:7]
	s_cbranch_vccnz .LBB95_1922
.LBB95_1921:
	global_load_ubyte v1, v[20:21], off
	s_mov_b32 s2, 0
	s_waitcnt vmcnt(1)
	v_mov_b32_e32 v13, s2
	s_mov_b64 s[16:17], -1
	s_waitcnt vmcnt(0)
	v_cmp_ne_u16_e32 vcc, 0, v1
	v_cndmask_b32_e64 v12, 0, 1, vcc
.LBB95_1922:
	s_branch .LBB95_1854
.LBB95_1923:
	s_and_b32 s6, 0xffff, s22
	s_cmp_lt_i32 s6, 5
	s_cbranch_scc1 .LBB95_1928
; %bb.1924:
	s_cmp_lt_i32 s6, 8
	s_cbranch_scc1 .LBB95_1929
; %bb.1925:
	;; [unrolled: 3-line block ×3, first 2 shown]
	s_cmp_gt_i32 s6, 9
	s_cbranch_scc0 .LBB95_1931
; %bb.1927:
	global_load_dwordx2 v[12:13], v[20:21], off
	s_movk_i32 s2, 0xffe0
	s_waitcnt vmcnt(0)
	v_trunc_f64_e32 v[12:13], v[12:13]
	v_ldexp_f64 v[22:23], v[12:13], s2
	s_mov_b32 s2, 0
	s_mov_b32 s3, 0xc1f00000
	v_floor_f64_e32 v[22:23], v[22:23]
	v_fma_f64 v[24:25], v[22:23], s[2:3], v[12:13]
	v_cvt_i32_f64_e32 v13, v[22:23]
	s_mov_b64 s[2:3], 0
	v_cvt_u32_f64_e32 v12, v[24:25]
	s_branch .LBB95_1932
.LBB95_1928:
	s_mov_b64 s[2:3], -1
                                        ; implicit-def: $vgpr12_vgpr13
	s_branch .LBB95_1950
.LBB95_1929:
	s_mov_b64 s[2:3], -1
                                        ; implicit-def: $vgpr12_vgpr13
	s_branch .LBB95_1938
.LBB95_1930:
	s_mov_b64 s[2:3], -1
                                        ; implicit-def: $vgpr12_vgpr13
	s_branch .LBB95_1935
.LBB95_1931:
	s_mov_b64 s[2:3], -1
                                        ; implicit-def: $vgpr12_vgpr13
.LBB95_1932:
	s_andn2_b64 vcc, exec, s[2:3]
	s_cbranch_vccnz .LBB95_1934
; %bb.1933:
	global_load_dword v1, v[20:21], off
	s_mov_b32 s2, 0x2f800000
	s_mov_b32 s3, 0xcf800000
	s_waitcnt vmcnt(0)
	v_trunc_f32_e32 v1, v1
	v_mul_f32_e64 v3, |v1|, s2
	v_floor_f32_e32 v3, v3
	v_cvt_u32_f32_e32 v5, v3
	v_fma_f32 v3, v3, s3, |v1|
	v_cvt_u32_f32_e32 v3, v3
	v_ashrrev_i32_e32 v1, 31, v1
	v_xor_b32_e32 v5, v5, v1
	v_xor_b32_e32 v3, v3, v1
	v_sub_co_u32_e32 v12, vcc, v3, v1
	v_subb_co_u32_e32 v13, vcc, v5, v1, vcc
.LBB95_1934:
	s_mov_b64 s[2:3], 0
.LBB95_1935:
	s_andn2_b64 vcc, exec, s[2:3]
	s_cbranch_vccnz .LBB95_1937
; %bb.1936:
	global_load_dword v1, v[20:21], off
	s_waitcnt vmcnt(0)
	v_cvt_f32_f16_e32 v1, v1
	v_cvt_i32_f32_e32 v12, v1
	v_ashrrev_i32_e32 v13, 31, v12
.LBB95_1937:
	s_mov_b64 s[2:3], 0
.LBB95_1938:
	s_andn2_b64 vcc, exec, s[2:3]
	s_cbranch_vccnz .LBB95_1949
; %bb.1939:
	s_cmp_lt_i32 s6, 6
	s_cbranch_scc1 .LBB95_1942
; %bb.1940:
	s_cmp_gt_i32 s6, 6
	s_cbranch_scc0 .LBB95_1943
; %bb.1941:
	global_load_dwordx2 v[12:13], v[20:21], off
	s_movk_i32 s2, 0xffe0
	s_waitcnt vmcnt(0)
	v_trunc_f64_e32 v[12:13], v[12:13]
	v_ldexp_f64 v[22:23], v[12:13], s2
	s_mov_b32 s2, 0
	s_mov_b32 s3, 0xc1f00000
	v_floor_f64_e32 v[22:23], v[22:23]
	v_fma_f64 v[24:25], v[22:23], s[2:3], v[12:13]
	v_cvt_i32_f64_e32 v13, v[22:23]
	s_mov_b64 s[2:3], 0
	v_cvt_u32_f64_e32 v12, v[24:25]
	s_branch .LBB95_1944
.LBB95_1942:
	s_mov_b64 s[2:3], -1
                                        ; implicit-def: $vgpr12_vgpr13
	s_branch .LBB95_1947
.LBB95_1943:
	s_mov_b64 s[2:3], -1
                                        ; implicit-def: $vgpr12_vgpr13
.LBB95_1944:
	s_andn2_b64 vcc, exec, s[2:3]
	s_cbranch_vccnz .LBB95_1946
; %bb.1945:
	global_load_dword v1, v[20:21], off
	s_mov_b32 s2, 0x2f800000
	s_mov_b32 s3, 0xcf800000
	s_waitcnt vmcnt(0)
	v_trunc_f32_e32 v1, v1
	v_mul_f32_e64 v3, |v1|, s2
	v_floor_f32_e32 v3, v3
	v_cvt_u32_f32_e32 v5, v3
	v_fma_f32 v3, v3, s3, |v1|
	v_cvt_u32_f32_e32 v3, v3
	v_ashrrev_i32_e32 v1, 31, v1
	v_xor_b32_e32 v5, v5, v1
	v_xor_b32_e32 v3, v3, v1
	v_sub_co_u32_e32 v12, vcc, v3, v1
	v_subb_co_u32_e32 v13, vcc, v5, v1, vcc
.LBB95_1946:
	s_mov_b64 s[2:3], 0
.LBB95_1947:
	s_andn2_b64 vcc, exec, s[2:3]
	s_cbranch_vccnz .LBB95_1949
; %bb.1948:
	global_load_ushort v1, v[20:21], off
	s_waitcnt vmcnt(0)
	v_cvt_f32_f16_e32 v1, v1
	v_cvt_i32_f32_e32 v12, v1
	v_ashrrev_i32_e32 v13, 31, v12
.LBB95_1949:
	s_mov_b64 s[2:3], 0
.LBB95_1950:
	s_andn2_b64 vcc, exec, s[2:3]
	s_cbranch_vccnz .LBB95_1970
; %bb.1951:
	s_cmp_lt_i32 s6, 2
	s_cbranch_scc1 .LBB95_1955
; %bb.1952:
	s_cmp_lt_i32 s6, 3
	s_cbranch_scc1 .LBB95_1956
; %bb.1953:
	s_cmp_gt_i32 s6, 3
	s_cbranch_scc0 .LBB95_1957
; %bb.1954:
	global_load_dwordx2 v[12:13], v[20:21], off
	s_mov_b64 s[2:3], 0
	s_branch .LBB95_1958
.LBB95_1955:
	s_mov_b64 s[2:3], -1
                                        ; implicit-def: $vgpr12_vgpr13
	s_branch .LBB95_1964
.LBB95_1956:
	s_mov_b64 s[2:3], -1
                                        ; implicit-def: $vgpr12_vgpr13
	s_branch .LBB95_1961
.LBB95_1957:
	s_mov_b64 s[2:3], -1
                                        ; implicit-def: $vgpr12_vgpr13
.LBB95_1958:
	s_andn2_b64 vcc, exec, s[2:3]
	s_cbranch_vccnz .LBB95_1960
; %bb.1959:
	global_load_dword v12, v[20:21], off
	s_waitcnt vmcnt(0)
	v_ashrrev_i32_e32 v13, 31, v12
.LBB95_1960:
	s_mov_b64 s[2:3], 0
.LBB95_1961:
	s_andn2_b64 vcc, exec, s[2:3]
	s_cbranch_vccnz .LBB95_1963
; %bb.1962:
	global_load_ushort v1, v[20:21], off
	s_waitcnt vmcnt(0)
	v_bfe_i32 v12, v1, 0, 16
	v_ashrrev_i32_e32 v13, 31, v12
.LBB95_1963:
	s_mov_b64 s[2:3], 0
.LBB95_1964:
	s_andn2_b64 vcc, exec, s[2:3]
	s_cbranch_vccnz .LBB95_1970
; %bb.1965:
	s_cmp_gt_i32 s6, 0
	s_cbranch_scc0 .LBB95_1967
; %bb.1966:
	global_load_sbyte v1, v[20:21], off
	s_mov_b64 s[2:3], 0
	s_waitcnt vmcnt(0)
	v_bfe_i32 v12, v1, 0, 16
	v_ashrrev_i32_e32 v13, 31, v12
	s_branch .LBB95_1968
.LBB95_1967:
	s_mov_b64 s[2:3], -1
                                        ; implicit-def: $vgpr12_vgpr13
.LBB95_1968:
	s_andn2_b64 vcc, exec, s[2:3]
	s_cbranch_vccnz .LBB95_1970
; %bb.1969:
	global_load_ubyte v1, v[20:21], off
	s_mov_b32 s2, 0
	s_waitcnt vmcnt(1)
	v_mov_b32_e32 v13, s2
	s_waitcnt vmcnt(0)
	v_and_b32_e32 v12, 0xffff, v1
.LBB95_1970:
.LBB95_1971:
	v_mov_b32_e32 v1, s1
	s_and_b32 s21, 0xffff, s21
	v_add_co_u32_e32 v20, vcc, s0, v16
	s_cmp_lt_i32 s21, 11
	v_addc_co_u32_e32 v21, vcc, 0, v1, vcc
	s_cbranch_scc1 .LBB95_1978
; %bb.1972:
	s_cmp_gt_i32 s21, 25
	s_mov_b64 s[6:7], 0
	s_cbranch_scc0 .LBB95_1979
; %bb.1973:
	s_cmp_gt_i32 s21, 28
	s_cbranch_scc0 .LBB95_1980
; %bb.1974:
	s_cmp_gt_i32 s21, 43
	;; [unrolled: 3-line block ×3, first 2 shown]
	s_cbranch_scc0 .LBB95_1983
; %bb.1976:
	s_cmp_eq_u32 s21, 46
	s_mov_b64 s[18:19], 0
	s_cbranch_scc0 .LBB95_1984
; %bb.1977:
	global_load_dword v1, v[20:21], off
	s_mov_b32 s2, 0x2f800000
	s_mov_b32 s3, 0xcf800000
	s_mov_b64 s[16:17], -1
	s_waitcnt vmcnt(0)
	v_lshlrev_b32_e32 v1, 16, v1
	v_trunc_f32_e32 v1, v1
	v_mul_f32_e64 v3, |v1|, s2
	v_floor_f32_e32 v3, v3
	v_fma_f32 v5, v3, s3, |v1|
	v_cvt_u32_f32_e32 v5, v5
	v_cvt_u32_f32_e32 v3, v3
	v_ashrrev_i32_e32 v1, 31, v1
	s_mov_b64 s[2:3], 0
	v_xor_b32_e32 v5, v5, v1
	v_xor_b32_e32 v3, v3, v1
	v_sub_co_u32_e32 v15, vcc, v5, v1
	v_subb_co_u32_e32 v16, vcc, v3, v1, vcc
	s_branch .LBB95_1985
.LBB95_1978:
	s_mov_b64 s[2:3], -1
	s_mov_b64 s[16:17], 0
                                        ; implicit-def: $vgpr15_vgpr16
	s_branch .LBB95_2047
.LBB95_1979:
	s_mov_b64 s[18:19], -1
	s_mov_b64 s[16:17], 0
	s_mov_b64 s[2:3], 0
                                        ; implicit-def: $vgpr15_vgpr16
	s_branch .LBB95_2014
.LBB95_1980:
	s_mov_b64 s[18:19], -1
	s_mov_b64 s[16:17], 0
	s_mov_b64 s[2:3], 0
                                        ; implicit-def: $vgpr15_vgpr16
	s_branch .LBB95_1995
.LBB95_1981:
	s_mov_b64 s[18:19], -1
	s_mov_b64 s[16:17], 0
	s_mov_b64 s[2:3], 0
                                        ; implicit-def: $vgpr15_vgpr16
	s_branch .LBB95_1990
.LBB95_1982:
	s_trap 2
	s_or_b64 s[4:5], s[4:5], exec
	s_cbranch_execz .LBB95_1921
	s_branch .LBB95_1922
.LBB95_1983:
	s_mov_b64 s[18:19], -1
	s_mov_b64 s[16:17], 0
	s_mov_b64 s[2:3], 0
                                        ; implicit-def: $vgpr15_vgpr16
	s_branch .LBB95_1985
.LBB95_1984:
	s_mov_b64 s[2:3], -1
                                        ; implicit-def: $vgpr15_vgpr16
	s_mov_b64 s[16:17], 0
.LBB95_1985:
	s_and_b64 vcc, exec, s[18:19]
	s_cbranch_vccz .LBB95_1989
; %bb.1986:
	s_cmp_eq_u32 s21, 44
	s_cbranch_scc0 .LBB95_1988
; %bb.1987:
	global_load_ubyte v1, v[20:21], off
	s_mov_b32 s2, 0x2f800000
	s_mov_b32 s3, 0xcf800000
	s_mov_b64 s[16:17], -1
	s_waitcnt vmcnt(0)
	v_lshlrev_b32_e32 v3, 23, v1
	v_trunc_f32_e32 v3, v3
	v_mul_f32_e64 v5, |v3|, s2
	v_floor_f32_e32 v5, v5
	v_fma_f32 v15, v5, s3, |v3|
	v_cvt_u32_f32_e32 v15, v15
	v_cvt_u32_f32_e32 v5, v5
	v_ashrrev_i32_e32 v3, 31, v3
	s_mov_b64 s[2:3], 0
	v_xor_b32_e32 v15, v15, v3
	v_xor_b32_e32 v5, v5, v3
	v_sub_co_u32_e32 v15, vcc, v15, v3
	v_subb_co_u32_e32 v3, vcc, v5, v3, vcc
	v_cmp_ne_u32_e32 vcc, 0, v1
	v_cndmask_b32_e32 v16, 0, v3, vcc
	v_cndmask_b32_e32 v15, 0, v15, vcc
	s_branch .LBB95_1989
.LBB95_1988:
	s_mov_b64 s[2:3], -1
                                        ; implicit-def: $vgpr15_vgpr16
.LBB95_1989:
	s_mov_b64 s[18:19], 0
.LBB95_1990:
	s_and_b64 vcc, exec, s[18:19]
	s_cbranch_vccz .LBB95_1994
; %bb.1991:
	s_cmp_eq_u32 s21, 29
	s_cbranch_scc0 .LBB95_1993
; %bb.1992:
	global_load_dwordx2 v[15:16], v[20:21], off
	s_mov_b64 s[2:3], 0
	s_mov_b64 s[16:17], -1
	s_branch .LBB95_1994
.LBB95_1993:
	s_mov_b64 s[2:3], -1
                                        ; implicit-def: $vgpr15_vgpr16
.LBB95_1994:
	s_mov_b64 s[18:19], 0
.LBB95_1995:
	s_and_b64 vcc, exec, s[18:19]
	s_cbranch_vccz .LBB95_2013
; %bb.1996:
	s_cmp_lt_i32 s21, 27
	s_cbranch_scc1 .LBB95_1999
; %bb.1997:
	s_cmp_gt_i32 s21, 27
	s_cbranch_scc0 .LBB95_2000
; %bb.1998:
	global_load_dword v15, v[20:21], off
	s_waitcnt vmcnt(1)
	v_mov_b32_e32 v16, 0
	s_mov_b64 s[16:17], 0
	s_branch .LBB95_2001
.LBB95_1999:
	s_mov_b64 s[16:17], -1
                                        ; implicit-def: $vgpr15_vgpr16
	s_branch .LBB95_2004
.LBB95_2000:
	s_mov_b64 s[16:17], -1
                                        ; implicit-def: $vgpr15_vgpr16
.LBB95_2001:
	s_andn2_b64 vcc, exec, s[16:17]
	s_cbranch_vccnz .LBB95_2003
; %bb.2002:
	global_load_ushort v1, v[20:21], off
	s_mov_b32 s16, 0
	s_waitcnt vmcnt(1)
	v_mov_b32_e32 v16, s16
	s_waitcnt vmcnt(0)
	v_and_b32_e32 v15, 0xffff, v1
.LBB95_2003:
	s_mov_b64 s[16:17], 0
.LBB95_2004:
	s_andn2_b64 vcc, exec, s[16:17]
	s_cbranch_vccnz .LBB95_2012
; %bb.2005:
	global_load_ubyte v1, v[20:21], off
	s_movk_i32 s16, 0x7f
	s_mov_b64 s[18:19], 0
	s_waitcnt vmcnt(0)
	v_cmp_lt_i16_e32 vcc, s16, v1
	s_and_saveexec_b64 s[16:17], vcc
	s_xor_b64 s[16:17], exec, s[16:17]
; %bb.2006:
	s_movk_i32 s18, 0x80
	v_cmp_ne_u16_e32 vcc, s18, v1
	s_and_b64 s[18:19], vcc, exec
; %bb.2007:
	s_andn2_saveexec_b64 s[16:17], s[16:17]
; %bb.2008:
	v_cmp_ne_u16_e32 vcc, 0, v1
	s_andn2_b64 s[18:19], s[18:19], exec
	s_and_b64 s[24:25], vcc, exec
	s_or_b64 s[18:19], s[18:19], s[24:25]
; %bb.2009:
	s_or_b64 exec, exec, s[16:17]
	v_mov_b32_e32 v15, 0
	v_mov_b32_e32 v16, 0
	s_and_saveexec_b64 s[16:17], s[18:19]
	s_cbranch_execz .LBB95_2011
; %bb.2010:
	v_lshlrev_b32_e32 v3, 24, v1
	v_and_b32_e32 v1, 0xffff, v1
	v_and_b32_e32 v5, 7, v1
	v_ffbh_u32_e32 v16, v5
	v_min_u32_e32 v16, 32, v16
	v_subrev_u32_e32 v18, 28, v16
	v_bfe_u32 v15, v1, 3, 4
	v_lshlrev_b32_e32 v1, v18, v1
	v_sub_u32_e32 v16, 29, v16
	v_and_b32_e32 v1, 7, v1
	v_cmp_eq_u32_e32 vcc, 0, v15
	v_cndmask_b32_e32 v15, v15, v16, vcc
	v_cndmask_b32_e32 v1, v5, v1, vcc
	v_mov_b32_e32 v5, 0x3b800000
	v_lshlrev_b32_e32 v1, 20, v1
	v_and_b32_e32 v3, 0x80000000, v3
	v_lshl_add_u32 v5, v15, 23, v5
	v_or3_b32 v1, v3, v5, v1
	v_trunc_f32_e32 v1, v1
	s_mov_b32 s18, 0x2f800000
	v_mul_f32_e64 v3, |v1|, s18
	v_floor_f32_e32 v3, v3
	s_mov_b32 s18, 0xcf800000
	v_fma_f32 v5, v3, s18, |v1|
	v_cvt_u32_f32_e32 v5, v5
	v_cvt_u32_f32_e32 v3, v3
	v_ashrrev_i32_e32 v1, 31, v1
	v_xor_b32_e32 v5, v5, v1
	v_xor_b32_e32 v3, v3, v1
	v_sub_co_u32_e32 v15, vcc, v5, v1
	v_subb_co_u32_e32 v16, vcc, v3, v1, vcc
.LBB95_2011:
	s_or_b64 exec, exec, s[16:17]
.LBB95_2012:
	s_mov_b64 s[16:17], -1
.LBB95_2013:
	s_mov_b64 s[18:19], 0
.LBB95_2014:
	s_and_b64 vcc, exec, s[18:19]
	s_cbranch_vccz .LBB95_2043
; %bb.2015:
	s_cmp_gt_i32 s21, 22
	s_cbranch_scc0 .LBB95_2025
; %bb.2016:
	s_cmp_lt_i32 s21, 24
	s_cbranch_scc1 .LBB95_2026
; %bb.2017:
	s_cmp_gt_i32 s21, 24
	s_cbranch_scc0 .LBB95_2027
; %bb.2018:
	global_load_ubyte v1, v[20:21], off
	s_movk_i32 s6, 0x7f
	s_mov_b64 s[16:17], 0
	s_waitcnt vmcnt(0)
	v_cmp_lt_i16_e32 vcc, s6, v1
	s_and_saveexec_b64 s[6:7], vcc
	s_xor_b64 s[6:7], exec, s[6:7]
; %bb.2019:
	s_movk_i32 s16, 0x80
	v_cmp_ne_u16_e32 vcc, s16, v1
	s_and_b64 s[16:17], vcc, exec
; %bb.2020:
	s_andn2_saveexec_b64 s[6:7], s[6:7]
; %bb.2021:
	v_cmp_ne_u16_e32 vcc, 0, v1
	s_andn2_b64 s[16:17], s[16:17], exec
	s_and_b64 s[18:19], vcc, exec
	s_or_b64 s[16:17], s[16:17], s[18:19]
; %bb.2022:
	s_or_b64 exec, exec, s[6:7]
	v_mov_b32_e32 v15, 0
	v_mov_b32_e32 v16, 0
	s_and_saveexec_b64 s[6:7], s[16:17]
	s_cbranch_execz .LBB95_2024
; %bb.2023:
	v_lshlrev_b32_e32 v3, 24, v1
	v_and_b32_e32 v1, 0xffff, v1
	v_and_b32_e32 v5, 3, v1
	v_ffbh_u32_e32 v16, v5
	v_min_u32_e32 v16, 32, v16
	v_subrev_u32_e32 v18, 29, v16
	v_bfe_u32 v15, v1, 2, 5
	v_lshlrev_b32_e32 v1, v18, v1
	v_sub_u32_e32 v16, 30, v16
	v_and_b32_e32 v1, 3, v1
	v_cmp_eq_u32_e32 vcc, 0, v15
	v_cndmask_b32_e32 v15, v15, v16, vcc
	v_cndmask_b32_e32 v1, v5, v1, vcc
	v_mov_b32_e32 v5, 0x37800000
	v_lshlrev_b32_e32 v1, 21, v1
	v_and_b32_e32 v3, 0x80000000, v3
	v_lshl_add_u32 v5, v15, 23, v5
	v_or3_b32 v1, v3, v5, v1
	v_trunc_f32_e32 v1, v1
	s_mov_b32 s16, 0x2f800000
	v_mul_f32_e64 v3, |v1|, s16
	v_floor_f32_e32 v3, v3
	s_mov_b32 s16, 0xcf800000
	v_fma_f32 v5, v3, s16, |v1|
	v_cvt_u32_f32_e32 v5, v5
	v_cvt_u32_f32_e32 v3, v3
	v_ashrrev_i32_e32 v1, 31, v1
	v_xor_b32_e32 v5, v5, v1
	v_xor_b32_e32 v3, v3, v1
	v_sub_co_u32_e32 v15, vcc, v5, v1
	v_subb_co_u32_e32 v16, vcc, v3, v1, vcc
.LBB95_2024:
	s_or_b64 exec, exec, s[6:7]
	s_mov_b64 s[6:7], 0
	s_branch .LBB95_2028
.LBB95_2025:
	s_mov_b64 s[6:7], -1
                                        ; implicit-def: $vgpr15_vgpr16
	s_branch .LBB95_2034
.LBB95_2026:
	s_mov_b64 s[6:7], -1
                                        ; implicit-def: $vgpr15_vgpr16
	s_branch .LBB95_2031
.LBB95_2027:
	s_mov_b64 s[6:7], -1
                                        ; implicit-def: $vgpr15_vgpr16
.LBB95_2028:
	s_and_b64 vcc, exec, s[6:7]
	s_cbranch_vccz .LBB95_2030
; %bb.2029:
	global_load_ubyte v1, v[20:21], off
	s_mov_b32 s6, 0x7f800000
	s_brev_b32 s7, 1
	s_mov_b32 s16, 0x2f800000
	s_mov_b32 s17, 0xcf800000
	s_waitcnt vmcnt(0)
	v_lshlrev_b32_e32 v1, 24, v1
	v_and_b32_e32 v3, 0x7f000000, v1
	v_ffbh_u32_e32 v5, v3
	v_min_u32_e32 v5, 32, v5
	v_sub_u32_e64 v5, v5, 4 clamp
	v_lshlrev_b32_e32 v16, v5, v3
	v_lshlrev_b32_e32 v5, 23, v5
	v_lshrrev_b32_e32 v16, 4, v16
	v_add_u32_e32 v15, 0x1000000, v3
	v_sub_u32_e32 v5, v16, v5
	v_ashrrev_i32_e32 v15, 8, v15
	v_add_u32_e32 v5, 0x3c000000, v5
	v_and_or_b32 v5, v15, s6, v5
	v_cmp_ne_u32_e32 vcc, 0, v3
	v_cndmask_b32_e32 v3, 0, v5, vcc
	v_and_or_b32 v1, v1, s7, v3
	v_trunc_f32_e32 v1, v1
	v_mul_f32_e64 v3, |v1|, s16
	v_floor_f32_e32 v3, v3
	v_fma_f32 v5, v3, s17, |v1|
	v_cvt_u32_f32_e32 v5, v5
	v_cvt_u32_f32_e32 v3, v3
	v_ashrrev_i32_e32 v1, 31, v1
	v_xor_b32_e32 v5, v5, v1
	v_xor_b32_e32 v3, v3, v1
	v_sub_co_u32_e32 v15, vcc, v5, v1
	v_subb_co_u32_e32 v16, vcc, v3, v1, vcc
.LBB95_2030:
	s_mov_b64 s[6:7], 0
.LBB95_2031:
	s_andn2_b64 vcc, exec, s[6:7]
	s_cbranch_vccnz .LBB95_2033
; %bb.2032:
	global_load_ubyte v1, v[20:21], off
	s_movk_i32 s6, 0x7f00
	s_brev_b32 s7, 16
	s_brev_b32 s16, 1
	s_mov_b32 s17, 0x2f800000
	s_mov_b32 s18, 0xcf800000
	s_waitcnt vmcnt(0)
	v_lshlrev_b16_e32 v3, 8, v1
	v_lshlrev_b32_e32 v1, 25, v1
	v_lshrrev_b32_e32 v5, 4, v1
	v_and_or_b32 v15, v3, s6, 0.5
	v_or_b32_e32 v5, 0x70000000, v5
	v_add_f32_e32 v15, -0.5, v15
	v_mul_f32_e32 v5, 0x7800000, v5
	v_cmp_gt_u32_e32 vcc, s7, v1
	v_bfe_i32 v3, v3, 0, 16
	v_cndmask_b32_e32 v1, v5, v15, vcc
	v_and_or_b32 v1, v3, s16, v1
	v_trunc_f32_e32 v1, v1
	v_mul_f32_e64 v3, |v1|, s17
	v_floor_f32_e32 v3, v3
	v_fma_f32 v5, v3, s18, |v1|
	v_cvt_u32_f32_e32 v5, v5
	v_cvt_u32_f32_e32 v3, v3
	v_ashrrev_i32_e32 v1, 31, v1
	v_xor_b32_e32 v5, v5, v1
	v_xor_b32_e32 v3, v3, v1
	v_sub_co_u32_e32 v15, vcc, v5, v1
	v_subb_co_u32_e32 v16, vcc, v3, v1, vcc
.LBB95_2033:
	s_mov_b64 s[6:7], 0
	s_mov_b64 s[16:17], -1
.LBB95_2034:
	s_andn2_b64 vcc, exec, s[6:7]
	s_mov_b64 s[6:7], 0
	s_cbranch_vccnz .LBB95_2043
; %bb.2035:
	s_cmp_gt_i32 s21, 14
	s_cbranch_scc0 .LBB95_2038
; %bb.2036:
	s_cmp_eq_u32 s21, 15
	s_cbranch_scc0 .LBB95_2039
; %bb.2037:
	global_load_ushort v1, v[20:21], off
	s_mov_b32 s2, 0x2f800000
	s_mov_b32 s3, 0xcf800000
	s_mov_b64 s[16:17], -1
	s_waitcnt vmcnt(0)
	v_lshlrev_b32_e32 v1, 16, v1
	v_trunc_f32_e32 v1, v1
	v_mul_f32_e64 v3, |v1|, s2
	v_floor_f32_e32 v3, v3
	v_fma_f32 v5, v3, s3, |v1|
	v_cvt_u32_f32_e32 v5, v5
	v_cvt_u32_f32_e32 v3, v3
	v_ashrrev_i32_e32 v1, 31, v1
	s_mov_b64 s[2:3], 0
	v_xor_b32_e32 v5, v5, v1
	v_xor_b32_e32 v3, v3, v1
	v_sub_co_u32_e32 v15, vcc, v5, v1
	v_subb_co_u32_e32 v16, vcc, v3, v1, vcc
	s_branch .LBB95_2040
.LBB95_2038:
	s_mov_b64 s[18:19], -1
                                        ; implicit-def: $vgpr15_vgpr16
	s_branch .LBB95_2041
.LBB95_2039:
	s_mov_b64 s[2:3], -1
                                        ; implicit-def: $vgpr15_vgpr16
.LBB95_2040:
	s_mov_b64 s[18:19], 0
.LBB95_2041:
	s_and_b64 vcc, exec, s[18:19]
	s_cbranch_vccz .LBB95_2043
; %bb.2042:
	s_cmp_lg_u32 s21, 11
	s_mov_b64 s[6:7], -1
	s_cselect_b64 s[2:3], -1, 0
.LBB95_2043:
	s_and_b64 vcc, exec, s[2:3]
	s_cbranch_vccnz .LBB95_2108
; %bb.2044:
	s_andn2_b64 vcc, exec, s[6:7]
	s_cbranch_vccnz .LBB95_2046
.LBB95_2045:
	global_load_ubyte v1, v[20:21], off
	s_mov_b32 s2, 0
	s_waitcnt vmcnt(1)
	v_mov_b32_e32 v16, s2
	s_mov_b64 s[16:17], -1
	s_waitcnt vmcnt(0)
	v_cmp_ne_u16_e32 vcc, 0, v1
	v_cndmask_b32_e64 v15, 0, 1, vcc
.LBB95_2046:
	s_mov_b64 s[2:3], 0
.LBB95_2047:
	s_and_b64 vcc, exec, s[2:3]
	s_cbranch_vccz .LBB95_2096
; %bb.2048:
	s_cmp_lt_i32 s21, 5
	s_cbranch_scc1 .LBB95_2053
; %bb.2049:
	s_cmp_lt_i32 s21, 8
	s_cbranch_scc1 .LBB95_2054
	;; [unrolled: 3-line block ×3, first 2 shown]
; %bb.2051:
	s_cmp_gt_i32 s21, 9
	s_cbranch_scc0 .LBB95_2056
; %bb.2052:
	global_load_dwordx2 v[15:16], v[20:21], off
	s_movk_i32 s2, 0xffe0
	s_waitcnt vmcnt(0)
	v_trunc_f64_e32 v[15:16], v[15:16]
	v_ldexp_f64 v[22:23], v[15:16], s2
	s_mov_b32 s2, 0
	s_mov_b32 s3, 0xc1f00000
	v_floor_f64_e32 v[22:23], v[22:23]
	v_fma_f64 v[24:25], v[22:23], s[2:3], v[15:16]
	v_cvt_i32_f64_e32 v16, v[22:23]
	s_mov_b64 s[2:3], 0
	v_cvt_u32_f64_e32 v15, v[24:25]
	s_branch .LBB95_2057
.LBB95_2053:
	s_mov_b64 s[2:3], -1
                                        ; implicit-def: $vgpr15_vgpr16
	s_branch .LBB95_2075
.LBB95_2054:
	s_mov_b64 s[2:3], -1
                                        ; implicit-def: $vgpr15_vgpr16
	s_branch .LBB95_2063
.LBB95_2055:
	s_mov_b64 s[2:3], -1
                                        ; implicit-def: $vgpr15_vgpr16
	s_branch .LBB95_2060
.LBB95_2056:
	s_mov_b64 s[2:3], -1
                                        ; implicit-def: $vgpr15_vgpr16
.LBB95_2057:
	s_andn2_b64 vcc, exec, s[2:3]
	s_cbranch_vccnz .LBB95_2059
; %bb.2058:
	global_load_dword v1, v[20:21], off
	s_mov_b32 s2, 0x2f800000
	s_mov_b32 s3, 0xcf800000
	s_waitcnt vmcnt(0)
	v_trunc_f32_e32 v1, v1
	v_mul_f32_e64 v3, |v1|, s2
	v_floor_f32_e32 v3, v3
	v_cvt_u32_f32_e32 v5, v3
	v_fma_f32 v3, v3, s3, |v1|
	v_cvt_u32_f32_e32 v3, v3
	v_ashrrev_i32_e32 v1, 31, v1
	v_xor_b32_e32 v5, v5, v1
	v_xor_b32_e32 v3, v3, v1
	v_sub_co_u32_e32 v15, vcc, v3, v1
	v_subb_co_u32_e32 v16, vcc, v5, v1, vcc
.LBB95_2059:
	s_mov_b64 s[2:3], 0
.LBB95_2060:
	s_andn2_b64 vcc, exec, s[2:3]
	s_cbranch_vccnz .LBB95_2062
; %bb.2061:
	global_load_dword v1, v[20:21], off
	s_waitcnt vmcnt(0)
	v_cvt_f32_f16_e32 v1, v1
	v_cvt_i32_f32_e32 v15, v1
	v_ashrrev_i32_e32 v16, 31, v15
.LBB95_2062:
	s_mov_b64 s[2:3], 0
.LBB95_2063:
	s_andn2_b64 vcc, exec, s[2:3]
	s_cbranch_vccnz .LBB95_2074
; %bb.2064:
	s_cmp_lt_i32 s21, 6
	s_cbranch_scc1 .LBB95_2067
; %bb.2065:
	s_cmp_gt_i32 s21, 6
	s_cbranch_scc0 .LBB95_2068
; %bb.2066:
	global_load_dwordx2 v[15:16], v[20:21], off
	s_movk_i32 s2, 0xffe0
	s_waitcnt vmcnt(0)
	v_trunc_f64_e32 v[15:16], v[15:16]
	v_ldexp_f64 v[22:23], v[15:16], s2
	s_mov_b32 s2, 0
	s_mov_b32 s3, 0xc1f00000
	v_floor_f64_e32 v[22:23], v[22:23]
	v_fma_f64 v[24:25], v[22:23], s[2:3], v[15:16]
	v_cvt_i32_f64_e32 v16, v[22:23]
	s_mov_b64 s[2:3], 0
	v_cvt_u32_f64_e32 v15, v[24:25]
	s_branch .LBB95_2069
.LBB95_2067:
	s_mov_b64 s[2:3], -1
                                        ; implicit-def: $vgpr15_vgpr16
	s_branch .LBB95_2072
.LBB95_2068:
	s_mov_b64 s[2:3], -1
                                        ; implicit-def: $vgpr15_vgpr16
.LBB95_2069:
	s_andn2_b64 vcc, exec, s[2:3]
	s_cbranch_vccnz .LBB95_2071
; %bb.2070:
	global_load_dword v1, v[20:21], off
	s_mov_b32 s2, 0x2f800000
	s_mov_b32 s3, 0xcf800000
	s_waitcnt vmcnt(0)
	v_trunc_f32_e32 v1, v1
	v_mul_f32_e64 v3, |v1|, s2
	v_floor_f32_e32 v3, v3
	v_cvt_u32_f32_e32 v5, v3
	v_fma_f32 v3, v3, s3, |v1|
	v_cvt_u32_f32_e32 v3, v3
	v_ashrrev_i32_e32 v1, 31, v1
	v_xor_b32_e32 v5, v5, v1
	v_xor_b32_e32 v3, v3, v1
	v_sub_co_u32_e32 v15, vcc, v3, v1
	v_subb_co_u32_e32 v16, vcc, v5, v1, vcc
.LBB95_2071:
	s_mov_b64 s[2:3], 0
.LBB95_2072:
	s_andn2_b64 vcc, exec, s[2:3]
	s_cbranch_vccnz .LBB95_2074
; %bb.2073:
	global_load_ushort v1, v[20:21], off
	s_waitcnt vmcnt(0)
	v_cvt_f32_f16_e32 v1, v1
	v_cvt_i32_f32_e32 v15, v1
	v_ashrrev_i32_e32 v16, 31, v15
.LBB95_2074:
	s_mov_b64 s[2:3], 0
.LBB95_2075:
	s_andn2_b64 vcc, exec, s[2:3]
	s_cbranch_vccnz .LBB95_2095
; %bb.2076:
	s_cmp_lt_i32 s21, 2
	s_cbranch_scc1 .LBB95_2080
; %bb.2077:
	s_cmp_lt_i32 s21, 3
	s_cbranch_scc1 .LBB95_2081
; %bb.2078:
	s_cmp_gt_i32 s21, 3
	s_cbranch_scc0 .LBB95_2082
; %bb.2079:
	global_load_dwordx2 v[15:16], v[20:21], off
	s_mov_b64 s[2:3], 0
	s_branch .LBB95_2083
.LBB95_2080:
	s_mov_b64 s[2:3], -1
                                        ; implicit-def: $vgpr15_vgpr16
	s_branch .LBB95_2089
.LBB95_2081:
	s_mov_b64 s[2:3], -1
                                        ; implicit-def: $vgpr15_vgpr16
	s_branch .LBB95_2086
.LBB95_2082:
	s_mov_b64 s[2:3], -1
                                        ; implicit-def: $vgpr15_vgpr16
.LBB95_2083:
	s_andn2_b64 vcc, exec, s[2:3]
	s_cbranch_vccnz .LBB95_2085
; %bb.2084:
	global_load_dword v15, v[20:21], off
	s_waitcnt vmcnt(0)
	v_ashrrev_i32_e32 v16, 31, v15
.LBB95_2085:
	s_mov_b64 s[2:3], 0
.LBB95_2086:
	s_andn2_b64 vcc, exec, s[2:3]
	s_cbranch_vccnz .LBB95_2088
; %bb.2087:
	global_load_ushort v1, v[20:21], off
	s_waitcnt vmcnt(0)
	v_bfe_i32 v15, v1, 0, 16
	v_ashrrev_i32_e32 v16, 31, v15
.LBB95_2088:
	s_mov_b64 s[2:3], 0
.LBB95_2089:
	s_andn2_b64 vcc, exec, s[2:3]
	s_cbranch_vccnz .LBB95_2095
; %bb.2090:
	s_cmp_gt_i32 s21, 0
	s_cbranch_scc0 .LBB95_2092
; %bb.2091:
	global_load_sbyte v1, v[20:21], off
	s_mov_b64 s[2:3], 0
	s_waitcnt vmcnt(0)
	v_bfe_i32 v15, v1, 0, 16
	v_ashrrev_i32_e32 v16, 31, v15
	s_branch .LBB95_2093
.LBB95_2092:
	s_mov_b64 s[2:3], -1
                                        ; implicit-def: $vgpr15_vgpr16
.LBB95_2093:
	s_andn2_b64 vcc, exec, s[2:3]
	s_cbranch_vccnz .LBB95_2095
; %bb.2094:
	global_load_ubyte v1, v[20:21], off
	s_mov_b32 s2, 0
	s_waitcnt vmcnt(1)
	v_mov_b32_e32 v16, s2
	s_waitcnt vmcnt(0)
	v_and_b32_e32 v15, 0xffff, v1
.LBB95_2095:
	s_mov_b64 s[16:17], -1
.LBB95_2096:
	s_andn2_b64 vcc, exec, s[16:17]
	s_cbranch_vccnz .LBB95_3036
; %bb.2097:
	v_mov_b32_e32 v1, s11
	v_add_co_u32_e32 v20, vcc, s10, v17
	s_cmp_lt_i32 s22, 11
	v_addc_co_u32_e32 v21, vcc, 0, v1, vcc
	s_cbranch_scc1 .LBB95_2104
; %bb.2098:
	s_and_b32 s23, 0xffff, s22
	s_cmp_gt_i32 s23, 25
	s_mov_b64 s[6:7], 0
	s_cbranch_scc0 .LBB95_2105
; %bb.2099:
	s_cmp_gt_i32 s23, 28
	s_cbranch_scc0 .LBB95_2106
; %bb.2100:
	s_cmp_gt_i32 s23, 43
	s_cbranch_scc0 .LBB95_2107
; %bb.2101:
	s_cmp_gt_i32 s23, 45
	s_cbranch_scc0 .LBB95_2109
; %bb.2102:
	s_cmp_eq_u32 s23, 46
	s_mov_b64 s[18:19], 0
	s_cbranch_scc0 .LBB95_2110
; %bb.2103:
	global_load_dword v1, v[20:21], off
	s_mov_b32 s2, 0x2f800000
	s_mov_b32 s3, 0xcf800000
	s_mov_b64 s[16:17], -1
	s_waitcnt vmcnt(0)
	v_lshlrev_b32_e32 v1, 16, v1
	v_trunc_f32_e32 v1, v1
	v_mul_f32_e64 v3, |v1|, s2
	v_floor_f32_e32 v3, v3
	v_fma_f32 v5, v3, s3, |v1|
	v_cvt_u32_f32_e32 v5, v5
	v_cvt_u32_f32_e32 v3, v3
	v_ashrrev_i32_e32 v1, 31, v1
	s_mov_b64 s[2:3], 0
	v_xor_b32_e32 v5, v5, v1
	v_xor_b32_e32 v3, v3, v1
	v_sub_co_u32_e32 v17, vcc, v5, v1
	v_subb_co_u32_e32 v18, vcc, v3, v1, vcc
	s_branch .LBB95_2111
.LBB95_2104:
	s_mov_b64 s[2:3], -1
	s_mov_b64 s[16:17], 0
                                        ; implicit-def: $vgpr17_vgpr18
	s_branch .LBB95_2173
.LBB95_2105:
	s_mov_b64 s[18:19], -1
	s_mov_b64 s[16:17], 0
	s_mov_b64 s[2:3], 0
                                        ; implicit-def: $vgpr17_vgpr18
	s_branch .LBB95_2140
.LBB95_2106:
	s_mov_b64 s[18:19], -1
	s_mov_b64 s[16:17], 0
	s_mov_b64 s[2:3], 0
                                        ; implicit-def: $vgpr17_vgpr18
	s_branch .LBB95_2121
.LBB95_2107:
	s_mov_b64 s[18:19], -1
	s_mov_b64 s[16:17], 0
	s_mov_b64 s[2:3], 0
                                        ; implicit-def: $vgpr17_vgpr18
	s_branch .LBB95_2116
.LBB95_2108:
	s_trap 2
	s_or_b64 s[4:5], s[4:5], exec
	s_cbranch_execz .LBB95_2045
	s_branch .LBB95_2046
.LBB95_2109:
	s_mov_b64 s[18:19], -1
	s_mov_b64 s[16:17], 0
	s_mov_b64 s[2:3], 0
                                        ; implicit-def: $vgpr17_vgpr18
	s_branch .LBB95_2111
.LBB95_2110:
	s_mov_b64 s[2:3], -1
                                        ; implicit-def: $vgpr17_vgpr18
	s_mov_b64 s[16:17], 0
.LBB95_2111:
	s_and_b64 vcc, exec, s[18:19]
	s_cbranch_vccz .LBB95_2115
; %bb.2112:
	s_cmp_eq_u32 s23, 44
	s_cbranch_scc0 .LBB95_2114
; %bb.2113:
	global_load_ubyte v1, v[20:21], off
	s_mov_b32 s2, 0x2f800000
	s_mov_b32 s3, 0xcf800000
	s_mov_b64 s[16:17], -1
	s_waitcnt vmcnt(0)
	v_lshlrev_b32_e32 v3, 23, v1
	v_trunc_f32_e32 v3, v3
	v_mul_f32_e64 v5, |v3|, s2
	v_floor_f32_e32 v5, v5
	v_fma_f32 v17, v5, s3, |v3|
	v_cvt_u32_f32_e32 v17, v17
	v_cvt_u32_f32_e32 v5, v5
	v_ashrrev_i32_e32 v3, 31, v3
	s_mov_b64 s[2:3], 0
	v_xor_b32_e32 v17, v17, v3
	v_xor_b32_e32 v5, v5, v3
	v_sub_co_u32_e32 v17, vcc, v17, v3
	v_subb_co_u32_e32 v3, vcc, v5, v3, vcc
	v_cmp_ne_u32_e32 vcc, 0, v1
	v_cndmask_b32_e32 v18, 0, v3, vcc
	v_cndmask_b32_e32 v17, 0, v17, vcc
	s_branch .LBB95_2115
.LBB95_2114:
	s_mov_b64 s[2:3], -1
                                        ; implicit-def: $vgpr17_vgpr18
.LBB95_2115:
	s_mov_b64 s[18:19], 0
.LBB95_2116:
	s_and_b64 vcc, exec, s[18:19]
	s_cbranch_vccz .LBB95_2120
; %bb.2117:
	s_cmp_eq_u32 s23, 29
	s_cbranch_scc0 .LBB95_2119
; %bb.2118:
	global_load_dwordx2 v[17:18], v[20:21], off
	s_mov_b64 s[2:3], 0
	s_mov_b64 s[16:17], -1
	s_branch .LBB95_2120
.LBB95_2119:
	s_mov_b64 s[2:3], -1
                                        ; implicit-def: $vgpr17_vgpr18
.LBB95_2120:
	s_mov_b64 s[18:19], 0
.LBB95_2121:
	s_and_b64 vcc, exec, s[18:19]
	s_cbranch_vccz .LBB95_2139
; %bb.2122:
	s_cmp_lt_i32 s23, 27
	s_cbranch_scc1 .LBB95_2125
; %bb.2123:
	s_cmp_gt_i32 s23, 27
	s_cbranch_scc0 .LBB95_2126
; %bb.2124:
	global_load_dword v17, v[20:21], off
	s_waitcnt vmcnt(1)
	v_mov_b32_e32 v18, 0
	s_mov_b64 s[16:17], 0
	s_branch .LBB95_2127
.LBB95_2125:
	s_mov_b64 s[16:17], -1
                                        ; implicit-def: $vgpr17_vgpr18
	s_branch .LBB95_2130
.LBB95_2126:
	s_mov_b64 s[16:17], -1
                                        ; implicit-def: $vgpr17_vgpr18
.LBB95_2127:
	s_andn2_b64 vcc, exec, s[16:17]
	s_cbranch_vccnz .LBB95_2129
; %bb.2128:
	global_load_ushort v1, v[20:21], off
	s_mov_b32 s16, 0
	s_waitcnt vmcnt(1)
	v_mov_b32_e32 v18, s16
	s_waitcnt vmcnt(0)
	v_and_b32_e32 v17, 0xffff, v1
.LBB95_2129:
	s_mov_b64 s[16:17], 0
.LBB95_2130:
	s_andn2_b64 vcc, exec, s[16:17]
	s_cbranch_vccnz .LBB95_2138
; %bb.2131:
	global_load_ubyte v1, v[20:21], off
	s_movk_i32 s16, 0x7f
	s_mov_b64 s[18:19], 0
	s_waitcnt vmcnt(0)
	v_cmp_lt_i16_e32 vcc, s16, v1
	s_and_saveexec_b64 s[16:17], vcc
	s_xor_b64 s[16:17], exec, s[16:17]
; %bb.2132:
	s_movk_i32 s18, 0x80
	v_cmp_ne_u16_e32 vcc, s18, v1
	s_and_b64 s[18:19], vcc, exec
; %bb.2133:
	s_andn2_saveexec_b64 s[16:17], s[16:17]
; %bb.2134:
	v_cmp_ne_u16_e32 vcc, 0, v1
	s_andn2_b64 s[18:19], s[18:19], exec
	s_and_b64 s[24:25], vcc, exec
	s_or_b64 s[18:19], s[18:19], s[24:25]
; %bb.2135:
	s_or_b64 exec, exec, s[16:17]
	v_mov_b32_e32 v17, 0
	v_mov_b32_e32 v18, 0
	s_and_saveexec_b64 s[16:17], s[18:19]
	s_cbranch_execz .LBB95_2137
; %bb.2136:
	v_lshlrev_b32_e32 v3, 24, v1
	v_and_b32_e32 v1, 0xffff, v1
	v_and_b32_e32 v5, 7, v1
	v_ffbh_u32_e32 v18, v5
	v_min_u32_e32 v18, 32, v18
	v_subrev_u32_e32 v22, 28, v18
	v_bfe_u32 v17, v1, 3, 4
	v_lshlrev_b32_e32 v1, v22, v1
	v_sub_u32_e32 v18, 29, v18
	v_and_b32_e32 v1, 7, v1
	v_cmp_eq_u32_e32 vcc, 0, v17
	v_cndmask_b32_e32 v17, v17, v18, vcc
	v_cndmask_b32_e32 v1, v5, v1, vcc
	v_mov_b32_e32 v5, 0x3b800000
	v_lshlrev_b32_e32 v1, 20, v1
	v_and_b32_e32 v3, 0x80000000, v3
	v_lshl_add_u32 v5, v17, 23, v5
	v_or3_b32 v1, v3, v5, v1
	v_trunc_f32_e32 v1, v1
	s_mov_b32 s18, 0x2f800000
	v_mul_f32_e64 v3, |v1|, s18
	v_floor_f32_e32 v3, v3
	s_mov_b32 s18, 0xcf800000
	v_fma_f32 v5, v3, s18, |v1|
	v_cvt_u32_f32_e32 v5, v5
	v_cvt_u32_f32_e32 v3, v3
	v_ashrrev_i32_e32 v1, 31, v1
	v_xor_b32_e32 v5, v5, v1
	v_xor_b32_e32 v3, v3, v1
	v_sub_co_u32_e32 v17, vcc, v5, v1
	v_subb_co_u32_e32 v18, vcc, v3, v1, vcc
.LBB95_2137:
	s_or_b64 exec, exec, s[16:17]
.LBB95_2138:
	s_mov_b64 s[16:17], -1
.LBB95_2139:
	s_mov_b64 s[18:19], 0
.LBB95_2140:
	s_and_b64 vcc, exec, s[18:19]
	s_cbranch_vccz .LBB95_2169
; %bb.2141:
	s_cmp_gt_i32 s23, 22
	s_cbranch_scc0 .LBB95_2151
; %bb.2142:
	s_cmp_lt_i32 s23, 24
	s_cbranch_scc1 .LBB95_2152
; %bb.2143:
	s_cmp_gt_i32 s23, 24
	s_cbranch_scc0 .LBB95_2153
; %bb.2144:
	global_load_ubyte v1, v[20:21], off
	s_movk_i32 s6, 0x7f
	s_mov_b64 s[16:17], 0
	s_waitcnt vmcnt(0)
	v_cmp_lt_i16_e32 vcc, s6, v1
	s_and_saveexec_b64 s[6:7], vcc
	s_xor_b64 s[6:7], exec, s[6:7]
; %bb.2145:
	s_movk_i32 s16, 0x80
	v_cmp_ne_u16_e32 vcc, s16, v1
	s_and_b64 s[16:17], vcc, exec
; %bb.2146:
	s_andn2_saveexec_b64 s[6:7], s[6:7]
; %bb.2147:
	v_cmp_ne_u16_e32 vcc, 0, v1
	s_andn2_b64 s[16:17], s[16:17], exec
	s_and_b64 s[18:19], vcc, exec
	s_or_b64 s[16:17], s[16:17], s[18:19]
; %bb.2148:
	s_or_b64 exec, exec, s[6:7]
	v_mov_b32_e32 v17, 0
	v_mov_b32_e32 v18, 0
	s_and_saveexec_b64 s[6:7], s[16:17]
	s_cbranch_execz .LBB95_2150
; %bb.2149:
	v_lshlrev_b32_e32 v3, 24, v1
	v_and_b32_e32 v1, 0xffff, v1
	v_and_b32_e32 v5, 3, v1
	v_ffbh_u32_e32 v18, v5
	v_min_u32_e32 v18, 32, v18
	v_subrev_u32_e32 v22, 29, v18
	v_bfe_u32 v17, v1, 2, 5
	v_lshlrev_b32_e32 v1, v22, v1
	v_sub_u32_e32 v18, 30, v18
	v_and_b32_e32 v1, 3, v1
	v_cmp_eq_u32_e32 vcc, 0, v17
	v_cndmask_b32_e32 v17, v17, v18, vcc
	v_cndmask_b32_e32 v1, v5, v1, vcc
	v_mov_b32_e32 v5, 0x37800000
	v_lshlrev_b32_e32 v1, 21, v1
	v_and_b32_e32 v3, 0x80000000, v3
	v_lshl_add_u32 v5, v17, 23, v5
	v_or3_b32 v1, v3, v5, v1
	v_trunc_f32_e32 v1, v1
	s_mov_b32 s16, 0x2f800000
	v_mul_f32_e64 v3, |v1|, s16
	v_floor_f32_e32 v3, v3
	s_mov_b32 s16, 0xcf800000
	v_fma_f32 v5, v3, s16, |v1|
	v_cvt_u32_f32_e32 v5, v5
	v_cvt_u32_f32_e32 v3, v3
	v_ashrrev_i32_e32 v1, 31, v1
	v_xor_b32_e32 v5, v5, v1
	v_xor_b32_e32 v3, v3, v1
	v_sub_co_u32_e32 v17, vcc, v5, v1
	v_subb_co_u32_e32 v18, vcc, v3, v1, vcc
.LBB95_2150:
	s_or_b64 exec, exec, s[6:7]
	s_mov_b64 s[6:7], 0
	s_branch .LBB95_2154
.LBB95_2151:
	s_mov_b64 s[6:7], -1
                                        ; implicit-def: $vgpr17_vgpr18
	s_branch .LBB95_2160
.LBB95_2152:
	s_mov_b64 s[6:7], -1
                                        ; implicit-def: $vgpr17_vgpr18
	s_branch .LBB95_2157
.LBB95_2153:
	s_mov_b64 s[6:7], -1
                                        ; implicit-def: $vgpr17_vgpr18
.LBB95_2154:
	s_and_b64 vcc, exec, s[6:7]
	s_cbranch_vccz .LBB95_2156
; %bb.2155:
	global_load_ubyte v1, v[20:21], off
	s_mov_b32 s6, 0x7f800000
	s_brev_b32 s7, 1
	s_mov_b32 s16, 0x2f800000
	s_mov_b32 s17, 0xcf800000
	s_waitcnt vmcnt(0)
	v_lshlrev_b32_e32 v1, 24, v1
	v_and_b32_e32 v3, 0x7f000000, v1
	v_ffbh_u32_e32 v5, v3
	v_min_u32_e32 v5, 32, v5
	v_sub_u32_e64 v5, v5, 4 clamp
	v_lshlrev_b32_e32 v18, v5, v3
	v_lshlrev_b32_e32 v5, 23, v5
	v_lshrrev_b32_e32 v18, 4, v18
	v_add_u32_e32 v17, 0x1000000, v3
	v_sub_u32_e32 v5, v18, v5
	v_ashrrev_i32_e32 v17, 8, v17
	v_add_u32_e32 v5, 0x3c000000, v5
	v_and_or_b32 v5, v17, s6, v5
	v_cmp_ne_u32_e32 vcc, 0, v3
	v_cndmask_b32_e32 v3, 0, v5, vcc
	v_and_or_b32 v1, v1, s7, v3
	v_trunc_f32_e32 v1, v1
	v_mul_f32_e64 v3, |v1|, s16
	v_floor_f32_e32 v3, v3
	v_fma_f32 v5, v3, s17, |v1|
	v_cvt_u32_f32_e32 v5, v5
	v_cvt_u32_f32_e32 v3, v3
	v_ashrrev_i32_e32 v1, 31, v1
	v_xor_b32_e32 v5, v5, v1
	v_xor_b32_e32 v3, v3, v1
	v_sub_co_u32_e32 v17, vcc, v5, v1
	v_subb_co_u32_e32 v18, vcc, v3, v1, vcc
.LBB95_2156:
	s_mov_b64 s[6:7], 0
.LBB95_2157:
	s_andn2_b64 vcc, exec, s[6:7]
	s_cbranch_vccnz .LBB95_2159
; %bb.2158:
	global_load_ubyte v1, v[20:21], off
	s_movk_i32 s6, 0x7f00
	s_brev_b32 s7, 16
	s_brev_b32 s16, 1
	s_mov_b32 s17, 0x2f800000
	s_mov_b32 s18, 0xcf800000
	s_waitcnt vmcnt(0)
	v_lshlrev_b16_e32 v3, 8, v1
	v_lshlrev_b32_e32 v1, 25, v1
	v_lshrrev_b32_e32 v5, 4, v1
	v_and_or_b32 v17, v3, s6, 0.5
	v_or_b32_e32 v5, 0x70000000, v5
	v_add_f32_e32 v17, -0.5, v17
	v_mul_f32_e32 v5, 0x7800000, v5
	v_cmp_gt_u32_e32 vcc, s7, v1
	v_bfe_i32 v3, v3, 0, 16
	v_cndmask_b32_e32 v1, v5, v17, vcc
	v_and_or_b32 v1, v3, s16, v1
	v_trunc_f32_e32 v1, v1
	v_mul_f32_e64 v3, |v1|, s17
	v_floor_f32_e32 v3, v3
	v_fma_f32 v5, v3, s18, |v1|
	v_cvt_u32_f32_e32 v5, v5
	v_cvt_u32_f32_e32 v3, v3
	v_ashrrev_i32_e32 v1, 31, v1
	v_xor_b32_e32 v5, v5, v1
	v_xor_b32_e32 v3, v3, v1
	v_sub_co_u32_e32 v17, vcc, v5, v1
	v_subb_co_u32_e32 v18, vcc, v3, v1, vcc
.LBB95_2159:
	s_mov_b64 s[6:7], 0
	s_mov_b64 s[16:17], -1
.LBB95_2160:
	s_andn2_b64 vcc, exec, s[6:7]
	s_mov_b64 s[6:7], 0
	s_cbranch_vccnz .LBB95_2169
; %bb.2161:
	s_cmp_gt_i32 s23, 14
	s_cbranch_scc0 .LBB95_2164
; %bb.2162:
	s_cmp_eq_u32 s23, 15
	s_cbranch_scc0 .LBB95_2165
; %bb.2163:
	global_load_ushort v1, v[20:21], off
	s_mov_b32 s2, 0x2f800000
	s_mov_b32 s3, 0xcf800000
	s_mov_b64 s[16:17], -1
	s_waitcnt vmcnt(0)
	v_lshlrev_b32_e32 v1, 16, v1
	v_trunc_f32_e32 v1, v1
	v_mul_f32_e64 v3, |v1|, s2
	v_floor_f32_e32 v3, v3
	v_fma_f32 v5, v3, s3, |v1|
	v_cvt_u32_f32_e32 v5, v5
	v_cvt_u32_f32_e32 v3, v3
	v_ashrrev_i32_e32 v1, 31, v1
	s_mov_b64 s[2:3], 0
	v_xor_b32_e32 v5, v5, v1
	v_xor_b32_e32 v3, v3, v1
	v_sub_co_u32_e32 v17, vcc, v5, v1
	v_subb_co_u32_e32 v18, vcc, v3, v1, vcc
	s_branch .LBB95_2166
.LBB95_2164:
	s_mov_b64 s[18:19], -1
                                        ; implicit-def: $vgpr17_vgpr18
	s_branch .LBB95_2167
.LBB95_2165:
	s_mov_b64 s[2:3], -1
                                        ; implicit-def: $vgpr17_vgpr18
.LBB95_2166:
	s_mov_b64 s[18:19], 0
.LBB95_2167:
	s_and_b64 vcc, exec, s[18:19]
	s_cbranch_vccz .LBB95_2169
; %bb.2168:
	s_cmp_lg_u32 s23, 11
	s_mov_b64 s[6:7], -1
	s_cselect_b64 s[2:3], -1, 0
.LBB95_2169:
	s_and_b64 vcc, exec, s[2:3]
	s_cbranch_vccnz .LBB95_2234
; %bb.2170:
	s_andn2_b64 vcc, exec, s[6:7]
	s_cbranch_vccnz .LBB95_2172
.LBB95_2171:
	global_load_ubyte v1, v[20:21], off
	s_mov_b32 s2, 0
	s_waitcnt vmcnt(1)
	v_mov_b32_e32 v18, s2
	s_mov_b64 s[16:17], -1
	s_waitcnt vmcnt(0)
	v_cmp_ne_u16_e32 vcc, 0, v1
	v_cndmask_b32_e64 v17, 0, 1, vcc
.LBB95_2172:
	s_mov_b64 s[2:3], 0
.LBB95_2173:
	s_and_b64 vcc, exec, s[2:3]
	s_cbranch_vccz .LBB95_2222
; %bb.2174:
	s_and_b32 s6, 0xffff, s22
	s_cmp_lt_i32 s6, 5
	s_cbranch_scc1 .LBB95_2179
; %bb.2175:
	s_cmp_lt_i32 s6, 8
	s_cbranch_scc1 .LBB95_2180
; %bb.2176:
	;; [unrolled: 3-line block ×3, first 2 shown]
	s_cmp_gt_i32 s6, 9
	s_cbranch_scc0 .LBB95_2182
; %bb.2178:
	global_load_dwordx2 v[17:18], v[20:21], off
	s_movk_i32 s2, 0xffe0
	s_waitcnt vmcnt(0)
	v_trunc_f64_e32 v[17:18], v[17:18]
	v_ldexp_f64 v[22:23], v[17:18], s2
	s_mov_b32 s2, 0
	s_mov_b32 s3, 0xc1f00000
	v_floor_f64_e32 v[22:23], v[22:23]
	v_fma_f64 v[24:25], v[22:23], s[2:3], v[17:18]
	v_cvt_i32_f64_e32 v18, v[22:23]
	s_mov_b64 s[2:3], 0
	v_cvt_u32_f64_e32 v17, v[24:25]
	s_branch .LBB95_2183
.LBB95_2179:
	s_mov_b64 s[2:3], -1
                                        ; implicit-def: $vgpr17_vgpr18
	s_branch .LBB95_2201
.LBB95_2180:
	s_mov_b64 s[2:3], -1
                                        ; implicit-def: $vgpr17_vgpr18
	s_branch .LBB95_2189
.LBB95_2181:
	s_mov_b64 s[2:3], -1
                                        ; implicit-def: $vgpr17_vgpr18
	s_branch .LBB95_2186
.LBB95_2182:
	s_mov_b64 s[2:3], -1
                                        ; implicit-def: $vgpr17_vgpr18
.LBB95_2183:
	s_andn2_b64 vcc, exec, s[2:3]
	s_cbranch_vccnz .LBB95_2185
; %bb.2184:
	global_load_dword v1, v[20:21], off
	s_mov_b32 s2, 0x2f800000
	s_mov_b32 s3, 0xcf800000
	s_waitcnt vmcnt(0)
	v_trunc_f32_e32 v1, v1
	v_mul_f32_e64 v3, |v1|, s2
	v_floor_f32_e32 v3, v3
	v_cvt_u32_f32_e32 v5, v3
	v_fma_f32 v3, v3, s3, |v1|
	v_cvt_u32_f32_e32 v3, v3
	v_ashrrev_i32_e32 v1, 31, v1
	v_xor_b32_e32 v5, v5, v1
	v_xor_b32_e32 v3, v3, v1
	v_sub_co_u32_e32 v17, vcc, v3, v1
	v_subb_co_u32_e32 v18, vcc, v5, v1, vcc
.LBB95_2185:
	s_mov_b64 s[2:3], 0
.LBB95_2186:
	s_andn2_b64 vcc, exec, s[2:3]
	s_cbranch_vccnz .LBB95_2188
; %bb.2187:
	global_load_dword v1, v[20:21], off
	s_waitcnt vmcnt(0)
	v_cvt_f32_f16_e32 v1, v1
	v_cvt_i32_f32_e32 v17, v1
	v_ashrrev_i32_e32 v18, 31, v17
.LBB95_2188:
	s_mov_b64 s[2:3], 0
.LBB95_2189:
	s_andn2_b64 vcc, exec, s[2:3]
	s_cbranch_vccnz .LBB95_2200
; %bb.2190:
	s_cmp_lt_i32 s6, 6
	s_cbranch_scc1 .LBB95_2193
; %bb.2191:
	s_cmp_gt_i32 s6, 6
	s_cbranch_scc0 .LBB95_2194
; %bb.2192:
	global_load_dwordx2 v[17:18], v[20:21], off
	s_movk_i32 s2, 0xffe0
	s_waitcnt vmcnt(0)
	v_trunc_f64_e32 v[17:18], v[17:18]
	v_ldexp_f64 v[22:23], v[17:18], s2
	s_mov_b32 s2, 0
	s_mov_b32 s3, 0xc1f00000
	v_floor_f64_e32 v[22:23], v[22:23]
	v_fma_f64 v[24:25], v[22:23], s[2:3], v[17:18]
	v_cvt_i32_f64_e32 v18, v[22:23]
	s_mov_b64 s[2:3], 0
	v_cvt_u32_f64_e32 v17, v[24:25]
	s_branch .LBB95_2195
.LBB95_2193:
	s_mov_b64 s[2:3], -1
                                        ; implicit-def: $vgpr17_vgpr18
	s_branch .LBB95_2198
.LBB95_2194:
	s_mov_b64 s[2:3], -1
                                        ; implicit-def: $vgpr17_vgpr18
.LBB95_2195:
	s_andn2_b64 vcc, exec, s[2:3]
	s_cbranch_vccnz .LBB95_2197
; %bb.2196:
	global_load_dword v1, v[20:21], off
	s_mov_b32 s2, 0x2f800000
	s_mov_b32 s3, 0xcf800000
	s_waitcnt vmcnt(0)
	v_trunc_f32_e32 v1, v1
	v_mul_f32_e64 v3, |v1|, s2
	v_floor_f32_e32 v3, v3
	v_cvt_u32_f32_e32 v5, v3
	v_fma_f32 v3, v3, s3, |v1|
	v_cvt_u32_f32_e32 v3, v3
	v_ashrrev_i32_e32 v1, 31, v1
	v_xor_b32_e32 v5, v5, v1
	v_xor_b32_e32 v3, v3, v1
	v_sub_co_u32_e32 v17, vcc, v3, v1
	v_subb_co_u32_e32 v18, vcc, v5, v1, vcc
.LBB95_2197:
	s_mov_b64 s[2:3], 0
.LBB95_2198:
	s_andn2_b64 vcc, exec, s[2:3]
	s_cbranch_vccnz .LBB95_2200
; %bb.2199:
	global_load_ushort v1, v[20:21], off
	s_waitcnt vmcnt(0)
	v_cvt_f32_f16_e32 v1, v1
	v_cvt_i32_f32_e32 v17, v1
	v_ashrrev_i32_e32 v18, 31, v17
.LBB95_2200:
	s_mov_b64 s[2:3], 0
.LBB95_2201:
	s_andn2_b64 vcc, exec, s[2:3]
	s_cbranch_vccnz .LBB95_2221
; %bb.2202:
	s_cmp_lt_i32 s6, 2
	s_cbranch_scc1 .LBB95_2206
; %bb.2203:
	s_cmp_lt_i32 s6, 3
	s_cbranch_scc1 .LBB95_2207
; %bb.2204:
	s_cmp_gt_i32 s6, 3
	s_cbranch_scc0 .LBB95_2208
; %bb.2205:
	global_load_dwordx2 v[17:18], v[20:21], off
	s_mov_b64 s[2:3], 0
	s_branch .LBB95_2209
.LBB95_2206:
	s_mov_b64 s[2:3], -1
                                        ; implicit-def: $vgpr17_vgpr18
	s_branch .LBB95_2215
.LBB95_2207:
	s_mov_b64 s[2:3], -1
                                        ; implicit-def: $vgpr17_vgpr18
	s_branch .LBB95_2212
.LBB95_2208:
	s_mov_b64 s[2:3], -1
                                        ; implicit-def: $vgpr17_vgpr18
.LBB95_2209:
	s_andn2_b64 vcc, exec, s[2:3]
	s_cbranch_vccnz .LBB95_2211
; %bb.2210:
	global_load_dword v17, v[20:21], off
	s_waitcnt vmcnt(0)
	v_ashrrev_i32_e32 v18, 31, v17
.LBB95_2211:
	s_mov_b64 s[2:3], 0
.LBB95_2212:
	s_andn2_b64 vcc, exec, s[2:3]
	s_cbranch_vccnz .LBB95_2214
; %bb.2213:
	global_load_ushort v1, v[20:21], off
	s_waitcnt vmcnt(0)
	v_bfe_i32 v17, v1, 0, 16
	v_ashrrev_i32_e32 v18, 31, v17
.LBB95_2214:
	s_mov_b64 s[2:3], 0
.LBB95_2215:
	s_andn2_b64 vcc, exec, s[2:3]
	s_cbranch_vccnz .LBB95_2221
; %bb.2216:
	s_cmp_gt_i32 s6, 0
	s_cbranch_scc0 .LBB95_2218
; %bb.2217:
	global_load_sbyte v1, v[20:21], off
	s_mov_b64 s[2:3], 0
	s_waitcnt vmcnt(0)
	v_bfe_i32 v17, v1, 0, 16
	v_ashrrev_i32_e32 v18, 31, v17
	s_branch .LBB95_2219
.LBB95_2218:
	s_mov_b64 s[2:3], -1
                                        ; implicit-def: $vgpr17_vgpr18
.LBB95_2219:
	s_andn2_b64 vcc, exec, s[2:3]
	s_cbranch_vccnz .LBB95_2221
; %bb.2220:
	global_load_ubyte v1, v[20:21], off
	s_mov_b32 s2, 0
	s_waitcnt vmcnt(1)
	v_mov_b32_e32 v18, s2
	s_waitcnt vmcnt(0)
	v_and_b32_e32 v17, 0xffff, v1
.LBB95_2221:
	s_mov_b64 s[16:17], -1
.LBB95_2222:
	s_andn2_b64 vcc, exec, s[16:17]
	s_cbranch_vccnz .LBB95_3036
; %bb.2223:
	v_mov_b32_e32 v1, s1
	v_add_co_u32_e32 v21, vcc, s0, v19
	s_cmp_lt_i32 s21, 11
	v_addc_co_u32_e32 v22, vcc, 0, v1, vcc
	s_cbranch_scc1 .LBB95_2230
; %bb.2224:
	s_cmp_gt_i32 s21, 25
	s_mov_b64 s[6:7], 0
	s_cbranch_scc0 .LBB95_2231
; %bb.2225:
	s_cmp_gt_i32 s21, 28
	s_cbranch_scc0 .LBB95_2232
; %bb.2226:
	s_cmp_gt_i32 s21, 43
	;; [unrolled: 3-line block ×3, first 2 shown]
	s_cbranch_scc0 .LBB95_2235
; %bb.2228:
	s_cmp_eq_u32 s21, 46
	s_mov_b64 s[18:19], 0
	s_cbranch_scc0 .LBB95_2238
; %bb.2229:
	global_load_dword v1, v[21:22], off
	s_mov_b32 s2, 0x2f800000
	s_mov_b32 s3, 0xcf800000
	s_mov_b64 s[16:17], -1
	s_waitcnt vmcnt(0)
	v_lshlrev_b32_e32 v1, 16, v1
	v_trunc_f32_e32 v1, v1
	v_mul_f32_e64 v3, |v1|, s2
	v_floor_f32_e32 v3, v3
	v_fma_f32 v5, v3, s3, |v1|
	v_cvt_u32_f32_e32 v5, v5
	v_cvt_u32_f32_e32 v3, v3
	v_ashrrev_i32_e32 v1, 31, v1
	s_mov_b64 s[2:3], 0
	v_xor_b32_e32 v5, v5, v1
	v_xor_b32_e32 v3, v3, v1
	v_sub_co_u32_e32 v19, vcc, v5, v1
	v_subb_co_u32_e32 v20, vcc, v3, v1, vcc
	s_branch .LBB95_2239
.LBB95_2230:
	s_mov_b64 s[2:3], -1
	s_mov_b64 s[16:17], 0
                                        ; implicit-def: $vgpr19_vgpr20
	s_branch .LBB95_2301
.LBB95_2231:
	s_mov_b64 s[18:19], -1
	s_mov_b64 s[16:17], 0
	s_mov_b64 s[2:3], 0
                                        ; implicit-def: $vgpr19_vgpr20
	s_branch .LBB95_2268
.LBB95_2232:
	s_mov_b64 s[18:19], -1
	s_mov_b64 s[16:17], 0
	s_mov_b64 s[2:3], 0
                                        ; implicit-def: $vgpr19_vgpr20
	s_branch .LBB95_2249
.LBB95_2233:
	s_mov_b64 s[18:19], -1
	s_mov_b64 s[16:17], 0
	s_mov_b64 s[2:3], 0
                                        ; implicit-def: $vgpr19_vgpr20
	s_branch .LBB95_2244
.LBB95_2234:
	s_trap 2
	s_or_b64 s[4:5], s[4:5], exec
	s_cbranch_execz .LBB95_2171
	s_branch .LBB95_2172
.LBB95_2235:
	s_mov_b64 s[18:19], -1
	s_mov_b64 s[16:17], 0
	s_mov_b64 s[2:3], 0
                                        ; implicit-def: $vgpr19_vgpr20
	s_branch .LBB95_2239
.LBB95_2236:
	s_andn2_saveexec_b64 s[62:63], s[62:63]
	s_cbranch_execz .LBB95_1095
.LBB95_2237:
	s_mov_b32 s67, 0x42800000
	v_add_f32_e64 v5, |v0|, s67
	v_and_b32_e32 v5, 0xff, v5
	v_cmp_ne_u32_e32 vcc, 0, v5
	s_andn2_b64 s[60:61], s[60:61], exec
	s_and_b64 s[74:75], vcc, exec
	s_or_b64 s[60:61], s[60:61], s[74:75]
	s_or_b64 exec, exec, s[62:63]
	v_mov_b32_e32 v6, 0
	s_and_saveexec_b64 s[62:63], s[60:61]
	s_cbranch_execnz .LBB95_1096
	s_branch .LBB95_1097
.LBB95_2238:
	s_mov_b64 s[2:3], -1
                                        ; implicit-def: $vgpr19_vgpr20
	s_mov_b64 s[16:17], 0
.LBB95_2239:
	s_and_b64 vcc, exec, s[18:19]
	s_cbranch_vccz .LBB95_2243
; %bb.2240:
	s_cmp_eq_u32 s21, 44
	s_cbranch_scc0 .LBB95_2242
; %bb.2241:
	global_load_ubyte v1, v[21:22], off
	s_mov_b32 s2, 0x2f800000
	s_mov_b32 s3, 0xcf800000
	s_mov_b64 s[16:17], -1
	s_waitcnt vmcnt(0)
	v_lshlrev_b32_e32 v3, 23, v1
	v_trunc_f32_e32 v3, v3
	v_mul_f32_e64 v5, |v3|, s2
	v_floor_f32_e32 v5, v5
	v_fma_f32 v19, v5, s3, |v3|
	v_cvt_u32_f32_e32 v19, v19
	v_cvt_u32_f32_e32 v5, v5
	v_ashrrev_i32_e32 v3, 31, v3
	s_mov_b64 s[2:3], 0
	v_xor_b32_e32 v19, v19, v3
	v_xor_b32_e32 v5, v5, v3
	v_sub_co_u32_e32 v19, vcc, v19, v3
	v_subb_co_u32_e32 v3, vcc, v5, v3, vcc
	v_cmp_ne_u32_e32 vcc, 0, v1
	v_cndmask_b32_e32 v20, 0, v3, vcc
	v_cndmask_b32_e32 v19, 0, v19, vcc
	s_branch .LBB95_2243
.LBB95_2242:
	s_mov_b64 s[2:3], -1
                                        ; implicit-def: $vgpr19_vgpr20
.LBB95_2243:
	s_mov_b64 s[18:19], 0
.LBB95_2244:
	s_and_b64 vcc, exec, s[18:19]
	s_cbranch_vccz .LBB95_2248
; %bb.2245:
	s_cmp_eq_u32 s21, 29
	s_cbranch_scc0 .LBB95_2247
; %bb.2246:
	global_load_dwordx2 v[19:20], v[21:22], off
	s_mov_b64 s[2:3], 0
	s_mov_b64 s[16:17], -1
	s_branch .LBB95_2248
.LBB95_2247:
	s_mov_b64 s[2:3], -1
                                        ; implicit-def: $vgpr19_vgpr20
.LBB95_2248:
	s_mov_b64 s[18:19], 0
.LBB95_2249:
	s_and_b64 vcc, exec, s[18:19]
	s_cbranch_vccz .LBB95_2267
; %bb.2250:
	s_cmp_lt_i32 s21, 27
	s_cbranch_scc1 .LBB95_2253
; %bb.2251:
	s_cmp_gt_i32 s21, 27
	s_cbranch_scc0 .LBB95_2254
; %bb.2252:
	global_load_dword v19, v[21:22], off
	s_waitcnt vmcnt(1)
	v_mov_b32_e32 v20, 0
	s_mov_b64 s[16:17], 0
	s_branch .LBB95_2255
.LBB95_2253:
	s_mov_b64 s[16:17], -1
                                        ; implicit-def: $vgpr19_vgpr20
	s_branch .LBB95_2258
.LBB95_2254:
	s_mov_b64 s[16:17], -1
                                        ; implicit-def: $vgpr19_vgpr20
.LBB95_2255:
	s_andn2_b64 vcc, exec, s[16:17]
	s_cbranch_vccnz .LBB95_2257
; %bb.2256:
	global_load_ushort v1, v[21:22], off
	s_mov_b32 s16, 0
	s_waitcnt vmcnt(1)
	v_mov_b32_e32 v20, s16
	s_waitcnt vmcnt(0)
	v_and_b32_e32 v19, 0xffff, v1
.LBB95_2257:
	s_mov_b64 s[16:17], 0
.LBB95_2258:
	s_andn2_b64 vcc, exec, s[16:17]
	s_cbranch_vccnz .LBB95_2266
; %bb.2259:
	global_load_ubyte v1, v[21:22], off
	s_movk_i32 s16, 0x7f
	s_mov_b64 s[18:19], 0
	s_waitcnt vmcnt(0)
	v_cmp_lt_i16_e32 vcc, s16, v1
	s_and_saveexec_b64 s[16:17], vcc
	s_xor_b64 s[16:17], exec, s[16:17]
; %bb.2260:
	s_movk_i32 s18, 0x80
	v_cmp_ne_u16_e32 vcc, s18, v1
	s_and_b64 s[18:19], vcc, exec
; %bb.2261:
	s_andn2_saveexec_b64 s[16:17], s[16:17]
; %bb.2262:
	v_cmp_ne_u16_e32 vcc, 0, v1
	s_andn2_b64 s[18:19], s[18:19], exec
	s_and_b64 s[24:25], vcc, exec
	s_or_b64 s[18:19], s[18:19], s[24:25]
; %bb.2263:
	s_or_b64 exec, exec, s[16:17]
	v_mov_b32_e32 v19, 0
	v_mov_b32_e32 v20, 0
	s_and_saveexec_b64 s[16:17], s[18:19]
	s_cbranch_execz .LBB95_2265
; %bb.2264:
	v_lshlrev_b32_e32 v3, 24, v1
	v_and_b32_e32 v1, 0xffff, v1
	v_and_b32_e32 v5, 7, v1
	v_ffbh_u32_e32 v20, v5
	v_min_u32_e32 v20, 32, v20
	v_subrev_u32_e32 v23, 28, v20
	v_bfe_u32 v19, v1, 3, 4
	v_lshlrev_b32_e32 v1, v23, v1
	v_sub_u32_e32 v20, 29, v20
	v_and_b32_e32 v1, 7, v1
	v_cmp_eq_u32_e32 vcc, 0, v19
	v_cndmask_b32_e32 v19, v19, v20, vcc
	v_cndmask_b32_e32 v1, v5, v1, vcc
	v_mov_b32_e32 v5, 0x3b800000
	v_lshlrev_b32_e32 v1, 20, v1
	v_and_b32_e32 v3, 0x80000000, v3
	v_lshl_add_u32 v5, v19, 23, v5
	v_or3_b32 v1, v3, v5, v1
	v_trunc_f32_e32 v1, v1
	s_mov_b32 s18, 0x2f800000
	v_mul_f32_e64 v3, |v1|, s18
	v_floor_f32_e32 v3, v3
	s_mov_b32 s18, 0xcf800000
	v_fma_f32 v5, v3, s18, |v1|
	v_cvt_u32_f32_e32 v5, v5
	v_cvt_u32_f32_e32 v3, v3
	v_ashrrev_i32_e32 v1, 31, v1
	v_xor_b32_e32 v5, v5, v1
	v_xor_b32_e32 v3, v3, v1
	v_sub_co_u32_e32 v19, vcc, v5, v1
	v_subb_co_u32_e32 v20, vcc, v3, v1, vcc
.LBB95_2265:
	s_or_b64 exec, exec, s[16:17]
.LBB95_2266:
	s_mov_b64 s[16:17], -1
.LBB95_2267:
	s_mov_b64 s[18:19], 0
.LBB95_2268:
	s_and_b64 vcc, exec, s[18:19]
	s_cbranch_vccz .LBB95_2297
; %bb.2269:
	s_cmp_gt_i32 s21, 22
	s_cbranch_scc0 .LBB95_2279
; %bb.2270:
	s_cmp_lt_i32 s21, 24
	s_cbranch_scc1 .LBB95_2280
; %bb.2271:
	s_cmp_gt_i32 s21, 24
	s_cbranch_scc0 .LBB95_2281
; %bb.2272:
	global_load_ubyte v1, v[21:22], off
	s_movk_i32 s6, 0x7f
	s_mov_b64 s[16:17], 0
	s_waitcnt vmcnt(0)
	v_cmp_lt_i16_e32 vcc, s6, v1
	s_and_saveexec_b64 s[6:7], vcc
	s_xor_b64 s[6:7], exec, s[6:7]
; %bb.2273:
	s_movk_i32 s16, 0x80
	v_cmp_ne_u16_e32 vcc, s16, v1
	s_and_b64 s[16:17], vcc, exec
; %bb.2274:
	s_andn2_saveexec_b64 s[6:7], s[6:7]
; %bb.2275:
	v_cmp_ne_u16_e32 vcc, 0, v1
	s_andn2_b64 s[16:17], s[16:17], exec
	s_and_b64 s[18:19], vcc, exec
	s_or_b64 s[16:17], s[16:17], s[18:19]
; %bb.2276:
	s_or_b64 exec, exec, s[6:7]
	v_mov_b32_e32 v19, 0
	v_mov_b32_e32 v20, 0
	s_and_saveexec_b64 s[6:7], s[16:17]
	s_cbranch_execz .LBB95_2278
; %bb.2277:
	v_lshlrev_b32_e32 v3, 24, v1
	v_and_b32_e32 v1, 0xffff, v1
	v_and_b32_e32 v5, 3, v1
	v_ffbh_u32_e32 v20, v5
	v_min_u32_e32 v20, 32, v20
	v_subrev_u32_e32 v23, 29, v20
	v_bfe_u32 v19, v1, 2, 5
	v_lshlrev_b32_e32 v1, v23, v1
	v_sub_u32_e32 v20, 30, v20
	v_and_b32_e32 v1, 3, v1
	v_cmp_eq_u32_e32 vcc, 0, v19
	v_cndmask_b32_e32 v19, v19, v20, vcc
	v_cndmask_b32_e32 v1, v5, v1, vcc
	v_mov_b32_e32 v5, 0x37800000
	v_lshlrev_b32_e32 v1, 21, v1
	v_and_b32_e32 v3, 0x80000000, v3
	v_lshl_add_u32 v5, v19, 23, v5
	v_or3_b32 v1, v3, v5, v1
	v_trunc_f32_e32 v1, v1
	s_mov_b32 s16, 0x2f800000
	v_mul_f32_e64 v3, |v1|, s16
	v_floor_f32_e32 v3, v3
	s_mov_b32 s16, 0xcf800000
	v_fma_f32 v5, v3, s16, |v1|
	v_cvt_u32_f32_e32 v5, v5
	v_cvt_u32_f32_e32 v3, v3
	v_ashrrev_i32_e32 v1, 31, v1
	v_xor_b32_e32 v5, v5, v1
	v_xor_b32_e32 v3, v3, v1
	v_sub_co_u32_e32 v19, vcc, v5, v1
	v_subb_co_u32_e32 v20, vcc, v3, v1, vcc
.LBB95_2278:
	s_or_b64 exec, exec, s[6:7]
	s_mov_b64 s[6:7], 0
	s_branch .LBB95_2282
.LBB95_2279:
	s_mov_b64 s[6:7], -1
                                        ; implicit-def: $vgpr19_vgpr20
	s_branch .LBB95_2288
.LBB95_2280:
	s_mov_b64 s[6:7], -1
                                        ; implicit-def: $vgpr19_vgpr20
	s_branch .LBB95_2285
.LBB95_2281:
	s_mov_b64 s[6:7], -1
                                        ; implicit-def: $vgpr19_vgpr20
.LBB95_2282:
	s_and_b64 vcc, exec, s[6:7]
	s_cbranch_vccz .LBB95_2284
; %bb.2283:
	global_load_ubyte v1, v[21:22], off
	s_mov_b32 s6, 0x7f800000
	s_brev_b32 s7, 1
	s_mov_b32 s16, 0x2f800000
	s_mov_b32 s17, 0xcf800000
	s_waitcnt vmcnt(0)
	v_lshlrev_b32_e32 v1, 24, v1
	v_and_b32_e32 v3, 0x7f000000, v1
	v_ffbh_u32_e32 v5, v3
	v_min_u32_e32 v5, 32, v5
	v_sub_u32_e64 v5, v5, 4 clamp
	v_lshlrev_b32_e32 v20, v5, v3
	v_lshlrev_b32_e32 v5, 23, v5
	v_lshrrev_b32_e32 v20, 4, v20
	v_add_u32_e32 v19, 0x1000000, v3
	v_sub_u32_e32 v5, v20, v5
	v_ashrrev_i32_e32 v19, 8, v19
	v_add_u32_e32 v5, 0x3c000000, v5
	v_and_or_b32 v5, v19, s6, v5
	v_cmp_ne_u32_e32 vcc, 0, v3
	v_cndmask_b32_e32 v3, 0, v5, vcc
	v_and_or_b32 v1, v1, s7, v3
	v_trunc_f32_e32 v1, v1
	v_mul_f32_e64 v3, |v1|, s16
	v_floor_f32_e32 v3, v3
	v_fma_f32 v5, v3, s17, |v1|
	v_cvt_u32_f32_e32 v5, v5
	v_cvt_u32_f32_e32 v3, v3
	v_ashrrev_i32_e32 v1, 31, v1
	v_xor_b32_e32 v5, v5, v1
	v_xor_b32_e32 v3, v3, v1
	v_sub_co_u32_e32 v19, vcc, v5, v1
	v_subb_co_u32_e32 v20, vcc, v3, v1, vcc
.LBB95_2284:
	s_mov_b64 s[6:7], 0
.LBB95_2285:
	s_andn2_b64 vcc, exec, s[6:7]
	s_cbranch_vccnz .LBB95_2287
; %bb.2286:
	global_load_ubyte v1, v[21:22], off
	s_movk_i32 s6, 0x7f00
	s_brev_b32 s7, 16
	s_brev_b32 s16, 1
	s_mov_b32 s17, 0x2f800000
	s_mov_b32 s18, 0xcf800000
	s_waitcnt vmcnt(0)
	v_lshlrev_b16_e32 v3, 8, v1
	v_lshlrev_b32_e32 v1, 25, v1
	v_lshrrev_b32_e32 v5, 4, v1
	v_and_or_b32 v19, v3, s6, 0.5
	v_or_b32_e32 v5, 0x70000000, v5
	v_add_f32_e32 v19, -0.5, v19
	v_mul_f32_e32 v5, 0x7800000, v5
	v_cmp_gt_u32_e32 vcc, s7, v1
	v_bfe_i32 v3, v3, 0, 16
	v_cndmask_b32_e32 v1, v5, v19, vcc
	v_and_or_b32 v1, v3, s16, v1
	v_trunc_f32_e32 v1, v1
	v_mul_f32_e64 v3, |v1|, s17
	v_floor_f32_e32 v3, v3
	v_fma_f32 v5, v3, s18, |v1|
	v_cvt_u32_f32_e32 v5, v5
	v_cvt_u32_f32_e32 v3, v3
	v_ashrrev_i32_e32 v1, 31, v1
	v_xor_b32_e32 v5, v5, v1
	v_xor_b32_e32 v3, v3, v1
	v_sub_co_u32_e32 v19, vcc, v5, v1
	v_subb_co_u32_e32 v20, vcc, v3, v1, vcc
.LBB95_2287:
	s_mov_b64 s[6:7], 0
	s_mov_b64 s[16:17], -1
.LBB95_2288:
	s_andn2_b64 vcc, exec, s[6:7]
	s_mov_b64 s[6:7], 0
	s_cbranch_vccnz .LBB95_2297
; %bb.2289:
	s_cmp_gt_i32 s21, 14
	s_cbranch_scc0 .LBB95_2292
; %bb.2290:
	s_cmp_eq_u32 s21, 15
	s_cbranch_scc0 .LBB95_2293
; %bb.2291:
	global_load_ushort v1, v[21:22], off
	s_mov_b32 s2, 0x2f800000
	s_mov_b32 s3, 0xcf800000
	s_mov_b64 s[16:17], -1
	s_waitcnt vmcnt(0)
	v_lshlrev_b32_e32 v1, 16, v1
	v_trunc_f32_e32 v1, v1
	v_mul_f32_e64 v3, |v1|, s2
	v_floor_f32_e32 v3, v3
	v_fma_f32 v5, v3, s3, |v1|
	v_cvt_u32_f32_e32 v5, v5
	v_cvt_u32_f32_e32 v3, v3
	v_ashrrev_i32_e32 v1, 31, v1
	s_mov_b64 s[2:3], 0
	v_xor_b32_e32 v5, v5, v1
	v_xor_b32_e32 v3, v3, v1
	v_sub_co_u32_e32 v19, vcc, v5, v1
	v_subb_co_u32_e32 v20, vcc, v3, v1, vcc
	s_branch .LBB95_2294
.LBB95_2292:
	s_mov_b64 s[18:19], -1
                                        ; implicit-def: $vgpr19_vgpr20
	s_branch .LBB95_2295
.LBB95_2293:
	s_mov_b64 s[2:3], -1
                                        ; implicit-def: $vgpr19_vgpr20
.LBB95_2294:
	s_mov_b64 s[18:19], 0
.LBB95_2295:
	s_and_b64 vcc, exec, s[18:19]
	s_cbranch_vccz .LBB95_2297
; %bb.2296:
	s_cmp_lg_u32 s21, 11
	s_mov_b64 s[6:7], -1
	s_cselect_b64 s[2:3], -1, 0
.LBB95_2297:
	s_and_b64 vcc, exec, s[2:3]
	s_cbranch_vccnz .LBB95_2362
; %bb.2298:
	s_andn2_b64 vcc, exec, s[6:7]
	s_cbranch_vccnz .LBB95_2300
.LBB95_2299:
	global_load_ubyte v1, v[21:22], off
	s_mov_b32 s2, 0
	s_waitcnt vmcnt(1)
	v_mov_b32_e32 v20, s2
	s_mov_b64 s[16:17], -1
	s_waitcnt vmcnt(0)
	v_cmp_ne_u16_e32 vcc, 0, v1
	v_cndmask_b32_e64 v19, 0, 1, vcc
.LBB95_2300:
	s_mov_b64 s[2:3], 0
.LBB95_2301:
	s_and_b64 vcc, exec, s[2:3]
	s_cbranch_vccz .LBB95_2350
; %bb.2302:
	s_cmp_lt_i32 s21, 5
	s_cbranch_scc1 .LBB95_2307
; %bb.2303:
	s_cmp_lt_i32 s21, 8
	s_cbranch_scc1 .LBB95_2308
	;; [unrolled: 3-line block ×3, first 2 shown]
; %bb.2305:
	s_cmp_gt_i32 s21, 9
	s_cbranch_scc0 .LBB95_2310
; %bb.2306:
	global_load_dwordx2 v[19:20], v[21:22], off
	s_movk_i32 s2, 0xffe0
	s_waitcnt vmcnt(0)
	v_trunc_f64_e32 v[19:20], v[19:20]
	v_ldexp_f64 v[23:24], v[19:20], s2
	s_mov_b32 s2, 0
	s_mov_b32 s3, 0xc1f00000
	v_floor_f64_e32 v[23:24], v[23:24]
	v_fma_f64 v[25:26], v[23:24], s[2:3], v[19:20]
	v_cvt_i32_f64_e32 v20, v[23:24]
	s_mov_b64 s[2:3], 0
	v_cvt_u32_f64_e32 v19, v[25:26]
	s_branch .LBB95_2311
.LBB95_2307:
	s_mov_b64 s[2:3], -1
                                        ; implicit-def: $vgpr19_vgpr20
	s_branch .LBB95_2329
.LBB95_2308:
	s_mov_b64 s[2:3], -1
                                        ; implicit-def: $vgpr19_vgpr20
	s_branch .LBB95_2317
.LBB95_2309:
	s_mov_b64 s[2:3], -1
                                        ; implicit-def: $vgpr19_vgpr20
	s_branch .LBB95_2314
.LBB95_2310:
	s_mov_b64 s[2:3], -1
                                        ; implicit-def: $vgpr19_vgpr20
.LBB95_2311:
	s_andn2_b64 vcc, exec, s[2:3]
	s_cbranch_vccnz .LBB95_2313
; %bb.2312:
	global_load_dword v1, v[21:22], off
	s_mov_b32 s2, 0x2f800000
	s_mov_b32 s3, 0xcf800000
	s_waitcnt vmcnt(0)
	v_trunc_f32_e32 v1, v1
	v_mul_f32_e64 v3, |v1|, s2
	v_floor_f32_e32 v3, v3
	v_cvt_u32_f32_e32 v5, v3
	v_fma_f32 v3, v3, s3, |v1|
	v_cvt_u32_f32_e32 v3, v3
	v_ashrrev_i32_e32 v1, 31, v1
	v_xor_b32_e32 v5, v5, v1
	v_xor_b32_e32 v3, v3, v1
	v_sub_co_u32_e32 v19, vcc, v3, v1
	v_subb_co_u32_e32 v20, vcc, v5, v1, vcc
.LBB95_2313:
	s_mov_b64 s[2:3], 0
.LBB95_2314:
	s_andn2_b64 vcc, exec, s[2:3]
	s_cbranch_vccnz .LBB95_2316
; %bb.2315:
	global_load_dword v1, v[21:22], off
	s_waitcnt vmcnt(0)
	v_cvt_f32_f16_e32 v1, v1
	v_cvt_i32_f32_e32 v19, v1
	v_ashrrev_i32_e32 v20, 31, v19
.LBB95_2316:
	s_mov_b64 s[2:3], 0
.LBB95_2317:
	s_andn2_b64 vcc, exec, s[2:3]
	s_cbranch_vccnz .LBB95_2328
; %bb.2318:
	s_cmp_lt_i32 s21, 6
	s_cbranch_scc1 .LBB95_2321
; %bb.2319:
	s_cmp_gt_i32 s21, 6
	s_cbranch_scc0 .LBB95_2322
; %bb.2320:
	global_load_dwordx2 v[19:20], v[21:22], off
	s_movk_i32 s2, 0xffe0
	s_waitcnt vmcnt(0)
	v_trunc_f64_e32 v[19:20], v[19:20]
	v_ldexp_f64 v[23:24], v[19:20], s2
	s_mov_b32 s2, 0
	s_mov_b32 s3, 0xc1f00000
	v_floor_f64_e32 v[23:24], v[23:24]
	v_fma_f64 v[25:26], v[23:24], s[2:3], v[19:20]
	v_cvt_i32_f64_e32 v20, v[23:24]
	s_mov_b64 s[2:3], 0
	v_cvt_u32_f64_e32 v19, v[25:26]
	s_branch .LBB95_2323
.LBB95_2321:
	s_mov_b64 s[2:3], -1
                                        ; implicit-def: $vgpr19_vgpr20
	s_branch .LBB95_2326
.LBB95_2322:
	s_mov_b64 s[2:3], -1
                                        ; implicit-def: $vgpr19_vgpr20
.LBB95_2323:
	s_andn2_b64 vcc, exec, s[2:3]
	s_cbranch_vccnz .LBB95_2325
; %bb.2324:
	global_load_dword v1, v[21:22], off
	s_mov_b32 s2, 0x2f800000
	s_mov_b32 s3, 0xcf800000
	s_waitcnt vmcnt(0)
	v_trunc_f32_e32 v1, v1
	v_mul_f32_e64 v3, |v1|, s2
	v_floor_f32_e32 v3, v3
	v_cvt_u32_f32_e32 v5, v3
	v_fma_f32 v3, v3, s3, |v1|
	v_cvt_u32_f32_e32 v3, v3
	v_ashrrev_i32_e32 v1, 31, v1
	v_xor_b32_e32 v5, v5, v1
	v_xor_b32_e32 v3, v3, v1
	v_sub_co_u32_e32 v19, vcc, v3, v1
	v_subb_co_u32_e32 v20, vcc, v5, v1, vcc
.LBB95_2325:
	s_mov_b64 s[2:3], 0
.LBB95_2326:
	s_andn2_b64 vcc, exec, s[2:3]
	s_cbranch_vccnz .LBB95_2328
; %bb.2327:
	global_load_ushort v1, v[21:22], off
	s_waitcnt vmcnt(0)
	v_cvt_f32_f16_e32 v1, v1
	v_cvt_i32_f32_e32 v19, v1
	v_ashrrev_i32_e32 v20, 31, v19
.LBB95_2328:
	s_mov_b64 s[2:3], 0
.LBB95_2329:
	s_andn2_b64 vcc, exec, s[2:3]
	s_cbranch_vccnz .LBB95_2349
; %bb.2330:
	s_cmp_lt_i32 s21, 2
	s_cbranch_scc1 .LBB95_2334
; %bb.2331:
	s_cmp_lt_i32 s21, 3
	s_cbranch_scc1 .LBB95_2335
; %bb.2332:
	s_cmp_gt_i32 s21, 3
	s_cbranch_scc0 .LBB95_2336
; %bb.2333:
	global_load_dwordx2 v[19:20], v[21:22], off
	s_mov_b64 s[2:3], 0
	s_branch .LBB95_2337
.LBB95_2334:
	s_mov_b64 s[2:3], -1
                                        ; implicit-def: $vgpr19_vgpr20
	s_branch .LBB95_2343
.LBB95_2335:
	s_mov_b64 s[2:3], -1
                                        ; implicit-def: $vgpr19_vgpr20
	s_branch .LBB95_2340
.LBB95_2336:
	s_mov_b64 s[2:3], -1
                                        ; implicit-def: $vgpr19_vgpr20
.LBB95_2337:
	s_andn2_b64 vcc, exec, s[2:3]
	s_cbranch_vccnz .LBB95_2339
; %bb.2338:
	global_load_dword v19, v[21:22], off
	s_waitcnt vmcnt(0)
	v_ashrrev_i32_e32 v20, 31, v19
.LBB95_2339:
	s_mov_b64 s[2:3], 0
.LBB95_2340:
	s_andn2_b64 vcc, exec, s[2:3]
	s_cbranch_vccnz .LBB95_2342
; %bb.2341:
	global_load_ushort v1, v[21:22], off
	s_waitcnt vmcnt(0)
	v_bfe_i32 v19, v1, 0, 16
	v_ashrrev_i32_e32 v20, 31, v19
.LBB95_2342:
	s_mov_b64 s[2:3], 0
.LBB95_2343:
	s_andn2_b64 vcc, exec, s[2:3]
	s_cbranch_vccnz .LBB95_2349
; %bb.2344:
	s_cmp_gt_i32 s21, 0
	s_cbranch_scc0 .LBB95_2346
; %bb.2345:
	global_load_sbyte v1, v[21:22], off
	s_mov_b64 s[2:3], 0
	s_waitcnt vmcnt(0)
	v_bfe_i32 v19, v1, 0, 16
	v_ashrrev_i32_e32 v20, 31, v19
	s_branch .LBB95_2347
.LBB95_2346:
	s_mov_b64 s[2:3], -1
                                        ; implicit-def: $vgpr19_vgpr20
.LBB95_2347:
	s_andn2_b64 vcc, exec, s[2:3]
	s_cbranch_vccnz .LBB95_2349
; %bb.2348:
	global_load_ubyte v1, v[21:22], off
	s_mov_b32 s2, 0
	s_waitcnt vmcnt(1)
	v_mov_b32_e32 v20, s2
	s_waitcnt vmcnt(0)
	v_and_b32_e32 v19, 0xffff, v1
.LBB95_2349:
	s_mov_b64 s[16:17], -1
.LBB95_2350:
	s_andn2_b64 vcc, exec, s[16:17]
	s_cbranch_vccnz .LBB95_3036
; %bb.2351:
	v_mov_b32_e32 v1, s11
	v_add_co_u32_e32 v23, vcc, s10, v14
	s_cmp_lt_i32 s22, 11
	v_addc_co_u32_e32 v24, vcc, 0, v1, vcc
	s_cbranch_scc1 .LBB95_2358
; %bb.2352:
	s_and_b32 s18, 0xffff, s22
	s_cmp_gt_i32 s18, 25
	s_mov_b64 s[6:7], 0
	s_cbranch_scc0 .LBB95_2359
; %bb.2353:
	s_cmp_gt_i32 s18, 28
	s_cbranch_scc0 .LBB95_2360
; %bb.2354:
	s_cmp_gt_i32 s18, 43
	;; [unrolled: 3-line block ×3, first 2 shown]
	s_cbranch_scc0 .LBB95_2363
; %bb.2356:
	s_cmp_eq_u32 s18, 46
	s_mov_b64 s[16:17], 0
	s_cbranch_scc0 .LBB95_2364
; %bb.2357:
	global_load_dword v1, v[23:24], off
	s_mov_b32 s2, 0x2f800000
	s_mov_b32 s3, 0xcf800000
	s_mov_b64 s[10:11], -1
	s_waitcnt vmcnt(0)
	v_lshlrev_b32_e32 v1, 16, v1
	v_trunc_f32_e32 v1, v1
	v_mul_f32_e64 v3, |v1|, s2
	v_floor_f32_e32 v3, v3
	v_fma_f32 v5, v3, s3, |v1|
	v_cvt_u32_f32_e32 v5, v5
	v_cvt_u32_f32_e32 v3, v3
	v_ashrrev_i32_e32 v1, 31, v1
	s_mov_b64 s[2:3], 0
	v_xor_b32_e32 v5, v5, v1
	v_xor_b32_e32 v3, v3, v1
	v_sub_co_u32_e32 v21, vcc, v5, v1
	v_subb_co_u32_e32 v22, vcc, v3, v1, vcc
	s_branch .LBB95_2365
.LBB95_2358:
	s_mov_b64 s[2:3], -1
	s_mov_b64 s[10:11], 0
                                        ; implicit-def: $vgpr21_vgpr22
	s_branch .LBB95_2427
.LBB95_2359:
	s_mov_b64 s[16:17], -1
	s_mov_b64 s[10:11], 0
	s_mov_b64 s[2:3], 0
                                        ; implicit-def: $vgpr21_vgpr22
	s_branch .LBB95_2394
.LBB95_2360:
	s_mov_b64 s[16:17], -1
	s_mov_b64 s[10:11], 0
	s_mov_b64 s[2:3], 0
                                        ; implicit-def: $vgpr21_vgpr22
	s_branch .LBB95_2375
.LBB95_2361:
	s_mov_b64 s[16:17], -1
	s_mov_b64 s[10:11], 0
	s_mov_b64 s[2:3], 0
                                        ; implicit-def: $vgpr21_vgpr22
	s_branch .LBB95_2370
.LBB95_2362:
	s_trap 2
	s_or_b64 s[4:5], s[4:5], exec
	s_cbranch_execz .LBB95_2299
	s_branch .LBB95_2300
.LBB95_2363:
	s_mov_b64 s[16:17], -1
	s_mov_b64 s[10:11], 0
	s_mov_b64 s[2:3], 0
                                        ; implicit-def: $vgpr21_vgpr22
	s_branch .LBB95_2365
.LBB95_2364:
	s_mov_b64 s[2:3], -1
                                        ; implicit-def: $vgpr21_vgpr22
	s_mov_b64 s[10:11], 0
.LBB95_2365:
	s_and_b64 vcc, exec, s[16:17]
	s_cbranch_vccz .LBB95_2369
; %bb.2366:
	s_cmp_eq_u32 s18, 44
	s_cbranch_scc0 .LBB95_2368
; %bb.2367:
	global_load_ubyte v1, v[23:24], off
	s_mov_b32 s2, 0x2f800000
	s_mov_b32 s3, 0xcf800000
	s_mov_b64 s[10:11], -1
	s_waitcnt vmcnt(0)
	v_lshlrev_b32_e32 v3, 23, v1
	v_trunc_f32_e32 v3, v3
	v_mul_f32_e64 v5, |v3|, s2
	v_floor_f32_e32 v5, v5
	v_fma_f32 v14, v5, s3, |v3|
	v_cvt_u32_f32_e32 v14, v14
	v_cvt_u32_f32_e32 v5, v5
	v_ashrrev_i32_e32 v3, 31, v3
	s_mov_b64 s[2:3], 0
	v_xor_b32_e32 v14, v14, v3
	v_xor_b32_e32 v5, v5, v3
	v_sub_co_u32_e32 v14, vcc, v14, v3
	v_subb_co_u32_e32 v3, vcc, v5, v3, vcc
	v_cmp_ne_u32_e32 vcc, 0, v1
	v_cndmask_b32_e32 v22, 0, v3, vcc
	v_cndmask_b32_e32 v21, 0, v14, vcc
	s_branch .LBB95_2369
.LBB95_2368:
	s_mov_b64 s[2:3], -1
                                        ; implicit-def: $vgpr21_vgpr22
.LBB95_2369:
	s_mov_b64 s[16:17], 0
.LBB95_2370:
	s_and_b64 vcc, exec, s[16:17]
	s_cbranch_vccz .LBB95_2374
; %bb.2371:
	s_cmp_eq_u32 s18, 29
	s_cbranch_scc0 .LBB95_2373
; %bb.2372:
	global_load_dwordx2 v[21:22], v[23:24], off
	s_mov_b64 s[2:3], 0
	s_mov_b64 s[10:11], -1
	s_branch .LBB95_2374
.LBB95_2373:
	s_mov_b64 s[2:3], -1
                                        ; implicit-def: $vgpr21_vgpr22
.LBB95_2374:
	s_mov_b64 s[16:17], 0
.LBB95_2375:
	s_and_b64 vcc, exec, s[16:17]
	s_cbranch_vccz .LBB95_2393
; %bb.2376:
	s_cmp_lt_i32 s18, 27
	s_cbranch_scc1 .LBB95_2379
; %bb.2377:
	s_cmp_gt_i32 s18, 27
	s_cbranch_scc0 .LBB95_2380
; %bb.2378:
	global_load_dword v21, v[23:24], off
	s_waitcnt vmcnt(1)
	v_mov_b32_e32 v22, 0
	s_mov_b64 s[10:11], 0
	s_branch .LBB95_2381
.LBB95_2379:
	s_mov_b64 s[10:11], -1
                                        ; implicit-def: $vgpr21_vgpr22
	s_branch .LBB95_2384
.LBB95_2380:
	s_mov_b64 s[10:11], -1
                                        ; implicit-def: $vgpr21_vgpr22
.LBB95_2381:
	s_andn2_b64 vcc, exec, s[10:11]
	s_cbranch_vccnz .LBB95_2383
; %bb.2382:
	global_load_ushort v1, v[23:24], off
	s_mov_b32 s10, 0
	s_waitcnt vmcnt(1)
	v_mov_b32_e32 v22, s10
	s_waitcnt vmcnt(0)
	v_and_b32_e32 v21, 0xffff, v1
.LBB95_2383:
	s_mov_b64 s[10:11], 0
.LBB95_2384:
	s_andn2_b64 vcc, exec, s[10:11]
	s_cbranch_vccnz .LBB95_2392
; %bb.2385:
	global_load_ubyte v1, v[23:24], off
	s_movk_i32 s10, 0x7f
	s_mov_b64 s[16:17], 0
	s_waitcnt vmcnt(0)
	v_cmp_lt_i16_e32 vcc, s10, v1
	s_and_saveexec_b64 s[10:11], vcc
	s_xor_b64 s[10:11], exec, s[10:11]
; %bb.2386:
	s_movk_i32 s16, 0x80
	v_cmp_ne_u16_e32 vcc, s16, v1
	s_and_b64 s[16:17], vcc, exec
; %bb.2387:
	s_andn2_saveexec_b64 s[10:11], s[10:11]
; %bb.2388:
	v_cmp_ne_u16_e32 vcc, 0, v1
	s_andn2_b64 s[16:17], s[16:17], exec
	s_and_b64 s[24:25], vcc, exec
	s_or_b64 s[16:17], s[16:17], s[24:25]
; %bb.2389:
	s_or_b64 exec, exec, s[10:11]
	v_mov_b32_e32 v21, 0
	v_mov_b32_e32 v22, 0
	s_and_saveexec_b64 s[10:11], s[16:17]
	s_cbranch_execz .LBB95_2391
; %bb.2390:
	v_lshlrev_b32_e32 v3, 24, v1
	v_and_b32_e32 v1, 0xffff, v1
	v_and_b32_e32 v5, 7, v1
	v_ffbh_u32_e32 v21, v5
	v_min_u32_e32 v21, 32, v21
	v_subrev_u32_e32 v22, 28, v21
	v_bfe_u32 v14, v1, 3, 4
	v_lshlrev_b32_e32 v1, v22, v1
	v_sub_u32_e32 v21, 29, v21
	v_and_b32_e32 v1, 7, v1
	v_cmp_eq_u32_e32 vcc, 0, v14
	v_cndmask_b32_e32 v14, v14, v21, vcc
	v_cndmask_b32_e32 v1, v5, v1, vcc
	v_mov_b32_e32 v5, 0x3b800000
	v_lshlrev_b32_e32 v1, 20, v1
	v_and_b32_e32 v3, 0x80000000, v3
	v_lshl_add_u32 v5, v14, 23, v5
	v_or3_b32 v1, v3, v5, v1
	v_trunc_f32_e32 v1, v1
	s_mov_b32 s16, 0x2f800000
	v_mul_f32_e64 v3, |v1|, s16
	v_floor_f32_e32 v3, v3
	s_mov_b32 s16, 0xcf800000
	v_fma_f32 v5, v3, s16, |v1|
	v_cvt_u32_f32_e32 v5, v5
	v_cvt_u32_f32_e32 v3, v3
	v_ashrrev_i32_e32 v1, 31, v1
	v_xor_b32_e32 v5, v5, v1
	v_xor_b32_e32 v3, v3, v1
	v_sub_co_u32_e32 v21, vcc, v5, v1
	v_subb_co_u32_e32 v22, vcc, v3, v1, vcc
.LBB95_2391:
	s_or_b64 exec, exec, s[10:11]
.LBB95_2392:
	s_mov_b64 s[10:11], -1
.LBB95_2393:
	s_mov_b64 s[16:17], 0
.LBB95_2394:
	s_and_b64 vcc, exec, s[16:17]
	s_cbranch_vccz .LBB95_2423
; %bb.2395:
	s_cmp_gt_i32 s18, 22
	s_cbranch_scc0 .LBB95_2405
; %bb.2396:
	s_cmp_lt_i32 s18, 24
	s_cbranch_scc1 .LBB95_2406
; %bb.2397:
	s_cmp_gt_i32 s18, 24
	s_cbranch_scc0 .LBB95_2407
; %bb.2398:
	global_load_ubyte v1, v[23:24], off
	s_movk_i32 s6, 0x7f
	s_mov_b64 s[10:11], 0
	s_waitcnt vmcnt(0)
	v_cmp_lt_i16_e32 vcc, s6, v1
	s_and_saveexec_b64 s[6:7], vcc
	s_xor_b64 s[6:7], exec, s[6:7]
; %bb.2399:
	s_movk_i32 s10, 0x80
	v_cmp_ne_u16_e32 vcc, s10, v1
	s_and_b64 s[10:11], vcc, exec
; %bb.2400:
	s_andn2_saveexec_b64 s[6:7], s[6:7]
; %bb.2401:
	v_cmp_ne_u16_e32 vcc, 0, v1
	s_andn2_b64 s[10:11], s[10:11], exec
	s_and_b64 s[16:17], vcc, exec
	s_or_b64 s[10:11], s[10:11], s[16:17]
; %bb.2402:
	s_or_b64 exec, exec, s[6:7]
	v_mov_b32_e32 v21, 0
	v_mov_b32_e32 v22, 0
	s_and_saveexec_b64 s[6:7], s[10:11]
	s_cbranch_execz .LBB95_2404
; %bb.2403:
	v_lshlrev_b32_e32 v3, 24, v1
	v_and_b32_e32 v1, 0xffff, v1
	v_and_b32_e32 v5, 3, v1
	v_ffbh_u32_e32 v21, v5
	v_min_u32_e32 v21, 32, v21
	v_subrev_u32_e32 v22, 29, v21
	v_bfe_u32 v14, v1, 2, 5
	v_lshlrev_b32_e32 v1, v22, v1
	v_sub_u32_e32 v21, 30, v21
	v_and_b32_e32 v1, 3, v1
	v_cmp_eq_u32_e32 vcc, 0, v14
	v_cndmask_b32_e32 v14, v14, v21, vcc
	v_cndmask_b32_e32 v1, v5, v1, vcc
	v_mov_b32_e32 v5, 0x37800000
	v_lshlrev_b32_e32 v1, 21, v1
	v_and_b32_e32 v3, 0x80000000, v3
	v_lshl_add_u32 v5, v14, 23, v5
	v_or3_b32 v1, v3, v5, v1
	v_trunc_f32_e32 v1, v1
	s_mov_b32 s10, 0x2f800000
	v_mul_f32_e64 v3, |v1|, s10
	v_floor_f32_e32 v3, v3
	s_mov_b32 s10, 0xcf800000
	v_fma_f32 v5, v3, s10, |v1|
	v_cvt_u32_f32_e32 v5, v5
	v_cvt_u32_f32_e32 v3, v3
	v_ashrrev_i32_e32 v1, 31, v1
	v_xor_b32_e32 v5, v5, v1
	v_xor_b32_e32 v3, v3, v1
	v_sub_co_u32_e32 v21, vcc, v5, v1
	v_subb_co_u32_e32 v22, vcc, v3, v1, vcc
.LBB95_2404:
	s_or_b64 exec, exec, s[6:7]
	s_mov_b64 s[6:7], 0
	s_branch .LBB95_2408
.LBB95_2405:
	s_mov_b64 s[6:7], -1
                                        ; implicit-def: $vgpr21_vgpr22
	s_branch .LBB95_2414
.LBB95_2406:
	s_mov_b64 s[6:7], -1
                                        ; implicit-def: $vgpr21_vgpr22
	s_branch .LBB95_2411
.LBB95_2407:
	s_mov_b64 s[6:7], -1
                                        ; implicit-def: $vgpr21_vgpr22
.LBB95_2408:
	s_and_b64 vcc, exec, s[6:7]
	s_cbranch_vccz .LBB95_2410
; %bb.2409:
	global_load_ubyte v1, v[23:24], off
	s_mov_b32 s6, 0x7f800000
	s_brev_b32 s7, 1
	s_mov_b32 s10, 0x2f800000
	s_mov_b32 s11, 0xcf800000
	s_waitcnt vmcnt(0)
	v_lshlrev_b32_e32 v1, 24, v1
	v_and_b32_e32 v3, 0x7f000000, v1
	v_ffbh_u32_e32 v5, v3
	v_min_u32_e32 v5, 32, v5
	v_sub_u32_e64 v5, v5, 4 clamp
	v_lshlrev_b32_e32 v21, v5, v3
	v_lshlrev_b32_e32 v5, 23, v5
	v_lshrrev_b32_e32 v21, 4, v21
	v_add_u32_e32 v14, 0x1000000, v3
	v_sub_u32_e32 v5, v21, v5
	v_ashrrev_i32_e32 v14, 8, v14
	v_add_u32_e32 v5, 0x3c000000, v5
	v_and_or_b32 v5, v14, s6, v5
	v_cmp_ne_u32_e32 vcc, 0, v3
	v_cndmask_b32_e32 v3, 0, v5, vcc
	v_and_or_b32 v1, v1, s7, v3
	v_trunc_f32_e32 v1, v1
	v_mul_f32_e64 v3, |v1|, s10
	v_floor_f32_e32 v3, v3
	v_fma_f32 v5, v3, s11, |v1|
	v_cvt_u32_f32_e32 v5, v5
	v_cvt_u32_f32_e32 v3, v3
	v_ashrrev_i32_e32 v1, 31, v1
	v_xor_b32_e32 v5, v5, v1
	v_xor_b32_e32 v3, v3, v1
	v_sub_co_u32_e32 v21, vcc, v5, v1
	v_subb_co_u32_e32 v22, vcc, v3, v1, vcc
.LBB95_2410:
	s_mov_b64 s[6:7], 0
.LBB95_2411:
	s_andn2_b64 vcc, exec, s[6:7]
	s_cbranch_vccnz .LBB95_2413
; %bb.2412:
	global_load_ubyte v1, v[23:24], off
	s_movk_i32 s6, 0x7f00
	s_brev_b32 s7, 16
	s_brev_b32 s10, 1
	s_mov_b32 s11, 0x2f800000
	s_mov_b32 s16, 0xcf800000
	s_waitcnt vmcnt(0)
	v_lshlrev_b16_e32 v3, 8, v1
	v_lshlrev_b32_e32 v1, 25, v1
	v_lshrrev_b32_e32 v5, 4, v1
	v_and_or_b32 v14, v3, s6, 0.5
	v_or_b32_e32 v5, 0x70000000, v5
	v_add_f32_e32 v14, -0.5, v14
	v_mul_f32_e32 v5, 0x7800000, v5
	v_cmp_gt_u32_e32 vcc, s7, v1
	v_bfe_i32 v3, v3, 0, 16
	v_cndmask_b32_e32 v1, v5, v14, vcc
	v_and_or_b32 v1, v3, s10, v1
	v_trunc_f32_e32 v1, v1
	v_mul_f32_e64 v3, |v1|, s11
	v_floor_f32_e32 v3, v3
	v_fma_f32 v5, v3, s16, |v1|
	v_cvt_u32_f32_e32 v5, v5
	v_cvt_u32_f32_e32 v3, v3
	v_ashrrev_i32_e32 v1, 31, v1
	v_xor_b32_e32 v5, v5, v1
	v_xor_b32_e32 v3, v3, v1
	v_sub_co_u32_e32 v21, vcc, v5, v1
	v_subb_co_u32_e32 v22, vcc, v3, v1, vcc
.LBB95_2413:
	s_mov_b64 s[6:7], 0
	s_mov_b64 s[10:11], -1
.LBB95_2414:
	s_andn2_b64 vcc, exec, s[6:7]
	s_mov_b64 s[6:7], 0
	s_cbranch_vccnz .LBB95_2423
; %bb.2415:
	s_cmp_gt_i32 s18, 14
	s_cbranch_scc0 .LBB95_2418
; %bb.2416:
	s_cmp_eq_u32 s18, 15
	s_cbranch_scc0 .LBB95_2419
; %bb.2417:
	global_load_ushort v1, v[23:24], off
	s_mov_b32 s2, 0x2f800000
	s_mov_b32 s3, 0xcf800000
	s_mov_b64 s[10:11], -1
	s_waitcnt vmcnt(0)
	v_lshlrev_b32_e32 v1, 16, v1
	v_trunc_f32_e32 v1, v1
	v_mul_f32_e64 v3, |v1|, s2
	v_floor_f32_e32 v3, v3
	v_fma_f32 v5, v3, s3, |v1|
	v_cvt_u32_f32_e32 v5, v5
	v_cvt_u32_f32_e32 v3, v3
	v_ashrrev_i32_e32 v1, 31, v1
	s_mov_b64 s[2:3], 0
	v_xor_b32_e32 v5, v5, v1
	v_xor_b32_e32 v3, v3, v1
	v_sub_co_u32_e32 v21, vcc, v5, v1
	v_subb_co_u32_e32 v22, vcc, v3, v1, vcc
	s_branch .LBB95_2420
.LBB95_2418:
	s_mov_b64 s[16:17], -1
                                        ; implicit-def: $vgpr21_vgpr22
	s_branch .LBB95_2421
.LBB95_2419:
	s_mov_b64 s[2:3], -1
                                        ; implicit-def: $vgpr21_vgpr22
.LBB95_2420:
	s_mov_b64 s[16:17], 0
.LBB95_2421:
	s_and_b64 vcc, exec, s[16:17]
	s_cbranch_vccz .LBB95_2423
; %bb.2422:
	s_cmp_lg_u32 s18, 11
	s_mov_b64 s[6:7], -1
	s_cselect_b64 s[2:3], -1, 0
.LBB95_2423:
	s_and_b64 vcc, exec, s[2:3]
	s_cbranch_vccnz .LBB95_2488
; %bb.2424:
	s_andn2_b64 vcc, exec, s[6:7]
	s_cbranch_vccnz .LBB95_2426
.LBB95_2425:
	global_load_ubyte v1, v[23:24], off
	s_mov_b32 s2, 0
	s_waitcnt vmcnt(1)
	v_mov_b32_e32 v22, s2
	s_mov_b64 s[10:11], -1
	s_waitcnt vmcnt(0)
	v_cmp_ne_u16_e32 vcc, 0, v1
	v_cndmask_b32_e64 v21, 0, 1, vcc
.LBB95_2426:
	s_mov_b64 s[2:3], 0
.LBB95_2427:
	s_and_b64 vcc, exec, s[2:3]
	s_cbranch_vccz .LBB95_2476
; %bb.2428:
	s_and_b32 s6, 0xffff, s22
	s_cmp_lt_i32 s6, 5
	s_cbranch_scc1 .LBB95_2433
; %bb.2429:
	s_cmp_lt_i32 s6, 8
	s_cbranch_scc1 .LBB95_2434
; %bb.2430:
	;; [unrolled: 3-line block ×3, first 2 shown]
	s_cmp_gt_i32 s6, 9
	s_cbranch_scc0 .LBB95_2436
; %bb.2432:
	global_load_dwordx2 v[21:22], v[23:24], off
	s_movk_i32 s2, 0xffe0
	s_waitcnt vmcnt(0)
	v_trunc_f64_e32 v[21:22], v[21:22]
	v_ldexp_f64 v[25:26], v[21:22], s2
	s_mov_b32 s2, 0
	s_mov_b32 s3, 0xc1f00000
	v_floor_f64_e32 v[25:26], v[25:26]
	v_fma_f64 v[27:28], v[25:26], s[2:3], v[21:22]
	v_cvt_i32_f64_e32 v22, v[25:26]
	s_mov_b64 s[2:3], 0
	v_cvt_u32_f64_e32 v21, v[27:28]
	s_branch .LBB95_2437
.LBB95_2433:
	s_mov_b64 s[2:3], -1
                                        ; implicit-def: $vgpr21_vgpr22
	s_branch .LBB95_2455
.LBB95_2434:
	s_mov_b64 s[2:3], -1
                                        ; implicit-def: $vgpr21_vgpr22
	s_branch .LBB95_2443
.LBB95_2435:
	s_mov_b64 s[2:3], -1
                                        ; implicit-def: $vgpr21_vgpr22
	s_branch .LBB95_2440
.LBB95_2436:
	s_mov_b64 s[2:3], -1
                                        ; implicit-def: $vgpr21_vgpr22
.LBB95_2437:
	s_andn2_b64 vcc, exec, s[2:3]
	s_cbranch_vccnz .LBB95_2439
; %bb.2438:
	global_load_dword v1, v[23:24], off
	s_mov_b32 s2, 0x2f800000
	s_mov_b32 s3, 0xcf800000
	s_waitcnt vmcnt(0)
	v_trunc_f32_e32 v1, v1
	v_mul_f32_e64 v3, |v1|, s2
	v_floor_f32_e32 v3, v3
	v_cvt_u32_f32_e32 v5, v3
	v_fma_f32 v3, v3, s3, |v1|
	v_cvt_u32_f32_e32 v3, v3
	v_ashrrev_i32_e32 v1, 31, v1
	v_xor_b32_e32 v5, v5, v1
	v_xor_b32_e32 v3, v3, v1
	v_sub_co_u32_e32 v21, vcc, v3, v1
	v_subb_co_u32_e32 v22, vcc, v5, v1, vcc
.LBB95_2439:
	s_mov_b64 s[2:3], 0
.LBB95_2440:
	s_andn2_b64 vcc, exec, s[2:3]
	s_cbranch_vccnz .LBB95_2442
; %bb.2441:
	global_load_dword v1, v[23:24], off
	s_waitcnt vmcnt(0)
	v_cvt_f32_f16_e32 v1, v1
	v_cvt_i32_f32_e32 v21, v1
	v_ashrrev_i32_e32 v22, 31, v21
.LBB95_2442:
	s_mov_b64 s[2:3], 0
.LBB95_2443:
	s_andn2_b64 vcc, exec, s[2:3]
	s_cbranch_vccnz .LBB95_2454
; %bb.2444:
	s_cmp_lt_i32 s6, 6
	s_cbranch_scc1 .LBB95_2447
; %bb.2445:
	s_cmp_gt_i32 s6, 6
	s_cbranch_scc0 .LBB95_2448
; %bb.2446:
	global_load_dwordx2 v[21:22], v[23:24], off
	s_movk_i32 s2, 0xffe0
	s_waitcnt vmcnt(0)
	v_trunc_f64_e32 v[21:22], v[21:22]
	v_ldexp_f64 v[25:26], v[21:22], s2
	s_mov_b32 s2, 0
	s_mov_b32 s3, 0xc1f00000
	v_floor_f64_e32 v[25:26], v[25:26]
	v_fma_f64 v[27:28], v[25:26], s[2:3], v[21:22]
	v_cvt_i32_f64_e32 v22, v[25:26]
	s_mov_b64 s[2:3], 0
	v_cvt_u32_f64_e32 v21, v[27:28]
	s_branch .LBB95_2449
.LBB95_2447:
	s_mov_b64 s[2:3], -1
                                        ; implicit-def: $vgpr21_vgpr22
	s_branch .LBB95_2452
.LBB95_2448:
	s_mov_b64 s[2:3], -1
                                        ; implicit-def: $vgpr21_vgpr22
.LBB95_2449:
	s_andn2_b64 vcc, exec, s[2:3]
	s_cbranch_vccnz .LBB95_2451
; %bb.2450:
	global_load_dword v1, v[23:24], off
	s_mov_b32 s2, 0x2f800000
	s_mov_b32 s3, 0xcf800000
	s_waitcnt vmcnt(0)
	v_trunc_f32_e32 v1, v1
	v_mul_f32_e64 v3, |v1|, s2
	v_floor_f32_e32 v3, v3
	v_cvt_u32_f32_e32 v5, v3
	v_fma_f32 v3, v3, s3, |v1|
	v_cvt_u32_f32_e32 v3, v3
	v_ashrrev_i32_e32 v1, 31, v1
	v_xor_b32_e32 v5, v5, v1
	v_xor_b32_e32 v3, v3, v1
	v_sub_co_u32_e32 v21, vcc, v3, v1
	v_subb_co_u32_e32 v22, vcc, v5, v1, vcc
.LBB95_2451:
	s_mov_b64 s[2:3], 0
.LBB95_2452:
	s_andn2_b64 vcc, exec, s[2:3]
	s_cbranch_vccnz .LBB95_2454
; %bb.2453:
	global_load_ushort v1, v[23:24], off
	s_waitcnt vmcnt(0)
	v_cvt_f32_f16_e32 v1, v1
	v_cvt_i32_f32_e32 v21, v1
	v_ashrrev_i32_e32 v22, 31, v21
.LBB95_2454:
	s_mov_b64 s[2:3], 0
.LBB95_2455:
	s_andn2_b64 vcc, exec, s[2:3]
	s_cbranch_vccnz .LBB95_2475
; %bb.2456:
	s_cmp_lt_i32 s6, 2
	s_cbranch_scc1 .LBB95_2460
; %bb.2457:
	s_cmp_lt_i32 s6, 3
	s_cbranch_scc1 .LBB95_2461
; %bb.2458:
	s_cmp_gt_i32 s6, 3
	s_cbranch_scc0 .LBB95_2462
; %bb.2459:
	global_load_dwordx2 v[21:22], v[23:24], off
	s_mov_b64 s[2:3], 0
	s_branch .LBB95_2463
.LBB95_2460:
	s_mov_b64 s[2:3], -1
                                        ; implicit-def: $vgpr21_vgpr22
	s_branch .LBB95_2469
.LBB95_2461:
	s_mov_b64 s[2:3], -1
                                        ; implicit-def: $vgpr21_vgpr22
	s_branch .LBB95_2466
.LBB95_2462:
	s_mov_b64 s[2:3], -1
                                        ; implicit-def: $vgpr21_vgpr22
.LBB95_2463:
	s_andn2_b64 vcc, exec, s[2:3]
	s_cbranch_vccnz .LBB95_2465
; %bb.2464:
	global_load_dword v21, v[23:24], off
	s_waitcnt vmcnt(0)
	v_ashrrev_i32_e32 v22, 31, v21
.LBB95_2465:
	s_mov_b64 s[2:3], 0
.LBB95_2466:
	s_andn2_b64 vcc, exec, s[2:3]
	s_cbranch_vccnz .LBB95_2468
; %bb.2467:
	global_load_ushort v1, v[23:24], off
	s_waitcnt vmcnt(0)
	v_bfe_i32 v21, v1, 0, 16
	v_ashrrev_i32_e32 v22, 31, v21
.LBB95_2468:
	s_mov_b64 s[2:3], 0
.LBB95_2469:
	s_andn2_b64 vcc, exec, s[2:3]
	s_cbranch_vccnz .LBB95_2475
; %bb.2470:
	s_cmp_gt_i32 s6, 0
	s_cbranch_scc0 .LBB95_2472
; %bb.2471:
	global_load_sbyte v1, v[23:24], off
	s_mov_b64 s[2:3], 0
	s_waitcnt vmcnt(0)
	v_bfe_i32 v21, v1, 0, 16
	v_ashrrev_i32_e32 v22, 31, v21
	s_branch .LBB95_2473
.LBB95_2472:
	s_mov_b64 s[2:3], -1
                                        ; implicit-def: $vgpr21_vgpr22
.LBB95_2473:
	s_andn2_b64 vcc, exec, s[2:3]
	s_cbranch_vccnz .LBB95_2475
; %bb.2474:
	global_load_ubyte v1, v[23:24], off
	s_mov_b32 s2, 0
	s_waitcnt vmcnt(1)
	v_mov_b32_e32 v22, s2
	s_waitcnt vmcnt(0)
	v_and_b32_e32 v21, 0xffff, v1
.LBB95_2475:
	s_mov_b64 s[10:11], -1
.LBB95_2476:
	s_andn2_b64 vcc, exec, s[10:11]
	s_cbranch_vccnz .LBB95_3036
; %bb.2477:
	v_mov_b32_e32 v1, s1
	v_add_co_u32_e32 v25, vcc, s0, v9
	s_cmp_lt_i32 s21, 11
	v_addc_co_u32_e32 v26, vcc, 0, v1, vcc
	s_cbranch_scc1 .LBB95_2484
; %bb.2478:
	s_cmp_gt_i32 s21, 25
	s_mov_b64 s[2:3], 0
	s_cbranch_scc0 .LBB95_2485
; %bb.2479:
	s_cmp_gt_i32 s21, 28
	s_cbranch_scc0 .LBB95_2486
; %bb.2480:
	s_cmp_gt_i32 s21, 43
	;; [unrolled: 3-line block ×3, first 2 shown]
	s_cbranch_scc0 .LBB95_2489
; %bb.2482:
	s_cmp_eq_u32 s21, 46
	s_mov_b64 s[10:11], 0
	s_cbranch_scc0 .LBB95_2490
; %bb.2483:
	global_load_dword v1, v[25:26], off
	s_mov_b32 s0, 0x2f800000
	s_mov_b32 s1, 0xcf800000
	s_mov_b64 s[6:7], -1
	s_waitcnt vmcnt(0)
	v_lshlrev_b32_e32 v1, 16, v1
	v_trunc_f32_e32 v1, v1
	v_mul_f32_e64 v3, |v1|, s0
	v_floor_f32_e32 v3, v3
	v_fma_f32 v5, v3, s1, |v1|
	v_cvt_u32_f32_e32 v5, v5
	v_cvt_u32_f32_e32 v3, v3
	v_ashrrev_i32_e32 v1, 31, v1
	s_mov_b64 s[0:1], 0
	v_xor_b32_e32 v5, v5, v1
	v_xor_b32_e32 v3, v3, v1
	v_sub_co_u32_e32 v23, vcc, v5, v1
	v_subb_co_u32_e32 v24, vcc, v3, v1, vcc
	s_branch .LBB95_2491
.LBB95_2484:
	s_mov_b64 s[0:1], -1
	s_mov_b64 s[6:7], 0
                                        ; implicit-def: $vgpr23_vgpr24
	s_branch .LBB95_2553
.LBB95_2485:
	s_mov_b64 s[10:11], -1
	s_mov_b64 s[6:7], 0
	s_mov_b64 s[0:1], 0
                                        ; implicit-def: $vgpr23_vgpr24
	s_branch .LBB95_2520
.LBB95_2486:
	s_mov_b64 s[10:11], -1
	s_mov_b64 s[6:7], 0
	s_mov_b64 s[0:1], 0
                                        ; implicit-def: $vgpr23_vgpr24
	s_branch .LBB95_2501
.LBB95_2487:
	s_mov_b64 s[10:11], -1
	s_mov_b64 s[6:7], 0
	s_mov_b64 s[0:1], 0
                                        ; implicit-def: $vgpr23_vgpr24
	s_branch .LBB95_2496
.LBB95_2488:
	s_trap 2
	s_or_b64 s[4:5], s[4:5], exec
	s_cbranch_execz .LBB95_2425
	s_branch .LBB95_2426
.LBB95_2489:
	s_mov_b64 s[10:11], -1
	s_mov_b64 s[6:7], 0
	s_mov_b64 s[0:1], 0
                                        ; implicit-def: $vgpr23_vgpr24
	s_branch .LBB95_2491
.LBB95_2490:
	s_mov_b64 s[0:1], -1
                                        ; implicit-def: $vgpr23_vgpr24
	s_mov_b64 s[6:7], 0
.LBB95_2491:
	s_and_b64 vcc, exec, s[10:11]
	s_cbranch_vccz .LBB95_2495
; %bb.2492:
	s_cmp_eq_u32 s21, 44
	s_cbranch_scc0 .LBB95_2494
; %bb.2493:
	global_load_ubyte v1, v[25:26], off
	s_mov_b32 s0, 0x2f800000
	s_mov_b32 s1, 0xcf800000
	s_mov_b64 s[6:7], -1
	s_waitcnt vmcnt(0)
	v_lshlrev_b32_e32 v3, 23, v1
	v_trunc_f32_e32 v3, v3
	v_mul_f32_e64 v5, |v3|, s0
	v_floor_f32_e32 v5, v5
	v_fma_f32 v9, v5, s1, |v3|
	v_cvt_u32_f32_e32 v9, v9
	v_cvt_u32_f32_e32 v5, v5
	v_ashrrev_i32_e32 v3, 31, v3
	s_mov_b64 s[0:1], 0
	v_xor_b32_e32 v9, v9, v3
	v_xor_b32_e32 v5, v5, v3
	v_sub_co_u32_e32 v9, vcc, v9, v3
	v_subb_co_u32_e32 v3, vcc, v5, v3, vcc
	v_cmp_ne_u32_e32 vcc, 0, v1
	v_cndmask_b32_e32 v24, 0, v3, vcc
	v_cndmask_b32_e32 v23, 0, v9, vcc
	s_branch .LBB95_2495
.LBB95_2494:
	s_mov_b64 s[0:1], -1
                                        ; implicit-def: $vgpr23_vgpr24
.LBB95_2495:
	s_mov_b64 s[10:11], 0
.LBB95_2496:
	s_and_b64 vcc, exec, s[10:11]
	s_cbranch_vccz .LBB95_2500
; %bb.2497:
	s_cmp_eq_u32 s21, 29
	s_cbranch_scc0 .LBB95_2499
; %bb.2498:
	global_load_dwordx2 v[23:24], v[25:26], off
	s_mov_b64 s[0:1], 0
	s_mov_b64 s[6:7], -1
	s_branch .LBB95_2500
.LBB95_2499:
	s_mov_b64 s[0:1], -1
                                        ; implicit-def: $vgpr23_vgpr24
.LBB95_2500:
	s_mov_b64 s[10:11], 0
.LBB95_2501:
	s_and_b64 vcc, exec, s[10:11]
	s_cbranch_vccz .LBB95_2519
; %bb.2502:
	s_cmp_lt_i32 s21, 27
	s_cbranch_scc1 .LBB95_2505
; %bb.2503:
	s_cmp_gt_i32 s21, 27
	s_cbranch_scc0 .LBB95_2506
; %bb.2504:
	global_load_dword v23, v[25:26], off
	s_waitcnt vmcnt(1)
	v_mov_b32_e32 v24, 0
	s_mov_b64 s[6:7], 0
	s_branch .LBB95_2507
.LBB95_2505:
	s_mov_b64 s[6:7], -1
                                        ; implicit-def: $vgpr23_vgpr24
	s_branch .LBB95_2510
.LBB95_2506:
	s_mov_b64 s[6:7], -1
                                        ; implicit-def: $vgpr23_vgpr24
.LBB95_2507:
	s_andn2_b64 vcc, exec, s[6:7]
	s_cbranch_vccnz .LBB95_2509
; %bb.2508:
	global_load_ushort v1, v[25:26], off
	s_mov_b32 s6, 0
	s_waitcnt vmcnt(1)
	v_mov_b32_e32 v24, s6
	s_waitcnt vmcnt(0)
	v_and_b32_e32 v23, 0xffff, v1
.LBB95_2509:
	s_mov_b64 s[6:7], 0
.LBB95_2510:
	s_andn2_b64 vcc, exec, s[6:7]
	s_cbranch_vccnz .LBB95_2518
; %bb.2511:
	global_load_ubyte v1, v[25:26], off
	s_movk_i32 s6, 0x7f
	s_mov_b64 s[10:11], 0
	s_waitcnt vmcnt(0)
	v_cmp_lt_i16_e32 vcc, s6, v1
	s_and_saveexec_b64 s[6:7], vcc
	s_xor_b64 s[6:7], exec, s[6:7]
; %bb.2512:
	s_movk_i32 s10, 0x80
	v_cmp_ne_u16_e32 vcc, s10, v1
	s_and_b64 s[10:11], vcc, exec
; %bb.2513:
	s_andn2_saveexec_b64 s[6:7], s[6:7]
; %bb.2514:
	v_cmp_ne_u16_e32 vcc, 0, v1
	s_andn2_b64 s[10:11], s[10:11], exec
	s_and_b64 s[16:17], vcc, exec
	s_or_b64 s[10:11], s[10:11], s[16:17]
; %bb.2515:
	s_or_b64 exec, exec, s[6:7]
	v_mov_b32_e32 v23, 0
	v_mov_b32_e32 v24, 0
	s_and_saveexec_b64 s[6:7], s[10:11]
	s_cbranch_execz .LBB95_2517
; %bb.2516:
	v_lshlrev_b32_e32 v3, 24, v1
	v_and_b32_e32 v1, 0xffff, v1
	v_and_b32_e32 v5, 7, v1
	v_ffbh_u32_e32 v14, v5
	v_min_u32_e32 v14, 32, v14
	v_subrev_u32_e32 v23, 28, v14
	v_bfe_u32 v9, v1, 3, 4
	v_lshlrev_b32_e32 v1, v23, v1
	v_sub_u32_e32 v14, 29, v14
	v_and_b32_e32 v1, 7, v1
	v_cmp_eq_u32_e32 vcc, 0, v9
	v_cndmask_b32_e32 v9, v9, v14, vcc
	v_cndmask_b32_e32 v1, v5, v1, vcc
	v_mov_b32_e32 v5, 0x3b800000
	v_lshlrev_b32_e32 v1, 20, v1
	v_and_b32_e32 v3, 0x80000000, v3
	v_lshl_add_u32 v5, v9, 23, v5
	v_or3_b32 v1, v3, v5, v1
	v_trunc_f32_e32 v1, v1
	s_mov_b32 s10, 0x2f800000
	v_mul_f32_e64 v3, |v1|, s10
	v_floor_f32_e32 v3, v3
	s_mov_b32 s10, 0xcf800000
	v_fma_f32 v5, v3, s10, |v1|
	v_cvt_u32_f32_e32 v5, v5
	v_cvt_u32_f32_e32 v3, v3
	v_ashrrev_i32_e32 v1, 31, v1
	v_xor_b32_e32 v5, v5, v1
	v_xor_b32_e32 v3, v3, v1
	v_sub_co_u32_e32 v23, vcc, v5, v1
	v_subb_co_u32_e32 v24, vcc, v3, v1, vcc
.LBB95_2517:
	s_or_b64 exec, exec, s[6:7]
.LBB95_2518:
	s_mov_b64 s[6:7], -1
.LBB95_2519:
	s_mov_b64 s[10:11], 0
.LBB95_2520:
	s_and_b64 vcc, exec, s[10:11]
	s_cbranch_vccz .LBB95_2549
; %bb.2521:
	s_cmp_gt_i32 s21, 22
	s_cbranch_scc0 .LBB95_2531
; %bb.2522:
	s_cmp_lt_i32 s21, 24
	s_cbranch_scc1 .LBB95_2532
; %bb.2523:
	s_cmp_gt_i32 s21, 24
	s_cbranch_scc0 .LBB95_2533
; %bb.2524:
	global_load_ubyte v1, v[25:26], off
	s_movk_i32 s2, 0x7f
	s_mov_b64 s[6:7], 0
	s_waitcnt vmcnt(0)
	v_cmp_lt_i16_e32 vcc, s2, v1
	s_and_saveexec_b64 s[2:3], vcc
	s_xor_b64 s[2:3], exec, s[2:3]
; %bb.2525:
	s_movk_i32 s6, 0x80
	v_cmp_ne_u16_e32 vcc, s6, v1
	s_and_b64 s[6:7], vcc, exec
; %bb.2526:
	s_andn2_saveexec_b64 s[2:3], s[2:3]
; %bb.2527:
	v_cmp_ne_u16_e32 vcc, 0, v1
	s_andn2_b64 s[6:7], s[6:7], exec
	s_and_b64 s[10:11], vcc, exec
	s_or_b64 s[6:7], s[6:7], s[10:11]
; %bb.2528:
	s_or_b64 exec, exec, s[2:3]
	v_mov_b32_e32 v23, 0
	v_mov_b32_e32 v24, 0
	s_and_saveexec_b64 s[2:3], s[6:7]
	s_cbranch_execz .LBB95_2530
; %bb.2529:
	v_lshlrev_b32_e32 v3, 24, v1
	v_and_b32_e32 v1, 0xffff, v1
	v_and_b32_e32 v5, 3, v1
	v_ffbh_u32_e32 v14, v5
	v_min_u32_e32 v14, 32, v14
	v_subrev_u32_e32 v23, 29, v14
	v_bfe_u32 v9, v1, 2, 5
	v_lshlrev_b32_e32 v1, v23, v1
	v_sub_u32_e32 v14, 30, v14
	v_and_b32_e32 v1, 3, v1
	v_cmp_eq_u32_e32 vcc, 0, v9
	v_cndmask_b32_e32 v9, v9, v14, vcc
	v_cndmask_b32_e32 v1, v5, v1, vcc
	v_mov_b32_e32 v5, 0x37800000
	v_lshlrev_b32_e32 v1, 21, v1
	v_and_b32_e32 v3, 0x80000000, v3
	v_lshl_add_u32 v5, v9, 23, v5
	v_or3_b32 v1, v3, v5, v1
	v_trunc_f32_e32 v1, v1
	s_mov_b32 s6, 0x2f800000
	v_mul_f32_e64 v3, |v1|, s6
	v_floor_f32_e32 v3, v3
	s_mov_b32 s6, 0xcf800000
	v_fma_f32 v5, v3, s6, |v1|
	v_cvt_u32_f32_e32 v5, v5
	v_cvt_u32_f32_e32 v3, v3
	v_ashrrev_i32_e32 v1, 31, v1
	v_xor_b32_e32 v5, v5, v1
	v_xor_b32_e32 v3, v3, v1
	v_sub_co_u32_e32 v23, vcc, v5, v1
	v_subb_co_u32_e32 v24, vcc, v3, v1, vcc
.LBB95_2530:
	s_or_b64 exec, exec, s[2:3]
	s_mov_b64 s[2:3], 0
	s_branch .LBB95_2534
.LBB95_2531:
	s_mov_b64 s[2:3], -1
                                        ; implicit-def: $vgpr23_vgpr24
	s_branch .LBB95_2540
.LBB95_2532:
	s_mov_b64 s[2:3], -1
                                        ; implicit-def: $vgpr23_vgpr24
	s_branch .LBB95_2537
.LBB95_2533:
	s_mov_b64 s[2:3], -1
                                        ; implicit-def: $vgpr23_vgpr24
.LBB95_2534:
	s_and_b64 vcc, exec, s[2:3]
	s_cbranch_vccz .LBB95_2536
; %bb.2535:
	global_load_ubyte v1, v[25:26], off
	s_mov_b32 s2, 0x7f800000
	s_brev_b32 s3, 1
	s_mov_b32 s6, 0x2f800000
	s_mov_b32 s7, 0xcf800000
	s_waitcnt vmcnt(0)
	v_lshlrev_b32_e32 v1, 24, v1
	v_and_b32_e32 v3, 0x7f000000, v1
	v_ffbh_u32_e32 v5, v3
	v_min_u32_e32 v5, 32, v5
	v_sub_u32_e64 v5, v5, 4 clamp
	v_lshlrev_b32_e32 v14, v5, v3
	v_lshlrev_b32_e32 v5, 23, v5
	v_lshrrev_b32_e32 v14, 4, v14
	v_add_u32_e32 v9, 0x1000000, v3
	v_sub_u32_e32 v5, v14, v5
	v_ashrrev_i32_e32 v9, 8, v9
	v_add_u32_e32 v5, 0x3c000000, v5
	v_and_or_b32 v5, v9, s2, v5
	v_cmp_ne_u32_e32 vcc, 0, v3
	v_cndmask_b32_e32 v3, 0, v5, vcc
	v_and_or_b32 v1, v1, s3, v3
	v_trunc_f32_e32 v1, v1
	v_mul_f32_e64 v3, |v1|, s6
	v_floor_f32_e32 v3, v3
	v_fma_f32 v5, v3, s7, |v1|
	v_cvt_u32_f32_e32 v5, v5
	v_cvt_u32_f32_e32 v3, v3
	v_ashrrev_i32_e32 v1, 31, v1
	v_xor_b32_e32 v5, v5, v1
	v_xor_b32_e32 v3, v3, v1
	v_sub_co_u32_e32 v23, vcc, v5, v1
	v_subb_co_u32_e32 v24, vcc, v3, v1, vcc
.LBB95_2536:
	s_mov_b64 s[2:3], 0
.LBB95_2537:
	s_andn2_b64 vcc, exec, s[2:3]
	s_cbranch_vccnz .LBB95_2539
; %bb.2538:
	global_load_ubyte v1, v[25:26], off
	s_movk_i32 s2, 0x7f00
	s_brev_b32 s3, 16
	s_brev_b32 s6, 1
	s_mov_b32 s7, 0x2f800000
	s_mov_b32 s10, 0xcf800000
	s_waitcnt vmcnt(0)
	v_lshlrev_b16_e32 v3, 8, v1
	v_lshlrev_b32_e32 v1, 25, v1
	v_lshrrev_b32_e32 v5, 4, v1
	v_and_or_b32 v9, v3, s2, 0.5
	v_or_b32_e32 v5, 0x70000000, v5
	v_add_f32_e32 v9, -0.5, v9
	v_mul_f32_e32 v5, 0x7800000, v5
	v_cmp_gt_u32_e32 vcc, s3, v1
	v_bfe_i32 v3, v3, 0, 16
	v_cndmask_b32_e32 v1, v5, v9, vcc
	v_and_or_b32 v1, v3, s6, v1
	v_trunc_f32_e32 v1, v1
	v_mul_f32_e64 v3, |v1|, s7
	v_floor_f32_e32 v3, v3
	v_fma_f32 v5, v3, s10, |v1|
	v_cvt_u32_f32_e32 v5, v5
	v_cvt_u32_f32_e32 v3, v3
	v_ashrrev_i32_e32 v1, 31, v1
	v_xor_b32_e32 v5, v5, v1
	v_xor_b32_e32 v3, v3, v1
	v_sub_co_u32_e32 v23, vcc, v5, v1
	v_subb_co_u32_e32 v24, vcc, v3, v1, vcc
.LBB95_2539:
	s_mov_b64 s[2:3], 0
	s_mov_b64 s[6:7], -1
.LBB95_2540:
	s_andn2_b64 vcc, exec, s[2:3]
	s_mov_b64 s[2:3], 0
	s_cbranch_vccnz .LBB95_2549
; %bb.2541:
	s_cmp_gt_i32 s21, 14
	s_cbranch_scc0 .LBB95_2544
; %bb.2542:
	s_cmp_eq_u32 s21, 15
	s_cbranch_scc0 .LBB95_2545
; %bb.2543:
	global_load_ushort v1, v[25:26], off
	s_mov_b32 s0, 0x2f800000
	s_mov_b32 s1, 0xcf800000
	s_mov_b64 s[6:7], -1
	s_waitcnt vmcnt(0)
	v_lshlrev_b32_e32 v1, 16, v1
	v_trunc_f32_e32 v1, v1
	v_mul_f32_e64 v3, |v1|, s0
	v_floor_f32_e32 v3, v3
	v_fma_f32 v5, v3, s1, |v1|
	v_cvt_u32_f32_e32 v5, v5
	v_cvt_u32_f32_e32 v3, v3
	v_ashrrev_i32_e32 v1, 31, v1
	s_mov_b64 s[0:1], 0
	v_xor_b32_e32 v5, v5, v1
	v_xor_b32_e32 v3, v3, v1
	v_sub_co_u32_e32 v23, vcc, v5, v1
	v_subb_co_u32_e32 v24, vcc, v3, v1, vcc
	s_branch .LBB95_2546
.LBB95_2544:
	s_mov_b64 s[10:11], -1
                                        ; implicit-def: $vgpr23_vgpr24
	s_branch .LBB95_2547
.LBB95_2545:
	s_mov_b64 s[0:1], -1
                                        ; implicit-def: $vgpr23_vgpr24
.LBB95_2546:
	s_mov_b64 s[10:11], 0
.LBB95_2547:
	s_and_b64 vcc, exec, s[10:11]
	s_cbranch_vccz .LBB95_2549
; %bb.2548:
	s_cmp_lg_u32 s21, 11
	s_mov_b64 s[2:3], -1
	s_cselect_b64 s[0:1], -1, 0
.LBB95_2549:
	s_and_b64 vcc, exec, s[0:1]
	s_cbranch_vccnz .LBB95_3082
; %bb.2550:
	s_andn2_b64 vcc, exec, s[2:3]
	s_cbranch_vccnz .LBB95_2552
.LBB95_2551:
	global_load_ubyte v1, v[25:26], off
	s_mov_b32 s0, 0
	s_waitcnt vmcnt(1)
	v_mov_b32_e32 v24, s0
	s_mov_b64 s[6:7], -1
	s_waitcnt vmcnt(0)
	v_cmp_ne_u16_e32 vcc, 0, v1
	v_cndmask_b32_e64 v23, 0, 1, vcc
.LBB95_2552:
	s_mov_b64 s[0:1], 0
.LBB95_2553:
	s_and_b64 vcc, exec, s[0:1]
	s_cbranch_vccz .LBB95_2602
; %bb.2554:
	s_cmp_lt_i32 s21, 5
	s_cbranch_scc1 .LBB95_2559
; %bb.2555:
	s_cmp_lt_i32 s21, 8
	s_cbranch_scc1 .LBB95_2560
	;; [unrolled: 3-line block ×3, first 2 shown]
; %bb.2557:
	s_cmp_gt_i32 s21, 9
	s_cbranch_scc0 .LBB95_2562
; %bb.2558:
	global_load_dwordx2 v[23:24], v[25:26], off
	s_movk_i32 s0, 0xffe0
	s_waitcnt vmcnt(0)
	v_trunc_f64_e32 v[23:24], v[23:24]
	v_ldexp_f64 v[27:28], v[23:24], s0
	s_mov_b32 s0, 0
	s_mov_b32 s1, 0xc1f00000
	v_floor_f64_e32 v[27:28], v[27:28]
	v_fma_f64 v[29:30], v[27:28], s[0:1], v[23:24]
	v_cvt_i32_f64_e32 v24, v[27:28]
	s_mov_b64 s[0:1], 0
	v_cvt_u32_f64_e32 v23, v[29:30]
	s_branch .LBB95_2563
.LBB95_2559:
	s_mov_b64 s[0:1], -1
                                        ; implicit-def: $vgpr23_vgpr24
	s_branch .LBB95_2581
.LBB95_2560:
	s_mov_b64 s[0:1], -1
                                        ; implicit-def: $vgpr23_vgpr24
	s_branch .LBB95_2569
.LBB95_2561:
	s_mov_b64 s[0:1], -1
                                        ; implicit-def: $vgpr23_vgpr24
	s_branch .LBB95_2566
.LBB95_2562:
	s_mov_b64 s[0:1], -1
                                        ; implicit-def: $vgpr23_vgpr24
.LBB95_2563:
	s_andn2_b64 vcc, exec, s[0:1]
	s_cbranch_vccnz .LBB95_2565
; %bb.2564:
	global_load_dword v1, v[25:26], off
	s_mov_b32 s0, 0x2f800000
	s_mov_b32 s1, 0xcf800000
	s_waitcnt vmcnt(0)
	v_trunc_f32_e32 v1, v1
	v_mul_f32_e64 v3, |v1|, s0
	v_floor_f32_e32 v3, v3
	v_cvt_u32_f32_e32 v5, v3
	v_fma_f32 v3, v3, s1, |v1|
	v_cvt_u32_f32_e32 v3, v3
	v_ashrrev_i32_e32 v1, 31, v1
	v_xor_b32_e32 v5, v5, v1
	v_xor_b32_e32 v3, v3, v1
	v_sub_co_u32_e32 v23, vcc, v3, v1
	v_subb_co_u32_e32 v24, vcc, v5, v1, vcc
.LBB95_2565:
	s_mov_b64 s[0:1], 0
.LBB95_2566:
	s_andn2_b64 vcc, exec, s[0:1]
	s_cbranch_vccnz .LBB95_2568
; %bb.2567:
	global_load_dword v1, v[25:26], off
	s_waitcnt vmcnt(0)
	v_cvt_f32_f16_e32 v1, v1
	v_cvt_i32_f32_e32 v23, v1
	v_ashrrev_i32_e32 v24, 31, v23
.LBB95_2568:
	s_mov_b64 s[0:1], 0
.LBB95_2569:
	s_andn2_b64 vcc, exec, s[0:1]
	s_cbranch_vccnz .LBB95_2580
; %bb.2570:
	s_cmp_lt_i32 s21, 6
	s_cbranch_scc1 .LBB95_2573
; %bb.2571:
	s_cmp_gt_i32 s21, 6
	s_cbranch_scc0 .LBB95_2574
; %bb.2572:
	global_load_dwordx2 v[23:24], v[25:26], off
	s_movk_i32 s0, 0xffe0
	s_waitcnt vmcnt(0)
	v_trunc_f64_e32 v[23:24], v[23:24]
	v_ldexp_f64 v[27:28], v[23:24], s0
	s_mov_b32 s0, 0
	s_mov_b32 s1, 0xc1f00000
	v_floor_f64_e32 v[27:28], v[27:28]
	v_fma_f64 v[29:30], v[27:28], s[0:1], v[23:24]
	v_cvt_i32_f64_e32 v24, v[27:28]
	s_mov_b64 s[0:1], 0
	v_cvt_u32_f64_e32 v23, v[29:30]
	s_branch .LBB95_2575
.LBB95_2573:
	s_mov_b64 s[0:1], -1
                                        ; implicit-def: $vgpr23_vgpr24
	s_branch .LBB95_2578
.LBB95_2574:
	s_mov_b64 s[0:1], -1
                                        ; implicit-def: $vgpr23_vgpr24
.LBB95_2575:
	s_andn2_b64 vcc, exec, s[0:1]
	s_cbranch_vccnz .LBB95_2577
; %bb.2576:
	global_load_dword v1, v[25:26], off
	s_mov_b32 s0, 0x2f800000
	s_mov_b32 s1, 0xcf800000
	s_waitcnt vmcnt(0)
	v_trunc_f32_e32 v1, v1
	v_mul_f32_e64 v3, |v1|, s0
	v_floor_f32_e32 v3, v3
	v_cvt_u32_f32_e32 v5, v3
	v_fma_f32 v3, v3, s1, |v1|
	v_cvt_u32_f32_e32 v3, v3
	v_ashrrev_i32_e32 v1, 31, v1
	v_xor_b32_e32 v5, v5, v1
	v_xor_b32_e32 v3, v3, v1
	v_sub_co_u32_e32 v23, vcc, v3, v1
	v_subb_co_u32_e32 v24, vcc, v5, v1, vcc
.LBB95_2577:
	s_mov_b64 s[0:1], 0
.LBB95_2578:
	s_andn2_b64 vcc, exec, s[0:1]
	s_cbranch_vccnz .LBB95_2580
; %bb.2579:
	global_load_ushort v1, v[25:26], off
	s_waitcnt vmcnt(0)
	v_cvt_f32_f16_e32 v1, v1
	v_cvt_i32_f32_e32 v23, v1
	v_ashrrev_i32_e32 v24, 31, v23
.LBB95_2580:
	s_mov_b64 s[0:1], 0
.LBB95_2581:
	s_andn2_b64 vcc, exec, s[0:1]
	s_cbranch_vccnz .LBB95_2601
; %bb.2582:
	s_cmp_lt_i32 s21, 2
	s_cbranch_scc1 .LBB95_2586
; %bb.2583:
	s_cmp_lt_i32 s21, 3
	s_cbranch_scc1 .LBB95_2587
; %bb.2584:
	s_cmp_gt_i32 s21, 3
	s_cbranch_scc0 .LBB95_2588
; %bb.2585:
	global_load_dwordx2 v[23:24], v[25:26], off
	s_mov_b64 s[0:1], 0
	s_branch .LBB95_2589
.LBB95_2586:
	s_mov_b64 s[0:1], -1
                                        ; implicit-def: $vgpr23_vgpr24
	s_branch .LBB95_2595
.LBB95_2587:
	s_mov_b64 s[0:1], -1
                                        ; implicit-def: $vgpr23_vgpr24
	s_branch .LBB95_2592
.LBB95_2588:
	s_mov_b64 s[0:1], -1
                                        ; implicit-def: $vgpr23_vgpr24
.LBB95_2589:
	s_andn2_b64 vcc, exec, s[0:1]
	s_cbranch_vccnz .LBB95_2591
; %bb.2590:
	global_load_dword v23, v[25:26], off
	s_waitcnt vmcnt(0)
	v_ashrrev_i32_e32 v24, 31, v23
.LBB95_2591:
	s_mov_b64 s[0:1], 0
.LBB95_2592:
	s_andn2_b64 vcc, exec, s[0:1]
	s_cbranch_vccnz .LBB95_2594
; %bb.2593:
	global_load_ushort v1, v[25:26], off
	s_waitcnt vmcnt(0)
	v_bfe_i32 v23, v1, 0, 16
	v_ashrrev_i32_e32 v24, 31, v23
.LBB95_2594:
	s_mov_b64 s[0:1], 0
.LBB95_2595:
	s_andn2_b64 vcc, exec, s[0:1]
	s_cbranch_vccnz .LBB95_2601
; %bb.2596:
	s_cmp_gt_i32 s21, 0
	s_cbranch_scc0 .LBB95_2598
; %bb.2597:
	global_load_sbyte v1, v[25:26], off
	s_mov_b64 s[0:1], 0
	s_waitcnt vmcnt(0)
	v_bfe_i32 v23, v1, 0, 16
	v_ashrrev_i32_e32 v24, 31, v23
	s_branch .LBB95_2599
.LBB95_2598:
	s_mov_b64 s[0:1], -1
                                        ; implicit-def: $vgpr23_vgpr24
.LBB95_2599:
	s_andn2_b64 vcc, exec, s[0:1]
	s_cbranch_vccnz .LBB95_2601
; %bb.2600:
	global_load_ubyte v1, v[25:26], off
	s_mov_b32 s0, 0
	s_waitcnt vmcnt(1)
	v_mov_b32_e32 v24, s0
	s_waitcnt vmcnt(0)
	v_and_b32_e32 v23, 0xffff, v1
.LBB95_2601:
	s_mov_b64 s[6:7], -1
.LBB95_2602:
	s_andn2_b64 vcc, exec, s[6:7]
	s_cbranch_vccnz .LBB95_3036
; %bb.2603:
	s_waitcnt vmcnt(0)
	v_lshlrev_b64 v[7:8], v10, v[7:8]
	v_cmp_gt_u64_e32 vcc, 64, v[10:11]
	s_bfe_u32 s18, s20, 0x80008
	v_cndmask_b32_e32 v8, 0, v8, vcc
	v_cndmask_b32_e32 v7, 0, v7, vcc
	v_mov_b32_e32 v1, s9
	v_add_co_u32_e32 v5, vcc, s8, v6
	s_cmp_lt_i32 s18, 11
	v_addc_co_u32_e32 v6, vcc, 0, v1, vcc
	s_cbranch_scc1 .LBB95_2681
; %bb.2604:
	s_and_b32 s19, 0xffff, s18
	s_mov_b64 s[10:11], -1
	s_mov_b64 s[2:3], 0
	s_cmp_gt_i32 s19, 25
	s_mov_b64 s[6:7], 0
	s_mov_b64 s[0:1], 0
	s_cbranch_scc0 .LBB95_2637
; %bb.2605:
	s_cmp_gt_i32 s19, 28
	s_cbranch_scc0 .LBB95_2620
; %bb.2606:
	s_cmp_gt_i32 s19, 43
	s_cbranch_scc0 .LBB95_2616
; %bb.2607:
	s_cmp_gt_i32 s19, 45
	s_cbranch_scc0 .LBB95_2610
; %bb.2608:
	s_mov_b64 s[0:1], -1
	s_mov_b64 s[10:11], 0
	s_cmp_eq_u32 s19, 46
	s_cbranch_scc0 .LBB95_2610
; %bb.2609:
	v_xor_b32_e32 v3, v7, v8
	v_ffbh_i32_e32 v1, v8
	v_ashrrev_i32_e32 v3, 31, v3
	v_add_u32_e32 v1, -1, v1
	v_add_u32_e32 v3, 32, v3
	v_min_u32_e32 v1, v1, v3
	v_lshlrev_b64 v[9:10], v1, v[7:8]
	v_sub_u32_e32 v1, 32, v1
	v_min_u32_e32 v3, 1, v9
	v_or_b32_e32 v3, v10, v3
	v_cvt_f32_i32_e32 v3, v3
	s_movk_i32 s0, 0x7fff
	s_mov_b64 s[6:7], -1
	v_ldexp_f32 v1, v3, v1
	v_bfe_u32 v3, v1, 16, 1
	v_add3_u32 v1, v1, v3, s0
	v_lshrrev_b32_e32 v1, 16, v1
	global_store_dword v[5:6], v1, off
	s_mov_b64 s[0:1], 0
.LBB95_2610:
	s_and_b64 vcc, exec, s[10:11]
	s_cbranch_vccz .LBB95_2615
; %bb.2611:
	s_cmp_eq_u32 s19, 44
	s_mov_b64 s[0:1], -1
	s_cbranch_scc0 .LBB95_2615
; %bb.2612:
	v_xor_b32_e32 v3, v7, v8
	v_ffbh_i32_e32 v1, v8
	v_ashrrev_i32_e32 v3, 31, v3
	v_add_u32_e32 v1, -1, v1
	v_add_u32_e32 v3, 32, v3
	v_min_u32_e32 v1, v1, v3
	v_lshlrev_b64 v[9:10], v1, v[7:8]
	v_sub_u32_e32 v1, 32, v1
	v_min_u32_e32 v3, 1, v9
	v_or_b32_e32 v3, v10, v3
	v_cvt_f32_i32_e32 v3, v3
	s_movk_i32 s0, 0xff
	v_mov_b32_e32 v9, 0xff
	v_ldexp_f32 v1, v3, v1
	v_bfe_u32 v3, v1, 23, 8
	v_cmp_ne_u32_e32 vcc, s0, v3
	s_and_saveexec_b64 s[6:7], vcc
; %bb.2613:
	s_mov_b32 s0, 0x3fffff
	v_lshrrev_b32_e32 v9, 23, v1
	v_and_b32_e32 v10, 0x400000, v1
	v_and_or_b32 v1, v1, s0, v3
	v_cmp_ne_u32_e32 vcc, 0, v10
	v_cmp_ne_u32_e64 s[0:1], 0, v1
	s_and_b64 s[0:1], vcc, s[0:1]
	v_cndmask_b32_e64 v1, 0, 1, s[0:1]
	v_add_u32_e32 v9, v9, v1
; %bb.2614:
	s_or_b64 exec, exec, s[6:7]
	s_mov_b64 s[0:1], 0
	s_mov_b64 s[6:7], -1
	global_store_byte v[5:6], v9, off
.LBB95_2615:
	s_mov_b64 s[10:11], 0
.LBB95_2616:
	s_and_b64 vcc, exec, s[10:11]
	s_cbranch_vccz .LBB95_2619
; %bb.2617:
	s_cmp_eq_u32 s19, 29
	s_mov_b64 s[0:1], -1
	s_cbranch_scc0 .LBB95_2619
; %bb.2618:
	global_store_dwordx2 v[5:6], v[7:8], off
	s_mov_b64 s[0:1], 0
	s_mov_b64 s[6:7], -1
.LBB95_2619:
	s_mov_b64 s[10:11], 0
.LBB95_2620:
	s_and_b64 vcc, exec, s[10:11]
	s_cbranch_vccz .LBB95_2636
; %bb.2621:
	s_cmp_lt_i32 s19, 27
	s_mov_b64 s[6:7], -1
	s_cbranch_scc1 .LBB95_2627
; %bb.2622:
	s_cmp_gt_i32 s19, 27
	s_cbranch_scc0 .LBB95_2624
; %bb.2623:
	s_mov_b64 s[6:7], 0
	global_store_dword v[5:6], v7, off
.LBB95_2624:
	s_andn2_b64 vcc, exec, s[6:7]
	s_cbranch_vccnz .LBB95_2626
; %bb.2625:
	global_store_short v[5:6], v7, off
.LBB95_2626:
	s_mov_b64 s[6:7], 0
.LBB95_2627:
	s_andn2_b64 vcc, exec, s[6:7]
	s_cbranch_vccnz .LBB95_2635
; %bb.2628:
	v_xor_b32_e32 v3, v7, v8
	v_ffbh_i32_e32 v1, v8
	v_ashrrev_i32_e32 v3, 31, v3
	v_add_u32_e32 v1, -1, v1
	v_add_u32_e32 v3, 32, v3
	v_min_u32_e32 v1, v1, v3
	v_lshlrev_b64 v[9:10], v1, v[7:8]
	v_sub_u32_e32 v1, 32, v1
	v_min_u32_e32 v3, 1, v9
	v_or_b32_e32 v3, v10, v3
	v_cvt_f32_i32_e32 v3, v3
	s_mov_b32 s6, 0x43800000
	v_mov_b32_e32 v9, 0x80
	v_ldexp_f32 v1, v3, v1
	v_and_b32_e32 v3, 0x7fffffff, v1
	v_cmp_gt_u32_e32 vcc, s6, v3
	s_and_saveexec_b64 s[6:7], vcc
	s_cbranch_execz .LBB95_2634
; %bb.2629:
	s_mov_b32 s10, 0x3bffffff
	v_cmp_lt_u32_e32 vcc, s10, v3
	s_mov_b64 s[10:11], 0
                                        ; implicit-def: $vgpr3
	s_and_saveexec_b64 s[16:17], vcc
	s_xor_b64 s[16:17], exec, s[16:17]
	s_cbranch_execz .LBB95_3083
; %bb.2630:
	v_bfe_u32 v3, v1, 20, 1
	s_mov_b32 s21, 0x487ffff
	v_add3_u32 v3, v1, v3, s21
	s_mov_b64 s[10:11], exec
	v_lshrrev_b32_e32 v3, 20, v3
	s_andn2_saveexec_b64 s[16:17], s[16:17]
	s_cbranch_execnz .LBB95_3084
.LBB95_2631:
	s_or_b64 exec, exec, s[16:17]
	v_mov_b32_e32 v9, 0
	s_and_saveexec_b64 s[16:17], s[10:11]
.LBB95_2632:
	v_lshrrev_b32_e32 v1, 24, v1
	s_movk_i32 s10, 0x80
	v_and_or_b32 v9, v1, s10, v3
.LBB95_2633:
	s_or_b64 exec, exec, s[16:17]
.LBB95_2634:
	s_or_b64 exec, exec, s[6:7]
	global_store_byte v[5:6], v9, off
.LBB95_2635:
	s_mov_b64 s[6:7], -1
.LBB95_2636:
	s_mov_b64 s[10:11], 0
.LBB95_2637:
	s_and_b64 vcc, exec, s[10:11]
	s_cbranch_vccz .LBB95_2677
; %bb.2638:
	s_cmp_gt_i32 s19, 22
	s_mov_b64 s[2:3], -1
	s_cbranch_scc0 .LBB95_2670
; %bb.2639:
	s_cmp_lt_i32 s19, 24
	s_cbranch_scc1 .LBB95_2659
; %bb.2640:
	s_cmp_gt_i32 s19, 24
	s_cbranch_scc0 .LBB95_2648
; %bb.2641:
	v_xor_b32_e32 v3, v7, v8
	v_ffbh_i32_e32 v1, v8
	v_ashrrev_i32_e32 v3, 31, v3
	v_add_u32_e32 v1, -1, v1
	v_add_u32_e32 v3, 32, v3
	v_min_u32_e32 v1, v1, v3
	v_lshlrev_b64 v[9:10], v1, v[7:8]
	v_sub_u32_e32 v1, 32, v1
	v_min_u32_e32 v3, 1, v9
	v_or_b32_e32 v3, v10, v3
	v_cvt_f32_i32_e32 v3, v3
	s_mov_b32 s2, 0x47800000
	v_mov_b32_e32 v9, 0x80
	v_ldexp_f32 v1, v3, v1
	v_and_b32_e32 v3, 0x7fffffff, v1
	v_cmp_gt_u32_e32 vcc, s2, v3
	s_and_saveexec_b64 s[2:3], vcc
	s_cbranch_execz .LBB95_2647
; %bb.2642:
	s_mov_b32 s6, 0x37ffffff
	v_cmp_lt_u32_e32 vcc, s6, v3
	s_mov_b64 s[6:7], 0
                                        ; implicit-def: $vgpr3
	s_and_saveexec_b64 s[10:11], vcc
	s_xor_b64 s[10:11], exec, s[10:11]
	s_cbranch_execz .LBB95_3086
; %bb.2643:
	v_bfe_u32 v3, v1, 21, 1
	s_mov_b32 s16, 0x88fffff
	v_add3_u32 v3, v1, v3, s16
	s_mov_b64 s[6:7], exec
	v_lshrrev_b32_e32 v3, 21, v3
	s_andn2_saveexec_b64 s[10:11], s[10:11]
	s_cbranch_execnz .LBB95_3087
.LBB95_2644:
	s_or_b64 exec, exec, s[10:11]
	v_mov_b32_e32 v9, 0
	s_and_saveexec_b64 s[10:11], s[6:7]
.LBB95_2645:
	v_lshrrev_b32_e32 v1, 24, v1
	s_movk_i32 s6, 0x80
	v_and_or_b32 v9, v1, s6, v3
.LBB95_2646:
	s_or_b64 exec, exec, s[10:11]
.LBB95_2647:
	s_or_b64 exec, exec, s[2:3]
	s_mov_b64 s[2:3], 0
	global_store_byte v[5:6], v9, off
.LBB95_2648:
	s_and_b64 vcc, exec, s[2:3]
	s_cbranch_vccz .LBB95_2658
; %bb.2649:
	v_xor_b32_e32 v3, v7, v8
	v_ffbh_i32_e32 v1, v8
	v_ashrrev_i32_e32 v3, 31, v3
	v_add_u32_e32 v1, -1, v1
	v_add_u32_e32 v3, 32, v3
	v_min_u32_e32 v1, v1, v3
	v_lshlrev_b64 v[9:10], v1, v[7:8]
	v_sub_u32_e32 v1, 32, v1
	v_min_u32_e32 v3, 1, v9
	v_or_b32_e32 v3, v10, v3
	v_cvt_f32_i32_e32 v3, v3
	s_mov_b32 s2, 0x43f00000
	v_ldexp_f32 v1, v3, v1
	v_and_b32_e32 v9, 0x7fffffff, v1
	v_cmp_gt_u32_e32 vcc, s2, v9
                                        ; implicit-def: $vgpr3
	s_and_saveexec_b64 s[2:3], vcc
	s_xor_b64 s[2:3], exec, s[2:3]
	s_cbranch_execz .LBB95_2655
; %bb.2650:
	s_mov_b32 s6, 0x3c7fffff
	v_cmp_lt_u32_e32 vcc, s6, v9
                                        ; implicit-def: $vgpr3
	s_and_saveexec_b64 s[6:7], vcc
	s_xor_b64 s[6:7], exec, s[6:7]
; %bb.2651:
	v_bfe_u32 v3, v1, 20, 1
	s_mov_b32 s10, 0x407ffff
	v_add3_u32 v3, v1, v3, s10
	v_lshrrev_b32_e32 v9, 20, v3
	v_and_b32_e32 v3, 0xff00000, v3
	s_mov_b32 s10, 0x7f00000
	v_mov_b32_e32 v10, 0x7e
	v_cmp_ne_u32_e32 vcc, s10, v3
	v_cndmask_b32_e32 v3, v10, v9, vcc
; %bb.2652:
	s_andn2_saveexec_b64 s[6:7], s[6:7]
; %bb.2653:
	s_mov_b32 s10, 0x46800000
	v_add_f32_e64 v3, |v1|, s10
; %bb.2654:
	s_or_b64 exec, exec, s[6:7]
                                        ; implicit-def: $vgpr9
.LBB95_2655:
	s_andn2_saveexec_b64 s[2:3], s[2:3]
; %bb.2656:
	s_mov_b32 s6, 0x7f800000
	v_mov_b32_e32 v3, 0x7e
	v_mov_b32_e32 v10, 0x7f
	v_cmp_lt_u32_e32 vcc, s6, v9
	v_cndmask_b32_e32 v3, v3, v10, vcc
; %bb.2657:
	s_or_b64 exec, exec, s[2:3]
	v_lshrrev_b32_e32 v1, 24, v1
	s_movk_i32 s2, 0x80
	v_and_or_b32 v1, v1, s2, v3
	global_store_byte v[5:6], v1, off
.LBB95_2658:
	s_mov_b64 s[2:3], 0
.LBB95_2659:
	s_andn2_b64 vcc, exec, s[2:3]
	s_cbranch_vccnz .LBB95_2669
; %bb.2660:
	v_xor_b32_e32 v3, v7, v8
	v_ffbh_i32_e32 v1, v8
	v_ashrrev_i32_e32 v3, 31, v3
	v_add_u32_e32 v1, -1, v1
	v_add_u32_e32 v3, 32, v3
	v_min_u32_e32 v1, v1, v3
	v_lshlrev_b64 v[9:10], v1, v[7:8]
	v_sub_u32_e32 v1, 32, v1
	v_min_u32_e32 v3, 1, v9
	v_or_b32_e32 v3, v10, v3
	v_cvt_f32_i32_e32 v3, v3
	s_mov_b32 s2, 0x47800000
	v_ldexp_f32 v1, v3, v1
	v_and_b32_e32 v9, 0x7fffffff, v1
	v_cmp_gt_u32_e32 vcc, s2, v9
                                        ; implicit-def: $vgpr3
	s_and_saveexec_b64 s[2:3], vcc
	s_xor_b64 s[2:3], exec, s[2:3]
	s_cbranch_execz .LBB95_2666
; %bb.2661:
	s_mov_b32 s6, 0x387fffff
	v_cmp_lt_u32_e32 vcc, s6, v9
                                        ; implicit-def: $vgpr3
	s_and_saveexec_b64 s[6:7], vcc
	s_xor_b64 s[6:7], exec, s[6:7]
; %bb.2662:
	v_bfe_u32 v3, v1, 21, 1
	s_mov_b32 s10, 0x80fffff
	v_add3_u32 v3, v1, v3, s10
	v_lshrrev_b32_e32 v3, 21, v3
; %bb.2663:
	s_andn2_saveexec_b64 s[6:7], s[6:7]
; %bb.2664:
	s_mov_b32 s10, 0x43000000
	v_add_f32_e64 v3, |v1|, s10
; %bb.2665:
	s_or_b64 exec, exec, s[6:7]
                                        ; implicit-def: $vgpr9
.LBB95_2666:
	s_andn2_saveexec_b64 s[2:3], s[2:3]
; %bb.2667:
	s_mov_b32 s6, 0x7f800000
	v_mov_b32_e32 v3, 0x7c
	v_mov_b32_e32 v10, 0x7f
	v_cmp_lt_u32_e32 vcc, s6, v9
	v_cndmask_b32_e32 v3, v3, v10, vcc
; %bb.2668:
	s_or_b64 exec, exec, s[2:3]
	v_lshrrev_b32_e32 v1, 24, v1
	s_movk_i32 s2, 0x80
	v_and_or_b32 v1, v1, s2, v3
	global_store_byte v[5:6], v1, off
.LBB95_2669:
	s_mov_b64 s[2:3], 0
	s_mov_b64 s[6:7], -1
.LBB95_2670:
	s_andn2_b64 vcc, exec, s[2:3]
	s_mov_b64 s[2:3], 0
	s_cbranch_vccnz .LBB95_2677
; %bb.2671:
	s_cmp_gt_i32 s19, 14
	s_mov_b64 s[10:11], -1
	s_cbranch_scc0 .LBB95_2675
; %bb.2672:
	s_cmp_eq_u32 s19, 15
	s_mov_b64 s[0:1], -1
	s_cbranch_scc0 .LBB95_2674
; %bb.2673:
	v_xor_b32_e32 v3, v7, v8
	v_ffbh_i32_e32 v1, v8
	v_ashrrev_i32_e32 v3, 31, v3
	v_add_u32_e32 v1, -1, v1
	v_add_u32_e32 v3, 32, v3
	v_min_u32_e32 v1, v1, v3
	v_lshlrev_b64 v[9:10], v1, v[7:8]
	v_sub_u32_e32 v1, 32, v1
	v_min_u32_e32 v3, 1, v9
	v_or_b32_e32 v3, v10, v3
	v_cvt_f32_i32_e32 v3, v3
	s_movk_i32 s0, 0x7fff
	s_mov_b64 s[6:7], -1
	v_ldexp_f32 v1, v3, v1
	v_bfe_u32 v3, v1, 16, 1
	v_add3_u32 v1, v1, v3, s0
	global_store_short_d16_hi v[5:6], v1, off
	s_mov_b64 s[0:1], 0
.LBB95_2674:
	s_mov_b64 s[10:11], 0
.LBB95_2675:
	s_and_b64 vcc, exec, s[10:11]
	s_cbranch_vccz .LBB95_2677
; %bb.2676:
	s_cmp_lg_u32 s19, 11
	s_mov_b64 s[2:3], -1
	s_cselect_b64 s[0:1], -1, 0
.LBB95_2677:
	s_and_b64 vcc, exec, s[0:1]
	s_cbranch_vccnz .LBB95_3085
; %bb.2678:
	s_andn2_b64 vcc, exec, s[2:3]
	s_cbranch_vccnz .LBB95_2680
.LBB95_2679:
	v_cmp_ne_u64_e32 vcc, 0, v[7:8]
	s_mov_b64 s[6:7], -1
	v_cndmask_b32_e64 v1, 0, 1, vcc
	global_store_byte v[5:6], v1, off
.LBB95_2680:
	s_mov_b64 s[0:1], 0
	s_branch .LBB95_2682
.LBB95_2681:
	s_mov_b64 s[0:1], -1
	s_mov_b64 s[6:7], 0
.LBB95_2682:
	s_and_b64 vcc, exec, s[0:1]
	s_cbranch_vccz .LBB95_2721
; %bb.2683:
	s_and_b32 s2, 0xffff, s18
	s_cmp_lt_i32 s2, 5
	s_mov_b64 s[0:1], -1
	s_cbranch_scc1 .LBB95_2704
; %bb.2684:
	s_cmp_lt_i32 s2, 8
	s_cbranch_scc1 .LBB95_2694
; %bb.2685:
	s_cmp_lt_i32 s2, 9
	s_cbranch_scc1 .LBB95_2691
; %bb.2686:
	s_cmp_gt_i32 s2, 9
	s_cbranch_scc0 .LBB95_2688
; %bb.2687:
	v_cvt_f64_i32_e32 v[9:10], v8
	v_cvt_f64_u32_e32 v[25:26], v7
	v_mov_b32_e32 v27, 0
	v_mov_b32_e32 v28, v27
	v_ldexp_f64 v[9:10], v[9:10], 32
	s_mov_b64 s[0:1], 0
	v_add_f64 v[25:26], v[9:10], v[25:26]
	global_store_dwordx4 v[5:6], v[25:28], off
.LBB95_2688:
	s_andn2_b64 vcc, exec, s[0:1]
	s_cbranch_vccnz .LBB95_2690
; %bb.2689:
	v_xor_b32_e32 v3, v7, v8
	v_ffbh_i32_e32 v1, v8
	v_ashrrev_i32_e32 v3, 31, v3
	v_add_u32_e32 v1, -1, v1
	v_add_u32_e32 v3, 32, v3
	v_min_u32_e32 v1, v1, v3
	v_lshlrev_b64 v[9:10], v1, v[7:8]
	v_sub_u32_e32 v1, 32, v1
	v_min_u32_e32 v3, 1, v9
	v_or_b32_e32 v3, v10, v3
	v_cvt_f32_i32_e32 v3, v3
	v_mov_b32_e32 v10, 0
	v_ldexp_f32 v9, v3, v1
	global_store_dwordx2 v[5:6], v[9:10], off
.LBB95_2690:
	s_mov_b64 s[0:1], 0
.LBB95_2691:
	s_andn2_b64 vcc, exec, s[0:1]
	s_cbranch_vccnz .LBB95_2693
; %bb.2692:
	v_xor_b32_e32 v3, v7, v8
	v_ffbh_i32_e32 v1, v8
	v_ashrrev_i32_e32 v3, 31, v3
	v_add_u32_e32 v1, -1, v1
	v_add_u32_e32 v3, 32, v3
	v_min_u32_e32 v1, v1, v3
	v_lshlrev_b64 v[9:10], v1, v[7:8]
	v_sub_u32_e32 v1, 32, v1
	v_min_u32_e32 v3, 1, v9
	v_or_b32_e32 v3, v10, v3
	v_cvt_f32_i32_e32 v3, v3
	v_ldexp_f32 v1, v3, v1
	v_cvt_f16_f32_e32 v1, v1
	global_store_dword v[5:6], v1, off
.LBB95_2693:
	s_mov_b64 s[0:1], 0
.LBB95_2694:
	s_andn2_b64 vcc, exec, s[0:1]
	s_cbranch_vccnz .LBB95_2703
; %bb.2695:
	s_cmp_lt_i32 s2, 6
	s_mov_b64 s[0:1], -1
	s_cbranch_scc1 .LBB95_2701
; %bb.2696:
	s_cmp_gt_i32 s2, 6
	s_cbranch_scc0 .LBB95_2698
; %bb.2697:
	v_cvt_f64_i32_e32 v[9:10], v8
	v_cvt_f64_u32_e32 v[25:26], v7
	s_mov_b64 s[0:1], 0
	v_ldexp_f64 v[9:10], v[9:10], 32
	v_add_f64 v[9:10], v[9:10], v[25:26]
	global_store_dwordx2 v[5:6], v[9:10], off
.LBB95_2698:
	s_andn2_b64 vcc, exec, s[0:1]
	s_cbranch_vccnz .LBB95_2700
; %bb.2699:
	v_xor_b32_e32 v3, v7, v8
	v_ffbh_i32_e32 v1, v8
	v_ashrrev_i32_e32 v3, 31, v3
	v_add_u32_e32 v1, -1, v1
	v_add_u32_e32 v3, 32, v3
	v_min_u32_e32 v1, v1, v3
	v_lshlrev_b64 v[9:10], v1, v[7:8]
	v_sub_u32_e32 v1, 32, v1
	v_min_u32_e32 v3, 1, v9
	v_or_b32_e32 v3, v10, v3
	v_cvt_f32_i32_e32 v3, v3
	v_ldexp_f32 v1, v3, v1
	global_store_dword v[5:6], v1, off
.LBB95_2700:
	s_mov_b64 s[0:1], 0
.LBB95_2701:
	s_andn2_b64 vcc, exec, s[0:1]
	s_cbranch_vccnz .LBB95_2703
; %bb.2702:
	v_xor_b32_e32 v3, v7, v8
	v_ffbh_i32_e32 v1, v8
	v_ashrrev_i32_e32 v3, 31, v3
	v_add_u32_e32 v1, -1, v1
	v_add_u32_e32 v3, 32, v3
	v_min_u32_e32 v1, v1, v3
	v_lshlrev_b64 v[9:10], v1, v[7:8]
	v_sub_u32_e32 v1, 32, v1
	v_min_u32_e32 v3, 1, v9
	v_or_b32_e32 v3, v10, v3
	v_cvt_f32_i32_e32 v3, v3
	v_ldexp_f32 v1, v3, v1
	v_cvt_f16_f32_e32 v1, v1
	global_store_short v[5:6], v1, off
.LBB95_2703:
	s_mov_b64 s[0:1], 0
.LBB95_2704:
	s_andn2_b64 vcc, exec, s[0:1]
	s_cbranch_vccnz .LBB95_2720
; %bb.2705:
	s_cmp_lt_i32 s2, 2
	s_mov_b64 s[0:1], -1
	s_cbranch_scc1 .LBB95_2715
; %bb.2706:
	s_cmp_lt_i32 s2, 3
	s_cbranch_scc1 .LBB95_2712
; %bb.2707:
	s_cmp_gt_i32 s2, 3
	s_cbranch_scc0 .LBB95_2709
; %bb.2708:
	global_store_dwordx2 v[5:6], v[7:8], off
	s_mov_b64 s[0:1], 0
.LBB95_2709:
	s_andn2_b64 vcc, exec, s[0:1]
	s_cbranch_vccnz .LBB95_2711
; %bb.2710:
	global_store_dword v[5:6], v7, off
.LBB95_2711:
	s_mov_b64 s[0:1], 0
.LBB95_2712:
	s_andn2_b64 vcc, exec, s[0:1]
	s_cbranch_vccnz .LBB95_2714
; %bb.2713:
	global_store_short v[5:6], v7, off
.LBB95_2714:
	s_mov_b64 s[0:1], 0
.LBB95_2715:
	s_andn2_b64 vcc, exec, s[0:1]
	s_cbranch_vccnz .LBB95_2720
; %bb.2716:
	s_cmp_gt_i32 s2, 0
	s_mov_b64 s[0:1], -1
	s_cbranch_scc0 .LBB95_2718
; %bb.2717:
	global_store_byte v[5:6], v7, off
	s_mov_b64 s[0:1], 0
.LBB95_2718:
	s_andn2_b64 vcc, exec, s[0:1]
	s_cbranch_vccnz .LBB95_2720
; %bb.2719:
	global_store_byte v[5:6], v7, off
.LBB95_2720:
	s_mov_b64 s[6:7], -1
.LBB95_2721:
	s_andn2_b64 vcc, exec, s[6:7]
	s_cbranch_vccnz .LBB95_3036
; %bb.2722:
	v_lshlrev_b64 v[5:6], v15, v[12:13]
	v_cmp_gt_u64_e32 vcc, 64, v[15:16]
	s_lshr_b32 s0, s20, 8
	s_and_b32 s18, s0, 0xff
	v_cndmask_b32_e32 v6, 0, v6, vcc
	v_cndmask_b32_e32 v5, 0, v5, vcc
	v_mov_b32_e32 v1, s9
	v_add_co_u32_e32 v3, vcc, s8, v4
	s_cmp_lt_i32 s18, 11
	v_addc_co_u32_e32 v4, vcc, 0, v1, vcc
	s_cbranch_scc1 .LBB95_2800
; %bb.2723:
	s_and_b32 s19, 0xffff, s18
	s_mov_b64 s[10:11], -1
	s_mov_b64 s[2:3], 0
	s_cmp_gt_i32 s19, 25
	s_mov_b64 s[6:7], 0
	s_mov_b64 s[0:1], 0
	s_cbranch_scc0 .LBB95_2756
; %bb.2724:
	s_cmp_gt_i32 s19, 28
	s_cbranch_scc0 .LBB95_2739
; %bb.2725:
	s_cmp_gt_i32 s19, 43
	;; [unrolled: 3-line block ×3, first 2 shown]
	s_cbranch_scc0 .LBB95_2729
; %bb.2727:
	s_mov_b64 s[0:1], -1
	s_mov_b64 s[10:11], 0
	s_cmp_eq_u32 s19, 46
	s_cbranch_scc0 .LBB95_2729
; %bb.2728:
	v_xor_b32_e32 v7, v5, v6
	v_ffbh_i32_e32 v1, v6
	v_ashrrev_i32_e32 v7, 31, v7
	v_add_u32_e32 v1, -1, v1
	v_add_u32_e32 v7, 32, v7
	v_min_u32_e32 v1, v1, v7
	v_lshlrev_b64 v[7:8], v1, v[5:6]
	v_sub_u32_e32 v1, 32, v1
	v_min_u32_e32 v7, 1, v7
	v_or_b32_e32 v7, v8, v7
	v_cvt_f32_i32_e32 v7, v7
	s_movk_i32 s0, 0x7fff
	s_mov_b64 s[6:7], -1
	v_ldexp_f32 v1, v7, v1
	v_bfe_u32 v7, v1, 16, 1
	v_add3_u32 v1, v1, v7, s0
	v_lshrrev_b32_e32 v1, 16, v1
	global_store_dword v[3:4], v1, off
	s_mov_b64 s[0:1], 0
.LBB95_2729:
	s_and_b64 vcc, exec, s[10:11]
	s_cbranch_vccz .LBB95_2734
; %bb.2730:
	s_cmp_eq_u32 s19, 44
	s_mov_b64 s[0:1], -1
	s_cbranch_scc0 .LBB95_2734
; %bb.2731:
	v_xor_b32_e32 v7, v5, v6
	v_ffbh_i32_e32 v1, v6
	v_ashrrev_i32_e32 v7, 31, v7
	v_add_u32_e32 v1, -1, v1
	v_add_u32_e32 v7, 32, v7
	v_min_u32_e32 v1, v1, v7
	v_lshlrev_b64 v[7:8], v1, v[5:6]
	v_sub_u32_e32 v1, 32, v1
	v_min_u32_e32 v7, 1, v7
	v_or_b32_e32 v7, v8, v7
	v_cvt_f32_i32_e32 v7, v7
	s_movk_i32 s0, 0xff
	v_mov_b32_e32 v8, 0xff
	v_ldexp_f32 v1, v7, v1
	v_bfe_u32 v7, v1, 23, 8
	v_cmp_ne_u32_e32 vcc, s0, v7
	s_and_saveexec_b64 s[6:7], vcc
; %bb.2732:
	s_mov_b32 s0, 0x3fffff
	v_lshrrev_b32_e32 v8, 23, v1
	v_and_b32_e32 v9, 0x400000, v1
	v_and_or_b32 v1, v1, s0, v7
	v_cmp_ne_u32_e32 vcc, 0, v9
	v_cmp_ne_u32_e64 s[0:1], 0, v1
	s_and_b64 s[0:1], vcc, s[0:1]
	v_cndmask_b32_e64 v1, 0, 1, s[0:1]
	v_add_u32_e32 v8, v8, v1
; %bb.2733:
	s_or_b64 exec, exec, s[6:7]
	s_mov_b64 s[0:1], 0
	s_mov_b64 s[6:7], -1
	global_store_byte v[3:4], v8, off
.LBB95_2734:
	s_mov_b64 s[10:11], 0
.LBB95_2735:
	s_and_b64 vcc, exec, s[10:11]
	s_cbranch_vccz .LBB95_2738
; %bb.2736:
	s_cmp_eq_u32 s19, 29
	s_mov_b64 s[0:1], -1
	s_cbranch_scc0 .LBB95_2738
; %bb.2737:
	global_store_dwordx2 v[3:4], v[5:6], off
	s_mov_b64 s[0:1], 0
	s_mov_b64 s[6:7], -1
.LBB95_2738:
	s_mov_b64 s[10:11], 0
.LBB95_2739:
	s_and_b64 vcc, exec, s[10:11]
	s_cbranch_vccz .LBB95_2755
; %bb.2740:
	s_cmp_lt_i32 s19, 27
	s_mov_b64 s[6:7], -1
	s_cbranch_scc1 .LBB95_2746
; %bb.2741:
	s_cmp_gt_i32 s19, 27
	s_cbranch_scc0 .LBB95_2743
; %bb.2742:
	s_mov_b64 s[6:7], 0
	global_store_dword v[3:4], v5, off
.LBB95_2743:
	s_andn2_b64 vcc, exec, s[6:7]
	s_cbranch_vccnz .LBB95_2745
; %bb.2744:
	global_store_short v[3:4], v5, off
.LBB95_2745:
	s_mov_b64 s[6:7], 0
.LBB95_2746:
	s_andn2_b64 vcc, exec, s[6:7]
	s_cbranch_vccnz .LBB95_2754
; %bb.2747:
	v_xor_b32_e32 v7, v5, v6
	v_ffbh_i32_e32 v1, v6
	v_ashrrev_i32_e32 v7, 31, v7
	v_add_u32_e32 v1, -1, v1
	v_add_u32_e32 v7, 32, v7
	v_min_u32_e32 v1, v1, v7
	v_lshlrev_b64 v[7:8], v1, v[5:6]
	v_sub_u32_e32 v1, 32, v1
	v_min_u32_e32 v7, 1, v7
	v_or_b32_e32 v7, v8, v7
	v_cvt_f32_i32_e32 v7, v7
	s_mov_b32 s6, 0x43800000
	v_mov_b32_e32 v8, 0x80
	v_ldexp_f32 v1, v7, v1
	v_and_b32_e32 v7, 0x7fffffff, v1
	v_cmp_gt_u32_e32 vcc, s6, v7
	s_and_saveexec_b64 s[6:7], vcc
	s_cbranch_execz .LBB95_2753
; %bb.2748:
	s_mov_b32 s10, 0x3bffffff
	v_cmp_lt_u32_e32 vcc, s10, v7
	s_mov_b64 s[10:11], 0
                                        ; implicit-def: $vgpr7
	s_and_saveexec_b64 s[16:17], vcc
	s_xor_b64 s[16:17], exec, s[16:17]
	s_cbranch_execz .LBB95_3088
; %bb.2749:
	v_bfe_u32 v7, v1, 20, 1
	s_mov_b32 s20, 0x487ffff
	v_add3_u32 v7, v1, v7, s20
	s_mov_b64 s[10:11], exec
	v_lshrrev_b32_e32 v7, 20, v7
	s_andn2_saveexec_b64 s[16:17], s[16:17]
	s_cbranch_execnz .LBB95_3089
.LBB95_2750:
	s_or_b64 exec, exec, s[16:17]
	v_mov_b32_e32 v8, 0
	s_and_saveexec_b64 s[16:17], s[10:11]
.LBB95_2751:
	v_lshrrev_b32_e32 v1, 24, v1
	s_movk_i32 s10, 0x80
	v_and_or_b32 v8, v1, s10, v7
.LBB95_2752:
	s_or_b64 exec, exec, s[16:17]
.LBB95_2753:
	s_or_b64 exec, exec, s[6:7]
	global_store_byte v[3:4], v8, off
.LBB95_2754:
	s_mov_b64 s[6:7], -1
.LBB95_2755:
	s_mov_b64 s[10:11], 0
.LBB95_2756:
	s_and_b64 vcc, exec, s[10:11]
	s_cbranch_vccz .LBB95_2796
; %bb.2757:
	s_cmp_gt_i32 s19, 22
	s_mov_b64 s[2:3], -1
	s_cbranch_scc0 .LBB95_2789
; %bb.2758:
	s_cmp_lt_i32 s19, 24
	s_cbranch_scc1 .LBB95_2778
; %bb.2759:
	s_cmp_gt_i32 s19, 24
	s_cbranch_scc0 .LBB95_2767
; %bb.2760:
	v_xor_b32_e32 v7, v5, v6
	v_ffbh_i32_e32 v1, v6
	v_ashrrev_i32_e32 v7, 31, v7
	v_add_u32_e32 v1, -1, v1
	v_add_u32_e32 v7, 32, v7
	v_min_u32_e32 v1, v1, v7
	v_lshlrev_b64 v[7:8], v1, v[5:6]
	v_sub_u32_e32 v1, 32, v1
	v_min_u32_e32 v7, 1, v7
	v_or_b32_e32 v7, v8, v7
	v_cvt_f32_i32_e32 v7, v7
	s_mov_b32 s2, 0x47800000
	v_mov_b32_e32 v8, 0x80
	v_ldexp_f32 v1, v7, v1
	v_and_b32_e32 v7, 0x7fffffff, v1
	v_cmp_gt_u32_e32 vcc, s2, v7
	s_and_saveexec_b64 s[2:3], vcc
	s_cbranch_execz .LBB95_2766
; %bb.2761:
	s_mov_b32 s6, 0x37ffffff
	v_cmp_lt_u32_e32 vcc, s6, v7
	s_mov_b64 s[6:7], 0
                                        ; implicit-def: $vgpr7
	s_and_saveexec_b64 s[10:11], vcc
	s_xor_b64 s[10:11], exec, s[10:11]
	s_cbranch_execz .LBB95_3091
; %bb.2762:
	v_bfe_u32 v7, v1, 21, 1
	s_mov_b32 s16, 0x88fffff
	v_add3_u32 v7, v1, v7, s16
	s_mov_b64 s[6:7], exec
	v_lshrrev_b32_e32 v7, 21, v7
	s_andn2_saveexec_b64 s[10:11], s[10:11]
	s_cbranch_execnz .LBB95_3092
.LBB95_2763:
	s_or_b64 exec, exec, s[10:11]
	v_mov_b32_e32 v8, 0
	s_and_saveexec_b64 s[10:11], s[6:7]
.LBB95_2764:
	v_lshrrev_b32_e32 v1, 24, v1
	s_movk_i32 s6, 0x80
	v_and_or_b32 v8, v1, s6, v7
.LBB95_2765:
	s_or_b64 exec, exec, s[10:11]
.LBB95_2766:
	s_or_b64 exec, exec, s[2:3]
	s_mov_b64 s[2:3], 0
	global_store_byte v[3:4], v8, off
.LBB95_2767:
	s_and_b64 vcc, exec, s[2:3]
	s_cbranch_vccz .LBB95_2777
; %bb.2768:
	v_xor_b32_e32 v7, v5, v6
	v_ffbh_i32_e32 v1, v6
	v_ashrrev_i32_e32 v7, 31, v7
	v_add_u32_e32 v1, -1, v1
	v_add_u32_e32 v7, 32, v7
	v_min_u32_e32 v1, v1, v7
	v_lshlrev_b64 v[7:8], v1, v[5:6]
	v_sub_u32_e32 v1, 32, v1
	v_min_u32_e32 v7, 1, v7
	v_or_b32_e32 v7, v8, v7
	v_cvt_f32_i32_e32 v7, v7
	s_mov_b32 s2, 0x43f00000
	v_ldexp_f32 v1, v7, v1
	v_and_b32_e32 v8, 0x7fffffff, v1
	v_cmp_gt_u32_e32 vcc, s2, v8
                                        ; implicit-def: $vgpr7
	s_and_saveexec_b64 s[2:3], vcc
	s_xor_b64 s[2:3], exec, s[2:3]
	s_cbranch_execz .LBB95_2774
; %bb.2769:
	s_mov_b32 s6, 0x3c7fffff
	v_cmp_lt_u32_e32 vcc, s6, v8
                                        ; implicit-def: $vgpr7
	s_and_saveexec_b64 s[6:7], vcc
	s_xor_b64 s[6:7], exec, s[6:7]
; %bb.2770:
	v_bfe_u32 v7, v1, 20, 1
	s_mov_b32 s10, 0x407ffff
	v_add3_u32 v7, v1, v7, s10
	v_lshrrev_b32_e32 v8, 20, v7
	v_and_b32_e32 v7, 0xff00000, v7
	s_mov_b32 s10, 0x7f00000
	v_mov_b32_e32 v9, 0x7e
	v_cmp_ne_u32_e32 vcc, s10, v7
	v_cndmask_b32_e32 v7, v9, v8, vcc
; %bb.2771:
	s_andn2_saveexec_b64 s[6:7], s[6:7]
; %bb.2772:
	s_mov_b32 s10, 0x46800000
	v_add_f32_e64 v7, |v1|, s10
; %bb.2773:
	s_or_b64 exec, exec, s[6:7]
                                        ; implicit-def: $vgpr8
.LBB95_2774:
	s_andn2_saveexec_b64 s[2:3], s[2:3]
; %bb.2775:
	s_mov_b32 s6, 0x7f800000
	v_mov_b32_e32 v7, 0x7e
	v_mov_b32_e32 v9, 0x7f
	v_cmp_lt_u32_e32 vcc, s6, v8
	v_cndmask_b32_e32 v7, v7, v9, vcc
; %bb.2776:
	s_or_b64 exec, exec, s[2:3]
	v_lshrrev_b32_e32 v1, 24, v1
	s_movk_i32 s2, 0x80
	v_and_or_b32 v1, v1, s2, v7
	global_store_byte v[3:4], v1, off
.LBB95_2777:
	s_mov_b64 s[2:3], 0
.LBB95_2778:
	s_andn2_b64 vcc, exec, s[2:3]
	s_cbranch_vccnz .LBB95_2788
; %bb.2779:
	v_xor_b32_e32 v7, v5, v6
	v_ffbh_i32_e32 v1, v6
	v_ashrrev_i32_e32 v7, 31, v7
	v_add_u32_e32 v1, -1, v1
	v_add_u32_e32 v7, 32, v7
	v_min_u32_e32 v1, v1, v7
	v_lshlrev_b64 v[7:8], v1, v[5:6]
	v_sub_u32_e32 v1, 32, v1
	v_min_u32_e32 v7, 1, v7
	v_or_b32_e32 v7, v8, v7
	v_cvt_f32_i32_e32 v7, v7
	s_mov_b32 s2, 0x47800000
	v_ldexp_f32 v1, v7, v1
	v_and_b32_e32 v8, 0x7fffffff, v1
	v_cmp_gt_u32_e32 vcc, s2, v8
                                        ; implicit-def: $vgpr7
	s_and_saveexec_b64 s[2:3], vcc
	s_xor_b64 s[2:3], exec, s[2:3]
	s_cbranch_execz .LBB95_2785
; %bb.2780:
	s_mov_b32 s6, 0x387fffff
	v_cmp_lt_u32_e32 vcc, s6, v8
                                        ; implicit-def: $vgpr7
	s_and_saveexec_b64 s[6:7], vcc
	s_xor_b64 s[6:7], exec, s[6:7]
; %bb.2781:
	v_bfe_u32 v7, v1, 21, 1
	s_mov_b32 s10, 0x80fffff
	v_add3_u32 v7, v1, v7, s10
	v_lshrrev_b32_e32 v7, 21, v7
; %bb.2782:
	s_andn2_saveexec_b64 s[6:7], s[6:7]
; %bb.2783:
	s_mov_b32 s10, 0x43000000
	v_add_f32_e64 v7, |v1|, s10
; %bb.2784:
	s_or_b64 exec, exec, s[6:7]
                                        ; implicit-def: $vgpr8
.LBB95_2785:
	s_andn2_saveexec_b64 s[2:3], s[2:3]
; %bb.2786:
	s_mov_b32 s6, 0x7f800000
	v_mov_b32_e32 v7, 0x7c
	v_mov_b32_e32 v9, 0x7f
	v_cmp_lt_u32_e32 vcc, s6, v8
	v_cndmask_b32_e32 v7, v7, v9, vcc
; %bb.2787:
	s_or_b64 exec, exec, s[2:3]
	v_lshrrev_b32_e32 v1, 24, v1
	s_movk_i32 s2, 0x80
	v_and_or_b32 v1, v1, s2, v7
	global_store_byte v[3:4], v1, off
.LBB95_2788:
	s_mov_b64 s[2:3], 0
	s_mov_b64 s[6:7], -1
.LBB95_2789:
	s_andn2_b64 vcc, exec, s[2:3]
	s_mov_b64 s[2:3], 0
	s_cbranch_vccnz .LBB95_2796
; %bb.2790:
	s_cmp_gt_i32 s19, 14
	s_mov_b64 s[10:11], -1
	s_cbranch_scc0 .LBB95_2794
; %bb.2791:
	s_cmp_eq_u32 s19, 15
	s_mov_b64 s[0:1], -1
	s_cbranch_scc0 .LBB95_2793
; %bb.2792:
	v_xor_b32_e32 v7, v5, v6
	v_ffbh_i32_e32 v1, v6
	v_ashrrev_i32_e32 v7, 31, v7
	v_add_u32_e32 v1, -1, v1
	v_add_u32_e32 v7, 32, v7
	v_min_u32_e32 v1, v1, v7
	v_lshlrev_b64 v[7:8], v1, v[5:6]
	v_sub_u32_e32 v1, 32, v1
	v_min_u32_e32 v7, 1, v7
	v_or_b32_e32 v7, v8, v7
	v_cvt_f32_i32_e32 v7, v7
	s_movk_i32 s0, 0x7fff
	s_mov_b64 s[6:7], -1
	v_ldexp_f32 v1, v7, v1
	v_bfe_u32 v7, v1, 16, 1
	v_add3_u32 v1, v1, v7, s0
	global_store_short_d16_hi v[3:4], v1, off
	s_mov_b64 s[0:1], 0
.LBB95_2793:
	s_mov_b64 s[10:11], 0
.LBB95_2794:
	s_and_b64 vcc, exec, s[10:11]
	s_cbranch_vccz .LBB95_2796
; %bb.2795:
	s_cmp_lg_u32 s19, 11
	s_mov_b64 s[2:3], -1
	s_cselect_b64 s[0:1], -1, 0
.LBB95_2796:
	s_and_b64 vcc, exec, s[0:1]
	s_cbranch_vccnz .LBB95_3090
; %bb.2797:
	s_andn2_b64 vcc, exec, s[2:3]
	s_cbranch_vccnz .LBB95_2799
.LBB95_2798:
	v_cmp_ne_u64_e32 vcc, 0, v[5:6]
	s_mov_b64 s[6:7], -1
	v_cndmask_b32_e64 v1, 0, 1, vcc
	global_store_byte v[3:4], v1, off
.LBB95_2799:
	s_mov_b64 s[0:1], 0
	s_branch .LBB95_2801
.LBB95_2800:
	s_mov_b64 s[0:1], -1
	s_mov_b64 s[6:7], 0
.LBB95_2801:
	s_and_b64 vcc, exec, s[0:1]
	s_cbranch_vccz .LBB95_2840
; %bb.2802:
	s_and_b32 s2, 0xffff, s18
	s_cmp_lt_i32 s2, 5
	s_mov_b64 s[0:1], -1
	s_cbranch_scc1 .LBB95_2823
; %bb.2803:
	s_cmp_lt_i32 s2, 8
	s_cbranch_scc1 .LBB95_2813
; %bb.2804:
	s_cmp_lt_i32 s2, 9
	s_cbranch_scc1 .LBB95_2810
; %bb.2805:
	s_cmp_gt_i32 s2, 9
	s_cbranch_scc0 .LBB95_2807
; %bb.2806:
	v_cvt_f64_i32_e32 v[7:8], v6
	v_cvt_f64_u32_e32 v[9:10], v5
	s_mov_b64 s[0:1], 0
	v_ldexp_f64 v[7:8], v[7:8], 32
	v_add_f64 v[7:8], v[7:8], v[9:10]
	v_mov_b32_e32 v9, 0
	v_mov_b32_e32 v10, v9
	global_store_dwordx4 v[3:4], v[7:10], off
.LBB95_2807:
	s_andn2_b64 vcc, exec, s[0:1]
	s_cbranch_vccnz .LBB95_2809
; %bb.2808:
	v_xor_b32_e32 v7, v5, v6
	v_ffbh_i32_e32 v1, v6
	v_ashrrev_i32_e32 v7, 31, v7
	v_add_u32_e32 v1, -1, v1
	v_add_u32_e32 v7, 32, v7
	v_min_u32_e32 v1, v1, v7
	v_lshlrev_b64 v[7:8], v1, v[5:6]
	v_sub_u32_e32 v1, 32, v1
	v_min_u32_e32 v7, 1, v7
	v_or_b32_e32 v7, v8, v7
	v_cvt_f32_i32_e32 v7, v7
	v_mov_b32_e32 v8, 0
	v_ldexp_f32 v7, v7, v1
	global_store_dwordx2 v[3:4], v[7:8], off
.LBB95_2809:
	s_mov_b64 s[0:1], 0
.LBB95_2810:
	s_andn2_b64 vcc, exec, s[0:1]
	s_cbranch_vccnz .LBB95_2812
; %bb.2811:
	v_xor_b32_e32 v7, v5, v6
	v_ffbh_i32_e32 v1, v6
	v_ashrrev_i32_e32 v7, 31, v7
	v_add_u32_e32 v1, -1, v1
	v_add_u32_e32 v7, 32, v7
	v_min_u32_e32 v1, v1, v7
	v_lshlrev_b64 v[7:8], v1, v[5:6]
	v_sub_u32_e32 v1, 32, v1
	v_min_u32_e32 v7, 1, v7
	v_or_b32_e32 v7, v8, v7
	v_cvt_f32_i32_e32 v7, v7
	v_ldexp_f32 v1, v7, v1
	v_cvt_f16_f32_e32 v1, v1
	global_store_dword v[3:4], v1, off
.LBB95_2812:
	s_mov_b64 s[0:1], 0
.LBB95_2813:
	s_andn2_b64 vcc, exec, s[0:1]
	s_cbranch_vccnz .LBB95_2822
; %bb.2814:
	s_cmp_lt_i32 s2, 6
	s_mov_b64 s[0:1], -1
	s_cbranch_scc1 .LBB95_2820
; %bb.2815:
	s_cmp_gt_i32 s2, 6
	s_cbranch_scc0 .LBB95_2817
; %bb.2816:
	v_cvt_f64_i32_e32 v[7:8], v6
	v_cvt_f64_u32_e32 v[9:10], v5
	s_mov_b64 s[0:1], 0
	v_ldexp_f64 v[7:8], v[7:8], 32
	v_add_f64 v[7:8], v[7:8], v[9:10]
	global_store_dwordx2 v[3:4], v[7:8], off
.LBB95_2817:
	s_andn2_b64 vcc, exec, s[0:1]
	s_cbranch_vccnz .LBB95_2819
; %bb.2818:
	v_xor_b32_e32 v7, v5, v6
	v_ffbh_i32_e32 v1, v6
	v_ashrrev_i32_e32 v7, 31, v7
	v_add_u32_e32 v1, -1, v1
	v_add_u32_e32 v7, 32, v7
	v_min_u32_e32 v1, v1, v7
	v_lshlrev_b64 v[7:8], v1, v[5:6]
	v_sub_u32_e32 v1, 32, v1
	v_min_u32_e32 v7, 1, v7
	v_or_b32_e32 v7, v8, v7
	v_cvt_f32_i32_e32 v7, v7
	v_ldexp_f32 v1, v7, v1
	global_store_dword v[3:4], v1, off
.LBB95_2819:
	s_mov_b64 s[0:1], 0
.LBB95_2820:
	s_andn2_b64 vcc, exec, s[0:1]
	s_cbranch_vccnz .LBB95_2822
; %bb.2821:
	v_xor_b32_e32 v7, v5, v6
	v_ffbh_i32_e32 v1, v6
	v_ashrrev_i32_e32 v7, 31, v7
	v_add_u32_e32 v1, -1, v1
	v_add_u32_e32 v7, 32, v7
	v_min_u32_e32 v1, v1, v7
	v_lshlrev_b64 v[7:8], v1, v[5:6]
	v_sub_u32_e32 v1, 32, v1
	v_min_u32_e32 v7, 1, v7
	v_or_b32_e32 v7, v8, v7
	v_cvt_f32_i32_e32 v7, v7
	v_ldexp_f32 v1, v7, v1
	v_cvt_f16_f32_e32 v1, v1
	global_store_short v[3:4], v1, off
.LBB95_2822:
	s_mov_b64 s[0:1], 0
.LBB95_2823:
	s_andn2_b64 vcc, exec, s[0:1]
	s_cbranch_vccnz .LBB95_2839
; %bb.2824:
	s_cmp_lt_i32 s2, 2
	s_mov_b64 s[0:1], -1
	s_cbranch_scc1 .LBB95_2834
; %bb.2825:
	s_cmp_lt_i32 s2, 3
	s_cbranch_scc1 .LBB95_2831
; %bb.2826:
	s_cmp_gt_i32 s2, 3
	s_cbranch_scc0 .LBB95_2828
; %bb.2827:
	global_store_dwordx2 v[3:4], v[5:6], off
	s_mov_b64 s[0:1], 0
.LBB95_2828:
	s_andn2_b64 vcc, exec, s[0:1]
	s_cbranch_vccnz .LBB95_2830
; %bb.2829:
	global_store_dword v[3:4], v5, off
.LBB95_2830:
	s_mov_b64 s[0:1], 0
.LBB95_2831:
	s_andn2_b64 vcc, exec, s[0:1]
	s_cbranch_vccnz .LBB95_2833
; %bb.2832:
	global_store_short v[3:4], v5, off
.LBB95_2833:
	s_mov_b64 s[0:1], 0
.LBB95_2834:
	s_andn2_b64 vcc, exec, s[0:1]
	s_cbranch_vccnz .LBB95_2839
; %bb.2835:
	s_cmp_gt_i32 s2, 0
	s_mov_b64 s[0:1], -1
	s_cbranch_scc0 .LBB95_2837
; %bb.2836:
	global_store_byte v[3:4], v5, off
	s_mov_b64 s[0:1], 0
.LBB95_2837:
	s_andn2_b64 vcc, exec, s[0:1]
	s_cbranch_vccnz .LBB95_2839
; %bb.2838:
	global_store_byte v[3:4], v5, off
.LBB95_2839:
	s_mov_b64 s[6:7], -1
.LBB95_2840:
	s_andn2_b64 vcc, exec, s[6:7]
	s_cbranch_vccnz .LBB95_3036
; %bb.2841:
	v_lshlrev_b64 v[3:4], v19, v[17:18]
	v_cmp_gt_u64_e32 vcc, 64, v[19:20]
	v_mov_b32_e32 v5, s9
	v_cndmask_b32_e32 v4, 0, v4, vcc
	v_cndmask_b32_e32 v3, 0, v3, vcc
	v_add_co_u32_e32 v1, vcc, s8, v2
	s_cmp_lt_i32 s18, 11
	v_addc_co_u32_e32 v2, vcc, 0, v5, vcc
	s_cbranch_scc1 .LBB95_2919
; %bb.2842:
	s_and_b32 s19, 0xffff, s18
	s_mov_b64 s[10:11], -1
	s_mov_b64 s[2:3], 0
	s_cmp_gt_i32 s19, 25
	s_mov_b64 s[6:7], 0
	s_mov_b64 s[0:1], 0
	s_cbranch_scc0 .LBB95_2875
; %bb.2843:
	s_cmp_gt_i32 s19, 28
	s_cbranch_scc0 .LBB95_2858
; %bb.2844:
	s_cmp_gt_i32 s19, 43
	;; [unrolled: 3-line block ×3, first 2 shown]
	s_cbranch_scc0 .LBB95_2848
; %bb.2846:
	s_mov_b64 s[0:1], -1
	s_mov_b64 s[10:11], 0
	s_cmp_eq_u32 s19, 46
	s_cbranch_scc0 .LBB95_2848
; %bb.2847:
	v_xor_b32_e32 v6, v3, v4
	v_ffbh_i32_e32 v5, v4
	v_ashrrev_i32_e32 v6, 31, v6
	v_add_u32_e32 v5, -1, v5
	v_add_u32_e32 v6, 32, v6
	v_min_u32_e32 v7, v5, v6
	v_lshlrev_b64 v[5:6], v7, v[3:4]
	s_movk_i32 s0, 0x7fff
	v_min_u32_e32 v5, 1, v5
	v_or_b32_e32 v5, v6, v5
	v_cvt_f32_i32_e32 v5, v5
	v_sub_u32_e32 v6, 32, v7
	s_mov_b64 s[6:7], -1
	v_ldexp_f32 v5, v5, v6
	v_bfe_u32 v6, v5, 16, 1
	v_add3_u32 v5, v5, v6, s0
	v_lshrrev_b32_e32 v5, 16, v5
	global_store_dword v[1:2], v5, off
	s_mov_b64 s[0:1], 0
.LBB95_2848:
	s_and_b64 vcc, exec, s[10:11]
	s_cbranch_vccz .LBB95_2853
; %bb.2849:
	s_cmp_eq_u32 s19, 44
	s_mov_b64 s[0:1], -1
	s_cbranch_scc0 .LBB95_2853
; %bb.2850:
	v_xor_b32_e32 v6, v3, v4
	v_ffbh_i32_e32 v5, v4
	v_ashrrev_i32_e32 v6, 31, v6
	v_add_u32_e32 v5, -1, v5
	v_add_u32_e32 v6, 32, v6
	v_min_u32_e32 v7, v5, v6
	v_lshlrev_b64 v[5:6], v7, v[3:4]
	s_movk_i32 s0, 0xff
	v_min_u32_e32 v5, 1, v5
	v_or_b32_e32 v5, v6, v5
	v_cvt_f32_i32_e32 v5, v5
	v_sub_u32_e32 v6, 32, v7
	v_mov_b32_e32 v7, 0xff
	v_ldexp_f32 v5, v5, v6
	v_bfe_u32 v6, v5, 23, 8
	v_cmp_ne_u32_e32 vcc, s0, v6
	s_and_saveexec_b64 s[6:7], vcc
; %bb.2851:
	s_mov_b32 s0, 0x3fffff
	v_lshrrev_b32_e32 v7, 23, v5
	v_and_b32_e32 v8, 0x400000, v5
	v_and_or_b32 v5, v5, s0, v6
	v_cmp_ne_u32_e32 vcc, 0, v8
	v_cmp_ne_u32_e64 s[0:1], 0, v5
	s_and_b64 s[0:1], vcc, s[0:1]
	v_cndmask_b32_e64 v5, 0, 1, s[0:1]
	v_add_u32_e32 v7, v7, v5
; %bb.2852:
	s_or_b64 exec, exec, s[6:7]
	s_mov_b64 s[0:1], 0
	s_mov_b64 s[6:7], -1
	global_store_byte v[1:2], v7, off
.LBB95_2853:
	s_mov_b64 s[10:11], 0
.LBB95_2854:
	s_and_b64 vcc, exec, s[10:11]
	s_cbranch_vccz .LBB95_2857
; %bb.2855:
	s_cmp_eq_u32 s19, 29
	s_mov_b64 s[0:1], -1
	s_cbranch_scc0 .LBB95_2857
; %bb.2856:
	global_store_dwordx2 v[1:2], v[3:4], off
	s_mov_b64 s[0:1], 0
	s_mov_b64 s[6:7], -1
.LBB95_2857:
	s_mov_b64 s[10:11], 0
.LBB95_2858:
	s_and_b64 vcc, exec, s[10:11]
	s_cbranch_vccz .LBB95_2874
; %bb.2859:
	s_cmp_lt_i32 s19, 27
	s_mov_b64 s[6:7], -1
	s_cbranch_scc1 .LBB95_2865
; %bb.2860:
	s_cmp_gt_i32 s19, 27
	s_cbranch_scc0 .LBB95_2862
; %bb.2861:
	s_mov_b64 s[6:7], 0
	global_store_dword v[1:2], v3, off
.LBB95_2862:
	s_andn2_b64 vcc, exec, s[6:7]
	s_cbranch_vccnz .LBB95_2864
; %bb.2863:
	global_store_short v[1:2], v3, off
.LBB95_2864:
	s_mov_b64 s[6:7], 0
.LBB95_2865:
	s_andn2_b64 vcc, exec, s[6:7]
	s_cbranch_vccnz .LBB95_2873
; %bb.2866:
	v_xor_b32_e32 v6, v3, v4
	v_ffbh_i32_e32 v5, v4
	v_ashrrev_i32_e32 v6, 31, v6
	v_add_u32_e32 v5, -1, v5
	v_add_u32_e32 v6, 32, v6
	v_min_u32_e32 v7, v5, v6
	v_lshlrev_b64 v[5:6], v7, v[3:4]
	s_mov_b32 s6, 0x43800000
	v_min_u32_e32 v5, 1, v5
	v_or_b32_e32 v5, v6, v5
	v_cvt_f32_i32_e32 v5, v5
	v_sub_u32_e32 v6, 32, v7
	v_mov_b32_e32 v7, 0x80
	v_ldexp_f32 v5, v5, v6
	v_and_b32_e32 v6, 0x7fffffff, v5
	v_cmp_gt_u32_e32 vcc, s6, v6
	s_and_saveexec_b64 s[6:7], vcc
	s_cbranch_execz .LBB95_2872
; %bb.2867:
	s_mov_b32 s10, 0x3bffffff
	v_cmp_lt_u32_e32 vcc, s10, v6
	s_mov_b64 s[10:11], 0
                                        ; implicit-def: $vgpr6
	s_and_saveexec_b64 s[16:17], vcc
	s_xor_b64 s[16:17], exec, s[16:17]
	s_cbranch_execz .LBB95_3093
; %bb.2868:
	v_bfe_u32 v6, v5, 20, 1
	s_mov_b32 s20, 0x487ffff
	v_add3_u32 v6, v5, v6, s20
	s_mov_b64 s[10:11], exec
	v_lshrrev_b32_e32 v6, 20, v6
	s_andn2_saveexec_b64 s[16:17], s[16:17]
	s_cbranch_execnz .LBB95_3094
.LBB95_2869:
	s_or_b64 exec, exec, s[16:17]
	v_mov_b32_e32 v7, 0
	s_and_saveexec_b64 s[16:17], s[10:11]
.LBB95_2870:
	v_lshrrev_b32_e32 v5, 24, v5
	s_movk_i32 s10, 0x80
	v_and_or_b32 v7, v5, s10, v6
.LBB95_2871:
	s_or_b64 exec, exec, s[16:17]
.LBB95_2872:
	s_or_b64 exec, exec, s[6:7]
	global_store_byte v[1:2], v7, off
.LBB95_2873:
	s_mov_b64 s[6:7], -1
.LBB95_2874:
	s_mov_b64 s[10:11], 0
.LBB95_2875:
	s_and_b64 vcc, exec, s[10:11]
	s_cbranch_vccz .LBB95_2915
; %bb.2876:
	s_cmp_gt_i32 s19, 22
	s_mov_b64 s[2:3], -1
	s_cbranch_scc0 .LBB95_2908
; %bb.2877:
	s_cmp_lt_i32 s19, 24
	s_cbranch_scc1 .LBB95_2897
; %bb.2878:
	s_cmp_gt_i32 s19, 24
	s_cbranch_scc0 .LBB95_2886
; %bb.2879:
	v_xor_b32_e32 v6, v3, v4
	v_ffbh_i32_e32 v5, v4
	v_ashrrev_i32_e32 v6, 31, v6
	v_add_u32_e32 v5, -1, v5
	v_add_u32_e32 v6, 32, v6
	v_min_u32_e32 v7, v5, v6
	v_lshlrev_b64 v[5:6], v7, v[3:4]
	s_mov_b32 s2, 0x47800000
	v_min_u32_e32 v5, 1, v5
	v_or_b32_e32 v5, v6, v5
	v_cvt_f32_i32_e32 v5, v5
	v_sub_u32_e32 v6, 32, v7
	v_mov_b32_e32 v7, 0x80
	v_ldexp_f32 v5, v5, v6
	v_and_b32_e32 v6, 0x7fffffff, v5
	v_cmp_gt_u32_e32 vcc, s2, v6
	s_and_saveexec_b64 s[2:3], vcc
	s_cbranch_execz .LBB95_2885
; %bb.2880:
	s_mov_b32 s6, 0x37ffffff
	v_cmp_lt_u32_e32 vcc, s6, v6
	s_mov_b64 s[6:7], 0
                                        ; implicit-def: $vgpr6
	s_and_saveexec_b64 s[10:11], vcc
	s_xor_b64 s[10:11], exec, s[10:11]
	s_cbranch_execz .LBB95_3096
; %bb.2881:
	v_bfe_u32 v6, v5, 21, 1
	s_mov_b32 s16, 0x88fffff
	v_add3_u32 v6, v5, v6, s16
	s_mov_b64 s[6:7], exec
	v_lshrrev_b32_e32 v6, 21, v6
	s_andn2_saveexec_b64 s[10:11], s[10:11]
	s_cbranch_execnz .LBB95_3097
.LBB95_2882:
	s_or_b64 exec, exec, s[10:11]
	v_mov_b32_e32 v7, 0
	s_and_saveexec_b64 s[10:11], s[6:7]
.LBB95_2883:
	v_lshrrev_b32_e32 v5, 24, v5
	s_movk_i32 s6, 0x80
	v_and_or_b32 v7, v5, s6, v6
.LBB95_2884:
	s_or_b64 exec, exec, s[10:11]
.LBB95_2885:
	s_or_b64 exec, exec, s[2:3]
	s_mov_b64 s[2:3], 0
	global_store_byte v[1:2], v7, off
.LBB95_2886:
	s_and_b64 vcc, exec, s[2:3]
	s_cbranch_vccz .LBB95_2896
; %bb.2887:
	v_xor_b32_e32 v6, v3, v4
	v_ffbh_i32_e32 v5, v4
	v_ashrrev_i32_e32 v6, 31, v6
	v_add_u32_e32 v5, -1, v5
	v_add_u32_e32 v6, 32, v6
	v_min_u32_e32 v7, v5, v6
	v_lshlrev_b64 v[5:6], v7, v[3:4]
	s_mov_b32 s2, 0x43f00000
	v_min_u32_e32 v5, 1, v5
	v_or_b32_e32 v5, v6, v5
	v_cvt_f32_i32_e32 v5, v5
	v_sub_u32_e32 v6, 32, v7
	v_ldexp_f32 v5, v5, v6
	v_and_b32_e32 v7, 0x7fffffff, v5
	v_cmp_gt_u32_e32 vcc, s2, v7
                                        ; implicit-def: $vgpr6
	s_and_saveexec_b64 s[2:3], vcc
	s_xor_b64 s[2:3], exec, s[2:3]
	s_cbranch_execz .LBB95_2893
; %bb.2888:
	s_mov_b32 s6, 0x3c7fffff
	v_cmp_lt_u32_e32 vcc, s6, v7
                                        ; implicit-def: $vgpr6
	s_and_saveexec_b64 s[6:7], vcc
	s_xor_b64 s[6:7], exec, s[6:7]
; %bb.2889:
	v_bfe_u32 v6, v5, 20, 1
	s_mov_b32 s10, 0x407ffff
	v_add3_u32 v6, v5, v6, s10
	v_lshrrev_b32_e32 v7, 20, v6
	v_and_b32_e32 v6, 0xff00000, v6
	s_mov_b32 s10, 0x7f00000
	v_mov_b32_e32 v8, 0x7e
	v_cmp_ne_u32_e32 vcc, s10, v6
	v_cndmask_b32_e32 v6, v8, v7, vcc
; %bb.2890:
	s_andn2_saveexec_b64 s[6:7], s[6:7]
; %bb.2891:
	s_mov_b32 s10, 0x46800000
	v_add_f32_e64 v6, |v5|, s10
; %bb.2892:
	s_or_b64 exec, exec, s[6:7]
                                        ; implicit-def: $vgpr7
.LBB95_2893:
	s_andn2_saveexec_b64 s[2:3], s[2:3]
; %bb.2894:
	s_mov_b32 s6, 0x7f800000
	v_mov_b32_e32 v6, 0x7e
	v_mov_b32_e32 v8, 0x7f
	v_cmp_lt_u32_e32 vcc, s6, v7
	v_cndmask_b32_e32 v6, v6, v8, vcc
; %bb.2895:
	s_or_b64 exec, exec, s[2:3]
	v_lshrrev_b32_e32 v5, 24, v5
	s_movk_i32 s2, 0x80
	v_and_or_b32 v5, v5, s2, v6
	global_store_byte v[1:2], v5, off
.LBB95_2896:
	s_mov_b64 s[2:3], 0
.LBB95_2897:
	s_andn2_b64 vcc, exec, s[2:3]
	s_cbranch_vccnz .LBB95_2907
; %bb.2898:
	v_xor_b32_e32 v6, v3, v4
	v_ffbh_i32_e32 v5, v4
	v_ashrrev_i32_e32 v6, 31, v6
	v_add_u32_e32 v5, -1, v5
	v_add_u32_e32 v6, 32, v6
	v_min_u32_e32 v7, v5, v6
	v_lshlrev_b64 v[5:6], v7, v[3:4]
	s_mov_b32 s2, 0x47800000
	v_min_u32_e32 v5, 1, v5
	v_or_b32_e32 v5, v6, v5
	v_cvt_f32_i32_e32 v5, v5
	v_sub_u32_e32 v6, 32, v7
	v_ldexp_f32 v5, v5, v6
	v_and_b32_e32 v7, 0x7fffffff, v5
	v_cmp_gt_u32_e32 vcc, s2, v7
                                        ; implicit-def: $vgpr6
	s_and_saveexec_b64 s[2:3], vcc
	s_xor_b64 s[2:3], exec, s[2:3]
	s_cbranch_execz .LBB95_2904
; %bb.2899:
	s_mov_b32 s6, 0x387fffff
	v_cmp_lt_u32_e32 vcc, s6, v7
                                        ; implicit-def: $vgpr6
	s_and_saveexec_b64 s[6:7], vcc
	s_xor_b64 s[6:7], exec, s[6:7]
; %bb.2900:
	v_bfe_u32 v6, v5, 21, 1
	s_mov_b32 s10, 0x80fffff
	v_add3_u32 v6, v5, v6, s10
	v_lshrrev_b32_e32 v6, 21, v6
; %bb.2901:
	s_andn2_saveexec_b64 s[6:7], s[6:7]
; %bb.2902:
	s_mov_b32 s10, 0x43000000
	v_add_f32_e64 v6, |v5|, s10
; %bb.2903:
	s_or_b64 exec, exec, s[6:7]
                                        ; implicit-def: $vgpr7
.LBB95_2904:
	s_andn2_saveexec_b64 s[2:3], s[2:3]
; %bb.2905:
	s_mov_b32 s6, 0x7f800000
	v_mov_b32_e32 v6, 0x7c
	v_mov_b32_e32 v8, 0x7f
	v_cmp_lt_u32_e32 vcc, s6, v7
	v_cndmask_b32_e32 v6, v6, v8, vcc
; %bb.2906:
	s_or_b64 exec, exec, s[2:3]
	v_lshrrev_b32_e32 v5, 24, v5
	s_movk_i32 s2, 0x80
	v_and_or_b32 v5, v5, s2, v6
	global_store_byte v[1:2], v5, off
.LBB95_2907:
	s_mov_b64 s[2:3], 0
	s_mov_b64 s[6:7], -1
.LBB95_2908:
	s_andn2_b64 vcc, exec, s[2:3]
	s_mov_b64 s[2:3], 0
	s_cbranch_vccnz .LBB95_2915
; %bb.2909:
	s_cmp_gt_i32 s19, 14
	s_mov_b64 s[10:11], -1
	s_cbranch_scc0 .LBB95_2913
; %bb.2910:
	s_cmp_eq_u32 s19, 15
	s_mov_b64 s[0:1], -1
	s_cbranch_scc0 .LBB95_2912
; %bb.2911:
	v_xor_b32_e32 v6, v3, v4
	v_ffbh_i32_e32 v5, v4
	v_ashrrev_i32_e32 v6, 31, v6
	v_add_u32_e32 v5, -1, v5
	v_add_u32_e32 v6, 32, v6
	v_min_u32_e32 v7, v5, v6
	v_lshlrev_b64 v[5:6], v7, v[3:4]
	s_movk_i32 s0, 0x7fff
	v_min_u32_e32 v5, 1, v5
	v_or_b32_e32 v5, v6, v5
	v_cvt_f32_i32_e32 v5, v5
	v_sub_u32_e32 v6, 32, v7
	s_mov_b64 s[6:7], -1
	v_ldexp_f32 v5, v5, v6
	v_bfe_u32 v6, v5, 16, 1
	v_add3_u32 v5, v5, v6, s0
	global_store_short_d16_hi v[1:2], v5, off
	s_mov_b64 s[0:1], 0
.LBB95_2912:
	s_mov_b64 s[10:11], 0
.LBB95_2913:
	s_and_b64 vcc, exec, s[10:11]
	s_cbranch_vccz .LBB95_2915
; %bb.2914:
	s_cmp_lg_u32 s19, 11
	s_mov_b64 s[2:3], -1
	s_cselect_b64 s[0:1], -1, 0
.LBB95_2915:
	s_and_b64 vcc, exec, s[0:1]
	s_cbranch_vccnz .LBB95_3095
; %bb.2916:
	s_andn2_b64 vcc, exec, s[2:3]
	s_cbranch_vccnz .LBB95_2918
.LBB95_2917:
	v_cmp_ne_u64_e32 vcc, 0, v[3:4]
	s_mov_b64 s[6:7], -1
	v_cndmask_b32_e64 v5, 0, 1, vcc
	global_store_byte v[1:2], v5, off
.LBB95_2918:
	s_mov_b64 s[0:1], 0
	s_branch .LBB95_2920
.LBB95_2919:
	s_mov_b64 s[0:1], -1
	s_mov_b64 s[6:7], 0
.LBB95_2920:
	s_and_b64 vcc, exec, s[0:1]
	s_cbranch_vccz .LBB95_2959
; %bb.2921:
	s_and_b32 s2, 0xffff, s18
	s_cmp_lt_i32 s2, 5
	s_mov_b64 s[0:1], -1
	s_cbranch_scc1 .LBB95_2942
; %bb.2922:
	s_cmp_lt_i32 s2, 8
	s_cbranch_scc1 .LBB95_2932
; %bb.2923:
	s_cmp_lt_i32 s2, 9
	s_cbranch_scc1 .LBB95_2929
; %bb.2924:
	s_cmp_gt_i32 s2, 9
	s_cbranch_scc0 .LBB95_2926
; %bb.2925:
	v_cvt_f64_i32_e32 v[5:6], v4
	v_cvt_f64_u32_e32 v[7:8], v3
	s_mov_b64 s[0:1], 0
	v_ldexp_f64 v[5:6], v[5:6], 32
	v_add_f64 v[5:6], v[5:6], v[7:8]
	v_mov_b32_e32 v7, 0
	v_mov_b32_e32 v8, v7
	global_store_dwordx4 v[1:2], v[5:8], off
.LBB95_2926:
	s_andn2_b64 vcc, exec, s[0:1]
	s_cbranch_vccnz .LBB95_2928
; %bb.2927:
	v_xor_b32_e32 v6, v3, v4
	v_ffbh_i32_e32 v5, v4
	v_ashrrev_i32_e32 v6, 31, v6
	v_add_u32_e32 v5, -1, v5
	v_add_u32_e32 v6, 32, v6
	v_min_u32_e32 v7, v5, v6
	v_lshlrev_b64 v[5:6], v7, v[3:4]
	v_min_u32_e32 v5, 1, v5
	v_or_b32_e32 v5, v6, v5
	v_cvt_f32_i32_e32 v5, v5
	v_sub_u32_e32 v6, 32, v7
	v_ldexp_f32 v5, v5, v6
	v_mov_b32_e32 v6, 0
	global_store_dwordx2 v[1:2], v[5:6], off
.LBB95_2928:
	s_mov_b64 s[0:1], 0
.LBB95_2929:
	s_andn2_b64 vcc, exec, s[0:1]
	s_cbranch_vccnz .LBB95_2931
; %bb.2930:
	v_xor_b32_e32 v6, v3, v4
	v_ffbh_i32_e32 v5, v4
	v_ashrrev_i32_e32 v6, 31, v6
	v_add_u32_e32 v5, -1, v5
	v_add_u32_e32 v6, 32, v6
	v_min_u32_e32 v7, v5, v6
	v_lshlrev_b64 v[5:6], v7, v[3:4]
	v_min_u32_e32 v5, 1, v5
	v_or_b32_e32 v5, v6, v5
	v_cvt_f32_i32_e32 v5, v5
	v_sub_u32_e32 v6, 32, v7
	v_ldexp_f32 v5, v5, v6
	v_cvt_f16_f32_e32 v5, v5
	global_store_dword v[1:2], v5, off
.LBB95_2931:
	s_mov_b64 s[0:1], 0
.LBB95_2932:
	s_andn2_b64 vcc, exec, s[0:1]
	s_cbranch_vccnz .LBB95_2941
; %bb.2933:
	s_cmp_lt_i32 s2, 6
	s_mov_b64 s[0:1], -1
	s_cbranch_scc1 .LBB95_2939
; %bb.2934:
	s_cmp_gt_i32 s2, 6
	s_cbranch_scc0 .LBB95_2936
; %bb.2935:
	v_cvt_f64_i32_e32 v[5:6], v4
	v_cvt_f64_u32_e32 v[7:8], v3
	s_mov_b64 s[0:1], 0
	v_ldexp_f64 v[5:6], v[5:6], 32
	v_add_f64 v[5:6], v[5:6], v[7:8]
	global_store_dwordx2 v[1:2], v[5:6], off
.LBB95_2936:
	s_andn2_b64 vcc, exec, s[0:1]
	s_cbranch_vccnz .LBB95_2938
; %bb.2937:
	v_xor_b32_e32 v6, v3, v4
	v_ffbh_i32_e32 v5, v4
	v_ashrrev_i32_e32 v6, 31, v6
	v_add_u32_e32 v5, -1, v5
	v_add_u32_e32 v6, 32, v6
	v_min_u32_e32 v7, v5, v6
	v_lshlrev_b64 v[5:6], v7, v[3:4]
	v_min_u32_e32 v5, 1, v5
	v_or_b32_e32 v5, v6, v5
	v_cvt_f32_i32_e32 v5, v5
	v_sub_u32_e32 v6, 32, v7
	v_ldexp_f32 v5, v5, v6
	global_store_dword v[1:2], v5, off
.LBB95_2938:
	s_mov_b64 s[0:1], 0
.LBB95_2939:
	s_andn2_b64 vcc, exec, s[0:1]
	s_cbranch_vccnz .LBB95_2941
; %bb.2940:
	v_xor_b32_e32 v6, v3, v4
	v_ffbh_i32_e32 v5, v4
	v_ashrrev_i32_e32 v6, 31, v6
	v_add_u32_e32 v5, -1, v5
	v_add_u32_e32 v6, 32, v6
	v_min_u32_e32 v7, v5, v6
	v_lshlrev_b64 v[5:6], v7, v[3:4]
	v_min_u32_e32 v5, 1, v5
	v_or_b32_e32 v5, v6, v5
	v_cvt_f32_i32_e32 v5, v5
	v_sub_u32_e32 v6, 32, v7
	v_ldexp_f32 v5, v5, v6
	v_cvt_f16_f32_e32 v5, v5
	global_store_short v[1:2], v5, off
.LBB95_2941:
	s_mov_b64 s[0:1], 0
.LBB95_2942:
	s_andn2_b64 vcc, exec, s[0:1]
	s_cbranch_vccnz .LBB95_2958
; %bb.2943:
	s_cmp_lt_i32 s2, 2
	s_mov_b64 s[0:1], -1
	s_cbranch_scc1 .LBB95_2953
; %bb.2944:
	s_cmp_lt_i32 s2, 3
	s_cbranch_scc1 .LBB95_2950
; %bb.2945:
	s_cmp_gt_i32 s2, 3
	s_cbranch_scc0 .LBB95_2947
; %bb.2946:
	global_store_dwordx2 v[1:2], v[3:4], off
	s_mov_b64 s[0:1], 0
.LBB95_2947:
	s_andn2_b64 vcc, exec, s[0:1]
	s_cbranch_vccnz .LBB95_2949
; %bb.2948:
	global_store_dword v[1:2], v3, off
.LBB95_2949:
	s_mov_b64 s[0:1], 0
.LBB95_2950:
	s_andn2_b64 vcc, exec, s[0:1]
	s_cbranch_vccnz .LBB95_2952
; %bb.2951:
	global_store_short v[1:2], v3, off
.LBB95_2952:
	s_mov_b64 s[0:1], 0
.LBB95_2953:
	s_andn2_b64 vcc, exec, s[0:1]
	s_cbranch_vccnz .LBB95_2958
; %bb.2954:
	s_cmp_gt_i32 s2, 0
	s_mov_b64 s[0:1], -1
	s_cbranch_scc0 .LBB95_2956
; %bb.2955:
	global_store_byte v[1:2], v3, off
	s_mov_b64 s[0:1], 0
.LBB95_2956:
	s_andn2_b64 vcc, exec, s[0:1]
	s_cbranch_vccnz .LBB95_2958
; %bb.2957:
	global_store_byte v[1:2], v3, off
.LBB95_2958:
	s_mov_b64 s[6:7], -1
.LBB95_2959:
	s_andn2_b64 vcc, exec, s[6:7]
	s_cbranch_vccnz .LBB95_3036
; %bb.2960:
	v_lshlrev_b64 v[1:2], v23, v[21:22]
	v_cmp_gt_u64_e32 vcc, 64, v[23:24]
	s_cmp_lt_i32 s18, 11
	v_cndmask_b32_e32 v3, 0, v2, vcc
	v_cndmask_b32_e32 v2, 0, v1, vcc
	v_mov_b32_e32 v1, s9
	v_add_co_u32_e32 v0, vcc, s8, v0
	v_addc_co_u32_e32 v1, vcc, 0, v1, vcc
	s_cbranch_scc1 .LBB95_3081
; %bb.2961:
	s_and_b32 s16, 0xffff, s18
	s_mov_b64 s[6:7], -1
	s_mov_b64 s[2:3], 0
	s_cmp_gt_i32 s16, 25
	s_mov_b64 s[0:1], 0
	s_cbranch_scc0 .LBB95_2994
; %bb.2962:
	s_cmp_gt_i32 s16, 28
	s_cbranch_scc0 .LBB95_2978
; %bb.2963:
	s_cmp_gt_i32 s16, 43
	;; [unrolled: 3-line block ×3, first 2 shown]
	s_cbranch_scc0 .LBB95_2968
; %bb.2965:
	s_cmp_eq_u32 s16, 46
	s_mov_b64 s[0:1], -1
	s_cbranch_scc0 .LBB95_2967
; %bb.2966:
	v_xor_b32_e32 v5, v2, v3
	v_ffbh_i32_e32 v4, v3
	v_ashrrev_i32_e32 v5, 31, v5
	v_add_u32_e32 v4, -1, v4
	v_add_u32_e32 v5, 32, v5
	v_min_u32_e32 v6, v4, v5
	v_lshlrev_b64 v[4:5], v6, v[2:3]
	s_movk_i32 s0, 0x7fff
	v_min_u32_e32 v4, 1, v4
	v_or_b32_e32 v4, v5, v4
	v_cvt_f32_i32_e32 v4, v4
	v_sub_u32_e32 v5, 32, v6
	v_ldexp_f32 v4, v4, v5
	v_bfe_u32 v5, v4, 16, 1
	v_add3_u32 v4, v4, v5, s0
	v_lshrrev_b32_e32 v4, 16, v4
	global_store_dword v[0:1], v4, off
	s_mov_b64 s[0:1], 0
.LBB95_2967:
	s_mov_b64 s[6:7], 0
.LBB95_2968:
	s_and_b64 vcc, exec, s[6:7]
	s_cbranch_vccz .LBB95_2973
; %bb.2969:
	s_cmp_eq_u32 s16, 44
	s_mov_b64 s[0:1], -1
	s_cbranch_scc0 .LBB95_2973
; %bb.2970:
	v_xor_b32_e32 v5, v2, v3
	v_ffbh_i32_e32 v4, v3
	v_ashrrev_i32_e32 v5, 31, v5
	v_add_u32_e32 v4, -1, v4
	v_add_u32_e32 v5, 32, v5
	v_min_u32_e32 v6, v4, v5
	v_lshlrev_b64 v[4:5], v6, v[2:3]
	s_movk_i32 s0, 0xff
	v_min_u32_e32 v4, 1, v4
	v_or_b32_e32 v4, v5, v4
	v_cvt_f32_i32_e32 v4, v4
	v_sub_u32_e32 v5, 32, v6
	v_mov_b32_e32 v6, 0xff
	v_ldexp_f32 v4, v4, v5
	v_bfe_u32 v5, v4, 23, 8
	v_cmp_ne_u32_e32 vcc, s0, v5
	s_and_saveexec_b64 s[6:7], vcc
; %bb.2971:
	s_mov_b32 s0, 0x3fffff
	v_lshrrev_b32_e32 v6, 23, v4
	v_and_b32_e32 v7, 0x400000, v4
	v_and_or_b32 v4, v4, s0, v5
	v_cmp_ne_u32_e32 vcc, 0, v7
	v_cmp_ne_u32_e64 s[0:1], 0, v4
	s_and_b64 s[0:1], vcc, s[0:1]
	v_cndmask_b32_e64 v4, 0, 1, s[0:1]
	v_add_u32_e32 v6, v6, v4
; %bb.2972:
	s_or_b64 exec, exec, s[6:7]
	s_mov_b64 s[0:1], 0
	global_store_byte v[0:1], v6, off
.LBB95_2973:
	s_mov_b64 s[6:7], 0
.LBB95_2974:
	s_and_b64 vcc, exec, s[6:7]
	s_cbranch_vccz .LBB95_2977
; %bb.2975:
	s_cmp_eq_u32 s16, 29
	s_mov_b64 s[0:1], -1
	s_cbranch_scc0 .LBB95_2977
; %bb.2976:
	global_store_dwordx2 v[0:1], v[2:3], off
	s_mov_b64 s[0:1], 0
.LBB95_2977:
	s_mov_b64 s[6:7], 0
.LBB95_2978:
	s_and_b64 vcc, exec, s[6:7]
	s_cbranch_vccz .LBB95_2993
; %bb.2979:
	s_cmp_lt_i32 s16, 27
	s_mov_b64 s[6:7], -1
	s_cbranch_scc1 .LBB95_2985
; %bb.2980:
	s_cmp_gt_i32 s16, 27
	s_cbranch_scc0 .LBB95_2982
; %bb.2981:
	global_store_dword v[0:1], v2, off
	s_mov_b64 s[6:7], 0
.LBB95_2982:
	s_andn2_b64 vcc, exec, s[6:7]
	s_cbranch_vccnz .LBB95_2984
; %bb.2983:
	global_store_short v[0:1], v2, off
.LBB95_2984:
	s_mov_b64 s[6:7], 0
.LBB95_2985:
	s_andn2_b64 vcc, exec, s[6:7]
	s_cbranch_vccnz .LBB95_2993
; %bb.2986:
	v_xor_b32_e32 v5, v2, v3
	v_ffbh_i32_e32 v4, v3
	v_ashrrev_i32_e32 v5, 31, v5
	v_add_u32_e32 v4, -1, v4
	v_add_u32_e32 v5, 32, v5
	v_min_u32_e32 v6, v4, v5
	v_lshlrev_b64 v[4:5], v6, v[2:3]
	s_mov_b32 s6, 0x43800000
	v_min_u32_e32 v4, 1, v4
	v_or_b32_e32 v4, v5, v4
	v_cvt_f32_i32_e32 v4, v4
	v_sub_u32_e32 v5, 32, v6
	v_mov_b32_e32 v6, 0x80
	v_ldexp_f32 v4, v4, v5
	v_and_b32_e32 v5, 0x7fffffff, v4
	v_cmp_gt_u32_e32 vcc, s6, v5
	s_and_saveexec_b64 s[6:7], vcc
	s_cbranch_execz .LBB95_2992
; %bb.2987:
	s_mov_b32 s8, 0x3bffffff
	v_cmp_lt_u32_e32 vcc, s8, v5
	s_mov_b64 s[8:9], 0
                                        ; implicit-def: $vgpr5
	s_and_saveexec_b64 s[10:11], vcc
	s_xor_b64 s[10:11], exec, s[10:11]
	s_cbranch_execz .LBB95_3098
; %bb.2988:
	v_bfe_u32 v5, v4, 20, 1
	s_mov_b32 s17, 0x487ffff
	v_add3_u32 v5, v4, v5, s17
	s_mov_b64 s[8:9], exec
	v_lshrrev_b32_e32 v5, 20, v5
	s_andn2_saveexec_b64 s[10:11], s[10:11]
	s_cbranch_execnz .LBB95_3099
.LBB95_2989:
	s_or_b64 exec, exec, s[10:11]
	v_mov_b32_e32 v6, 0
	s_and_saveexec_b64 s[10:11], s[8:9]
.LBB95_2990:
	v_lshrrev_b32_e32 v4, 24, v4
	s_movk_i32 s8, 0x80
	v_and_or_b32 v6, v4, s8, v5
.LBB95_2991:
	s_or_b64 exec, exec, s[10:11]
.LBB95_2992:
	s_or_b64 exec, exec, s[6:7]
	global_store_byte v[0:1], v6, off
.LBB95_2993:
	s_mov_b64 s[6:7], 0
.LBB95_2994:
	s_and_b64 vcc, exec, s[6:7]
	s_cbranch_vccz .LBB95_3034
; %bb.2995:
	s_cmp_gt_i32 s16, 22
	s_mov_b64 s[2:3], -1
	s_cbranch_scc0 .LBB95_3027
; %bb.2996:
	s_cmp_lt_i32 s16, 24
	s_cbranch_scc1 .LBB95_3016
; %bb.2997:
	s_cmp_gt_i32 s16, 24
	s_cbranch_scc0 .LBB95_3005
; %bb.2998:
	v_xor_b32_e32 v5, v2, v3
	v_ffbh_i32_e32 v4, v3
	v_ashrrev_i32_e32 v5, 31, v5
	v_add_u32_e32 v4, -1, v4
	v_add_u32_e32 v5, 32, v5
	v_min_u32_e32 v6, v4, v5
	v_lshlrev_b64 v[4:5], v6, v[2:3]
	s_mov_b32 s2, 0x47800000
	v_min_u32_e32 v4, 1, v4
	v_or_b32_e32 v4, v5, v4
	v_cvt_f32_i32_e32 v4, v4
	v_sub_u32_e32 v5, 32, v6
	v_mov_b32_e32 v6, 0x80
	v_ldexp_f32 v4, v4, v5
	v_and_b32_e32 v5, 0x7fffffff, v4
	v_cmp_gt_u32_e32 vcc, s2, v5
	s_and_saveexec_b64 s[2:3], vcc
	s_cbranch_execz .LBB95_3004
; %bb.2999:
	s_mov_b32 s6, 0x37ffffff
	v_cmp_lt_u32_e32 vcc, s6, v5
	s_mov_b64 s[6:7], 0
                                        ; implicit-def: $vgpr5
	s_and_saveexec_b64 s[8:9], vcc
	s_xor_b64 s[8:9], exec, s[8:9]
	s_cbranch_execz .LBB95_3101
; %bb.3000:
	v_bfe_u32 v5, v4, 21, 1
	s_mov_b32 s10, 0x88fffff
	v_add3_u32 v5, v4, v5, s10
	s_mov_b64 s[6:7], exec
	v_lshrrev_b32_e32 v5, 21, v5
	s_andn2_saveexec_b64 s[8:9], s[8:9]
	s_cbranch_execnz .LBB95_3102
.LBB95_3001:
	s_or_b64 exec, exec, s[8:9]
	v_mov_b32_e32 v6, 0
	s_and_saveexec_b64 s[8:9], s[6:7]
.LBB95_3002:
	v_lshrrev_b32_e32 v4, 24, v4
	s_movk_i32 s6, 0x80
	v_and_or_b32 v6, v4, s6, v5
.LBB95_3003:
	s_or_b64 exec, exec, s[8:9]
.LBB95_3004:
	s_or_b64 exec, exec, s[2:3]
	s_mov_b64 s[2:3], 0
	global_store_byte v[0:1], v6, off
.LBB95_3005:
	s_and_b64 vcc, exec, s[2:3]
	s_cbranch_vccz .LBB95_3015
; %bb.3006:
	v_xor_b32_e32 v5, v2, v3
	v_ffbh_i32_e32 v4, v3
	v_ashrrev_i32_e32 v5, 31, v5
	v_add_u32_e32 v4, -1, v4
	v_add_u32_e32 v5, 32, v5
	v_min_u32_e32 v6, v4, v5
	v_lshlrev_b64 v[4:5], v6, v[2:3]
	s_mov_b32 s2, 0x43f00000
	v_min_u32_e32 v4, 1, v4
	v_or_b32_e32 v4, v5, v4
	v_cvt_f32_i32_e32 v4, v4
	v_sub_u32_e32 v5, 32, v6
	v_ldexp_f32 v4, v4, v5
	v_and_b32_e32 v6, 0x7fffffff, v4
	v_cmp_gt_u32_e32 vcc, s2, v6
                                        ; implicit-def: $vgpr5
	s_and_saveexec_b64 s[2:3], vcc
	s_xor_b64 s[2:3], exec, s[2:3]
	s_cbranch_execz .LBB95_3012
; %bb.3007:
	s_mov_b32 s6, 0x3c7fffff
	v_cmp_lt_u32_e32 vcc, s6, v6
                                        ; implicit-def: $vgpr5
	s_and_saveexec_b64 s[6:7], vcc
	s_xor_b64 s[6:7], exec, s[6:7]
; %bb.3008:
	v_bfe_u32 v5, v4, 20, 1
	s_mov_b32 s8, 0x407ffff
	v_add3_u32 v5, v4, v5, s8
	v_lshrrev_b32_e32 v6, 20, v5
	v_and_b32_e32 v5, 0xff00000, v5
	s_mov_b32 s8, 0x7f00000
	v_mov_b32_e32 v7, 0x7e
	v_cmp_ne_u32_e32 vcc, s8, v5
	v_cndmask_b32_e32 v5, v7, v6, vcc
; %bb.3009:
	s_andn2_saveexec_b64 s[6:7], s[6:7]
; %bb.3010:
	s_mov_b32 s8, 0x46800000
	v_add_f32_e64 v5, |v4|, s8
; %bb.3011:
	s_or_b64 exec, exec, s[6:7]
                                        ; implicit-def: $vgpr6
.LBB95_3012:
	s_andn2_saveexec_b64 s[2:3], s[2:3]
; %bb.3013:
	s_mov_b32 s6, 0x7f800000
	v_mov_b32_e32 v5, 0x7e
	v_mov_b32_e32 v7, 0x7f
	v_cmp_lt_u32_e32 vcc, s6, v6
	v_cndmask_b32_e32 v5, v5, v7, vcc
; %bb.3014:
	s_or_b64 exec, exec, s[2:3]
	v_lshrrev_b32_e32 v4, 24, v4
	s_movk_i32 s2, 0x80
	v_and_or_b32 v4, v4, s2, v5
	global_store_byte v[0:1], v4, off
.LBB95_3015:
	s_mov_b64 s[2:3], 0
.LBB95_3016:
	s_andn2_b64 vcc, exec, s[2:3]
	s_cbranch_vccnz .LBB95_3026
; %bb.3017:
	v_xor_b32_e32 v5, v2, v3
	v_ffbh_i32_e32 v4, v3
	v_ashrrev_i32_e32 v5, 31, v5
	v_add_u32_e32 v4, -1, v4
	v_add_u32_e32 v5, 32, v5
	v_min_u32_e32 v6, v4, v5
	v_lshlrev_b64 v[4:5], v6, v[2:3]
	s_mov_b32 s2, 0x47800000
	v_min_u32_e32 v4, 1, v4
	v_or_b32_e32 v4, v5, v4
	v_cvt_f32_i32_e32 v4, v4
	v_sub_u32_e32 v5, 32, v6
	v_ldexp_f32 v4, v4, v5
	v_and_b32_e32 v6, 0x7fffffff, v4
	v_cmp_gt_u32_e32 vcc, s2, v6
                                        ; implicit-def: $vgpr5
	s_and_saveexec_b64 s[2:3], vcc
	s_xor_b64 s[2:3], exec, s[2:3]
	s_cbranch_execz .LBB95_3023
; %bb.3018:
	s_mov_b32 s6, 0x387fffff
	v_cmp_lt_u32_e32 vcc, s6, v6
                                        ; implicit-def: $vgpr5
	s_and_saveexec_b64 s[6:7], vcc
	s_xor_b64 s[6:7], exec, s[6:7]
; %bb.3019:
	v_bfe_u32 v5, v4, 21, 1
	s_mov_b32 s8, 0x80fffff
	v_add3_u32 v5, v4, v5, s8
	v_lshrrev_b32_e32 v5, 21, v5
; %bb.3020:
	s_andn2_saveexec_b64 s[6:7], s[6:7]
; %bb.3021:
	s_mov_b32 s8, 0x43000000
	v_add_f32_e64 v5, |v4|, s8
; %bb.3022:
	s_or_b64 exec, exec, s[6:7]
                                        ; implicit-def: $vgpr6
.LBB95_3023:
	s_andn2_saveexec_b64 s[2:3], s[2:3]
; %bb.3024:
	s_mov_b32 s6, 0x7f800000
	v_mov_b32_e32 v5, 0x7c
	v_mov_b32_e32 v7, 0x7f
	v_cmp_lt_u32_e32 vcc, s6, v6
	v_cndmask_b32_e32 v5, v5, v7, vcc
; %bb.3025:
	s_or_b64 exec, exec, s[2:3]
	v_lshrrev_b32_e32 v4, 24, v4
	s_movk_i32 s2, 0x80
	v_and_or_b32 v4, v4, s2, v5
	global_store_byte v[0:1], v4, off
.LBB95_3026:
	s_mov_b64 s[2:3], 0
.LBB95_3027:
	s_andn2_b64 vcc, exec, s[2:3]
	s_mov_b64 s[2:3], 0
	s_cbranch_vccnz .LBB95_3034
; %bb.3028:
	s_cmp_gt_i32 s16, 14
	s_mov_b64 s[6:7], -1
	s_cbranch_scc0 .LBB95_3032
; %bb.3029:
	s_cmp_eq_u32 s16, 15
	s_mov_b64 s[0:1], -1
	s_cbranch_scc0 .LBB95_3031
; %bb.3030:
	v_xor_b32_e32 v5, v2, v3
	v_ffbh_i32_e32 v4, v3
	v_ashrrev_i32_e32 v5, 31, v5
	v_add_u32_e32 v4, -1, v4
	v_add_u32_e32 v5, 32, v5
	v_min_u32_e32 v6, v4, v5
	v_lshlrev_b64 v[4:5], v6, v[2:3]
	s_movk_i32 s0, 0x7fff
	v_min_u32_e32 v4, 1, v4
	v_or_b32_e32 v4, v5, v4
	v_cvt_f32_i32_e32 v4, v4
	v_sub_u32_e32 v5, 32, v6
	v_ldexp_f32 v4, v4, v5
	v_bfe_u32 v5, v4, 16, 1
	v_add3_u32 v4, v4, v5, s0
	global_store_short_d16_hi v[0:1], v4, off
	s_mov_b64 s[0:1], 0
.LBB95_3031:
	s_mov_b64 s[6:7], 0
.LBB95_3032:
	s_and_b64 vcc, exec, s[6:7]
	s_cbranch_vccz .LBB95_3034
; %bb.3033:
	s_cmp_lg_u32 s16, 11
	s_mov_b64 s[2:3], -1
	s_cselect_b64 s[0:1], -1, 0
.LBB95_3034:
	s_and_b64 vcc, exec, s[0:1]
	s_cbranch_vccnz .LBB95_3100
.LBB95_3035:
	s_mov_b64 s[0:1], 0
	s_branch .LBB95_3037
.LBB95_3036:
	s_mov_b64 s[0:1], 0
	s_mov_b64 s[2:3], 0
                                        ; implicit-def: $vgpr0_vgpr1
                                        ; implicit-def: $sgpr18
                                        ; implicit-def: $vgpr2_vgpr3
.LBB95_3037:
	s_and_b64 s[6:7], s[2:3], exec
	s_andn2_b64 s[2:3], s[12:13], exec
	s_and_b64 s[4:5], s[4:5], exec
	s_and_b64 s[0:1], s[0:1], exec
	s_or_b64 s[12:13], s[2:3], s[4:5]
.LBB95_3038:
	s_or_b64 exec, exec, s[14:15]
	s_and_saveexec_b64 s[2:3], s[12:13]
	s_cbranch_execz .LBB95_3041
; %bb.3039:
	; divergent unreachable
	s_or_b64 exec, exec, s[2:3]
	s_and_saveexec_b64 s[2:3], s[6:7]
	s_xor_b64 s[2:3], exec, s[2:3]
	s_cbranch_execnz .LBB95_3042
.LBB95_3040:
	s_or_b64 exec, exec, s[2:3]
	s_and_saveexec_b64 s[2:3], s[0:1]
	s_cbranch_execnz .LBB95_3043
	s_branch .LBB95_3080
.LBB95_3041:
	s_or_b64 exec, exec, s[2:3]
	s_and_saveexec_b64 s[2:3], s[6:7]
	s_xor_b64 s[2:3], exec, s[2:3]
	s_cbranch_execz .LBB95_3040
.LBB95_3042:
	s_waitcnt vmcnt(0)
	v_cmp_ne_u64_e32 vcc, 0, v[2:3]
	v_cndmask_b32_e64 v4, 0, 1, vcc
	global_store_byte v[0:1], v4, off
	s_or_b64 exec, exec, s[2:3]
	s_and_saveexec_b64 s[2:3], s[0:1]
	s_cbranch_execz .LBB95_3080
.LBB95_3043:
	s_sext_i32_i16 s2, s18
	s_cmp_lt_i32 s2, 5
	s_mov_b64 s[0:1], -1
	s_cbranch_scc1 .LBB95_3064
; %bb.3044:
	s_cmp_lt_i32 s2, 8
	s_cbranch_scc1 .LBB95_3054
; %bb.3045:
	s_cmp_lt_i32 s2, 9
	s_cbranch_scc1 .LBB95_3051
; %bb.3046:
	s_cmp_gt_i32 s2, 9
	s_cbranch_scc0 .LBB95_3048
; %bb.3047:
	s_waitcnt vmcnt(0)
	v_cvt_f64_i32_e32 v[4:5], v3
	v_cvt_f64_u32_e32 v[6:7], v2
	s_mov_b64 s[0:1], 0
	v_ldexp_f64 v[4:5], v[4:5], 32
	v_add_f64 v[4:5], v[4:5], v[6:7]
	v_mov_b32_e32 v6, 0
	v_mov_b32_e32 v7, v6
	global_store_dwordx4 v[0:1], v[4:7], off
.LBB95_3048:
	s_andn2_b64 vcc, exec, s[0:1]
	s_cbranch_vccnz .LBB95_3050
; %bb.3049:
	s_waitcnt vmcnt(0)
	v_xor_b32_e32 v5, v2, v3
	v_ffbh_i32_e32 v4, v3
	v_ashrrev_i32_e32 v5, 31, v5
	v_add_u32_e32 v4, -1, v4
	v_add_u32_e32 v5, 32, v5
	v_min_u32_e32 v6, v4, v5
	v_lshlrev_b64 v[4:5], v6, v[2:3]
	v_min_u32_e32 v4, 1, v4
	v_or_b32_e32 v4, v5, v4
	v_cvt_f32_i32_e32 v4, v4
	v_sub_u32_e32 v5, 32, v6
	v_ldexp_f32 v4, v4, v5
	v_mov_b32_e32 v5, 0
	global_store_dwordx2 v[0:1], v[4:5], off
.LBB95_3050:
	s_mov_b64 s[0:1], 0
.LBB95_3051:
	s_andn2_b64 vcc, exec, s[0:1]
	s_cbranch_vccnz .LBB95_3053
; %bb.3052:
	s_waitcnt vmcnt(0)
	v_xor_b32_e32 v5, v2, v3
	v_ffbh_i32_e32 v4, v3
	v_ashrrev_i32_e32 v5, 31, v5
	v_add_u32_e32 v4, -1, v4
	v_add_u32_e32 v5, 32, v5
	v_min_u32_e32 v6, v4, v5
	v_lshlrev_b64 v[4:5], v6, v[2:3]
	v_min_u32_e32 v4, 1, v4
	v_or_b32_e32 v4, v5, v4
	v_cvt_f32_i32_e32 v4, v4
	v_sub_u32_e32 v5, 32, v6
	v_ldexp_f32 v4, v4, v5
	v_cvt_f16_f32_e32 v4, v4
	global_store_dword v[0:1], v4, off
.LBB95_3053:
	s_mov_b64 s[0:1], 0
.LBB95_3054:
	s_andn2_b64 vcc, exec, s[0:1]
	s_cbranch_vccnz .LBB95_3063
; %bb.3055:
	s_sext_i32_i16 s2, s18
	s_cmp_lt_i32 s2, 6
	s_mov_b64 s[0:1], -1
	s_cbranch_scc1 .LBB95_3061
; %bb.3056:
	s_cmp_gt_i32 s2, 6
	s_cbranch_scc0 .LBB95_3058
; %bb.3057:
	s_waitcnt vmcnt(0)
	v_cvt_f64_i32_e32 v[4:5], v3
	v_cvt_f64_u32_e32 v[6:7], v2
	s_mov_b64 s[0:1], 0
	v_ldexp_f64 v[4:5], v[4:5], 32
	v_add_f64 v[4:5], v[4:5], v[6:7]
	global_store_dwordx2 v[0:1], v[4:5], off
.LBB95_3058:
	s_andn2_b64 vcc, exec, s[0:1]
	s_cbranch_vccnz .LBB95_3060
; %bb.3059:
	s_waitcnt vmcnt(0)
	v_xor_b32_e32 v5, v2, v3
	v_ffbh_i32_e32 v4, v3
	v_ashrrev_i32_e32 v5, 31, v5
	v_add_u32_e32 v4, -1, v4
	v_add_u32_e32 v5, 32, v5
	v_min_u32_e32 v6, v4, v5
	v_lshlrev_b64 v[4:5], v6, v[2:3]
	v_min_u32_e32 v4, 1, v4
	v_or_b32_e32 v4, v5, v4
	v_cvt_f32_i32_e32 v4, v4
	v_sub_u32_e32 v5, 32, v6
	v_ldexp_f32 v4, v4, v5
	global_store_dword v[0:1], v4, off
.LBB95_3060:
	s_mov_b64 s[0:1], 0
.LBB95_3061:
	s_andn2_b64 vcc, exec, s[0:1]
	s_cbranch_vccnz .LBB95_3063
; %bb.3062:
	s_waitcnt vmcnt(0)
	v_xor_b32_e32 v5, v2, v3
	v_ffbh_i32_e32 v4, v3
	v_ashrrev_i32_e32 v5, 31, v5
	v_add_u32_e32 v4, -1, v4
	v_add_u32_e32 v5, 32, v5
	v_min_u32_e32 v6, v4, v5
	v_lshlrev_b64 v[4:5], v6, v[2:3]
	v_min_u32_e32 v4, 1, v4
	v_or_b32_e32 v4, v5, v4
	v_cvt_f32_i32_e32 v4, v4
	v_sub_u32_e32 v5, 32, v6
	v_ldexp_f32 v4, v4, v5
	v_cvt_f16_f32_e32 v4, v4
	global_store_short v[0:1], v4, off
.LBB95_3063:
	s_mov_b64 s[0:1], 0
.LBB95_3064:
	s_andn2_b64 vcc, exec, s[0:1]
	s_cbranch_vccnz .LBB95_3080
; %bb.3065:
	s_sext_i32_i16 s2, s18
	s_cmp_lt_i32 s2, 2
	s_mov_b64 s[0:1], -1
	s_cbranch_scc1 .LBB95_3075
; %bb.3066:
	s_cmp_lt_i32 s2, 3
	s_cbranch_scc1 .LBB95_3072
; %bb.3067:
	s_cmp_gt_i32 s2, 3
	s_cbranch_scc0 .LBB95_3069
; %bb.3068:
	s_waitcnt vmcnt(0)
	global_store_dwordx2 v[0:1], v[2:3], off
	s_mov_b64 s[0:1], 0
.LBB95_3069:
	s_andn2_b64 vcc, exec, s[0:1]
	s_cbranch_vccnz .LBB95_3071
; %bb.3070:
	s_waitcnt vmcnt(0)
	global_store_dword v[0:1], v2, off
.LBB95_3071:
	s_mov_b64 s[0:1], 0
.LBB95_3072:
	s_andn2_b64 vcc, exec, s[0:1]
	s_cbranch_vccnz .LBB95_3074
; %bb.3073:
	s_waitcnt vmcnt(0)
	global_store_short v[0:1], v2, off
.LBB95_3074:
	s_mov_b64 s[0:1], 0
.LBB95_3075:
	s_andn2_b64 vcc, exec, s[0:1]
	s_cbranch_vccnz .LBB95_3080
; %bb.3076:
	s_sext_i32_i16 s0, s18
	s_cmp_gt_i32 s0, 0
	s_mov_b64 s[0:1], -1
	s_cbranch_scc0 .LBB95_3078
; %bb.3077:
	s_waitcnt vmcnt(0)
	global_store_byte v[0:1], v2, off
	s_mov_b64 s[0:1], 0
.LBB95_3078:
	s_andn2_b64 vcc, exec, s[0:1]
	s_cbranch_vccnz .LBB95_3080
; %bb.3079:
	s_waitcnt vmcnt(0)
	global_store_byte v[0:1], v2, off
	s_endpgm
.LBB95_3080:
	s_endpgm
.LBB95_3081:
	s_mov_b64 s[2:3], 0
	s_mov_b64 s[0:1], -1
	s_branch .LBB95_3037
.LBB95_3082:
	s_trap 2
	s_or_b64 s[4:5], s[4:5], exec
	s_cbranch_execz .LBB95_2551
	s_branch .LBB95_2552
.LBB95_3083:
	s_andn2_saveexec_b64 s[16:17], s[16:17]
	s_cbranch_execz .LBB95_2631
.LBB95_3084:
	s_mov_b32 s21, 0x46000000
	v_add_f32_e64 v3, |v1|, s21
	v_and_b32_e32 v3, 0xff, v3
	v_cmp_ne_u32_e32 vcc, 0, v3
	s_andn2_b64 s[10:11], s[10:11], exec
	s_and_b64 s[22:23], vcc, exec
	s_or_b64 s[10:11], s[10:11], s[22:23]
	s_or_b64 exec, exec, s[16:17]
	v_mov_b32_e32 v9, 0
	s_and_saveexec_b64 s[16:17], s[10:11]
	s_cbranch_execnz .LBB95_2632
	s_branch .LBB95_2633
.LBB95_3085:
	s_trap 2
	s_or_b64 s[4:5], s[4:5], exec
	s_cbranch_execz .LBB95_2679
	s_branch .LBB95_2680
.LBB95_3086:
	s_andn2_saveexec_b64 s[10:11], s[10:11]
	s_cbranch_execz .LBB95_2644
.LBB95_3087:
	s_mov_b32 s16, 0x42800000
	v_add_f32_e64 v3, |v1|, s16
	v_and_b32_e32 v3, 0xff, v3
	v_cmp_ne_u32_e32 vcc, 0, v3
	s_andn2_b64 s[6:7], s[6:7], exec
	s_and_b64 s[16:17], vcc, exec
	s_or_b64 s[6:7], s[6:7], s[16:17]
	s_or_b64 exec, exec, s[10:11]
	v_mov_b32_e32 v9, 0
	s_and_saveexec_b64 s[10:11], s[6:7]
	s_cbranch_execnz .LBB95_2645
	s_branch .LBB95_2646
.LBB95_3088:
	s_andn2_saveexec_b64 s[16:17], s[16:17]
	s_cbranch_execz .LBB95_2750
.LBB95_3089:
	s_mov_b32 s20, 0x46000000
	v_add_f32_e64 v7, |v1|, s20
	v_and_b32_e32 v7, 0xff, v7
	v_cmp_ne_u32_e32 vcc, 0, v7
	s_andn2_b64 s[10:11], s[10:11], exec
	s_and_b64 s[20:21], vcc, exec
	s_or_b64 s[10:11], s[10:11], s[20:21]
	s_or_b64 exec, exec, s[16:17]
	v_mov_b32_e32 v8, 0
	s_and_saveexec_b64 s[16:17], s[10:11]
	s_cbranch_execnz .LBB95_2751
	s_branch .LBB95_2752
.LBB95_3090:
	s_trap 2
	s_or_b64 s[4:5], s[4:5], exec
	s_cbranch_execz .LBB95_2798
	s_branch .LBB95_2799
.LBB95_3091:
	s_andn2_saveexec_b64 s[10:11], s[10:11]
	s_cbranch_execz .LBB95_2763
.LBB95_3092:
	s_mov_b32 s16, 0x42800000
	v_add_f32_e64 v7, |v1|, s16
	v_and_b32_e32 v7, 0xff, v7
	v_cmp_ne_u32_e32 vcc, 0, v7
	s_andn2_b64 s[6:7], s[6:7], exec
	s_and_b64 s[16:17], vcc, exec
	s_or_b64 s[6:7], s[6:7], s[16:17]
	s_or_b64 exec, exec, s[10:11]
	v_mov_b32_e32 v8, 0
	s_and_saveexec_b64 s[10:11], s[6:7]
	s_cbranch_execnz .LBB95_2764
	s_branch .LBB95_2765
.LBB95_3093:
	s_andn2_saveexec_b64 s[16:17], s[16:17]
	s_cbranch_execz .LBB95_2869
.LBB95_3094:
	s_mov_b32 s20, 0x46000000
	v_add_f32_e64 v6, |v5|, s20
	v_and_b32_e32 v6, 0xff, v6
	v_cmp_ne_u32_e32 vcc, 0, v6
	s_andn2_b64 s[10:11], s[10:11], exec
	s_and_b64 s[20:21], vcc, exec
	s_or_b64 s[10:11], s[10:11], s[20:21]
	s_or_b64 exec, exec, s[16:17]
	v_mov_b32_e32 v7, 0
	s_and_saveexec_b64 s[16:17], s[10:11]
	s_cbranch_execnz .LBB95_2870
	s_branch .LBB95_2871
.LBB95_3095:
	s_trap 2
	s_or_b64 s[4:5], s[4:5], exec
	s_cbranch_execz .LBB95_2917
	s_branch .LBB95_2918
.LBB95_3096:
	s_andn2_saveexec_b64 s[10:11], s[10:11]
	s_cbranch_execz .LBB95_2882
.LBB95_3097:
	s_mov_b32 s16, 0x42800000
	v_add_f32_e64 v6, |v5|, s16
	v_and_b32_e32 v6, 0xff, v6
	v_cmp_ne_u32_e32 vcc, 0, v6
	s_andn2_b64 s[6:7], s[6:7], exec
	s_and_b64 s[16:17], vcc, exec
	s_or_b64 s[6:7], s[6:7], s[16:17]
	s_or_b64 exec, exec, s[10:11]
	v_mov_b32_e32 v7, 0
	s_and_saveexec_b64 s[10:11], s[6:7]
	s_cbranch_execnz .LBB95_2883
	s_branch .LBB95_2884
.LBB95_3098:
	s_andn2_saveexec_b64 s[10:11], s[10:11]
	s_cbranch_execz .LBB95_2989
.LBB95_3099:
	s_mov_b32 s17, 0x46000000
	v_add_f32_e64 v5, |v4|, s17
	v_and_b32_e32 v5, 0xff, v5
	v_cmp_ne_u32_e32 vcc, 0, v5
	s_andn2_b64 s[8:9], s[8:9], exec
	s_and_b64 s[20:21], vcc, exec
	s_or_b64 s[8:9], s[8:9], s[20:21]
	s_or_b64 exec, exec, s[10:11]
	v_mov_b32_e32 v6, 0
	s_and_saveexec_b64 s[10:11], s[8:9]
	s_cbranch_execnz .LBB95_2990
	s_branch .LBB95_2991
.LBB95_3100:
	s_mov_b64 s[2:3], 0
	s_or_b64 s[4:5], s[4:5], exec
	s_trap 2
	s_branch .LBB95_3035
.LBB95_3101:
	s_andn2_saveexec_b64 s[8:9], s[8:9]
	s_cbranch_execz .LBB95_3001
.LBB95_3102:
	s_mov_b32 s10, 0x42800000
	v_add_f32_e64 v5, |v4|, s10
	v_and_b32_e32 v5, 0xff, v5
	v_cmp_ne_u32_e32 vcc, 0, v5
	s_andn2_b64 s[6:7], s[6:7], exec
	s_and_b64 s[10:11], vcc, exec
	s_or_b64 s[6:7], s[6:7], s[10:11]
	s_or_b64 exec, exec, s[8:9]
	v_mov_b32_e32 v6, 0
	s_and_saveexec_b64 s[8:9], s[6:7]
	s_cbranch_execnz .LBB95_3002
	s_branch .LBB95_3003
	.section	.rodata,"a",@progbits
	.p2align	6, 0x0
	.amdhsa_kernel _ZN2at6native32elementwise_kernel_manual_unrollILi128ELi4EZNS0_15gpu_kernel_implINS0_13BinaryFunctorIlllZZZNS0_18lshift_kernel_cudaERNS_18TensorIteratorBaseEENKUlvE_clEvENKUlvE2_clEvEUlllE_EEEEvS5_RKT_EUlibE0_EEviT1_
		.amdhsa_group_segment_fixed_size 0
		.amdhsa_private_segment_fixed_size 0
		.amdhsa_kernarg_size 432
		.amdhsa_user_sgpr_count 6
		.amdhsa_user_sgpr_private_segment_buffer 1
		.amdhsa_user_sgpr_dispatch_ptr 0
		.amdhsa_user_sgpr_queue_ptr 0
		.amdhsa_user_sgpr_kernarg_segment_ptr 1
		.amdhsa_user_sgpr_dispatch_id 0
		.amdhsa_user_sgpr_flat_scratch_init 0
		.amdhsa_user_sgpr_private_segment_size 0
		.amdhsa_uses_dynamic_stack 0
		.amdhsa_system_sgpr_private_segment_wavefront_offset 0
		.amdhsa_system_sgpr_workgroup_id_x 1
		.amdhsa_system_sgpr_workgroup_id_y 0
		.amdhsa_system_sgpr_workgroup_id_z 0
		.amdhsa_system_sgpr_workgroup_info 0
		.amdhsa_system_vgpr_workitem_id 0
		.amdhsa_next_free_vgpr 31
		.amdhsa_next_free_sgpr 80
		.amdhsa_reserve_vcc 1
		.amdhsa_reserve_flat_scratch 0
		.amdhsa_float_round_mode_32 0
		.amdhsa_float_round_mode_16_64 0
		.amdhsa_float_denorm_mode_32 3
		.amdhsa_float_denorm_mode_16_64 3
		.amdhsa_dx10_clamp 1
		.amdhsa_ieee_mode 1
		.amdhsa_fp16_overflow 0
		.amdhsa_exception_fp_ieee_invalid_op 0
		.amdhsa_exception_fp_denorm_src 0
		.amdhsa_exception_fp_ieee_div_zero 0
		.amdhsa_exception_fp_ieee_overflow 0
		.amdhsa_exception_fp_ieee_underflow 0
		.amdhsa_exception_fp_ieee_inexact 0
		.amdhsa_exception_int_div_zero 0
	.end_amdhsa_kernel
	.section	.text._ZN2at6native32elementwise_kernel_manual_unrollILi128ELi4EZNS0_15gpu_kernel_implINS0_13BinaryFunctorIlllZZZNS0_18lshift_kernel_cudaERNS_18TensorIteratorBaseEENKUlvE_clEvENKUlvE2_clEvEUlllE_EEEEvS5_RKT_EUlibE0_EEviT1_,"axG",@progbits,_ZN2at6native32elementwise_kernel_manual_unrollILi128ELi4EZNS0_15gpu_kernel_implINS0_13BinaryFunctorIlllZZZNS0_18lshift_kernel_cudaERNS_18TensorIteratorBaseEENKUlvE_clEvENKUlvE2_clEvEUlllE_EEEEvS5_RKT_EUlibE0_EEviT1_,comdat
.Lfunc_end95:
	.size	_ZN2at6native32elementwise_kernel_manual_unrollILi128ELi4EZNS0_15gpu_kernel_implINS0_13BinaryFunctorIlllZZZNS0_18lshift_kernel_cudaERNS_18TensorIteratorBaseEENKUlvE_clEvENKUlvE2_clEvEUlllE_EEEEvS5_RKT_EUlibE0_EEviT1_, .Lfunc_end95-_ZN2at6native32elementwise_kernel_manual_unrollILi128ELi4EZNS0_15gpu_kernel_implINS0_13BinaryFunctorIlllZZZNS0_18lshift_kernel_cudaERNS_18TensorIteratorBaseEENKUlvE_clEvENKUlvE2_clEvEUlllE_EEEEvS5_RKT_EUlibE0_EEviT1_
                                        ; -- End function
	.set _ZN2at6native32elementwise_kernel_manual_unrollILi128ELi4EZNS0_15gpu_kernel_implINS0_13BinaryFunctorIlllZZZNS0_18lshift_kernel_cudaERNS_18TensorIteratorBaseEENKUlvE_clEvENKUlvE2_clEvEUlllE_EEEEvS5_RKT_EUlibE0_EEviT1_.num_vgpr, 31
	.set _ZN2at6native32elementwise_kernel_manual_unrollILi128ELi4EZNS0_15gpu_kernel_implINS0_13BinaryFunctorIlllZZZNS0_18lshift_kernel_cudaERNS_18TensorIteratorBaseEENKUlvE_clEvENKUlvE2_clEvEUlllE_EEEEvS5_RKT_EUlibE0_EEviT1_.num_agpr, 0
	.set _ZN2at6native32elementwise_kernel_manual_unrollILi128ELi4EZNS0_15gpu_kernel_implINS0_13BinaryFunctorIlllZZZNS0_18lshift_kernel_cudaERNS_18TensorIteratorBaseEENKUlvE_clEvENKUlvE2_clEvEUlllE_EEEEvS5_RKT_EUlibE0_EEviT1_.numbered_sgpr, 80
	.set _ZN2at6native32elementwise_kernel_manual_unrollILi128ELi4EZNS0_15gpu_kernel_implINS0_13BinaryFunctorIlllZZZNS0_18lshift_kernel_cudaERNS_18TensorIteratorBaseEENKUlvE_clEvENKUlvE2_clEvEUlllE_EEEEvS5_RKT_EUlibE0_EEviT1_.num_named_barrier, 0
	.set _ZN2at6native32elementwise_kernel_manual_unrollILi128ELi4EZNS0_15gpu_kernel_implINS0_13BinaryFunctorIlllZZZNS0_18lshift_kernel_cudaERNS_18TensorIteratorBaseEENKUlvE_clEvENKUlvE2_clEvEUlllE_EEEEvS5_RKT_EUlibE0_EEviT1_.private_seg_size, 0
	.set _ZN2at6native32elementwise_kernel_manual_unrollILi128ELi4EZNS0_15gpu_kernel_implINS0_13BinaryFunctorIlllZZZNS0_18lshift_kernel_cudaERNS_18TensorIteratorBaseEENKUlvE_clEvENKUlvE2_clEvEUlllE_EEEEvS5_RKT_EUlibE0_EEviT1_.uses_vcc, 1
	.set _ZN2at6native32elementwise_kernel_manual_unrollILi128ELi4EZNS0_15gpu_kernel_implINS0_13BinaryFunctorIlllZZZNS0_18lshift_kernel_cudaERNS_18TensorIteratorBaseEENKUlvE_clEvENKUlvE2_clEvEUlllE_EEEEvS5_RKT_EUlibE0_EEviT1_.uses_flat_scratch, 0
	.set _ZN2at6native32elementwise_kernel_manual_unrollILi128ELi4EZNS0_15gpu_kernel_implINS0_13BinaryFunctorIlllZZZNS0_18lshift_kernel_cudaERNS_18TensorIteratorBaseEENKUlvE_clEvENKUlvE2_clEvEUlllE_EEEEvS5_RKT_EUlibE0_EEviT1_.has_dyn_sized_stack, 0
	.set _ZN2at6native32elementwise_kernel_manual_unrollILi128ELi4EZNS0_15gpu_kernel_implINS0_13BinaryFunctorIlllZZZNS0_18lshift_kernel_cudaERNS_18TensorIteratorBaseEENKUlvE_clEvENKUlvE2_clEvEUlllE_EEEEvS5_RKT_EUlibE0_EEviT1_.has_recursion, 0
	.set _ZN2at6native32elementwise_kernel_manual_unrollILi128ELi4EZNS0_15gpu_kernel_implINS0_13BinaryFunctorIlllZZZNS0_18lshift_kernel_cudaERNS_18TensorIteratorBaseEENKUlvE_clEvENKUlvE2_clEvEUlllE_EEEEvS5_RKT_EUlibE0_EEviT1_.has_indirect_call, 0
	.section	.AMDGPU.csdata,"",@progbits
; Kernel info:
; codeLenInByte = 64208
; TotalNumSgprs: 84
; NumVgprs: 31
; ScratchSize: 0
; MemoryBound: 1
; FloatMode: 240
; IeeeMode: 1
; LDSByteSize: 0 bytes/workgroup (compile time only)
; SGPRBlocks: 10
; VGPRBlocks: 7
; NumSGPRsForWavesPerEU: 84
; NumVGPRsForWavesPerEU: 31
; Occupancy: 8
; WaveLimiterHint : 1
; COMPUTE_PGM_RSRC2:SCRATCH_EN: 0
; COMPUTE_PGM_RSRC2:USER_SGPR: 6
; COMPUTE_PGM_RSRC2:TRAP_HANDLER: 0
; COMPUTE_PGM_RSRC2:TGID_X_EN: 1
; COMPUTE_PGM_RSRC2:TGID_Y_EN: 0
; COMPUTE_PGM_RSRC2:TGID_Z_EN: 0
; COMPUTE_PGM_RSRC2:TIDIG_COMP_CNT: 0
	.section	.text._ZN2at6native29vectorized_elementwise_kernelILi16ENS0_13AUnaryFunctorIsssZZZNS0_18lshift_kernel_cudaERNS_18TensorIteratorBaseEENKUlvE_clEvENKUlvE3_clEvEUlssE_EESt5arrayIPcLm2EEEEviT0_T1_,"axG",@progbits,_ZN2at6native29vectorized_elementwise_kernelILi16ENS0_13AUnaryFunctorIsssZZZNS0_18lshift_kernel_cudaERNS_18TensorIteratorBaseEENKUlvE_clEvENKUlvE3_clEvEUlssE_EESt5arrayIPcLm2EEEEviT0_T1_,comdat
	.globl	_ZN2at6native29vectorized_elementwise_kernelILi16ENS0_13AUnaryFunctorIsssZZZNS0_18lshift_kernel_cudaERNS_18TensorIteratorBaseEENKUlvE_clEvENKUlvE3_clEvEUlssE_EESt5arrayIPcLm2EEEEviT0_T1_ ; -- Begin function _ZN2at6native29vectorized_elementwise_kernelILi16ENS0_13AUnaryFunctorIsssZZZNS0_18lshift_kernel_cudaERNS_18TensorIteratorBaseEENKUlvE_clEvENKUlvE3_clEvEUlssE_EESt5arrayIPcLm2EEEEviT0_T1_
	.p2align	8
	.type	_ZN2at6native29vectorized_elementwise_kernelILi16ENS0_13AUnaryFunctorIsssZZZNS0_18lshift_kernel_cudaERNS_18TensorIteratorBaseEENKUlvE_clEvENKUlvE3_clEvEUlssE_EESt5arrayIPcLm2EEEEviT0_T1_,@function
_ZN2at6native29vectorized_elementwise_kernelILi16ENS0_13AUnaryFunctorIsssZZZNS0_18lshift_kernel_cudaERNS_18TensorIteratorBaseEENKUlvE_clEvENKUlvE3_clEvEUlssE_EESt5arrayIPcLm2EEEEviT0_T1_: ; @_ZN2at6native29vectorized_elementwise_kernelILi16ENS0_13AUnaryFunctorIsssZZZNS0_18lshift_kernel_cudaERNS_18TensorIteratorBaseEENKUlvE_clEvENKUlvE3_clEvEUlssE_EESt5arrayIPcLm2EEEEviT0_T1_
; %bb.0:
	s_load_dwordx2 s[0:1], s[4:5], 0x0
	s_load_dwordx4 s[8:11], s[4:5], 0x8
	s_lshl_b32 s2, s6, 11
	s_waitcnt lgkmcnt(0)
	s_sub_i32 s6, s0, s2
	s_lshr_b32 s7, s1, 16
	s_cmpk_gt_i32 s6, 0x7ff
	s_mov_b64 s[0:1], -1
	s_cbranch_scc0 .LBB96_2
; %bb.1:
	s_ashr_i32 s3, s2, 31
	s_lshl_b64 s[0:1], s[2:3], 1
	s_add_u32 s4, s10, s0
	s_addc_u32 s5, s11, s1
	v_lshlrev_b32_e32 v5, 4, v0
	global_load_dwordx4 v[1:4], v5, s[4:5]
	v_mov_b32_e32 v6, 16
	s_mov_b32 s3, 0x5040100
	s_add_u32 s0, s8, s0
	s_addc_u32 s1, s9, s1
	s_waitcnt vmcnt(0)
	v_lshlrev_b32_e64 v7, v1, s7
	v_cmp_gt_u16_e32 vcc, 16, v1
	v_lshlrev_b32_sdwa v8, v1, s7 dst_sel:DWORD dst_unused:UNUSED_PAD src0_sel:WORD_1 src1_sel:DWORD
	v_cndmask_b32_e32 v7, 0, v7, vcc
	v_cmp_lt_u16_sdwa vcc, v1, v6 src0_sel:WORD_1 src1_sel:DWORD
	v_lshlrev_b32_e64 v9, v2, s7
	v_cndmask_b32_e32 v1, 0, v8, vcc
	v_cmp_gt_u16_e32 vcc, 16, v2
	v_lshlrev_b32_sdwa v10, v2, s7 dst_sel:DWORD dst_unused:UNUSED_PAD src0_sel:WORD_1 src1_sel:DWORD
	v_cndmask_b32_e32 v8, 0, v9, vcc
	v_cmp_lt_u16_sdwa vcc, v2, v6 src0_sel:WORD_1 src1_sel:DWORD
	v_lshlrev_b32_e64 v11, v3, s7
	v_cndmask_b32_e32 v2, 0, v10, vcc
	;; [unrolled: 6-line block ×3, first 2 shown]
	v_cmp_gt_u16_e32 vcc, 16, v4
	v_lshlrev_b32_sdwa v14, v4, s7 dst_sel:DWORD dst_unused:UNUSED_PAD src0_sel:WORD_1 src1_sel:DWORD
	v_cndmask_b32_e32 v10, 0, v13, vcc
	v_cmp_lt_u16_sdwa vcc, v4, v6 src0_sel:WORD_1 src1_sel:DWORD
	v_cndmask_b32_e32 v4, 0, v14, vcc
	v_perm_b32 v4, v4, v10, s3
	v_perm_b32 v3, v3, v9, s3
	;; [unrolled: 1-line block ×4, first 2 shown]
	global_store_dwordx4 v5, v[1:4], s[0:1]
	s_mov_b64 s[0:1], 0
.LBB96_2:
	s_andn2_b64 vcc, exec, s[0:1]
	s_cbranch_vccnz .LBB96_28
; %bb.3:
	v_cmp_gt_i32_e32 vcc, s6, v0
	v_mov_b32_e32 v3, 0
	v_or_b32_e32 v1, s2, v0
	v_mov_b32_e32 v2, 0
	v_mov_b32_e32 v4, v0
	s_and_saveexec_b64 s[4:5], vcc
	s_cbranch_execz .LBB96_5
; %bb.4:
	v_mov_b32_e32 v2, 0
	v_lshlrev_b64 v[4:5], 1, v[1:2]
	v_mov_b32_e32 v2, s11
	v_add_co_u32_e64 v4, s[0:1], s10, v4
	v_addc_co_u32_e64 v5, s[0:1], v2, v5, s[0:1]
	global_load_ushort v2, v[4:5], off
	v_or_b32_e32 v4, 0x100, v0
.LBB96_5:
	s_or_b64 exec, exec, s[4:5]
	v_cmp_gt_i32_e64 s[0:1], s6, v4
	s_and_saveexec_b64 s[4:5], s[0:1]
	s_cbranch_execz .LBB96_7
; %bb.6:
	v_add_u32_e32 v5, s2, v4
	v_mov_b32_e32 v6, 0
	v_lshlrev_b64 v[5:6], 1, v[5:6]
	v_mov_b32_e32 v3, s11
	v_add_co_u32_e64 v5, s[0:1], s10, v5
	v_addc_co_u32_e64 v6, s[0:1], v3, v6, s[0:1]
	global_load_ushort v3, v[5:6], off
	v_add_u32_e32 v4, 0x100, v4
.LBB96_7:
	s_or_b64 exec, exec, s[4:5]
	v_cmp_gt_i32_e64 s[0:1], s6, v4
	v_mov_b32_e32 v5, 0
	v_mov_b32_e32 v6, 0
	s_and_saveexec_b64 s[4:5], s[0:1]
	s_cbranch_execz .LBB96_9
; %bb.8:
	v_add_u32_e32 v6, s2, v4
	v_mov_b32_e32 v7, 0
	v_lshlrev_b64 v[6:7], 1, v[6:7]
	v_mov_b32_e32 v8, s11
	v_add_co_u32_e64 v6, s[0:1], s10, v6
	v_addc_co_u32_e64 v7, s[0:1], v8, v7, s[0:1]
	global_load_ushort v6, v[6:7], off
	v_add_u32_e32 v4, 0x100, v4
.LBB96_9:
	s_or_b64 exec, exec, s[4:5]
	v_cmp_gt_i32_e64 s[0:1], s6, v4
	s_and_saveexec_b64 s[4:5], s[0:1]
	s_cbranch_execz .LBB96_11
; %bb.10:
	v_add_u32_e32 v7, s2, v4
	v_mov_b32_e32 v8, 0
	v_lshlrev_b64 v[7:8], 1, v[7:8]
	v_mov_b32_e32 v5, s11
	v_add_co_u32_e64 v7, s[0:1], s10, v7
	v_addc_co_u32_e64 v8, s[0:1], v5, v8, s[0:1]
	global_load_ushort v5, v[7:8], off
	v_add_u32_e32 v4, 0x100, v4
.LBB96_11:
	s_or_b64 exec, exec, s[4:5]
	v_cmp_gt_i32_e64 s[0:1], s6, v4
	v_mov_b32_e32 v7, 0
	v_mov_b32_e32 v8, 0
	s_and_saveexec_b64 s[4:5], s[0:1]
	s_cbranch_execz .LBB96_13
; %bb.12:
	v_add_u32_e32 v8, s2, v4
	v_mov_b32_e32 v9, 0
	v_lshlrev_b64 v[8:9], 1, v[8:9]
	v_mov_b32_e32 v10, s11
	v_add_co_u32_e64 v8, s[0:1], s10, v8
	v_addc_co_u32_e64 v9, s[0:1], v10, v9, s[0:1]
	global_load_ushort v8, v[8:9], off
	v_add_u32_e32 v4, 0x100, v4
.LBB96_13:
	s_or_b64 exec, exec, s[4:5]
	v_cmp_gt_i32_e64 s[0:1], s6, v4
	s_and_saveexec_b64 s[4:5], s[0:1]
	s_cbranch_execz .LBB96_15
; %bb.14:
	v_add_u32_e32 v9, s2, v4
	v_mov_b32_e32 v10, 0
	v_lshlrev_b64 v[9:10], 1, v[9:10]
	v_mov_b32_e32 v7, s11
	v_add_co_u32_e64 v9, s[0:1], s10, v9
	v_addc_co_u32_e64 v10, s[0:1], v7, v10, s[0:1]
	global_load_ushort v7, v[9:10], off
	v_add_u32_e32 v4, 0x100, v4
.LBB96_15:
	s_or_b64 exec, exec, s[4:5]
	v_cmp_gt_i32_e64 s[0:1], s6, v4
	v_mov_b32_e32 v9, 0
	v_mov_b32_e32 v11, 0
	s_and_saveexec_b64 s[4:5], s[0:1]
	s_cbranch_execz .LBB96_17
; %bb.16:
	v_add_u32_e32 v10, s2, v4
	v_mov_b32_e32 v11, 0
	v_lshlrev_b64 v[10:11], 1, v[10:11]
	v_mov_b32_e32 v12, s11
	v_add_co_u32_e64 v10, s[0:1], s10, v10
	v_addc_co_u32_e64 v11, s[0:1], v12, v11, s[0:1]
	global_load_ushort v11, v[10:11], off
	v_add_u32_e32 v4, 0x100, v4
.LBB96_17:
	s_or_b64 exec, exec, s[4:5]
	v_cmp_gt_i32_e64 s[0:1], s6, v4
	s_and_saveexec_b64 s[4:5], s[0:1]
	s_cbranch_execz .LBB96_19
; %bb.18:
	v_add_u32_e32 v9, s2, v4
	v_mov_b32_e32 v10, 0
	v_lshlrev_b64 v[9:10], 1, v[9:10]
	v_mov_b32_e32 v4, s11
	v_add_co_u32_e64 v9, s[0:1], s10, v9
	v_addc_co_u32_e64 v10, s[0:1], v4, v10, s[0:1]
	global_load_ushort v9, v[9:10], off
.LBB96_19:
	s_or_b64 exec, exec, s[4:5]
	s_waitcnt vmcnt(0)
	v_lshlrev_b32_sdwa v4, v2, s7 dst_sel:DWORD dst_unused:UNUSED_PAD src0_sel:WORD_0 src1_sel:DWORD
	v_cmp_gt_u16_e64 s[0:1], 16, v2
	v_cndmask_b32_e64 v4, 0, v4, s[0:1]
	v_mov_b32_e32 v2, 0
	v_lshlrev_b32_sdwa v10, v3, s7 dst_sel:DWORD dst_unused:UNUSED_PAD src0_sel:WORD_0 src1_sel:DWORD
	v_cmp_gt_u16_e64 s[0:1], 16, v3
	v_cndmask_b32_sdwa v4, v2, v4, vcc dst_sel:DWORD dst_unused:UNUSED_PAD src0_sel:DWORD src1_sel:WORD_0
	v_or_b32_e32 v12, 0x100, v0
	v_cndmask_b32_e64 v3, 0, v10, s[0:1]
	s_mov_b32 s3, 0x5040100
	v_perm_b32 v3, v3, v4, s3
	v_cmp_gt_i32_e64 s[0:1], s6, v12
	v_cndmask_b32_e64 v10, v4, v3, s[0:1]
	v_lshlrev_b32_sdwa v4, v6, s7 dst_sel:DWORD dst_unused:UNUSED_PAD src0_sel:WORD_0 src1_sel:DWORD
	v_cmp_gt_u16_e64 s[0:1], 16, v6
	v_or_b32_e32 v3, 0x200, v0
	v_cndmask_b32_e64 v4, 0, v4, s[0:1]
	v_and_b32_e32 v4, 0xffff, v4
	v_cmp_gt_i32_e64 s[0:1], s6, v3
	v_cndmask_b32_e64 v3, 0, v4, s[0:1]
	v_lshlrev_b32_sdwa v6, v5, s7 dst_sel:DWORD dst_unused:UNUSED_PAD src0_sel:WORD_0 src1_sel:DWORD
	v_cmp_gt_u16_e64 s[0:1], 16, v5
	v_or_b32_e32 v4, 0x300, v0
	v_cndmask_b32_e64 v5, 0, v6, s[0:1]
	v_perm_b32 v5, v5, v3, s3
	v_cmp_gt_i32_e64 s[0:1], s6, v4
	v_cndmask_b32_e64 v5, v3, v5, s[0:1]
	v_lshlrev_b32_sdwa v4, v8, s7 dst_sel:DWORD dst_unused:UNUSED_PAD src0_sel:WORD_0 src1_sel:DWORD
	v_cmp_gt_u16_e64 s[0:1], 16, v8
	v_or_b32_e32 v3, 0x400, v0
	v_cndmask_b32_e64 v4, 0, v4, s[0:1]
	v_and_b32_e32 v4, 0xffff, v4
	v_cmp_gt_i32_e64 s[0:1], s6, v3
	v_cndmask_b32_e64 v3, 0, v4, s[0:1]
	v_lshlrev_b32_sdwa v6, v7, s7 dst_sel:DWORD dst_unused:UNUSED_PAD src0_sel:WORD_0 src1_sel:DWORD
	v_cmp_gt_u16_e64 s[0:1], 16, v7
	v_or_b32_e32 v4, 0x500, v0
	v_cndmask_b32_e64 v6, 0, v6, s[0:1]
	;; [unrolled: 14-line block ×3, first 2 shown]
	v_perm_b32 v7, v7, v3, s3
	v_cmp_gt_i32_e64 s[0:1], s6, v6
	v_cndmask_b32_e64 v3, v3, v7, s[0:1]
	s_and_saveexec_b64 s[0:1], vcc
	s_cbranch_execnz .LBB96_29
; %bb.20:
	s_or_b64 exec, exec, s[0:1]
	v_cmp_gt_i32_e32 vcc, s6, v0
	s_and_saveexec_b64 s[0:1], vcc
	s_cbranch_execnz .LBB96_30
.LBB96_21:
	s_or_b64 exec, exec, s[0:1]
	v_cmp_gt_i32_e32 vcc, s6, v0
	s_and_saveexec_b64 s[0:1], vcc
	s_cbranch_execnz .LBB96_31
.LBB96_22:
	s_or_b64 exec, exec, s[0:1]
	v_cmp_gt_i32_e32 vcc, s6, v0
	s_and_saveexec_b64 s[0:1], vcc
	s_cbranch_execnz .LBB96_32
.LBB96_23:
	s_or_b64 exec, exec, s[0:1]
	v_cmp_gt_i32_e32 vcc, s6, v0
	s_and_saveexec_b64 s[0:1], vcc
	s_cbranch_execnz .LBB96_33
.LBB96_24:
	s_or_b64 exec, exec, s[0:1]
	v_cmp_gt_i32_e32 vcc, s6, v0
	s_and_saveexec_b64 s[0:1], vcc
	s_cbranch_execnz .LBB96_34
.LBB96_25:
	s_or_b64 exec, exec, s[0:1]
	v_cmp_gt_i32_e32 vcc, s6, v0
	s_and_saveexec_b64 s[0:1], vcc
	s_cbranch_execnz .LBB96_35
.LBB96_26:
	s_or_b64 exec, exec, s[0:1]
	v_cmp_gt_i32_e32 vcc, s6, v0
	s_and_saveexec_b64 s[0:1], vcc
	s_cbranch_execz .LBB96_28
.LBB96_27:
	v_add_u32_e32 v0, s2, v0
	v_mov_b32_e32 v1, 0
	v_lshlrev_b64 v[0:1], 1, v[0:1]
	v_mov_b32_e32 v2, s9
	v_add_co_u32_e32 v0, vcc, s8, v0
	v_addc_co_u32_e32 v1, vcc, v2, v1, vcc
	global_store_short_d16_hi v[0:1], v3, off
.LBB96_28:
	s_endpgm
.LBB96_29:
	v_lshlrev_b64 v[0:1], 1, v[1:2]
	v_mov_b32_e32 v2, s9
	v_add_co_u32_e32 v0, vcc, s8, v0
	v_addc_co_u32_e32 v1, vcc, v2, v1, vcc
	global_store_short v[0:1], v10, off
	v_mov_b32_e32 v0, v12
	s_or_b64 exec, exec, s[0:1]
	v_cmp_gt_i32_e32 vcc, s6, v0
	s_and_saveexec_b64 s[0:1], vcc
	s_cbranch_execz .LBB96_21
.LBB96_30:
	v_add_u32_e32 v1, s2, v0
	v_mov_b32_e32 v2, 0
	v_lshlrev_b64 v[1:2], 1, v[1:2]
	v_mov_b32_e32 v6, s9
	v_add_co_u32_e32 v1, vcc, s8, v1
	v_addc_co_u32_e32 v2, vcc, v6, v2, vcc
	v_add_u32_e32 v0, 0x100, v0
	global_store_short_d16_hi v[1:2], v10, off
	s_or_b64 exec, exec, s[0:1]
	v_cmp_gt_i32_e32 vcc, s6, v0
	s_and_saveexec_b64 s[0:1], vcc
	s_cbranch_execz .LBB96_22
.LBB96_31:
	v_add_u32_e32 v1, s2, v0
	v_mov_b32_e32 v2, 0
	v_lshlrev_b64 v[1:2], 1, v[1:2]
	v_mov_b32_e32 v6, s9
	v_add_co_u32_e32 v1, vcc, s8, v1
	v_addc_co_u32_e32 v2, vcc, v6, v2, vcc
	v_add_u32_e32 v0, 0x100, v0
	global_store_short v[1:2], v5, off
	s_or_b64 exec, exec, s[0:1]
	v_cmp_gt_i32_e32 vcc, s6, v0
	s_and_saveexec_b64 s[0:1], vcc
	s_cbranch_execz .LBB96_23
.LBB96_32:
	v_add_u32_e32 v1, s2, v0
	v_mov_b32_e32 v2, 0
	v_lshlrev_b64 v[1:2], 1, v[1:2]
	v_mov_b32_e32 v6, s9
	v_add_co_u32_e32 v1, vcc, s8, v1
	v_addc_co_u32_e32 v2, vcc, v6, v2, vcc
	v_add_u32_e32 v0, 0x100, v0
	global_store_short_d16_hi v[1:2], v5, off
	s_or_b64 exec, exec, s[0:1]
	v_cmp_gt_i32_e32 vcc, s6, v0
	s_and_saveexec_b64 s[0:1], vcc
	s_cbranch_execz .LBB96_24
.LBB96_33:
	v_add_u32_e32 v1, s2, v0
	v_mov_b32_e32 v2, 0
	v_lshlrev_b64 v[1:2], 1, v[1:2]
	v_mov_b32_e32 v5, s9
	v_add_co_u32_e32 v1, vcc, s8, v1
	v_addc_co_u32_e32 v2, vcc, v5, v2, vcc
	v_add_u32_e32 v0, 0x100, v0
	global_store_short v[1:2], v4, off
	s_or_b64 exec, exec, s[0:1]
	v_cmp_gt_i32_e32 vcc, s6, v0
	s_and_saveexec_b64 s[0:1], vcc
	s_cbranch_execz .LBB96_25
.LBB96_34:
	v_add_u32_e32 v1, s2, v0
	v_mov_b32_e32 v2, 0
	v_lshlrev_b64 v[1:2], 1, v[1:2]
	v_mov_b32_e32 v5, s9
	v_add_co_u32_e32 v1, vcc, s8, v1
	v_addc_co_u32_e32 v2, vcc, v5, v2, vcc
	v_add_u32_e32 v0, 0x100, v0
	global_store_short_d16_hi v[1:2], v4, off
	s_or_b64 exec, exec, s[0:1]
	v_cmp_gt_i32_e32 vcc, s6, v0
	s_and_saveexec_b64 s[0:1], vcc
	s_cbranch_execz .LBB96_26
.LBB96_35:
	v_add_u32_e32 v1, s2, v0
	v_mov_b32_e32 v2, 0
	v_lshlrev_b64 v[1:2], 1, v[1:2]
	v_mov_b32_e32 v4, s9
	v_add_co_u32_e32 v1, vcc, s8, v1
	v_addc_co_u32_e32 v2, vcc, v4, v2, vcc
	v_add_u32_e32 v0, 0x100, v0
	global_store_short v[1:2], v3, off
	s_or_b64 exec, exec, s[0:1]
	v_cmp_gt_i32_e32 vcc, s6, v0
	s_and_saveexec_b64 s[0:1], vcc
	s_cbranch_execnz .LBB96_27
	s_branch .LBB96_28
	.section	.rodata,"a",@progbits
	.p2align	6, 0x0
	.amdhsa_kernel _ZN2at6native29vectorized_elementwise_kernelILi16ENS0_13AUnaryFunctorIsssZZZNS0_18lshift_kernel_cudaERNS_18TensorIteratorBaseEENKUlvE_clEvENKUlvE3_clEvEUlssE_EESt5arrayIPcLm2EEEEviT0_T1_
		.amdhsa_group_segment_fixed_size 0
		.amdhsa_private_segment_fixed_size 0
		.amdhsa_kernarg_size 24
		.amdhsa_user_sgpr_count 6
		.amdhsa_user_sgpr_private_segment_buffer 1
		.amdhsa_user_sgpr_dispatch_ptr 0
		.amdhsa_user_sgpr_queue_ptr 0
		.amdhsa_user_sgpr_kernarg_segment_ptr 1
		.amdhsa_user_sgpr_dispatch_id 0
		.amdhsa_user_sgpr_flat_scratch_init 0
		.amdhsa_user_sgpr_private_segment_size 0
		.amdhsa_uses_dynamic_stack 0
		.amdhsa_system_sgpr_private_segment_wavefront_offset 0
		.amdhsa_system_sgpr_workgroup_id_x 1
		.amdhsa_system_sgpr_workgroup_id_y 0
		.amdhsa_system_sgpr_workgroup_id_z 0
		.amdhsa_system_sgpr_workgroup_info 0
		.amdhsa_system_vgpr_workitem_id 0
		.amdhsa_next_free_vgpr 15
		.amdhsa_next_free_sgpr 12
		.amdhsa_reserve_vcc 1
		.amdhsa_reserve_flat_scratch 0
		.amdhsa_float_round_mode_32 0
		.amdhsa_float_round_mode_16_64 0
		.amdhsa_float_denorm_mode_32 3
		.amdhsa_float_denorm_mode_16_64 3
		.amdhsa_dx10_clamp 1
		.amdhsa_ieee_mode 1
		.amdhsa_fp16_overflow 0
		.amdhsa_exception_fp_ieee_invalid_op 0
		.amdhsa_exception_fp_denorm_src 0
		.amdhsa_exception_fp_ieee_div_zero 0
		.amdhsa_exception_fp_ieee_overflow 0
		.amdhsa_exception_fp_ieee_underflow 0
		.amdhsa_exception_fp_ieee_inexact 0
		.amdhsa_exception_int_div_zero 0
	.end_amdhsa_kernel
	.section	.text._ZN2at6native29vectorized_elementwise_kernelILi16ENS0_13AUnaryFunctorIsssZZZNS0_18lshift_kernel_cudaERNS_18TensorIteratorBaseEENKUlvE_clEvENKUlvE3_clEvEUlssE_EESt5arrayIPcLm2EEEEviT0_T1_,"axG",@progbits,_ZN2at6native29vectorized_elementwise_kernelILi16ENS0_13AUnaryFunctorIsssZZZNS0_18lshift_kernel_cudaERNS_18TensorIteratorBaseEENKUlvE_clEvENKUlvE3_clEvEUlssE_EESt5arrayIPcLm2EEEEviT0_T1_,comdat
.Lfunc_end96:
	.size	_ZN2at6native29vectorized_elementwise_kernelILi16ENS0_13AUnaryFunctorIsssZZZNS0_18lshift_kernel_cudaERNS_18TensorIteratorBaseEENKUlvE_clEvENKUlvE3_clEvEUlssE_EESt5arrayIPcLm2EEEEviT0_T1_, .Lfunc_end96-_ZN2at6native29vectorized_elementwise_kernelILi16ENS0_13AUnaryFunctorIsssZZZNS0_18lshift_kernel_cudaERNS_18TensorIteratorBaseEENKUlvE_clEvENKUlvE3_clEvEUlssE_EESt5arrayIPcLm2EEEEviT0_T1_
                                        ; -- End function
	.set _ZN2at6native29vectorized_elementwise_kernelILi16ENS0_13AUnaryFunctorIsssZZZNS0_18lshift_kernel_cudaERNS_18TensorIteratorBaseEENKUlvE_clEvENKUlvE3_clEvEUlssE_EESt5arrayIPcLm2EEEEviT0_T1_.num_vgpr, 15
	.set _ZN2at6native29vectorized_elementwise_kernelILi16ENS0_13AUnaryFunctorIsssZZZNS0_18lshift_kernel_cudaERNS_18TensorIteratorBaseEENKUlvE_clEvENKUlvE3_clEvEUlssE_EESt5arrayIPcLm2EEEEviT0_T1_.num_agpr, 0
	.set _ZN2at6native29vectorized_elementwise_kernelILi16ENS0_13AUnaryFunctorIsssZZZNS0_18lshift_kernel_cudaERNS_18TensorIteratorBaseEENKUlvE_clEvENKUlvE3_clEvEUlssE_EESt5arrayIPcLm2EEEEviT0_T1_.numbered_sgpr, 12
	.set _ZN2at6native29vectorized_elementwise_kernelILi16ENS0_13AUnaryFunctorIsssZZZNS0_18lshift_kernel_cudaERNS_18TensorIteratorBaseEENKUlvE_clEvENKUlvE3_clEvEUlssE_EESt5arrayIPcLm2EEEEviT0_T1_.num_named_barrier, 0
	.set _ZN2at6native29vectorized_elementwise_kernelILi16ENS0_13AUnaryFunctorIsssZZZNS0_18lshift_kernel_cudaERNS_18TensorIteratorBaseEENKUlvE_clEvENKUlvE3_clEvEUlssE_EESt5arrayIPcLm2EEEEviT0_T1_.private_seg_size, 0
	.set _ZN2at6native29vectorized_elementwise_kernelILi16ENS0_13AUnaryFunctorIsssZZZNS0_18lshift_kernel_cudaERNS_18TensorIteratorBaseEENKUlvE_clEvENKUlvE3_clEvEUlssE_EESt5arrayIPcLm2EEEEviT0_T1_.uses_vcc, 1
	.set _ZN2at6native29vectorized_elementwise_kernelILi16ENS0_13AUnaryFunctorIsssZZZNS0_18lshift_kernel_cudaERNS_18TensorIteratorBaseEENKUlvE_clEvENKUlvE3_clEvEUlssE_EESt5arrayIPcLm2EEEEviT0_T1_.uses_flat_scratch, 0
	.set _ZN2at6native29vectorized_elementwise_kernelILi16ENS0_13AUnaryFunctorIsssZZZNS0_18lshift_kernel_cudaERNS_18TensorIteratorBaseEENKUlvE_clEvENKUlvE3_clEvEUlssE_EESt5arrayIPcLm2EEEEviT0_T1_.has_dyn_sized_stack, 0
	.set _ZN2at6native29vectorized_elementwise_kernelILi16ENS0_13AUnaryFunctorIsssZZZNS0_18lshift_kernel_cudaERNS_18TensorIteratorBaseEENKUlvE_clEvENKUlvE3_clEvEUlssE_EESt5arrayIPcLm2EEEEviT0_T1_.has_recursion, 0
	.set _ZN2at6native29vectorized_elementwise_kernelILi16ENS0_13AUnaryFunctorIsssZZZNS0_18lshift_kernel_cudaERNS_18TensorIteratorBaseEENKUlvE_clEvENKUlvE3_clEvEUlssE_EESt5arrayIPcLm2EEEEviT0_T1_.has_indirect_call, 0
	.section	.AMDGPU.csdata,"",@progbits
; Kernel info:
; codeLenInByte = 1904
; TotalNumSgprs: 16
; NumVgprs: 15
; ScratchSize: 0
; MemoryBound: 0
; FloatMode: 240
; IeeeMode: 1
; LDSByteSize: 0 bytes/workgroup (compile time only)
; SGPRBlocks: 1
; VGPRBlocks: 3
; NumSGPRsForWavesPerEU: 16
; NumVGPRsForWavesPerEU: 15
; Occupancy: 10
; WaveLimiterHint : 0
; COMPUTE_PGM_RSRC2:SCRATCH_EN: 0
; COMPUTE_PGM_RSRC2:USER_SGPR: 6
; COMPUTE_PGM_RSRC2:TRAP_HANDLER: 0
; COMPUTE_PGM_RSRC2:TGID_X_EN: 1
; COMPUTE_PGM_RSRC2:TGID_Y_EN: 0
; COMPUTE_PGM_RSRC2:TGID_Z_EN: 0
; COMPUTE_PGM_RSRC2:TIDIG_COMP_CNT: 0
	.section	.text._ZN2at6native29vectorized_elementwise_kernelILi8ENS0_13AUnaryFunctorIsssZZZNS0_18lshift_kernel_cudaERNS_18TensorIteratorBaseEENKUlvE_clEvENKUlvE3_clEvEUlssE_EESt5arrayIPcLm2EEEEviT0_T1_,"axG",@progbits,_ZN2at6native29vectorized_elementwise_kernelILi8ENS0_13AUnaryFunctorIsssZZZNS0_18lshift_kernel_cudaERNS_18TensorIteratorBaseEENKUlvE_clEvENKUlvE3_clEvEUlssE_EESt5arrayIPcLm2EEEEviT0_T1_,comdat
	.globl	_ZN2at6native29vectorized_elementwise_kernelILi8ENS0_13AUnaryFunctorIsssZZZNS0_18lshift_kernel_cudaERNS_18TensorIteratorBaseEENKUlvE_clEvENKUlvE3_clEvEUlssE_EESt5arrayIPcLm2EEEEviT0_T1_ ; -- Begin function _ZN2at6native29vectorized_elementwise_kernelILi8ENS0_13AUnaryFunctorIsssZZZNS0_18lshift_kernel_cudaERNS_18TensorIteratorBaseEENKUlvE_clEvENKUlvE3_clEvEUlssE_EESt5arrayIPcLm2EEEEviT0_T1_
	.p2align	8
	.type	_ZN2at6native29vectorized_elementwise_kernelILi8ENS0_13AUnaryFunctorIsssZZZNS0_18lshift_kernel_cudaERNS_18TensorIteratorBaseEENKUlvE_clEvENKUlvE3_clEvEUlssE_EESt5arrayIPcLm2EEEEviT0_T1_,@function
_ZN2at6native29vectorized_elementwise_kernelILi8ENS0_13AUnaryFunctorIsssZZZNS0_18lshift_kernel_cudaERNS_18TensorIteratorBaseEENKUlvE_clEvENKUlvE3_clEvEUlssE_EESt5arrayIPcLm2EEEEviT0_T1_: ; @_ZN2at6native29vectorized_elementwise_kernelILi8ENS0_13AUnaryFunctorIsssZZZNS0_18lshift_kernel_cudaERNS_18TensorIteratorBaseEENKUlvE_clEvENKUlvE3_clEvEUlssE_EESt5arrayIPcLm2EEEEviT0_T1_
; %bb.0:
	s_load_dwordx2 s[0:1], s[4:5], 0x0
	s_load_dwordx4 s[8:11], s[4:5], 0x8
	s_lshl_b32 s2, s6, 11
	s_waitcnt lgkmcnt(0)
	s_sub_i32 s6, s0, s2
	s_lshr_b32 s7, s1, 16
	s_cmpk_gt_i32 s6, 0x7ff
	s_mov_b64 s[0:1], -1
	s_cbranch_scc0 .LBB97_2
; %bb.1:
	s_ashr_i32 s3, s2, 31
	s_lshl_b64 s[0:1], s[2:3], 1
	s_add_u32 s4, s10, s0
	s_addc_u32 s5, s11, s1
	v_lshlrev_b32_e32 v5, 4, v0
	global_load_dwordx4 v[1:4], v5, s[4:5]
	v_mov_b32_e32 v6, 16
	s_mov_b32 s3, 0x5040100
	s_add_u32 s0, s8, s0
	s_addc_u32 s1, s9, s1
	s_waitcnt vmcnt(0)
	v_lshlrev_b32_e64 v7, v1, s7
	v_cmp_gt_u16_e32 vcc, 16, v1
	v_lshlrev_b32_sdwa v8, v1, s7 dst_sel:DWORD dst_unused:UNUSED_PAD src0_sel:WORD_1 src1_sel:DWORD
	v_cndmask_b32_e32 v7, 0, v7, vcc
	v_cmp_lt_u16_sdwa vcc, v1, v6 src0_sel:WORD_1 src1_sel:DWORD
	v_lshlrev_b32_e64 v9, v2, s7
	v_cndmask_b32_e32 v1, 0, v8, vcc
	v_cmp_gt_u16_e32 vcc, 16, v2
	v_lshlrev_b32_sdwa v10, v2, s7 dst_sel:DWORD dst_unused:UNUSED_PAD src0_sel:WORD_1 src1_sel:DWORD
	v_cndmask_b32_e32 v8, 0, v9, vcc
	v_cmp_lt_u16_sdwa vcc, v2, v6 src0_sel:WORD_1 src1_sel:DWORD
	v_lshlrev_b32_e64 v11, v3, s7
	v_cndmask_b32_e32 v2, 0, v10, vcc
	;; [unrolled: 6-line block ×3, first 2 shown]
	v_cmp_gt_u16_e32 vcc, 16, v4
	v_lshlrev_b32_sdwa v14, v4, s7 dst_sel:DWORD dst_unused:UNUSED_PAD src0_sel:WORD_1 src1_sel:DWORD
	v_cndmask_b32_e32 v10, 0, v13, vcc
	v_cmp_lt_u16_sdwa vcc, v4, v6 src0_sel:WORD_1 src1_sel:DWORD
	v_cndmask_b32_e32 v4, 0, v14, vcc
	v_perm_b32 v4, v4, v10, s3
	v_perm_b32 v3, v3, v9, s3
	;; [unrolled: 1-line block ×4, first 2 shown]
	global_store_dwordx4 v5, v[1:4], s[0:1]
	s_mov_b64 s[0:1], 0
.LBB97_2:
	s_andn2_b64 vcc, exec, s[0:1]
	s_cbranch_vccnz .LBB97_28
; %bb.3:
	v_cmp_gt_i32_e32 vcc, s6, v0
	v_mov_b32_e32 v3, 0
	v_or_b32_e32 v1, s2, v0
	v_mov_b32_e32 v2, 0
	v_mov_b32_e32 v4, v0
	s_and_saveexec_b64 s[4:5], vcc
	s_cbranch_execz .LBB97_5
; %bb.4:
	v_mov_b32_e32 v2, 0
	v_lshlrev_b64 v[4:5], 1, v[1:2]
	v_mov_b32_e32 v2, s11
	v_add_co_u32_e64 v4, s[0:1], s10, v4
	v_addc_co_u32_e64 v5, s[0:1], v2, v5, s[0:1]
	global_load_ushort v2, v[4:5], off
	v_or_b32_e32 v4, 0x100, v0
.LBB97_5:
	s_or_b64 exec, exec, s[4:5]
	v_cmp_gt_i32_e64 s[0:1], s6, v4
	s_and_saveexec_b64 s[4:5], s[0:1]
	s_cbranch_execz .LBB97_7
; %bb.6:
	v_add_u32_e32 v5, s2, v4
	v_mov_b32_e32 v6, 0
	v_lshlrev_b64 v[5:6], 1, v[5:6]
	v_mov_b32_e32 v3, s11
	v_add_co_u32_e64 v5, s[0:1], s10, v5
	v_addc_co_u32_e64 v6, s[0:1], v3, v6, s[0:1]
	global_load_ushort v3, v[5:6], off
	v_add_u32_e32 v4, 0x100, v4
.LBB97_7:
	s_or_b64 exec, exec, s[4:5]
	v_cmp_gt_i32_e64 s[0:1], s6, v4
	v_mov_b32_e32 v5, 0
	v_mov_b32_e32 v6, 0
	s_and_saveexec_b64 s[4:5], s[0:1]
	s_cbranch_execz .LBB97_9
; %bb.8:
	v_add_u32_e32 v6, s2, v4
	v_mov_b32_e32 v7, 0
	v_lshlrev_b64 v[6:7], 1, v[6:7]
	v_mov_b32_e32 v8, s11
	v_add_co_u32_e64 v6, s[0:1], s10, v6
	v_addc_co_u32_e64 v7, s[0:1], v8, v7, s[0:1]
	global_load_ushort v6, v[6:7], off
	v_add_u32_e32 v4, 0x100, v4
.LBB97_9:
	s_or_b64 exec, exec, s[4:5]
	v_cmp_gt_i32_e64 s[0:1], s6, v4
	s_and_saveexec_b64 s[4:5], s[0:1]
	s_cbranch_execz .LBB97_11
; %bb.10:
	v_add_u32_e32 v7, s2, v4
	v_mov_b32_e32 v8, 0
	v_lshlrev_b64 v[7:8], 1, v[7:8]
	v_mov_b32_e32 v5, s11
	v_add_co_u32_e64 v7, s[0:1], s10, v7
	v_addc_co_u32_e64 v8, s[0:1], v5, v8, s[0:1]
	global_load_ushort v5, v[7:8], off
	v_add_u32_e32 v4, 0x100, v4
.LBB97_11:
	s_or_b64 exec, exec, s[4:5]
	v_cmp_gt_i32_e64 s[0:1], s6, v4
	v_mov_b32_e32 v7, 0
	v_mov_b32_e32 v8, 0
	s_and_saveexec_b64 s[4:5], s[0:1]
	s_cbranch_execz .LBB97_13
; %bb.12:
	v_add_u32_e32 v8, s2, v4
	v_mov_b32_e32 v9, 0
	v_lshlrev_b64 v[8:9], 1, v[8:9]
	v_mov_b32_e32 v10, s11
	v_add_co_u32_e64 v8, s[0:1], s10, v8
	v_addc_co_u32_e64 v9, s[0:1], v10, v9, s[0:1]
	global_load_ushort v8, v[8:9], off
	v_add_u32_e32 v4, 0x100, v4
.LBB97_13:
	;; [unrolled: 30-line block ×3, first 2 shown]
	s_or_b64 exec, exec, s[4:5]
	v_cmp_gt_i32_e64 s[0:1], s6, v4
	s_and_saveexec_b64 s[4:5], s[0:1]
	s_cbranch_execz .LBB97_19
; %bb.18:
	v_add_u32_e32 v9, s2, v4
	v_mov_b32_e32 v10, 0
	v_lshlrev_b64 v[9:10], 1, v[9:10]
	v_mov_b32_e32 v4, s11
	v_add_co_u32_e64 v9, s[0:1], s10, v9
	v_addc_co_u32_e64 v10, s[0:1], v4, v10, s[0:1]
	global_load_ushort v9, v[9:10], off
.LBB97_19:
	s_or_b64 exec, exec, s[4:5]
	s_waitcnt vmcnt(0)
	v_lshlrev_b32_sdwa v4, v2, s7 dst_sel:DWORD dst_unused:UNUSED_PAD src0_sel:WORD_0 src1_sel:DWORD
	v_cmp_gt_u16_e64 s[0:1], 16, v2
	v_cndmask_b32_e64 v4, 0, v4, s[0:1]
	v_mov_b32_e32 v2, 0
	v_lshlrev_b32_sdwa v10, v3, s7 dst_sel:DWORD dst_unused:UNUSED_PAD src0_sel:WORD_0 src1_sel:DWORD
	v_cmp_gt_u16_e64 s[0:1], 16, v3
	v_cndmask_b32_sdwa v4, v2, v4, vcc dst_sel:DWORD dst_unused:UNUSED_PAD src0_sel:DWORD src1_sel:WORD_0
	v_or_b32_e32 v12, 0x100, v0
	v_cndmask_b32_e64 v3, 0, v10, s[0:1]
	s_mov_b32 s3, 0x5040100
	v_perm_b32 v3, v3, v4, s3
	v_cmp_gt_i32_e64 s[0:1], s6, v12
	v_cndmask_b32_e64 v10, v4, v3, s[0:1]
	v_lshlrev_b32_sdwa v4, v6, s7 dst_sel:DWORD dst_unused:UNUSED_PAD src0_sel:WORD_0 src1_sel:DWORD
	v_cmp_gt_u16_e64 s[0:1], 16, v6
	v_or_b32_e32 v3, 0x200, v0
	v_cndmask_b32_e64 v4, 0, v4, s[0:1]
	v_and_b32_e32 v4, 0xffff, v4
	v_cmp_gt_i32_e64 s[0:1], s6, v3
	v_cndmask_b32_e64 v3, 0, v4, s[0:1]
	v_lshlrev_b32_sdwa v6, v5, s7 dst_sel:DWORD dst_unused:UNUSED_PAD src0_sel:WORD_0 src1_sel:DWORD
	v_cmp_gt_u16_e64 s[0:1], 16, v5
	v_or_b32_e32 v4, 0x300, v0
	v_cndmask_b32_e64 v5, 0, v6, s[0:1]
	v_perm_b32 v5, v5, v3, s3
	v_cmp_gt_i32_e64 s[0:1], s6, v4
	v_cndmask_b32_e64 v5, v3, v5, s[0:1]
	v_lshlrev_b32_sdwa v4, v8, s7 dst_sel:DWORD dst_unused:UNUSED_PAD src0_sel:WORD_0 src1_sel:DWORD
	v_cmp_gt_u16_e64 s[0:1], 16, v8
	v_or_b32_e32 v3, 0x400, v0
	v_cndmask_b32_e64 v4, 0, v4, s[0:1]
	v_and_b32_e32 v4, 0xffff, v4
	v_cmp_gt_i32_e64 s[0:1], s6, v3
	v_cndmask_b32_e64 v3, 0, v4, s[0:1]
	v_lshlrev_b32_sdwa v6, v7, s7 dst_sel:DWORD dst_unused:UNUSED_PAD src0_sel:WORD_0 src1_sel:DWORD
	v_cmp_gt_u16_e64 s[0:1], 16, v7
	v_or_b32_e32 v4, 0x500, v0
	v_cndmask_b32_e64 v6, 0, v6, s[0:1]
	;; [unrolled: 14-line block ×3, first 2 shown]
	v_perm_b32 v7, v7, v3, s3
	v_cmp_gt_i32_e64 s[0:1], s6, v6
	v_cndmask_b32_e64 v3, v3, v7, s[0:1]
	s_and_saveexec_b64 s[0:1], vcc
	s_cbranch_execnz .LBB97_29
; %bb.20:
	s_or_b64 exec, exec, s[0:1]
	v_cmp_gt_i32_e32 vcc, s6, v0
	s_and_saveexec_b64 s[0:1], vcc
	s_cbranch_execnz .LBB97_30
.LBB97_21:
	s_or_b64 exec, exec, s[0:1]
	v_cmp_gt_i32_e32 vcc, s6, v0
	s_and_saveexec_b64 s[0:1], vcc
	s_cbranch_execnz .LBB97_31
.LBB97_22:
	s_or_b64 exec, exec, s[0:1]
	v_cmp_gt_i32_e32 vcc, s6, v0
	s_and_saveexec_b64 s[0:1], vcc
	s_cbranch_execnz .LBB97_32
.LBB97_23:
	s_or_b64 exec, exec, s[0:1]
	v_cmp_gt_i32_e32 vcc, s6, v0
	s_and_saveexec_b64 s[0:1], vcc
	s_cbranch_execnz .LBB97_33
.LBB97_24:
	s_or_b64 exec, exec, s[0:1]
	v_cmp_gt_i32_e32 vcc, s6, v0
	s_and_saveexec_b64 s[0:1], vcc
	s_cbranch_execnz .LBB97_34
.LBB97_25:
	s_or_b64 exec, exec, s[0:1]
	v_cmp_gt_i32_e32 vcc, s6, v0
	s_and_saveexec_b64 s[0:1], vcc
	s_cbranch_execnz .LBB97_35
.LBB97_26:
	s_or_b64 exec, exec, s[0:1]
	v_cmp_gt_i32_e32 vcc, s6, v0
	s_and_saveexec_b64 s[0:1], vcc
	s_cbranch_execz .LBB97_28
.LBB97_27:
	v_add_u32_e32 v0, s2, v0
	v_mov_b32_e32 v1, 0
	v_lshlrev_b64 v[0:1], 1, v[0:1]
	v_mov_b32_e32 v2, s9
	v_add_co_u32_e32 v0, vcc, s8, v0
	v_addc_co_u32_e32 v1, vcc, v2, v1, vcc
	global_store_short_d16_hi v[0:1], v3, off
.LBB97_28:
	s_endpgm
.LBB97_29:
	v_lshlrev_b64 v[0:1], 1, v[1:2]
	v_mov_b32_e32 v2, s9
	v_add_co_u32_e32 v0, vcc, s8, v0
	v_addc_co_u32_e32 v1, vcc, v2, v1, vcc
	global_store_short v[0:1], v10, off
	v_mov_b32_e32 v0, v12
	s_or_b64 exec, exec, s[0:1]
	v_cmp_gt_i32_e32 vcc, s6, v0
	s_and_saveexec_b64 s[0:1], vcc
	s_cbranch_execz .LBB97_21
.LBB97_30:
	v_add_u32_e32 v1, s2, v0
	v_mov_b32_e32 v2, 0
	v_lshlrev_b64 v[1:2], 1, v[1:2]
	v_mov_b32_e32 v6, s9
	v_add_co_u32_e32 v1, vcc, s8, v1
	v_addc_co_u32_e32 v2, vcc, v6, v2, vcc
	v_add_u32_e32 v0, 0x100, v0
	global_store_short_d16_hi v[1:2], v10, off
	s_or_b64 exec, exec, s[0:1]
	v_cmp_gt_i32_e32 vcc, s6, v0
	s_and_saveexec_b64 s[0:1], vcc
	s_cbranch_execz .LBB97_22
.LBB97_31:
	v_add_u32_e32 v1, s2, v0
	v_mov_b32_e32 v2, 0
	v_lshlrev_b64 v[1:2], 1, v[1:2]
	v_mov_b32_e32 v6, s9
	v_add_co_u32_e32 v1, vcc, s8, v1
	v_addc_co_u32_e32 v2, vcc, v6, v2, vcc
	v_add_u32_e32 v0, 0x100, v0
	global_store_short v[1:2], v5, off
	s_or_b64 exec, exec, s[0:1]
	v_cmp_gt_i32_e32 vcc, s6, v0
	s_and_saveexec_b64 s[0:1], vcc
	s_cbranch_execz .LBB97_23
.LBB97_32:
	v_add_u32_e32 v1, s2, v0
	v_mov_b32_e32 v2, 0
	v_lshlrev_b64 v[1:2], 1, v[1:2]
	v_mov_b32_e32 v6, s9
	v_add_co_u32_e32 v1, vcc, s8, v1
	v_addc_co_u32_e32 v2, vcc, v6, v2, vcc
	v_add_u32_e32 v0, 0x100, v0
	global_store_short_d16_hi v[1:2], v5, off
	s_or_b64 exec, exec, s[0:1]
	v_cmp_gt_i32_e32 vcc, s6, v0
	s_and_saveexec_b64 s[0:1], vcc
	s_cbranch_execz .LBB97_24
.LBB97_33:
	v_add_u32_e32 v1, s2, v0
	v_mov_b32_e32 v2, 0
	v_lshlrev_b64 v[1:2], 1, v[1:2]
	v_mov_b32_e32 v5, s9
	v_add_co_u32_e32 v1, vcc, s8, v1
	v_addc_co_u32_e32 v2, vcc, v5, v2, vcc
	v_add_u32_e32 v0, 0x100, v0
	global_store_short v[1:2], v4, off
	s_or_b64 exec, exec, s[0:1]
	v_cmp_gt_i32_e32 vcc, s6, v0
	s_and_saveexec_b64 s[0:1], vcc
	s_cbranch_execz .LBB97_25
.LBB97_34:
	v_add_u32_e32 v1, s2, v0
	v_mov_b32_e32 v2, 0
	v_lshlrev_b64 v[1:2], 1, v[1:2]
	v_mov_b32_e32 v5, s9
	v_add_co_u32_e32 v1, vcc, s8, v1
	v_addc_co_u32_e32 v2, vcc, v5, v2, vcc
	v_add_u32_e32 v0, 0x100, v0
	global_store_short_d16_hi v[1:2], v4, off
	s_or_b64 exec, exec, s[0:1]
	v_cmp_gt_i32_e32 vcc, s6, v0
	s_and_saveexec_b64 s[0:1], vcc
	s_cbranch_execz .LBB97_26
.LBB97_35:
	v_add_u32_e32 v1, s2, v0
	v_mov_b32_e32 v2, 0
	v_lshlrev_b64 v[1:2], 1, v[1:2]
	v_mov_b32_e32 v4, s9
	v_add_co_u32_e32 v1, vcc, s8, v1
	v_addc_co_u32_e32 v2, vcc, v4, v2, vcc
	v_add_u32_e32 v0, 0x100, v0
	global_store_short v[1:2], v3, off
	s_or_b64 exec, exec, s[0:1]
	v_cmp_gt_i32_e32 vcc, s6, v0
	s_and_saveexec_b64 s[0:1], vcc
	s_cbranch_execnz .LBB97_27
	s_branch .LBB97_28
	.section	.rodata,"a",@progbits
	.p2align	6, 0x0
	.amdhsa_kernel _ZN2at6native29vectorized_elementwise_kernelILi8ENS0_13AUnaryFunctorIsssZZZNS0_18lshift_kernel_cudaERNS_18TensorIteratorBaseEENKUlvE_clEvENKUlvE3_clEvEUlssE_EESt5arrayIPcLm2EEEEviT0_T1_
		.amdhsa_group_segment_fixed_size 0
		.amdhsa_private_segment_fixed_size 0
		.amdhsa_kernarg_size 24
		.amdhsa_user_sgpr_count 6
		.amdhsa_user_sgpr_private_segment_buffer 1
		.amdhsa_user_sgpr_dispatch_ptr 0
		.amdhsa_user_sgpr_queue_ptr 0
		.amdhsa_user_sgpr_kernarg_segment_ptr 1
		.amdhsa_user_sgpr_dispatch_id 0
		.amdhsa_user_sgpr_flat_scratch_init 0
		.amdhsa_user_sgpr_private_segment_size 0
		.amdhsa_uses_dynamic_stack 0
		.amdhsa_system_sgpr_private_segment_wavefront_offset 0
		.amdhsa_system_sgpr_workgroup_id_x 1
		.amdhsa_system_sgpr_workgroup_id_y 0
		.amdhsa_system_sgpr_workgroup_id_z 0
		.amdhsa_system_sgpr_workgroup_info 0
		.amdhsa_system_vgpr_workitem_id 0
		.amdhsa_next_free_vgpr 15
		.amdhsa_next_free_sgpr 12
		.amdhsa_reserve_vcc 1
		.amdhsa_reserve_flat_scratch 0
		.amdhsa_float_round_mode_32 0
		.amdhsa_float_round_mode_16_64 0
		.amdhsa_float_denorm_mode_32 3
		.amdhsa_float_denorm_mode_16_64 3
		.amdhsa_dx10_clamp 1
		.amdhsa_ieee_mode 1
		.amdhsa_fp16_overflow 0
		.amdhsa_exception_fp_ieee_invalid_op 0
		.amdhsa_exception_fp_denorm_src 0
		.amdhsa_exception_fp_ieee_div_zero 0
		.amdhsa_exception_fp_ieee_overflow 0
		.amdhsa_exception_fp_ieee_underflow 0
		.amdhsa_exception_fp_ieee_inexact 0
		.amdhsa_exception_int_div_zero 0
	.end_amdhsa_kernel
	.section	.text._ZN2at6native29vectorized_elementwise_kernelILi8ENS0_13AUnaryFunctorIsssZZZNS0_18lshift_kernel_cudaERNS_18TensorIteratorBaseEENKUlvE_clEvENKUlvE3_clEvEUlssE_EESt5arrayIPcLm2EEEEviT0_T1_,"axG",@progbits,_ZN2at6native29vectorized_elementwise_kernelILi8ENS0_13AUnaryFunctorIsssZZZNS0_18lshift_kernel_cudaERNS_18TensorIteratorBaseEENKUlvE_clEvENKUlvE3_clEvEUlssE_EESt5arrayIPcLm2EEEEviT0_T1_,comdat
.Lfunc_end97:
	.size	_ZN2at6native29vectorized_elementwise_kernelILi8ENS0_13AUnaryFunctorIsssZZZNS0_18lshift_kernel_cudaERNS_18TensorIteratorBaseEENKUlvE_clEvENKUlvE3_clEvEUlssE_EESt5arrayIPcLm2EEEEviT0_T1_, .Lfunc_end97-_ZN2at6native29vectorized_elementwise_kernelILi8ENS0_13AUnaryFunctorIsssZZZNS0_18lshift_kernel_cudaERNS_18TensorIteratorBaseEENKUlvE_clEvENKUlvE3_clEvEUlssE_EESt5arrayIPcLm2EEEEviT0_T1_
                                        ; -- End function
	.set _ZN2at6native29vectorized_elementwise_kernelILi8ENS0_13AUnaryFunctorIsssZZZNS0_18lshift_kernel_cudaERNS_18TensorIteratorBaseEENKUlvE_clEvENKUlvE3_clEvEUlssE_EESt5arrayIPcLm2EEEEviT0_T1_.num_vgpr, 15
	.set _ZN2at6native29vectorized_elementwise_kernelILi8ENS0_13AUnaryFunctorIsssZZZNS0_18lshift_kernel_cudaERNS_18TensorIteratorBaseEENKUlvE_clEvENKUlvE3_clEvEUlssE_EESt5arrayIPcLm2EEEEviT0_T1_.num_agpr, 0
	.set _ZN2at6native29vectorized_elementwise_kernelILi8ENS0_13AUnaryFunctorIsssZZZNS0_18lshift_kernel_cudaERNS_18TensorIteratorBaseEENKUlvE_clEvENKUlvE3_clEvEUlssE_EESt5arrayIPcLm2EEEEviT0_T1_.numbered_sgpr, 12
	.set _ZN2at6native29vectorized_elementwise_kernelILi8ENS0_13AUnaryFunctorIsssZZZNS0_18lshift_kernel_cudaERNS_18TensorIteratorBaseEENKUlvE_clEvENKUlvE3_clEvEUlssE_EESt5arrayIPcLm2EEEEviT0_T1_.num_named_barrier, 0
	.set _ZN2at6native29vectorized_elementwise_kernelILi8ENS0_13AUnaryFunctorIsssZZZNS0_18lshift_kernel_cudaERNS_18TensorIteratorBaseEENKUlvE_clEvENKUlvE3_clEvEUlssE_EESt5arrayIPcLm2EEEEviT0_T1_.private_seg_size, 0
	.set _ZN2at6native29vectorized_elementwise_kernelILi8ENS0_13AUnaryFunctorIsssZZZNS0_18lshift_kernel_cudaERNS_18TensorIteratorBaseEENKUlvE_clEvENKUlvE3_clEvEUlssE_EESt5arrayIPcLm2EEEEviT0_T1_.uses_vcc, 1
	.set _ZN2at6native29vectorized_elementwise_kernelILi8ENS0_13AUnaryFunctorIsssZZZNS0_18lshift_kernel_cudaERNS_18TensorIteratorBaseEENKUlvE_clEvENKUlvE3_clEvEUlssE_EESt5arrayIPcLm2EEEEviT0_T1_.uses_flat_scratch, 0
	.set _ZN2at6native29vectorized_elementwise_kernelILi8ENS0_13AUnaryFunctorIsssZZZNS0_18lshift_kernel_cudaERNS_18TensorIteratorBaseEENKUlvE_clEvENKUlvE3_clEvEUlssE_EESt5arrayIPcLm2EEEEviT0_T1_.has_dyn_sized_stack, 0
	.set _ZN2at6native29vectorized_elementwise_kernelILi8ENS0_13AUnaryFunctorIsssZZZNS0_18lshift_kernel_cudaERNS_18TensorIteratorBaseEENKUlvE_clEvENKUlvE3_clEvEUlssE_EESt5arrayIPcLm2EEEEviT0_T1_.has_recursion, 0
	.set _ZN2at6native29vectorized_elementwise_kernelILi8ENS0_13AUnaryFunctorIsssZZZNS0_18lshift_kernel_cudaERNS_18TensorIteratorBaseEENKUlvE_clEvENKUlvE3_clEvEUlssE_EESt5arrayIPcLm2EEEEviT0_T1_.has_indirect_call, 0
	.section	.AMDGPU.csdata,"",@progbits
; Kernel info:
; codeLenInByte = 1904
; TotalNumSgprs: 16
; NumVgprs: 15
; ScratchSize: 0
; MemoryBound: 0
; FloatMode: 240
; IeeeMode: 1
; LDSByteSize: 0 bytes/workgroup (compile time only)
; SGPRBlocks: 1
; VGPRBlocks: 3
; NumSGPRsForWavesPerEU: 16
; NumVGPRsForWavesPerEU: 15
; Occupancy: 10
; WaveLimiterHint : 0
; COMPUTE_PGM_RSRC2:SCRATCH_EN: 0
; COMPUTE_PGM_RSRC2:USER_SGPR: 6
; COMPUTE_PGM_RSRC2:TRAP_HANDLER: 0
; COMPUTE_PGM_RSRC2:TGID_X_EN: 1
; COMPUTE_PGM_RSRC2:TGID_Y_EN: 0
; COMPUTE_PGM_RSRC2:TGID_Z_EN: 0
; COMPUTE_PGM_RSRC2:TIDIG_COMP_CNT: 0
	.section	.text._ZN2at6native29vectorized_elementwise_kernelILi4ENS0_13AUnaryFunctorIsssZZZNS0_18lshift_kernel_cudaERNS_18TensorIteratorBaseEENKUlvE_clEvENKUlvE3_clEvEUlssE_EESt5arrayIPcLm2EEEEviT0_T1_,"axG",@progbits,_ZN2at6native29vectorized_elementwise_kernelILi4ENS0_13AUnaryFunctorIsssZZZNS0_18lshift_kernel_cudaERNS_18TensorIteratorBaseEENKUlvE_clEvENKUlvE3_clEvEUlssE_EESt5arrayIPcLm2EEEEviT0_T1_,comdat
	.globl	_ZN2at6native29vectorized_elementwise_kernelILi4ENS0_13AUnaryFunctorIsssZZZNS0_18lshift_kernel_cudaERNS_18TensorIteratorBaseEENKUlvE_clEvENKUlvE3_clEvEUlssE_EESt5arrayIPcLm2EEEEviT0_T1_ ; -- Begin function _ZN2at6native29vectorized_elementwise_kernelILi4ENS0_13AUnaryFunctorIsssZZZNS0_18lshift_kernel_cudaERNS_18TensorIteratorBaseEENKUlvE_clEvENKUlvE3_clEvEUlssE_EESt5arrayIPcLm2EEEEviT0_T1_
	.p2align	8
	.type	_ZN2at6native29vectorized_elementwise_kernelILi4ENS0_13AUnaryFunctorIsssZZZNS0_18lshift_kernel_cudaERNS_18TensorIteratorBaseEENKUlvE_clEvENKUlvE3_clEvEUlssE_EESt5arrayIPcLm2EEEEviT0_T1_,@function
_ZN2at6native29vectorized_elementwise_kernelILi4ENS0_13AUnaryFunctorIsssZZZNS0_18lshift_kernel_cudaERNS_18TensorIteratorBaseEENKUlvE_clEvENKUlvE3_clEvEUlssE_EESt5arrayIPcLm2EEEEviT0_T1_: ; @_ZN2at6native29vectorized_elementwise_kernelILi4ENS0_13AUnaryFunctorIsssZZZNS0_18lshift_kernel_cudaERNS_18TensorIteratorBaseEENKUlvE_clEvENKUlvE3_clEvEUlssE_EESt5arrayIPcLm2EEEEviT0_T1_
; %bb.0:
	s_load_dwordx2 s[0:1], s[4:5], 0x0
	s_load_dwordx4 s[8:11], s[4:5], 0x8
	s_lshl_b32 s2, s6, 11
	s_waitcnt lgkmcnt(0)
	s_sub_i32 s6, s0, s2
	s_lshr_b32 s7, s1, 16
	s_cmpk_gt_i32 s6, 0x7ff
	s_mov_b64 s[0:1], -1
	s_cbranch_scc0 .LBB98_2
; %bb.1:
	s_ashr_i32 s3, s2, 31
	s_lshl_b64 s[0:1], s[2:3], 1
	s_add_u32 s4, s10, s0
	s_addc_u32 s5, s11, s1
	v_lshlrev_b32_e32 v5, 3, v0
	global_load_dwordx2 v[1:2], v5, s[4:5]
	global_load_dwordx2 v[3:4], v5, s[4:5] offset:2048
	s_mov_b32 s3, 0x100000
	s_mov_b32 s4, 0x5040100
	s_add_u32 s0, s8, s0
	s_addc_u32 s1, s9, s1
	s_waitcnt vmcnt(1)
	v_and_b32_e32 v6, 0xfff0, v1
	v_lshlrev_b32_e64 v7, v1, s7
	v_cmp_eq_u32_e32 vcc, 0, v6
	v_lshlrev_b32_sdwa v8, v1, s7 dst_sel:DWORD dst_unused:UNUSED_PAD src0_sel:WORD_1 src1_sel:DWORD
	v_and_b32_e32 v9, 0xfff0, v2
	v_cndmask_b32_e32 v6, 0, v7, vcc
	v_cmp_gt_u32_e32 vcc, s3, v1
	v_lshlrev_b32_e64 v10, v2, s7
	v_cndmask_b32_e32 v7, 0, v8, vcc
	v_cmp_eq_u32_e32 vcc, 0, v9
	v_lshlrev_b32_sdwa v11, v2, s7 dst_sel:DWORD dst_unused:UNUSED_PAD src0_sel:WORD_1 src1_sel:DWORD
	s_waitcnt vmcnt(0)
	v_and_b32_e32 v12, 0xfff0, v3
	v_cndmask_b32_e32 v8, 0, v10, vcc
	v_cmp_gt_u32_e32 vcc, s3, v2
	v_lshlrev_b32_e64 v13, v3, s7
	v_cndmask_b32_e32 v9, 0, v11, vcc
	v_cmp_eq_u32_e32 vcc, 0, v12
	v_lshlrev_b32_sdwa v14, v3, s7 dst_sel:DWORD dst_unused:UNUSED_PAD src0_sel:WORD_1 src1_sel:DWORD
	v_and_b32_e32 v15, 0xfff0, v4
	v_cndmask_b32_e32 v1, 0, v13, vcc
	v_cmp_gt_u32_e32 vcc, s3, v3
	v_lshlrev_b32_e64 v16, v4, s7
	v_cndmask_b32_e32 v3, 0, v14, vcc
	v_cmp_eq_u32_e32 vcc, 0, v15
	v_lshlrev_b32_sdwa v17, v4, s7 dst_sel:DWORD dst_unused:UNUSED_PAD src0_sel:WORD_1 src1_sel:DWORD
	v_cndmask_b32_e32 v2, 0, v16, vcc
	v_cmp_gt_u32_e32 vcc, s3, v4
	v_cndmask_b32_e32 v4, 0, v17, vcc
	v_perm_b32 v2, v4, v2, s4
	v_perm_b32 v1, v3, v1, s4
	;; [unrolled: 1-line block ×4, first 2 shown]
	global_store_dwordx2 v5, v[3:4], s[0:1]
	global_store_dwordx2 v5, v[1:2], s[0:1] offset:2048
	s_mov_b64 s[0:1], 0
.LBB98_2:
	s_andn2_b64 vcc, exec, s[0:1]
	s_cbranch_vccnz .LBB98_28
; %bb.3:
	v_cmp_gt_i32_e32 vcc, s6, v0
	v_mov_b32_e32 v3, 0
	v_or_b32_e32 v1, s2, v0
	v_mov_b32_e32 v2, 0
	v_mov_b32_e32 v4, v0
	s_and_saveexec_b64 s[4:5], vcc
	s_cbranch_execz .LBB98_5
; %bb.4:
	v_mov_b32_e32 v2, 0
	v_lshlrev_b64 v[4:5], 1, v[1:2]
	v_mov_b32_e32 v2, s11
	v_add_co_u32_e64 v4, s[0:1], s10, v4
	v_addc_co_u32_e64 v5, s[0:1], v2, v5, s[0:1]
	global_load_ushort v2, v[4:5], off
	v_or_b32_e32 v4, 0x100, v0
.LBB98_5:
	s_or_b64 exec, exec, s[4:5]
	v_cmp_gt_i32_e64 s[0:1], s6, v4
	s_and_saveexec_b64 s[4:5], s[0:1]
	s_cbranch_execz .LBB98_7
; %bb.6:
	v_add_u32_e32 v5, s2, v4
	v_mov_b32_e32 v6, 0
	v_lshlrev_b64 v[5:6], 1, v[5:6]
	v_mov_b32_e32 v3, s11
	v_add_co_u32_e64 v5, s[0:1], s10, v5
	v_addc_co_u32_e64 v6, s[0:1], v3, v6, s[0:1]
	global_load_ushort v3, v[5:6], off
	v_add_u32_e32 v4, 0x100, v4
.LBB98_7:
	s_or_b64 exec, exec, s[4:5]
	v_cmp_gt_i32_e64 s[0:1], s6, v4
	v_mov_b32_e32 v5, 0
	v_mov_b32_e32 v6, 0
	s_and_saveexec_b64 s[4:5], s[0:1]
	s_cbranch_execz .LBB98_9
; %bb.8:
	v_add_u32_e32 v6, s2, v4
	v_mov_b32_e32 v7, 0
	v_lshlrev_b64 v[6:7], 1, v[6:7]
	v_mov_b32_e32 v8, s11
	v_add_co_u32_e64 v6, s[0:1], s10, v6
	v_addc_co_u32_e64 v7, s[0:1], v8, v7, s[0:1]
	global_load_ushort v6, v[6:7], off
	v_add_u32_e32 v4, 0x100, v4
.LBB98_9:
	s_or_b64 exec, exec, s[4:5]
	v_cmp_gt_i32_e64 s[0:1], s6, v4
	s_and_saveexec_b64 s[4:5], s[0:1]
	s_cbranch_execz .LBB98_11
; %bb.10:
	v_add_u32_e32 v7, s2, v4
	v_mov_b32_e32 v8, 0
	v_lshlrev_b64 v[7:8], 1, v[7:8]
	v_mov_b32_e32 v5, s11
	v_add_co_u32_e64 v7, s[0:1], s10, v7
	v_addc_co_u32_e64 v8, s[0:1], v5, v8, s[0:1]
	global_load_ushort v5, v[7:8], off
	v_add_u32_e32 v4, 0x100, v4
.LBB98_11:
	s_or_b64 exec, exec, s[4:5]
	v_cmp_gt_i32_e64 s[0:1], s6, v4
	v_mov_b32_e32 v7, 0
	v_mov_b32_e32 v8, 0
	s_and_saveexec_b64 s[4:5], s[0:1]
	s_cbranch_execz .LBB98_13
; %bb.12:
	v_add_u32_e32 v8, s2, v4
	v_mov_b32_e32 v9, 0
	v_lshlrev_b64 v[8:9], 1, v[8:9]
	v_mov_b32_e32 v10, s11
	v_add_co_u32_e64 v8, s[0:1], s10, v8
	v_addc_co_u32_e64 v9, s[0:1], v10, v9, s[0:1]
	global_load_ushort v8, v[8:9], off
	v_add_u32_e32 v4, 0x100, v4
.LBB98_13:
	;; [unrolled: 30-line block ×3, first 2 shown]
	s_or_b64 exec, exec, s[4:5]
	v_cmp_gt_i32_e64 s[0:1], s6, v4
	s_and_saveexec_b64 s[4:5], s[0:1]
	s_cbranch_execz .LBB98_19
; %bb.18:
	v_add_u32_e32 v9, s2, v4
	v_mov_b32_e32 v10, 0
	v_lshlrev_b64 v[9:10], 1, v[9:10]
	v_mov_b32_e32 v4, s11
	v_add_co_u32_e64 v9, s[0:1], s10, v9
	v_addc_co_u32_e64 v10, s[0:1], v4, v10, s[0:1]
	global_load_ushort v9, v[9:10], off
.LBB98_19:
	s_or_b64 exec, exec, s[4:5]
	s_waitcnt vmcnt(0)
	v_lshlrev_b32_sdwa v4, v2, s7 dst_sel:DWORD dst_unused:UNUSED_PAD src0_sel:WORD_0 src1_sel:DWORD
	v_cmp_gt_u16_e64 s[0:1], 16, v2
	v_cndmask_b32_e64 v4, 0, v4, s[0:1]
	v_mov_b32_e32 v2, 0
	v_lshlrev_b32_sdwa v10, v3, s7 dst_sel:DWORD dst_unused:UNUSED_PAD src0_sel:WORD_0 src1_sel:DWORD
	v_cmp_gt_u16_e64 s[0:1], 16, v3
	v_cndmask_b32_sdwa v4, v2, v4, vcc dst_sel:DWORD dst_unused:UNUSED_PAD src0_sel:DWORD src1_sel:WORD_0
	v_or_b32_e32 v12, 0x100, v0
	v_cndmask_b32_e64 v3, 0, v10, s[0:1]
	s_mov_b32 s3, 0x5040100
	v_perm_b32 v3, v3, v4, s3
	v_cmp_gt_i32_e64 s[0:1], s6, v12
	v_cndmask_b32_e64 v10, v4, v3, s[0:1]
	v_lshlrev_b32_sdwa v4, v6, s7 dst_sel:DWORD dst_unused:UNUSED_PAD src0_sel:WORD_0 src1_sel:DWORD
	v_cmp_gt_u16_e64 s[0:1], 16, v6
	v_or_b32_e32 v3, 0x200, v0
	v_cndmask_b32_e64 v4, 0, v4, s[0:1]
	v_and_b32_e32 v4, 0xffff, v4
	v_cmp_gt_i32_e64 s[0:1], s6, v3
	v_cndmask_b32_e64 v3, 0, v4, s[0:1]
	v_lshlrev_b32_sdwa v6, v5, s7 dst_sel:DWORD dst_unused:UNUSED_PAD src0_sel:WORD_0 src1_sel:DWORD
	v_cmp_gt_u16_e64 s[0:1], 16, v5
	v_or_b32_e32 v4, 0x300, v0
	v_cndmask_b32_e64 v5, 0, v6, s[0:1]
	v_perm_b32 v5, v5, v3, s3
	v_cmp_gt_i32_e64 s[0:1], s6, v4
	v_cndmask_b32_e64 v5, v3, v5, s[0:1]
	v_lshlrev_b32_sdwa v4, v8, s7 dst_sel:DWORD dst_unused:UNUSED_PAD src0_sel:WORD_0 src1_sel:DWORD
	v_cmp_gt_u16_e64 s[0:1], 16, v8
	v_or_b32_e32 v3, 0x400, v0
	v_cndmask_b32_e64 v4, 0, v4, s[0:1]
	v_and_b32_e32 v4, 0xffff, v4
	v_cmp_gt_i32_e64 s[0:1], s6, v3
	v_cndmask_b32_e64 v3, 0, v4, s[0:1]
	v_lshlrev_b32_sdwa v6, v7, s7 dst_sel:DWORD dst_unused:UNUSED_PAD src0_sel:WORD_0 src1_sel:DWORD
	v_cmp_gt_u16_e64 s[0:1], 16, v7
	v_or_b32_e32 v4, 0x500, v0
	v_cndmask_b32_e64 v6, 0, v6, s[0:1]
	;; [unrolled: 14-line block ×3, first 2 shown]
	v_perm_b32 v7, v7, v3, s3
	v_cmp_gt_i32_e64 s[0:1], s6, v6
	v_cndmask_b32_e64 v3, v3, v7, s[0:1]
	s_and_saveexec_b64 s[0:1], vcc
	s_cbranch_execnz .LBB98_29
; %bb.20:
	s_or_b64 exec, exec, s[0:1]
	v_cmp_gt_i32_e32 vcc, s6, v0
	s_and_saveexec_b64 s[0:1], vcc
	s_cbranch_execnz .LBB98_30
.LBB98_21:
	s_or_b64 exec, exec, s[0:1]
	v_cmp_gt_i32_e32 vcc, s6, v0
	s_and_saveexec_b64 s[0:1], vcc
	s_cbranch_execnz .LBB98_31
.LBB98_22:
	s_or_b64 exec, exec, s[0:1]
	v_cmp_gt_i32_e32 vcc, s6, v0
	s_and_saveexec_b64 s[0:1], vcc
	s_cbranch_execnz .LBB98_32
.LBB98_23:
	s_or_b64 exec, exec, s[0:1]
	v_cmp_gt_i32_e32 vcc, s6, v0
	s_and_saveexec_b64 s[0:1], vcc
	s_cbranch_execnz .LBB98_33
.LBB98_24:
	s_or_b64 exec, exec, s[0:1]
	v_cmp_gt_i32_e32 vcc, s6, v0
	s_and_saveexec_b64 s[0:1], vcc
	s_cbranch_execnz .LBB98_34
.LBB98_25:
	s_or_b64 exec, exec, s[0:1]
	v_cmp_gt_i32_e32 vcc, s6, v0
	s_and_saveexec_b64 s[0:1], vcc
	s_cbranch_execnz .LBB98_35
.LBB98_26:
	s_or_b64 exec, exec, s[0:1]
	v_cmp_gt_i32_e32 vcc, s6, v0
	s_and_saveexec_b64 s[0:1], vcc
	s_cbranch_execz .LBB98_28
.LBB98_27:
	v_add_u32_e32 v0, s2, v0
	v_mov_b32_e32 v1, 0
	v_lshlrev_b64 v[0:1], 1, v[0:1]
	v_mov_b32_e32 v2, s9
	v_add_co_u32_e32 v0, vcc, s8, v0
	v_addc_co_u32_e32 v1, vcc, v2, v1, vcc
	global_store_short_d16_hi v[0:1], v3, off
.LBB98_28:
	s_endpgm
.LBB98_29:
	v_lshlrev_b64 v[0:1], 1, v[1:2]
	v_mov_b32_e32 v2, s9
	v_add_co_u32_e32 v0, vcc, s8, v0
	v_addc_co_u32_e32 v1, vcc, v2, v1, vcc
	global_store_short v[0:1], v10, off
	v_mov_b32_e32 v0, v12
	s_or_b64 exec, exec, s[0:1]
	v_cmp_gt_i32_e32 vcc, s6, v0
	s_and_saveexec_b64 s[0:1], vcc
	s_cbranch_execz .LBB98_21
.LBB98_30:
	v_add_u32_e32 v1, s2, v0
	v_mov_b32_e32 v2, 0
	v_lshlrev_b64 v[1:2], 1, v[1:2]
	v_mov_b32_e32 v6, s9
	v_add_co_u32_e32 v1, vcc, s8, v1
	v_addc_co_u32_e32 v2, vcc, v6, v2, vcc
	v_add_u32_e32 v0, 0x100, v0
	global_store_short_d16_hi v[1:2], v10, off
	s_or_b64 exec, exec, s[0:1]
	v_cmp_gt_i32_e32 vcc, s6, v0
	s_and_saveexec_b64 s[0:1], vcc
	s_cbranch_execz .LBB98_22
.LBB98_31:
	v_add_u32_e32 v1, s2, v0
	v_mov_b32_e32 v2, 0
	v_lshlrev_b64 v[1:2], 1, v[1:2]
	v_mov_b32_e32 v6, s9
	v_add_co_u32_e32 v1, vcc, s8, v1
	v_addc_co_u32_e32 v2, vcc, v6, v2, vcc
	v_add_u32_e32 v0, 0x100, v0
	global_store_short v[1:2], v5, off
	s_or_b64 exec, exec, s[0:1]
	v_cmp_gt_i32_e32 vcc, s6, v0
	s_and_saveexec_b64 s[0:1], vcc
	s_cbranch_execz .LBB98_23
.LBB98_32:
	v_add_u32_e32 v1, s2, v0
	v_mov_b32_e32 v2, 0
	v_lshlrev_b64 v[1:2], 1, v[1:2]
	v_mov_b32_e32 v6, s9
	v_add_co_u32_e32 v1, vcc, s8, v1
	v_addc_co_u32_e32 v2, vcc, v6, v2, vcc
	v_add_u32_e32 v0, 0x100, v0
	global_store_short_d16_hi v[1:2], v5, off
	s_or_b64 exec, exec, s[0:1]
	v_cmp_gt_i32_e32 vcc, s6, v0
	s_and_saveexec_b64 s[0:1], vcc
	s_cbranch_execz .LBB98_24
.LBB98_33:
	v_add_u32_e32 v1, s2, v0
	v_mov_b32_e32 v2, 0
	v_lshlrev_b64 v[1:2], 1, v[1:2]
	v_mov_b32_e32 v5, s9
	v_add_co_u32_e32 v1, vcc, s8, v1
	v_addc_co_u32_e32 v2, vcc, v5, v2, vcc
	v_add_u32_e32 v0, 0x100, v0
	global_store_short v[1:2], v4, off
	s_or_b64 exec, exec, s[0:1]
	v_cmp_gt_i32_e32 vcc, s6, v0
	s_and_saveexec_b64 s[0:1], vcc
	s_cbranch_execz .LBB98_25
.LBB98_34:
	v_add_u32_e32 v1, s2, v0
	v_mov_b32_e32 v2, 0
	v_lshlrev_b64 v[1:2], 1, v[1:2]
	v_mov_b32_e32 v5, s9
	v_add_co_u32_e32 v1, vcc, s8, v1
	v_addc_co_u32_e32 v2, vcc, v5, v2, vcc
	v_add_u32_e32 v0, 0x100, v0
	global_store_short_d16_hi v[1:2], v4, off
	s_or_b64 exec, exec, s[0:1]
	v_cmp_gt_i32_e32 vcc, s6, v0
	s_and_saveexec_b64 s[0:1], vcc
	s_cbranch_execz .LBB98_26
.LBB98_35:
	v_add_u32_e32 v1, s2, v0
	v_mov_b32_e32 v2, 0
	v_lshlrev_b64 v[1:2], 1, v[1:2]
	v_mov_b32_e32 v4, s9
	v_add_co_u32_e32 v1, vcc, s8, v1
	v_addc_co_u32_e32 v2, vcc, v4, v2, vcc
	v_add_u32_e32 v0, 0x100, v0
	global_store_short v[1:2], v3, off
	s_or_b64 exec, exec, s[0:1]
	v_cmp_gt_i32_e32 vcc, s6, v0
	s_and_saveexec_b64 s[0:1], vcc
	s_cbranch_execnz .LBB98_27
	s_branch .LBB98_28
	.section	.rodata,"a",@progbits
	.p2align	6, 0x0
	.amdhsa_kernel _ZN2at6native29vectorized_elementwise_kernelILi4ENS0_13AUnaryFunctorIsssZZZNS0_18lshift_kernel_cudaERNS_18TensorIteratorBaseEENKUlvE_clEvENKUlvE3_clEvEUlssE_EESt5arrayIPcLm2EEEEviT0_T1_
		.amdhsa_group_segment_fixed_size 0
		.amdhsa_private_segment_fixed_size 0
		.amdhsa_kernarg_size 24
		.amdhsa_user_sgpr_count 6
		.amdhsa_user_sgpr_private_segment_buffer 1
		.amdhsa_user_sgpr_dispatch_ptr 0
		.amdhsa_user_sgpr_queue_ptr 0
		.amdhsa_user_sgpr_kernarg_segment_ptr 1
		.amdhsa_user_sgpr_dispatch_id 0
		.amdhsa_user_sgpr_flat_scratch_init 0
		.amdhsa_user_sgpr_private_segment_size 0
		.amdhsa_uses_dynamic_stack 0
		.amdhsa_system_sgpr_private_segment_wavefront_offset 0
		.amdhsa_system_sgpr_workgroup_id_x 1
		.amdhsa_system_sgpr_workgroup_id_y 0
		.amdhsa_system_sgpr_workgroup_id_z 0
		.amdhsa_system_sgpr_workgroup_info 0
		.amdhsa_system_vgpr_workitem_id 0
		.amdhsa_next_free_vgpr 18
		.amdhsa_next_free_sgpr 12
		.amdhsa_reserve_vcc 1
		.amdhsa_reserve_flat_scratch 0
		.amdhsa_float_round_mode_32 0
		.amdhsa_float_round_mode_16_64 0
		.amdhsa_float_denorm_mode_32 3
		.amdhsa_float_denorm_mode_16_64 3
		.amdhsa_dx10_clamp 1
		.amdhsa_ieee_mode 1
		.amdhsa_fp16_overflow 0
		.amdhsa_exception_fp_ieee_invalid_op 0
		.amdhsa_exception_fp_denorm_src 0
		.amdhsa_exception_fp_ieee_div_zero 0
		.amdhsa_exception_fp_ieee_overflow 0
		.amdhsa_exception_fp_ieee_underflow 0
		.amdhsa_exception_fp_ieee_inexact 0
		.amdhsa_exception_int_div_zero 0
	.end_amdhsa_kernel
	.section	.text._ZN2at6native29vectorized_elementwise_kernelILi4ENS0_13AUnaryFunctorIsssZZZNS0_18lshift_kernel_cudaERNS_18TensorIteratorBaseEENKUlvE_clEvENKUlvE3_clEvEUlssE_EESt5arrayIPcLm2EEEEviT0_T1_,"axG",@progbits,_ZN2at6native29vectorized_elementwise_kernelILi4ENS0_13AUnaryFunctorIsssZZZNS0_18lshift_kernel_cudaERNS_18TensorIteratorBaseEENKUlvE_clEvENKUlvE3_clEvEUlssE_EESt5arrayIPcLm2EEEEviT0_T1_,comdat
.Lfunc_end98:
	.size	_ZN2at6native29vectorized_elementwise_kernelILi4ENS0_13AUnaryFunctorIsssZZZNS0_18lshift_kernel_cudaERNS_18TensorIteratorBaseEENKUlvE_clEvENKUlvE3_clEvEUlssE_EESt5arrayIPcLm2EEEEviT0_T1_, .Lfunc_end98-_ZN2at6native29vectorized_elementwise_kernelILi4ENS0_13AUnaryFunctorIsssZZZNS0_18lshift_kernel_cudaERNS_18TensorIteratorBaseEENKUlvE_clEvENKUlvE3_clEvEUlssE_EESt5arrayIPcLm2EEEEviT0_T1_
                                        ; -- End function
	.set _ZN2at6native29vectorized_elementwise_kernelILi4ENS0_13AUnaryFunctorIsssZZZNS0_18lshift_kernel_cudaERNS_18TensorIteratorBaseEENKUlvE_clEvENKUlvE3_clEvEUlssE_EESt5arrayIPcLm2EEEEviT0_T1_.num_vgpr, 18
	.set _ZN2at6native29vectorized_elementwise_kernelILi4ENS0_13AUnaryFunctorIsssZZZNS0_18lshift_kernel_cudaERNS_18TensorIteratorBaseEENKUlvE_clEvENKUlvE3_clEvEUlssE_EESt5arrayIPcLm2EEEEviT0_T1_.num_agpr, 0
	.set _ZN2at6native29vectorized_elementwise_kernelILi4ENS0_13AUnaryFunctorIsssZZZNS0_18lshift_kernel_cudaERNS_18TensorIteratorBaseEENKUlvE_clEvENKUlvE3_clEvEUlssE_EESt5arrayIPcLm2EEEEviT0_T1_.numbered_sgpr, 12
	.set _ZN2at6native29vectorized_elementwise_kernelILi4ENS0_13AUnaryFunctorIsssZZZNS0_18lshift_kernel_cudaERNS_18TensorIteratorBaseEENKUlvE_clEvENKUlvE3_clEvEUlssE_EESt5arrayIPcLm2EEEEviT0_T1_.num_named_barrier, 0
	.set _ZN2at6native29vectorized_elementwise_kernelILi4ENS0_13AUnaryFunctorIsssZZZNS0_18lshift_kernel_cudaERNS_18TensorIteratorBaseEENKUlvE_clEvENKUlvE3_clEvEUlssE_EESt5arrayIPcLm2EEEEviT0_T1_.private_seg_size, 0
	.set _ZN2at6native29vectorized_elementwise_kernelILi4ENS0_13AUnaryFunctorIsssZZZNS0_18lshift_kernel_cudaERNS_18TensorIteratorBaseEENKUlvE_clEvENKUlvE3_clEvEUlssE_EESt5arrayIPcLm2EEEEviT0_T1_.uses_vcc, 1
	.set _ZN2at6native29vectorized_elementwise_kernelILi4ENS0_13AUnaryFunctorIsssZZZNS0_18lshift_kernel_cudaERNS_18TensorIteratorBaseEENKUlvE_clEvENKUlvE3_clEvEUlssE_EESt5arrayIPcLm2EEEEviT0_T1_.uses_flat_scratch, 0
	.set _ZN2at6native29vectorized_elementwise_kernelILi4ENS0_13AUnaryFunctorIsssZZZNS0_18lshift_kernel_cudaERNS_18TensorIteratorBaseEENKUlvE_clEvENKUlvE3_clEvEUlssE_EESt5arrayIPcLm2EEEEviT0_T1_.has_dyn_sized_stack, 0
	.set _ZN2at6native29vectorized_elementwise_kernelILi4ENS0_13AUnaryFunctorIsssZZZNS0_18lshift_kernel_cudaERNS_18TensorIteratorBaseEENKUlvE_clEvENKUlvE3_clEvEUlssE_EESt5arrayIPcLm2EEEEviT0_T1_.has_recursion, 0
	.set _ZN2at6native29vectorized_elementwise_kernelILi4ENS0_13AUnaryFunctorIsssZZZNS0_18lshift_kernel_cudaERNS_18TensorIteratorBaseEENKUlvE_clEvENKUlvE3_clEvEUlssE_EESt5arrayIPcLm2EEEEviT0_T1_.has_indirect_call, 0
	.section	.AMDGPU.csdata,"",@progbits
; Kernel info:
; codeLenInByte = 1944
; TotalNumSgprs: 16
; NumVgprs: 18
; ScratchSize: 0
; MemoryBound: 0
; FloatMode: 240
; IeeeMode: 1
; LDSByteSize: 0 bytes/workgroup (compile time only)
; SGPRBlocks: 1
; VGPRBlocks: 4
; NumSGPRsForWavesPerEU: 16
; NumVGPRsForWavesPerEU: 18
; Occupancy: 10
; WaveLimiterHint : 1
; COMPUTE_PGM_RSRC2:SCRATCH_EN: 0
; COMPUTE_PGM_RSRC2:USER_SGPR: 6
; COMPUTE_PGM_RSRC2:TRAP_HANDLER: 0
; COMPUTE_PGM_RSRC2:TGID_X_EN: 1
; COMPUTE_PGM_RSRC2:TGID_Y_EN: 0
; COMPUTE_PGM_RSRC2:TGID_Z_EN: 0
; COMPUTE_PGM_RSRC2:TIDIG_COMP_CNT: 0
	.section	.text._ZN2at6native29vectorized_elementwise_kernelILi2ENS0_13AUnaryFunctorIsssZZZNS0_18lshift_kernel_cudaERNS_18TensorIteratorBaseEENKUlvE_clEvENKUlvE3_clEvEUlssE_EESt5arrayIPcLm2EEEEviT0_T1_,"axG",@progbits,_ZN2at6native29vectorized_elementwise_kernelILi2ENS0_13AUnaryFunctorIsssZZZNS0_18lshift_kernel_cudaERNS_18TensorIteratorBaseEENKUlvE_clEvENKUlvE3_clEvEUlssE_EESt5arrayIPcLm2EEEEviT0_T1_,comdat
	.globl	_ZN2at6native29vectorized_elementwise_kernelILi2ENS0_13AUnaryFunctorIsssZZZNS0_18lshift_kernel_cudaERNS_18TensorIteratorBaseEENKUlvE_clEvENKUlvE3_clEvEUlssE_EESt5arrayIPcLm2EEEEviT0_T1_ ; -- Begin function _ZN2at6native29vectorized_elementwise_kernelILi2ENS0_13AUnaryFunctorIsssZZZNS0_18lshift_kernel_cudaERNS_18TensorIteratorBaseEENKUlvE_clEvENKUlvE3_clEvEUlssE_EESt5arrayIPcLm2EEEEviT0_T1_
	.p2align	8
	.type	_ZN2at6native29vectorized_elementwise_kernelILi2ENS0_13AUnaryFunctorIsssZZZNS0_18lshift_kernel_cudaERNS_18TensorIteratorBaseEENKUlvE_clEvENKUlvE3_clEvEUlssE_EESt5arrayIPcLm2EEEEviT0_T1_,@function
_ZN2at6native29vectorized_elementwise_kernelILi2ENS0_13AUnaryFunctorIsssZZZNS0_18lshift_kernel_cudaERNS_18TensorIteratorBaseEENKUlvE_clEvENKUlvE3_clEvEUlssE_EESt5arrayIPcLm2EEEEviT0_T1_: ; @_ZN2at6native29vectorized_elementwise_kernelILi2ENS0_13AUnaryFunctorIsssZZZNS0_18lshift_kernel_cudaERNS_18TensorIteratorBaseEENKUlvE_clEvENKUlvE3_clEvEUlssE_EESt5arrayIPcLm2EEEEviT0_T1_
; %bb.0:
	s_load_dwordx2 s[0:1], s[4:5], 0x0
	s_load_dwordx4 s[8:11], s[4:5], 0x8
	s_lshl_b32 s2, s6, 11
	s_waitcnt lgkmcnt(0)
	s_sub_i32 s6, s0, s2
	s_lshr_b32 s7, s1, 16
	s_cmpk_gt_i32 s6, 0x7ff
	s_mov_b64 s[0:1], -1
	s_cbranch_scc0 .LBB99_2
; %bb.1:
	s_ashr_i32 s3, s2, 31
	s_lshl_b64 s[0:1], s[2:3], 1
	s_add_u32 s4, s10, s0
	s_addc_u32 s5, s11, s1
	v_lshlrev_b32_e32 v1, 2, v0
	global_load_dword v2, v1, s[4:5]
	global_load_dword v3, v1, s[4:5] offset:1024
	global_load_dword v4, v1, s[4:5] offset:2048
	;; [unrolled: 1-line block ×3, first 2 shown]
	s_mov_b32 s3, 0x100000
	s_mov_b32 s4, 0x5040100
	s_add_u32 s0, s8, s0
	s_addc_u32 s1, s9, s1
	s_waitcnt vmcnt(3)
	v_and_b32_e32 v6, 0xfff0, v2
	v_lshlrev_b32_e64 v7, v2, s7
	v_cmp_eq_u32_e32 vcc, 0, v6
	v_lshlrev_b32_sdwa v8, v2, s7 dst_sel:DWORD dst_unused:UNUSED_PAD src0_sel:WORD_1 src1_sel:DWORD
	s_waitcnt vmcnt(2)
	v_and_b32_e32 v9, 0xfff0, v3
	v_cndmask_b32_e32 v6, 0, v7, vcc
	v_cmp_gt_u32_e32 vcc, s3, v2
	v_lshlrev_b32_e64 v10, v3, s7
	v_cndmask_b32_e32 v2, 0, v8, vcc
	v_cmp_eq_u32_e32 vcc, 0, v9
	v_lshlrev_b32_sdwa v11, v3, s7 dst_sel:DWORD dst_unused:UNUSED_PAD src0_sel:WORD_1 src1_sel:DWORD
	s_waitcnt vmcnt(1)
	v_and_b32_e32 v12, 0xfff0, v4
	v_cndmask_b32_e32 v7, 0, v10, vcc
	v_cmp_gt_u32_e32 vcc, s3, v3
	v_lshlrev_b32_e64 v13, v4, s7
	v_cndmask_b32_e32 v3, 0, v11, vcc
	;; [unrolled: 8-line block ×3, first 2 shown]
	v_cmp_eq_u32_e32 vcc, 0, v15
	v_lshlrev_b32_sdwa v17, v5, s7 dst_sel:DWORD dst_unused:UNUSED_PAD src0_sel:WORD_1 src1_sel:DWORD
	v_cndmask_b32_e32 v9, 0, v16, vcc
	v_cmp_gt_u32_e32 vcc, s3, v5
	v_cndmask_b32_e32 v5, 0, v17, vcc
	v_perm_b32 v2, v2, v6, s4
	v_perm_b32 v5, v5, v9, s4
	;; [unrolled: 1-line block ×4, first 2 shown]
	global_store_dword v1, v2, s[0:1]
	global_store_dword v1, v3, s[0:1] offset:1024
	global_store_dword v1, v4, s[0:1] offset:2048
	;; [unrolled: 1-line block ×3, first 2 shown]
	s_mov_b64 s[0:1], 0
.LBB99_2:
	s_andn2_b64 vcc, exec, s[0:1]
	s_cbranch_vccnz .LBB99_28
; %bb.3:
	v_cmp_gt_i32_e32 vcc, s6, v0
	v_mov_b32_e32 v3, 0
	v_or_b32_e32 v1, s2, v0
	v_mov_b32_e32 v2, 0
	v_mov_b32_e32 v4, v0
	s_and_saveexec_b64 s[4:5], vcc
	s_cbranch_execz .LBB99_5
; %bb.4:
	v_mov_b32_e32 v2, 0
	v_lshlrev_b64 v[4:5], 1, v[1:2]
	v_mov_b32_e32 v2, s11
	v_add_co_u32_e64 v4, s[0:1], s10, v4
	v_addc_co_u32_e64 v5, s[0:1], v2, v5, s[0:1]
	global_load_ushort v2, v[4:5], off
	v_or_b32_e32 v4, 0x100, v0
.LBB99_5:
	s_or_b64 exec, exec, s[4:5]
	v_cmp_gt_i32_e64 s[0:1], s6, v4
	s_and_saveexec_b64 s[4:5], s[0:1]
	s_cbranch_execz .LBB99_7
; %bb.6:
	v_add_u32_e32 v5, s2, v4
	v_mov_b32_e32 v6, 0
	v_lshlrev_b64 v[5:6], 1, v[5:6]
	v_mov_b32_e32 v3, s11
	v_add_co_u32_e64 v5, s[0:1], s10, v5
	v_addc_co_u32_e64 v6, s[0:1], v3, v6, s[0:1]
	global_load_ushort v3, v[5:6], off
	v_add_u32_e32 v4, 0x100, v4
.LBB99_7:
	s_or_b64 exec, exec, s[4:5]
	v_cmp_gt_i32_e64 s[0:1], s6, v4
	v_mov_b32_e32 v5, 0
	v_mov_b32_e32 v6, 0
	s_and_saveexec_b64 s[4:5], s[0:1]
	s_cbranch_execz .LBB99_9
; %bb.8:
	v_add_u32_e32 v6, s2, v4
	v_mov_b32_e32 v7, 0
	v_lshlrev_b64 v[6:7], 1, v[6:7]
	v_mov_b32_e32 v8, s11
	v_add_co_u32_e64 v6, s[0:1], s10, v6
	v_addc_co_u32_e64 v7, s[0:1], v8, v7, s[0:1]
	global_load_ushort v6, v[6:7], off
	v_add_u32_e32 v4, 0x100, v4
.LBB99_9:
	s_or_b64 exec, exec, s[4:5]
	v_cmp_gt_i32_e64 s[0:1], s6, v4
	s_and_saveexec_b64 s[4:5], s[0:1]
	s_cbranch_execz .LBB99_11
; %bb.10:
	v_add_u32_e32 v7, s2, v4
	v_mov_b32_e32 v8, 0
	v_lshlrev_b64 v[7:8], 1, v[7:8]
	v_mov_b32_e32 v5, s11
	v_add_co_u32_e64 v7, s[0:1], s10, v7
	v_addc_co_u32_e64 v8, s[0:1], v5, v8, s[0:1]
	global_load_ushort v5, v[7:8], off
	v_add_u32_e32 v4, 0x100, v4
.LBB99_11:
	s_or_b64 exec, exec, s[4:5]
	v_cmp_gt_i32_e64 s[0:1], s6, v4
	v_mov_b32_e32 v7, 0
	v_mov_b32_e32 v8, 0
	s_and_saveexec_b64 s[4:5], s[0:1]
	s_cbranch_execz .LBB99_13
; %bb.12:
	v_add_u32_e32 v8, s2, v4
	v_mov_b32_e32 v9, 0
	v_lshlrev_b64 v[8:9], 1, v[8:9]
	v_mov_b32_e32 v10, s11
	v_add_co_u32_e64 v8, s[0:1], s10, v8
	v_addc_co_u32_e64 v9, s[0:1], v10, v9, s[0:1]
	global_load_ushort v8, v[8:9], off
	v_add_u32_e32 v4, 0x100, v4
.LBB99_13:
	s_or_b64 exec, exec, s[4:5]
	v_cmp_gt_i32_e64 s[0:1], s6, v4
	s_and_saveexec_b64 s[4:5], s[0:1]
	s_cbranch_execz .LBB99_15
; %bb.14:
	v_add_u32_e32 v9, s2, v4
	v_mov_b32_e32 v10, 0
	v_lshlrev_b64 v[9:10], 1, v[9:10]
	v_mov_b32_e32 v7, s11
	v_add_co_u32_e64 v9, s[0:1], s10, v9
	v_addc_co_u32_e64 v10, s[0:1], v7, v10, s[0:1]
	global_load_ushort v7, v[9:10], off
	v_add_u32_e32 v4, 0x100, v4
.LBB99_15:
	s_or_b64 exec, exec, s[4:5]
	v_cmp_gt_i32_e64 s[0:1], s6, v4
	v_mov_b32_e32 v9, 0
	v_mov_b32_e32 v11, 0
	s_and_saveexec_b64 s[4:5], s[0:1]
	s_cbranch_execz .LBB99_17
; %bb.16:
	v_add_u32_e32 v10, s2, v4
	v_mov_b32_e32 v11, 0
	v_lshlrev_b64 v[10:11], 1, v[10:11]
	v_mov_b32_e32 v12, s11
	v_add_co_u32_e64 v10, s[0:1], s10, v10
	v_addc_co_u32_e64 v11, s[0:1], v12, v11, s[0:1]
	global_load_ushort v11, v[10:11], off
	v_add_u32_e32 v4, 0x100, v4
.LBB99_17:
	s_or_b64 exec, exec, s[4:5]
	v_cmp_gt_i32_e64 s[0:1], s6, v4
	s_and_saveexec_b64 s[4:5], s[0:1]
	s_cbranch_execz .LBB99_19
; %bb.18:
	v_add_u32_e32 v9, s2, v4
	v_mov_b32_e32 v10, 0
	v_lshlrev_b64 v[9:10], 1, v[9:10]
	v_mov_b32_e32 v4, s11
	v_add_co_u32_e64 v9, s[0:1], s10, v9
	v_addc_co_u32_e64 v10, s[0:1], v4, v10, s[0:1]
	global_load_ushort v9, v[9:10], off
.LBB99_19:
	s_or_b64 exec, exec, s[4:5]
	s_waitcnt vmcnt(0)
	v_lshlrev_b32_sdwa v4, v2, s7 dst_sel:DWORD dst_unused:UNUSED_PAD src0_sel:WORD_0 src1_sel:DWORD
	v_cmp_gt_u16_e64 s[0:1], 16, v2
	v_cndmask_b32_e64 v4, 0, v4, s[0:1]
	v_mov_b32_e32 v2, 0
	v_lshlrev_b32_sdwa v10, v3, s7 dst_sel:DWORD dst_unused:UNUSED_PAD src0_sel:WORD_0 src1_sel:DWORD
	v_cmp_gt_u16_e64 s[0:1], 16, v3
	v_cndmask_b32_sdwa v4, v2, v4, vcc dst_sel:DWORD dst_unused:UNUSED_PAD src0_sel:DWORD src1_sel:WORD_0
	v_or_b32_e32 v12, 0x100, v0
	v_cndmask_b32_e64 v3, 0, v10, s[0:1]
	s_mov_b32 s3, 0x5040100
	v_perm_b32 v3, v3, v4, s3
	v_cmp_gt_i32_e64 s[0:1], s6, v12
	v_cndmask_b32_e64 v10, v4, v3, s[0:1]
	v_lshlrev_b32_sdwa v4, v6, s7 dst_sel:DWORD dst_unused:UNUSED_PAD src0_sel:WORD_0 src1_sel:DWORD
	v_cmp_gt_u16_e64 s[0:1], 16, v6
	v_or_b32_e32 v3, 0x200, v0
	v_cndmask_b32_e64 v4, 0, v4, s[0:1]
	v_and_b32_e32 v4, 0xffff, v4
	v_cmp_gt_i32_e64 s[0:1], s6, v3
	v_cndmask_b32_e64 v3, 0, v4, s[0:1]
	v_lshlrev_b32_sdwa v6, v5, s7 dst_sel:DWORD dst_unused:UNUSED_PAD src0_sel:WORD_0 src1_sel:DWORD
	v_cmp_gt_u16_e64 s[0:1], 16, v5
	v_or_b32_e32 v4, 0x300, v0
	v_cndmask_b32_e64 v5, 0, v6, s[0:1]
	v_perm_b32 v5, v5, v3, s3
	v_cmp_gt_i32_e64 s[0:1], s6, v4
	v_cndmask_b32_e64 v5, v3, v5, s[0:1]
	v_lshlrev_b32_sdwa v4, v8, s7 dst_sel:DWORD dst_unused:UNUSED_PAD src0_sel:WORD_0 src1_sel:DWORD
	v_cmp_gt_u16_e64 s[0:1], 16, v8
	v_or_b32_e32 v3, 0x400, v0
	v_cndmask_b32_e64 v4, 0, v4, s[0:1]
	v_and_b32_e32 v4, 0xffff, v4
	v_cmp_gt_i32_e64 s[0:1], s6, v3
	v_cndmask_b32_e64 v3, 0, v4, s[0:1]
	v_lshlrev_b32_sdwa v6, v7, s7 dst_sel:DWORD dst_unused:UNUSED_PAD src0_sel:WORD_0 src1_sel:DWORD
	v_cmp_gt_u16_e64 s[0:1], 16, v7
	v_or_b32_e32 v4, 0x500, v0
	v_cndmask_b32_e64 v6, 0, v6, s[0:1]
	;; [unrolled: 14-line block ×3, first 2 shown]
	v_perm_b32 v7, v7, v3, s3
	v_cmp_gt_i32_e64 s[0:1], s6, v6
	v_cndmask_b32_e64 v3, v3, v7, s[0:1]
	s_and_saveexec_b64 s[0:1], vcc
	s_cbranch_execnz .LBB99_29
; %bb.20:
	s_or_b64 exec, exec, s[0:1]
	v_cmp_gt_i32_e32 vcc, s6, v0
	s_and_saveexec_b64 s[0:1], vcc
	s_cbranch_execnz .LBB99_30
.LBB99_21:
	s_or_b64 exec, exec, s[0:1]
	v_cmp_gt_i32_e32 vcc, s6, v0
	s_and_saveexec_b64 s[0:1], vcc
	s_cbranch_execnz .LBB99_31
.LBB99_22:
	s_or_b64 exec, exec, s[0:1]
	v_cmp_gt_i32_e32 vcc, s6, v0
	s_and_saveexec_b64 s[0:1], vcc
	s_cbranch_execnz .LBB99_32
.LBB99_23:
	s_or_b64 exec, exec, s[0:1]
	v_cmp_gt_i32_e32 vcc, s6, v0
	s_and_saveexec_b64 s[0:1], vcc
	s_cbranch_execnz .LBB99_33
.LBB99_24:
	s_or_b64 exec, exec, s[0:1]
	v_cmp_gt_i32_e32 vcc, s6, v0
	s_and_saveexec_b64 s[0:1], vcc
	s_cbranch_execnz .LBB99_34
.LBB99_25:
	s_or_b64 exec, exec, s[0:1]
	v_cmp_gt_i32_e32 vcc, s6, v0
	s_and_saveexec_b64 s[0:1], vcc
	s_cbranch_execnz .LBB99_35
.LBB99_26:
	s_or_b64 exec, exec, s[0:1]
	v_cmp_gt_i32_e32 vcc, s6, v0
	s_and_saveexec_b64 s[0:1], vcc
	s_cbranch_execz .LBB99_28
.LBB99_27:
	v_add_u32_e32 v0, s2, v0
	v_mov_b32_e32 v1, 0
	v_lshlrev_b64 v[0:1], 1, v[0:1]
	v_mov_b32_e32 v2, s9
	v_add_co_u32_e32 v0, vcc, s8, v0
	v_addc_co_u32_e32 v1, vcc, v2, v1, vcc
	global_store_short_d16_hi v[0:1], v3, off
.LBB99_28:
	s_endpgm
.LBB99_29:
	v_lshlrev_b64 v[0:1], 1, v[1:2]
	v_mov_b32_e32 v2, s9
	v_add_co_u32_e32 v0, vcc, s8, v0
	v_addc_co_u32_e32 v1, vcc, v2, v1, vcc
	global_store_short v[0:1], v10, off
	v_mov_b32_e32 v0, v12
	s_or_b64 exec, exec, s[0:1]
	v_cmp_gt_i32_e32 vcc, s6, v0
	s_and_saveexec_b64 s[0:1], vcc
	s_cbranch_execz .LBB99_21
.LBB99_30:
	v_add_u32_e32 v1, s2, v0
	v_mov_b32_e32 v2, 0
	v_lshlrev_b64 v[1:2], 1, v[1:2]
	v_mov_b32_e32 v6, s9
	v_add_co_u32_e32 v1, vcc, s8, v1
	v_addc_co_u32_e32 v2, vcc, v6, v2, vcc
	v_add_u32_e32 v0, 0x100, v0
	global_store_short_d16_hi v[1:2], v10, off
	s_or_b64 exec, exec, s[0:1]
	v_cmp_gt_i32_e32 vcc, s6, v0
	s_and_saveexec_b64 s[0:1], vcc
	s_cbranch_execz .LBB99_22
.LBB99_31:
	v_add_u32_e32 v1, s2, v0
	v_mov_b32_e32 v2, 0
	v_lshlrev_b64 v[1:2], 1, v[1:2]
	v_mov_b32_e32 v6, s9
	v_add_co_u32_e32 v1, vcc, s8, v1
	v_addc_co_u32_e32 v2, vcc, v6, v2, vcc
	v_add_u32_e32 v0, 0x100, v0
	global_store_short v[1:2], v5, off
	s_or_b64 exec, exec, s[0:1]
	v_cmp_gt_i32_e32 vcc, s6, v0
	s_and_saveexec_b64 s[0:1], vcc
	s_cbranch_execz .LBB99_23
.LBB99_32:
	v_add_u32_e32 v1, s2, v0
	v_mov_b32_e32 v2, 0
	v_lshlrev_b64 v[1:2], 1, v[1:2]
	v_mov_b32_e32 v6, s9
	v_add_co_u32_e32 v1, vcc, s8, v1
	v_addc_co_u32_e32 v2, vcc, v6, v2, vcc
	v_add_u32_e32 v0, 0x100, v0
	global_store_short_d16_hi v[1:2], v5, off
	s_or_b64 exec, exec, s[0:1]
	v_cmp_gt_i32_e32 vcc, s6, v0
	s_and_saveexec_b64 s[0:1], vcc
	s_cbranch_execz .LBB99_24
.LBB99_33:
	v_add_u32_e32 v1, s2, v0
	v_mov_b32_e32 v2, 0
	v_lshlrev_b64 v[1:2], 1, v[1:2]
	v_mov_b32_e32 v5, s9
	v_add_co_u32_e32 v1, vcc, s8, v1
	v_addc_co_u32_e32 v2, vcc, v5, v2, vcc
	v_add_u32_e32 v0, 0x100, v0
	global_store_short v[1:2], v4, off
	s_or_b64 exec, exec, s[0:1]
	v_cmp_gt_i32_e32 vcc, s6, v0
	s_and_saveexec_b64 s[0:1], vcc
	s_cbranch_execz .LBB99_25
.LBB99_34:
	v_add_u32_e32 v1, s2, v0
	v_mov_b32_e32 v2, 0
	v_lshlrev_b64 v[1:2], 1, v[1:2]
	v_mov_b32_e32 v5, s9
	v_add_co_u32_e32 v1, vcc, s8, v1
	v_addc_co_u32_e32 v2, vcc, v5, v2, vcc
	v_add_u32_e32 v0, 0x100, v0
	global_store_short_d16_hi v[1:2], v4, off
	s_or_b64 exec, exec, s[0:1]
	v_cmp_gt_i32_e32 vcc, s6, v0
	s_and_saveexec_b64 s[0:1], vcc
	s_cbranch_execz .LBB99_26
.LBB99_35:
	v_add_u32_e32 v1, s2, v0
	v_mov_b32_e32 v2, 0
	v_lshlrev_b64 v[1:2], 1, v[1:2]
	v_mov_b32_e32 v4, s9
	v_add_co_u32_e32 v1, vcc, s8, v1
	v_addc_co_u32_e32 v2, vcc, v4, v2, vcc
	v_add_u32_e32 v0, 0x100, v0
	global_store_short v[1:2], v3, off
	s_or_b64 exec, exec, s[0:1]
	v_cmp_gt_i32_e32 vcc, s6, v0
	s_and_saveexec_b64 s[0:1], vcc
	s_cbranch_execnz .LBB99_27
	s_branch .LBB99_28
	.section	.rodata,"a",@progbits
	.p2align	6, 0x0
	.amdhsa_kernel _ZN2at6native29vectorized_elementwise_kernelILi2ENS0_13AUnaryFunctorIsssZZZNS0_18lshift_kernel_cudaERNS_18TensorIteratorBaseEENKUlvE_clEvENKUlvE3_clEvEUlssE_EESt5arrayIPcLm2EEEEviT0_T1_
		.amdhsa_group_segment_fixed_size 0
		.amdhsa_private_segment_fixed_size 0
		.amdhsa_kernarg_size 24
		.amdhsa_user_sgpr_count 6
		.amdhsa_user_sgpr_private_segment_buffer 1
		.amdhsa_user_sgpr_dispatch_ptr 0
		.amdhsa_user_sgpr_queue_ptr 0
		.amdhsa_user_sgpr_kernarg_segment_ptr 1
		.amdhsa_user_sgpr_dispatch_id 0
		.amdhsa_user_sgpr_flat_scratch_init 0
		.amdhsa_user_sgpr_private_segment_size 0
		.amdhsa_uses_dynamic_stack 0
		.amdhsa_system_sgpr_private_segment_wavefront_offset 0
		.amdhsa_system_sgpr_workgroup_id_x 1
		.amdhsa_system_sgpr_workgroup_id_y 0
		.amdhsa_system_sgpr_workgroup_id_z 0
		.amdhsa_system_sgpr_workgroup_info 0
		.amdhsa_system_vgpr_workitem_id 0
		.amdhsa_next_free_vgpr 18
		.amdhsa_next_free_sgpr 12
		.amdhsa_reserve_vcc 1
		.amdhsa_reserve_flat_scratch 0
		.amdhsa_float_round_mode_32 0
		.amdhsa_float_round_mode_16_64 0
		.amdhsa_float_denorm_mode_32 3
		.amdhsa_float_denorm_mode_16_64 3
		.amdhsa_dx10_clamp 1
		.amdhsa_ieee_mode 1
		.amdhsa_fp16_overflow 0
		.amdhsa_exception_fp_ieee_invalid_op 0
		.amdhsa_exception_fp_denorm_src 0
		.amdhsa_exception_fp_ieee_div_zero 0
		.amdhsa_exception_fp_ieee_overflow 0
		.amdhsa_exception_fp_ieee_underflow 0
		.amdhsa_exception_fp_ieee_inexact 0
		.amdhsa_exception_int_div_zero 0
	.end_amdhsa_kernel
	.section	.text._ZN2at6native29vectorized_elementwise_kernelILi2ENS0_13AUnaryFunctorIsssZZZNS0_18lshift_kernel_cudaERNS_18TensorIteratorBaseEENKUlvE_clEvENKUlvE3_clEvEUlssE_EESt5arrayIPcLm2EEEEviT0_T1_,"axG",@progbits,_ZN2at6native29vectorized_elementwise_kernelILi2ENS0_13AUnaryFunctorIsssZZZNS0_18lshift_kernel_cudaERNS_18TensorIteratorBaseEENKUlvE_clEvENKUlvE3_clEvEUlssE_EESt5arrayIPcLm2EEEEviT0_T1_,comdat
.Lfunc_end99:
	.size	_ZN2at6native29vectorized_elementwise_kernelILi2ENS0_13AUnaryFunctorIsssZZZNS0_18lshift_kernel_cudaERNS_18TensorIteratorBaseEENKUlvE_clEvENKUlvE3_clEvEUlssE_EESt5arrayIPcLm2EEEEviT0_T1_, .Lfunc_end99-_ZN2at6native29vectorized_elementwise_kernelILi2ENS0_13AUnaryFunctorIsssZZZNS0_18lshift_kernel_cudaERNS_18TensorIteratorBaseEENKUlvE_clEvENKUlvE3_clEvEUlssE_EESt5arrayIPcLm2EEEEviT0_T1_
                                        ; -- End function
	.set _ZN2at6native29vectorized_elementwise_kernelILi2ENS0_13AUnaryFunctorIsssZZZNS0_18lshift_kernel_cudaERNS_18TensorIteratorBaseEENKUlvE_clEvENKUlvE3_clEvEUlssE_EESt5arrayIPcLm2EEEEviT0_T1_.num_vgpr, 18
	.set _ZN2at6native29vectorized_elementwise_kernelILi2ENS0_13AUnaryFunctorIsssZZZNS0_18lshift_kernel_cudaERNS_18TensorIteratorBaseEENKUlvE_clEvENKUlvE3_clEvEUlssE_EESt5arrayIPcLm2EEEEviT0_T1_.num_agpr, 0
	.set _ZN2at6native29vectorized_elementwise_kernelILi2ENS0_13AUnaryFunctorIsssZZZNS0_18lshift_kernel_cudaERNS_18TensorIteratorBaseEENKUlvE_clEvENKUlvE3_clEvEUlssE_EESt5arrayIPcLm2EEEEviT0_T1_.numbered_sgpr, 12
	.set _ZN2at6native29vectorized_elementwise_kernelILi2ENS0_13AUnaryFunctorIsssZZZNS0_18lshift_kernel_cudaERNS_18TensorIteratorBaseEENKUlvE_clEvENKUlvE3_clEvEUlssE_EESt5arrayIPcLm2EEEEviT0_T1_.num_named_barrier, 0
	.set _ZN2at6native29vectorized_elementwise_kernelILi2ENS0_13AUnaryFunctorIsssZZZNS0_18lshift_kernel_cudaERNS_18TensorIteratorBaseEENKUlvE_clEvENKUlvE3_clEvEUlssE_EESt5arrayIPcLm2EEEEviT0_T1_.private_seg_size, 0
	.set _ZN2at6native29vectorized_elementwise_kernelILi2ENS0_13AUnaryFunctorIsssZZZNS0_18lshift_kernel_cudaERNS_18TensorIteratorBaseEENKUlvE_clEvENKUlvE3_clEvEUlssE_EESt5arrayIPcLm2EEEEviT0_T1_.uses_vcc, 1
	.set _ZN2at6native29vectorized_elementwise_kernelILi2ENS0_13AUnaryFunctorIsssZZZNS0_18lshift_kernel_cudaERNS_18TensorIteratorBaseEENKUlvE_clEvENKUlvE3_clEvEUlssE_EESt5arrayIPcLm2EEEEviT0_T1_.uses_flat_scratch, 0
	.set _ZN2at6native29vectorized_elementwise_kernelILi2ENS0_13AUnaryFunctorIsssZZZNS0_18lshift_kernel_cudaERNS_18TensorIteratorBaseEENKUlvE_clEvENKUlvE3_clEvEUlssE_EESt5arrayIPcLm2EEEEviT0_T1_.has_dyn_sized_stack, 0
	.set _ZN2at6native29vectorized_elementwise_kernelILi2ENS0_13AUnaryFunctorIsssZZZNS0_18lshift_kernel_cudaERNS_18TensorIteratorBaseEENKUlvE_clEvENKUlvE3_clEvEUlssE_EESt5arrayIPcLm2EEEEviT0_T1_.has_recursion, 0
	.set _ZN2at6native29vectorized_elementwise_kernelILi2ENS0_13AUnaryFunctorIsssZZZNS0_18lshift_kernel_cudaERNS_18TensorIteratorBaseEENKUlvE_clEvENKUlvE3_clEvEUlssE_EESt5arrayIPcLm2EEEEviT0_T1_.has_indirect_call, 0
	.section	.AMDGPU.csdata,"",@progbits
; Kernel info:
; codeLenInByte = 1984
; TotalNumSgprs: 16
; NumVgprs: 18
; ScratchSize: 0
; MemoryBound: 0
; FloatMode: 240
; IeeeMode: 1
; LDSByteSize: 0 bytes/workgroup (compile time only)
; SGPRBlocks: 1
; VGPRBlocks: 4
; NumSGPRsForWavesPerEU: 16
; NumVGPRsForWavesPerEU: 18
; Occupancy: 10
; WaveLimiterHint : 1
; COMPUTE_PGM_RSRC2:SCRATCH_EN: 0
; COMPUTE_PGM_RSRC2:USER_SGPR: 6
; COMPUTE_PGM_RSRC2:TRAP_HANDLER: 0
; COMPUTE_PGM_RSRC2:TGID_X_EN: 1
; COMPUTE_PGM_RSRC2:TGID_Y_EN: 0
; COMPUTE_PGM_RSRC2:TGID_Z_EN: 0
; COMPUTE_PGM_RSRC2:TIDIG_COMP_CNT: 0
	.section	.text._ZN2at6native27unrolled_elementwise_kernelINS0_13AUnaryFunctorIsssZZZNS0_18lshift_kernel_cudaERNS_18TensorIteratorBaseEENKUlvE_clEvENKUlvE3_clEvEUlssE_EESt5arrayIPcLm2EELi4E23TrivialOffsetCalculatorILi1EjESD_NS0_6memory15LoadWithoutCastENSE_16StoreWithoutCastEEEviT_T0_T2_T3_T4_T5_,"axG",@progbits,_ZN2at6native27unrolled_elementwise_kernelINS0_13AUnaryFunctorIsssZZZNS0_18lshift_kernel_cudaERNS_18TensorIteratorBaseEENKUlvE_clEvENKUlvE3_clEvEUlssE_EESt5arrayIPcLm2EELi4E23TrivialOffsetCalculatorILi1EjESD_NS0_6memory15LoadWithoutCastENSE_16StoreWithoutCastEEEviT_T0_T2_T3_T4_T5_,comdat
	.globl	_ZN2at6native27unrolled_elementwise_kernelINS0_13AUnaryFunctorIsssZZZNS0_18lshift_kernel_cudaERNS_18TensorIteratorBaseEENKUlvE_clEvENKUlvE3_clEvEUlssE_EESt5arrayIPcLm2EELi4E23TrivialOffsetCalculatorILi1EjESD_NS0_6memory15LoadWithoutCastENSE_16StoreWithoutCastEEEviT_T0_T2_T3_T4_T5_ ; -- Begin function _ZN2at6native27unrolled_elementwise_kernelINS0_13AUnaryFunctorIsssZZZNS0_18lshift_kernel_cudaERNS_18TensorIteratorBaseEENKUlvE_clEvENKUlvE3_clEvEUlssE_EESt5arrayIPcLm2EELi4E23TrivialOffsetCalculatorILi1EjESD_NS0_6memory15LoadWithoutCastENSE_16StoreWithoutCastEEEviT_T0_T2_T3_T4_T5_
	.p2align	8
	.type	_ZN2at6native27unrolled_elementwise_kernelINS0_13AUnaryFunctorIsssZZZNS0_18lshift_kernel_cudaERNS_18TensorIteratorBaseEENKUlvE_clEvENKUlvE3_clEvEUlssE_EESt5arrayIPcLm2EELi4E23TrivialOffsetCalculatorILi1EjESD_NS0_6memory15LoadWithoutCastENSE_16StoreWithoutCastEEEviT_T0_T2_T3_T4_T5_,@function
_ZN2at6native27unrolled_elementwise_kernelINS0_13AUnaryFunctorIsssZZZNS0_18lshift_kernel_cudaERNS_18TensorIteratorBaseEENKUlvE_clEvENKUlvE3_clEvEUlssE_EESt5arrayIPcLm2EELi4E23TrivialOffsetCalculatorILi1EjESD_NS0_6memory15LoadWithoutCastENSE_16StoreWithoutCastEEEviT_T0_T2_T3_T4_T5_: ; @_ZN2at6native27unrolled_elementwise_kernelINS0_13AUnaryFunctorIsssZZZNS0_18lshift_kernel_cudaERNS_18TensorIteratorBaseEENKUlvE_clEvENKUlvE3_clEvEUlssE_EESt5arrayIPcLm2EELi4E23TrivialOffsetCalculatorILi1EjESD_NS0_6memory15LoadWithoutCastENSE_16StoreWithoutCastEEEviT_T0_T2_T3_T4_T5_
; %bb.0:
	s_load_dwordx2 s[2:3], s[4:5], 0x0
	s_load_dwordx4 s[8:11], s[4:5], 0x8
	s_lshl_b32 s6, s6, 10
	v_mov_b32_e32 v3, 0
	v_or_b32_e32 v1, s6, v0
	s_waitcnt lgkmcnt(0)
	s_sub_i32 s2, s2, s6
	v_cmp_gt_i32_e32 vcc, s2, v0
	v_mov_b32_e32 v2, 0
	v_mov_b32_e32 v4, v0
	s_and_saveexec_b64 s[4:5], vcc
	s_cbranch_execz .LBB100_2
; %bb.1:
	v_mov_b32_e32 v2, 0
	v_lshlrev_b64 v[4:5], 1, v[1:2]
	v_mov_b32_e32 v2, s11
	v_add_co_u32_e64 v4, s[0:1], s10, v4
	v_addc_co_u32_e64 v5, s[0:1], v2, v5, s[0:1]
	global_load_ushort v2, v[4:5], off
	v_or_b32_e32 v4, 0x100, v0
.LBB100_2:
	s_or_b64 exec, exec, s[4:5]
	v_cmp_gt_i32_e64 s[0:1], s2, v4
	s_and_saveexec_b64 s[4:5], s[0:1]
	s_cbranch_execz .LBB100_4
; %bb.3:
	v_add_u32_e32 v5, s6, v4
	v_mov_b32_e32 v6, 0
	v_lshlrev_b64 v[5:6], 1, v[5:6]
	v_mov_b32_e32 v3, s11
	v_add_co_u32_e64 v5, s[0:1], s10, v5
	v_addc_co_u32_e64 v6, s[0:1], v3, v6, s[0:1]
	global_load_ushort v3, v[5:6], off
	v_add_u32_e32 v4, 0x100, v4
.LBB100_4:
	s_or_b64 exec, exec, s[4:5]
	v_cmp_gt_i32_e64 s[0:1], s2, v4
	v_mov_b32_e32 v5, 0
	v_mov_b32_e32 v6, 0
	s_and_saveexec_b64 s[4:5], s[0:1]
	s_cbranch_execz .LBB100_6
; %bb.5:
	v_add_u32_e32 v6, s6, v4
	v_mov_b32_e32 v7, 0
	v_lshlrev_b64 v[6:7], 1, v[6:7]
	v_mov_b32_e32 v8, s11
	v_add_co_u32_e64 v6, s[0:1], s10, v6
	v_addc_co_u32_e64 v7, s[0:1], v8, v7, s[0:1]
	global_load_ushort v6, v[6:7], off
	v_add_u32_e32 v4, 0x100, v4
.LBB100_6:
	s_or_b64 exec, exec, s[4:5]
	v_cmp_gt_i32_e64 s[0:1], s2, v4
	s_and_saveexec_b64 s[4:5], s[0:1]
	s_cbranch_execz .LBB100_8
; %bb.7:
	v_add_u32_e32 v4, s6, v4
	v_mov_b32_e32 v5, 0
	v_lshlrev_b64 v[4:5], 1, v[4:5]
	v_mov_b32_e32 v7, s11
	v_add_co_u32_e64 v4, s[0:1], s10, v4
	v_addc_co_u32_e64 v5, s[0:1], v7, v5, s[0:1]
	global_load_ushort v5, v[4:5], off
.LBB100_8:
	s_or_b64 exec, exec, s[4:5]
	s_lshr_b32 s3, s3, 16
	s_waitcnt vmcnt(0)
	v_lshlrev_b32_sdwa v4, v2, s3 dst_sel:DWORD dst_unused:UNUSED_PAD src0_sel:WORD_0 src1_sel:DWORD
	v_cmp_gt_u16_e64 s[0:1], 16, v2
	v_cndmask_b32_e64 v4, 0, v4, s[0:1]
	v_mov_b32_e32 v2, 0
	v_lshlrev_b32_sdwa v8, v3, s3 dst_sel:DWORD dst_unused:UNUSED_PAD src0_sel:WORD_0 src1_sel:DWORD
	v_cmp_gt_u16_e64 s[0:1], 16, v3
	v_cndmask_b32_sdwa v4, v2, v4, vcc dst_sel:DWORD dst_unused:UNUSED_PAD src0_sel:DWORD src1_sel:WORD_0
	v_or_b32_e32 v7, 0x100, v0
	v_cndmask_b32_e64 v3, 0, v8, s[0:1]
	s_mov_b32 s4, 0x5040100
	v_perm_b32 v3, v3, v4, s4
	v_cmp_gt_i32_e64 s[0:1], s2, v7
	v_cndmask_b32_e64 v4, v4, v3, s[0:1]
	v_lshlrev_b32_sdwa v8, v6, s3 dst_sel:DWORD dst_unused:UNUSED_PAD src0_sel:WORD_0 src1_sel:DWORD
	v_cmp_gt_u16_e64 s[0:1], 16, v6
	v_or_b32_e32 v3, 0x200, v0
	v_cndmask_b32_e64 v6, 0, v8, s[0:1]
	v_and_b32_e32 v6, 0xffff, v6
	v_cmp_gt_i32_e64 s[0:1], s2, v3
	v_cndmask_b32_e64 v3, 0, v6, s[0:1]
	v_lshlrev_b32_sdwa v8, v5, s3 dst_sel:DWORD dst_unused:UNUSED_PAD src0_sel:WORD_0 src1_sel:DWORD
	v_cmp_gt_u16_e64 s[0:1], 16, v5
	v_or_b32_e32 v6, 0x300, v0
	v_cndmask_b32_e64 v5, 0, v8, s[0:1]
	v_perm_b32 v5, v5, v3, s4
	v_cmp_gt_i32_e64 s[0:1], s2, v6
	v_cndmask_b32_e64 v3, v3, v5, s[0:1]
	s_and_saveexec_b64 s[0:1], vcc
	s_cbranch_execnz .LBB100_13
; %bb.9:
	s_or_b64 exec, exec, s[0:1]
	v_cmp_gt_i32_e32 vcc, s2, v0
	s_and_saveexec_b64 s[0:1], vcc
	s_cbranch_execnz .LBB100_14
.LBB100_10:
	s_or_b64 exec, exec, s[0:1]
	v_cmp_gt_i32_e32 vcc, s2, v0
	s_and_saveexec_b64 s[0:1], vcc
	s_cbranch_execnz .LBB100_15
.LBB100_11:
	s_or_b64 exec, exec, s[0:1]
	v_cmp_gt_i32_e32 vcc, s2, v0
	s_and_saveexec_b64 s[0:1], vcc
	s_cbranch_execnz .LBB100_16
.LBB100_12:
	s_endpgm
.LBB100_13:
	v_lshlrev_b64 v[0:1], 1, v[1:2]
	v_mov_b32_e32 v2, s9
	v_add_co_u32_e32 v0, vcc, s8, v0
	v_addc_co_u32_e32 v1, vcc, v2, v1, vcc
	global_store_short v[0:1], v4, off
	v_mov_b32_e32 v0, v7
	s_or_b64 exec, exec, s[0:1]
	v_cmp_gt_i32_e32 vcc, s2, v0
	s_and_saveexec_b64 s[0:1], vcc
	s_cbranch_execz .LBB100_10
.LBB100_14:
	v_add_u32_e32 v2, 0x100, v0
	v_add_u32_e32 v0, s6, v0
	v_mov_b32_e32 v1, 0
	v_lshlrev_b64 v[0:1], 1, v[0:1]
	v_mov_b32_e32 v5, s9
	v_add_co_u32_e32 v0, vcc, s8, v0
	v_addc_co_u32_e32 v1, vcc, v5, v1, vcc
	global_store_short_d16_hi v[0:1], v4, off
	v_mov_b32_e32 v0, v2
	s_or_b64 exec, exec, s[0:1]
	v_cmp_gt_i32_e32 vcc, s2, v0
	s_and_saveexec_b64 s[0:1], vcc
	s_cbranch_execz .LBB100_11
.LBB100_15:
	v_add_u32_e32 v2, 0x100, v0
	v_add_u32_e32 v0, s6, v0
	v_mov_b32_e32 v1, 0
	v_lshlrev_b64 v[0:1], 1, v[0:1]
	v_mov_b32_e32 v4, s9
	v_add_co_u32_e32 v0, vcc, s8, v0
	v_addc_co_u32_e32 v1, vcc, v4, v1, vcc
	global_store_short v[0:1], v3, off
	v_mov_b32_e32 v0, v2
	s_or_b64 exec, exec, s[0:1]
	v_cmp_gt_i32_e32 vcc, s2, v0
	s_and_saveexec_b64 s[0:1], vcc
	s_cbranch_execz .LBB100_12
.LBB100_16:
	v_add_u32_e32 v0, s6, v0
	v_mov_b32_e32 v1, 0
	v_lshlrev_b64 v[0:1], 1, v[0:1]
	v_mov_b32_e32 v2, s9
	v_add_co_u32_e32 v0, vcc, s8, v0
	v_addc_co_u32_e32 v1, vcc, v2, v1, vcc
	global_store_short_d16_hi v[0:1], v3, off
	s_endpgm
	.section	.rodata,"a",@progbits
	.p2align	6, 0x0
	.amdhsa_kernel _ZN2at6native27unrolled_elementwise_kernelINS0_13AUnaryFunctorIsssZZZNS0_18lshift_kernel_cudaERNS_18TensorIteratorBaseEENKUlvE_clEvENKUlvE3_clEvEUlssE_EESt5arrayIPcLm2EELi4E23TrivialOffsetCalculatorILi1EjESD_NS0_6memory15LoadWithoutCastENSE_16StoreWithoutCastEEEviT_T0_T2_T3_T4_T5_
		.amdhsa_group_segment_fixed_size 0
		.amdhsa_private_segment_fixed_size 0
		.amdhsa_kernarg_size 28
		.amdhsa_user_sgpr_count 6
		.amdhsa_user_sgpr_private_segment_buffer 1
		.amdhsa_user_sgpr_dispatch_ptr 0
		.amdhsa_user_sgpr_queue_ptr 0
		.amdhsa_user_sgpr_kernarg_segment_ptr 1
		.amdhsa_user_sgpr_dispatch_id 0
		.amdhsa_user_sgpr_flat_scratch_init 0
		.amdhsa_user_sgpr_private_segment_size 0
		.amdhsa_uses_dynamic_stack 0
		.amdhsa_system_sgpr_private_segment_wavefront_offset 0
		.amdhsa_system_sgpr_workgroup_id_x 1
		.amdhsa_system_sgpr_workgroup_id_y 0
		.amdhsa_system_sgpr_workgroup_id_z 0
		.amdhsa_system_sgpr_workgroup_info 0
		.amdhsa_system_vgpr_workitem_id 0
		.amdhsa_next_free_vgpr 9
		.amdhsa_next_free_sgpr 12
		.amdhsa_reserve_vcc 1
		.amdhsa_reserve_flat_scratch 0
		.amdhsa_float_round_mode_32 0
		.amdhsa_float_round_mode_16_64 0
		.amdhsa_float_denorm_mode_32 3
		.amdhsa_float_denorm_mode_16_64 3
		.amdhsa_dx10_clamp 1
		.amdhsa_ieee_mode 1
		.amdhsa_fp16_overflow 0
		.amdhsa_exception_fp_ieee_invalid_op 0
		.amdhsa_exception_fp_denorm_src 0
		.amdhsa_exception_fp_ieee_div_zero 0
		.amdhsa_exception_fp_ieee_overflow 0
		.amdhsa_exception_fp_ieee_underflow 0
		.amdhsa_exception_fp_ieee_inexact 0
		.amdhsa_exception_int_div_zero 0
	.end_amdhsa_kernel
	.section	.text._ZN2at6native27unrolled_elementwise_kernelINS0_13AUnaryFunctorIsssZZZNS0_18lshift_kernel_cudaERNS_18TensorIteratorBaseEENKUlvE_clEvENKUlvE3_clEvEUlssE_EESt5arrayIPcLm2EELi4E23TrivialOffsetCalculatorILi1EjESD_NS0_6memory15LoadWithoutCastENSE_16StoreWithoutCastEEEviT_T0_T2_T3_T4_T5_,"axG",@progbits,_ZN2at6native27unrolled_elementwise_kernelINS0_13AUnaryFunctorIsssZZZNS0_18lshift_kernel_cudaERNS_18TensorIteratorBaseEENKUlvE_clEvENKUlvE3_clEvEUlssE_EESt5arrayIPcLm2EELi4E23TrivialOffsetCalculatorILi1EjESD_NS0_6memory15LoadWithoutCastENSE_16StoreWithoutCastEEEviT_T0_T2_T3_T4_T5_,comdat
.Lfunc_end100:
	.size	_ZN2at6native27unrolled_elementwise_kernelINS0_13AUnaryFunctorIsssZZZNS0_18lshift_kernel_cudaERNS_18TensorIteratorBaseEENKUlvE_clEvENKUlvE3_clEvEUlssE_EESt5arrayIPcLm2EELi4E23TrivialOffsetCalculatorILi1EjESD_NS0_6memory15LoadWithoutCastENSE_16StoreWithoutCastEEEviT_T0_T2_T3_T4_T5_, .Lfunc_end100-_ZN2at6native27unrolled_elementwise_kernelINS0_13AUnaryFunctorIsssZZZNS0_18lshift_kernel_cudaERNS_18TensorIteratorBaseEENKUlvE_clEvENKUlvE3_clEvEUlssE_EESt5arrayIPcLm2EELi4E23TrivialOffsetCalculatorILi1EjESD_NS0_6memory15LoadWithoutCastENSE_16StoreWithoutCastEEEviT_T0_T2_T3_T4_T5_
                                        ; -- End function
	.set _ZN2at6native27unrolled_elementwise_kernelINS0_13AUnaryFunctorIsssZZZNS0_18lshift_kernel_cudaERNS_18TensorIteratorBaseEENKUlvE_clEvENKUlvE3_clEvEUlssE_EESt5arrayIPcLm2EELi4E23TrivialOffsetCalculatorILi1EjESD_NS0_6memory15LoadWithoutCastENSE_16StoreWithoutCastEEEviT_T0_T2_T3_T4_T5_.num_vgpr, 9
	.set _ZN2at6native27unrolled_elementwise_kernelINS0_13AUnaryFunctorIsssZZZNS0_18lshift_kernel_cudaERNS_18TensorIteratorBaseEENKUlvE_clEvENKUlvE3_clEvEUlssE_EESt5arrayIPcLm2EELi4E23TrivialOffsetCalculatorILi1EjESD_NS0_6memory15LoadWithoutCastENSE_16StoreWithoutCastEEEviT_T0_T2_T3_T4_T5_.num_agpr, 0
	.set _ZN2at6native27unrolled_elementwise_kernelINS0_13AUnaryFunctorIsssZZZNS0_18lshift_kernel_cudaERNS_18TensorIteratorBaseEENKUlvE_clEvENKUlvE3_clEvEUlssE_EESt5arrayIPcLm2EELi4E23TrivialOffsetCalculatorILi1EjESD_NS0_6memory15LoadWithoutCastENSE_16StoreWithoutCastEEEviT_T0_T2_T3_T4_T5_.numbered_sgpr, 12
	.set _ZN2at6native27unrolled_elementwise_kernelINS0_13AUnaryFunctorIsssZZZNS0_18lshift_kernel_cudaERNS_18TensorIteratorBaseEENKUlvE_clEvENKUlvE3_clEvEUlssE_EESt5arrayIPcLm2EELi4E23TrivialOffsetCalculatorILi1EjESD_NS0_6memory15LoadWithoutCastENSE_16StoreWithoutCastEEEviT_T0_T2_T3_T4_T5_.num_named_barrier, 0
	.set _ZN2at6native27unrolled_elementwise_kernelINS0_13AUnaryFunctorIsssZZZNS0_18lshift_kernel_cudaERNS_18TensorIteratorBaseEENKUlvE_clEvENKUlvE3_clEvEUlssE_EESt5arrayIPcLm2EELi4E23TrivialOffsetCalculatorILi1EjESD_NS0_6memory15LoadWithoutCastENSE_16StoreWithoutCastEEEviT_T0_T2_T3_T4_T5_.private_seg_size, 0
	.set _ZN2at6native27unrolled_elementwise_kernelINS0_13AUnaryFunctorIsssZZZNS0_18lshift_kernel_cudaERNS_18TensorIteratorBaseEENKUlvE_clEvENKUlvE3_clEvEUlssE_EESt5arrayIPcLm2EELi4E23TrivialOffsetCalculatorILi1EjESD_NS0_6memory15LoadWithoutCastENSE_16StoreWithoutCastEEEviT_T0_T2_T3_T4_T5_.uses_vcc, 1
	.set _ZN2at6native27unrolled_elementwise_kernelINS0_13AUnaryFunctorIsssZZZNS0_18lshift_kernel_cudaERNS_18TensorIteratorBaseEENKUlvE_clEvENKUlvE3_clEvEUlssE_EESt5arrayIPcLm2EELi4E23TrivialOffsetCalculatorILi1EjESD_NS0_6memory15LoadWithoutCastENSE_16StoreWithoutCastEEEviT_T0_T2_T3_T4_T5_.uses_flat_scratch, 0
	.set _ZN2at6native27unrolled_elementwise_kernelINS0_13AUnaryFunctorIsssZZZNS0_18lshift_kernel_cudaERNS_18TensorIteratorBaseEENKUlvE_clEvENKUlvE3_clEvEUlssE_EESt5arrayIPcLm2EELi4E23TrivialOffsetCalculatorILi1EjESD_NS0_6memory15LoadWithoutCastENSE_16StoreWithoutCastEEEviT_T0_T2_T3_T4_T5_.has_dyn_sized_stack, 0
	.set _ZN2at6native27unrolled_elementwise_kernelINS0_13AUnaryFunctorIsssZZZNS0_18lshift_kernel_cudaERNS_18TensorIteratorBaseEENKUlvE_clEvENKUlvE3_clEvEUlssE_EESt5arrayIPcLm2EELi4E23TrivialOffsetCalculatorILi1EjESD_NS0_6memory15LoadWithoutCastENSE_16StoreWithoutCastEEEviT_T0_T2_T3_T4_T5_.has_recursion, 0
	.set _ZN2at6native27unrolled_elementwise_kernelINS0_13AUnaryFunctorIsssZZZNS0_18lshift_kernel_cudaERNS_18TensorIteratorBaseEENKUlvE_clEvENKUlvE3_clEvEUlssE_EESt5arrayIPcLm2EELi4E23TrivialOffsetCalculatorILi1EjESD_NS0_6memory15LoadWithoutCastENSE_16StoreWithoutCastEEEviT_T0_T2_T3_T4_T5_.has_indirect_call, 0
	.section	.AMDGPU.csdata,"",@progbits
; Kernel info:
; codeLenInByte = 820
; TotalNumSgprs: 16
; NumVgprs: 9
; ScratchSize: 0
; MemoryBound: 0
; FloatMode: 240
; IeeeMode: 1
; LDSByteSize: 0 bytes/workgroup (compile time only)
; SGPRBlocks: 1
; VGPRBlocks: 2
; NumSGPRsForWavesPerEU: 16
; NumVGPRsForWavesPerEU: 9
; Occupancy: 10
; WaveLimiterHint : 0
; COMPUTE_PGM_RSRC2:SCRATCH_EN: 0
; COMPUTE_PGM_RSRC2:USER_SGPR: 6
; COMPUTE_PGM_RSRC2:TRAP_HANDLER: 0
; COMPUTE_PGM_RSRC2:TGID_X_EN: 1
; COMPUTE_PGM_RSRC2:TGID_Y_EN: 0
; COMPUTE_PGM_RSRC2:TGID_Z_EN: 0
; COMPUTE_PGM_RSRC2:TIDIG_COMP_CNT: 0
	.section	.text._ZN2at6native32elementwise_kernel_manual_unrollILi128ELi8EZNS0_22gpu_kernel_impl_nocastINS0_13AUnaryFunctorIsssZZZNS0_18lshift_kernel_cudaERNS_18TensorIteratorBaseEENKUlvE_clEvENKUlvE3_clEvEUlssE_EEEEvS5_RKT_EUlibE_EEviT1_,"axG",@progbits,_ZN2at6native32elementwise_kernel_manual_unrollILi128ELi8EZNS0_22gpu_kernel_impl_nocastINS0_13AUnaryFunctorIsssZZZNS0_18lshift_kernel_cudaERNS_18TensorIteratorBaseEENKUlvE_clEvENKUlvE3_clEvEUlssE_EEEEvS5_RKT_EUlibE_EEviT1_,comdat
	.globl	_ZN2at6native32elementwise_kernel_manual_unrollILi128ELi8EZNS0_22gpu_kernel_impl_nocastINS0_13AUnaryFunctorIsssZZZNS0_18lshift_kernel_cudaERNS_18TensorIteratorBaseEENKUlvE_clEvENKUlvE3_clEvEUlssE_EEEEvS5_RKT_EUlibE_EEviT1_ ; -- Begin function _ZN2at6native32elementwise_kernel_manual_unrollILi128ELi8EZNS0_22gpu_kernel_impl_nocastINS0_13AUnaryFunctorIsssZZZNS0_18lshift_kernel_cudaERNS_18TensorIteratorBaseEENKUlvE_clEvENKUlvE3_clEvEUlssE_EEEEvS5_RKT_EUlibE_EEviT1_
	.p2align	8
	.type	_ZN2at6native32elementwise_kernel_manual_unrollILi128ELi8EZNS0_22gpu_kernel_impl_nocastINS0_13AUnaryFunctorIsssZZZNS0_18lshift_kernel_cudaERNS_18TensorIteratorBaseEENKUlvE_clEvENKUlvE3_clEvEUlssE_EEEEvS5_RKT_EUlibE_EEviT1_,@function
_ZN2at6native32elementwise_kernel_manual_unrollILi128ELi8EZNS0_22gpu_kernel_impl_nocastINS0_13AUnaryFunctorIsssZZZNS0_18lshift_kernel_cudaERNS_18TensorIteratorBaseEENKUlvE_clEvENKUlvE3_clEvEUlssE_EEEEvS5_RKT_EUlibE_EEviT1_: ; @_ZN2at6native32elementwise_kernel_manual_unrollILi128ELi8EZNS0_22gpu_kernel_impl_nocastINS0_13AUnaryFunctorIsssZZZNS0_18lshift_kernel_cudaERNS_18TensorIteratorBaseEENKUlvE_clEvENKUlvE3_clEvEUlssE_EEEEvS5_RKT_EUlibE_EEviT1_
; %bb.0:
	s_load_dword s58, s[4:5], 0x0
	s_load_dword s33, s[4:5], 0x8
	s_add_u32 s34, s4, 8
	s_addc_u32 s35, s5, 0
	v_lshl_or_b32 v19, s6, 10, v0
	v_or_b32_e32 v25, 0x380, v19
	s_waitcnt lgkmcnt(0)
	s_add_i32 s56, s33, -1
	s_cmp_gt_u32 s56, 1
	v_cmp_le_i32_e32 vcc, s58, v25
	s_cselect_b64 s[6:7], -1, 0
	s_and_saveexec_b64 s[0:1], vcc
	s_xor_b64 s[40:41], exec, s[0:1]
	s_cbranch_execz .LBB101_7
; %bb.1:
	s_cmp_lg_u32 s33, 0
	s_cselect_b64 s[48:49], -1, 0
	s_add_u32 s46, s34, 0xc4
	s_load_dwordx4 s[24:27], s[34:35], 0x4
	s_load_dwordx2 s[42:43], s[34:35], 0x14
	s_load_dword s8, s[4:5], 0x160
	s_load_dwordx4 s[28:31], s[34:35], 0xc4
	s_load_dwordx4 s[0:3], s[34:35], 0x148
	s_addc_u32 s47, s35, 0
	s_min_u32 s59, s56, 15
	s_cmp_gt_u32 s33, 1
	s_cselect_b64 s[44:45], -1, 0
	s_waitcnt lgkmcnt(0)
	s_lshr_b32 s57, s8, 16
	v_cmp_gt_i32_e32 vcc, s58, v19
	s_and_saveexec_b64 s[50:51], vcc
	s_cbranch_execz .LBB101_14
; %bb.2:
	s_andn2_b64 vcc, exec, s[6:7]
	s_cbranch_vccnz .LBB101_21
; %bb.3:
	s_andn2_b64 vcc, exec, s[48:49]
	s_cbranch_vccnz .LBB101_129
; %bb.4:
	s_add_i32 s61, s59, 1
	s_cmp_eq_u32 s56, 2
	s_cbranch_scc1 .LBB101_131
; %bb.5:
	s_and_b32 s60, s61, 28
	v_mov_b32_e32 v2, 0
	s_mov_b32 s62, 0
	s_mov_b64 s[52:53], s[34:35]
	s_mov_b64 s[54:55], s[46:47]
	v_mov_b32_e32 v0, 0
	v_mov_b32_e32 v1, v19
.LBB101_6:                              ; =>This Inner Loop Header: Depth=1
	s_load_dwordx8 s[16:23], s[52:53], 0x4
	s_load_dwordx4 s[36:39], s[52:53], 0x24
	s_load_dwordx8 s[8:15], s[54:55], 0x0
	s_add_u32 s52, s52, 48
	s_addc_u32 s53, s53, 0
	s_waitcnt lgkmcnt(0)
	v_mul_hi_u32 v3, s17, v1
	s_add_i32 s62, s62, 4
	s_add_u32 s54, s54, 32
	s_addc_u32 s55, s55, 0
	v_add_u32_e32 v3, v1, v3
	v_lshrrev_b32_e32 v3, s18, v3
	v_mul_lo_u32 v4, v3, s16
	v_mul_hi_u32 v5, s20, v3
	s_cmp_lg_u32 s60, s62
	v_sub_u32_e32 v1, v1, v4
	v_add_u32_e32 v4, v3, v5
	v_mul_lo_u32 v5, v1, s8
	v_mul_lo_u32 v6, v1, s9
	v_lshrrev_b32_e32 v1, s21, v4
	v_mul_lo_u32 v4, v1, s19
	v_mul_hi_u32 v7, s23, v1
	v_sub_u32_e32 v3, v3, v4
	v_add_u32_e32 v4, v1, v7
	v_lshrrev_b32_e32 v4, s36, v4
	v_mul_hi_u32 v8, s38, v4
	v_mul_lo_u32 v9, v4, s22
	v_mul_lo_u32 v7, v3, s10
	;; [unrolled: 1-line block ×3, first 2 shown]
	v_sub_u32_e32 v9, v1, v9
	v_add_u32_e32 v1, v4, v8
	v_lshrrev_b32_e32 v1, s39, v1
	v_mul_lo_u32 v8, v1, s37
	v_mul_lo_u32 v10, v9, s12
	;; [unrolled: 1-line block ×3, first 2 shown]
	v_add3_u32 v0, v5, v0, v7
	v_sub_u32_e32 v4, v4, v8
	v_mul_lo_u32 v8, v4, s14
	v_mul_lo_u32 v4, v4, s15
	v_add3_u32 v2, v6, v2, v3
	v_add3_u32 v0, v10, v0, v8
	;; [unrolled: 1-line block ×3, first 2 shown]
	s_cbranch_scc1 .LBB101_6
	s_branch .LBB101_132
.LBB101_7:
	s_andn2_saveexec_b64 s[0:1], s[40:41]
	s_cbranch_execz .LBB101_221
.LBB101_8:
	v_cndmask_b32_e64 v0, 0, 1, s[6:7]
	v_cmp_ne_u32_e64 s[0:1], 1, v0
	s_andn2_b64 vcc, exec, s[6:7]
	s_cbranch_vccnz .LBB101_20
; %bb.9:
	s_cmp_lg_u32 s33, 0
	s_mov_b32 s28, 0
	s_cbranch_scc0 .LBB101_23
; %bb.10:
	s_min_u32 s29, s56, 15
	s_add_i32 s29, s29, 1
	s_cmp_eq_u32 s56, 2
	s_cbranch_scc1 .LBB101_24
; %bb.11:
	s_and_b32 s28, s29, 28
	s_add_u32 s2, s34, 0xc4
	s_addc_u32 s3, s35, 0
	v_mov_b32_e32 v2, 0
	s_mov_b32 s30, 0
	s_mov_b64 s[6:7], s[34:35]
	v_mov_b32_e32 v0, 0
	v_mov_b32_e32 v1, v19
.LBB101_12:                             ; =>This Inner Loop Header: Depth=1
	s_load_dwordx8 s[16:23], s[6:7], 0x4
	s_load_dwordx4 s[24:27], s[6:7], 0x24
	s_load_dwordx8 s[8:15], s[2:3], 0x0
	s_add_u32 s6, s6, 48
	s_addc_u32 s7, s7, 0
	s_waitcnt lgkmcnt(0)
	v_mul_hi_u32 v3, s17, v1
	s_add_i32 s30, s30, 4
	s_add_u32 s2, s2, 32
	s_addc_u32 s3, s3, 0
	v_add_u32_e32 v3, v1, v3
	v_lshrrev_b32_e32 v3, s18, v3
	v_mul_lo_u32 v4, v3, s16
	v_mul_hi_u32 v5, s20, v3
	s_cmp_lg_u32 s28, s30
	v_sub_u32_e32 v1, v1, v4
	v_add_u32_e32 v4, v3, v5
	v_mul_lo_u32 v5, v1, s8
	v_mul_lo_u32 v6, v1, s9
	v_lshrrev_b32_e32 v1, s21, v4
	v_mul_lo_u32 v4, v1, s19
	v_mul_hi_u32 v7, s23, v1
	v_sub_u32_e32 v3, v3, v4
	v_add_u32_e32 v4, v1, v7
	v_lshrrev_b32_e32 v4, s24, v4
	v_mul_hi_u32 v8, s26, v4
	v_mul_lo_u32 v9, v4, s22
	v_mul_lo_u32 v7, v3, s10
	;; [unrolled: 1-line block ×3, first 2 shown]
	v_sub_u32_e32 v9, v1, v9
	v_add_u32_e32 v1, v4, v8
	v_lshrrev_b32_e32 v1, s27, v1
	v_mul_lo_u32 v8, v1, s25
	v_mul_lo_u32 v10, v9, s12
	;; [unrolled: 1-line block ×3, first 2 shown]
	v_add3_u32 v0, v5, v0, v7
	v_sub_u32_e32 v4, v4, v8
	v_mul_lo_u32 v8, v4, s14
	v_mul_lo_u32 v4, v4, s15
	v_add3_u32 v2, v6, v2, v3
	v_add3_u32 v0, v10, v0, v8
	;; [unrolled: 1-line block ×3, first 2 shown]
	s_cbranch_scc1 .LBB101_12
; %bb.13:
	s_and_b32 s8, s29, 3
	s_cmp_eq_u32 s8, 0
	s_cbranch_scc0 .LBB101_25
	s_branch .LBB101_27
.LBB101_14:
	s_or_b64 exec, exec, s[50:51]
	v_cmp_gt_i32_e32 vcc, s58, v19
	s_and_saveexec_b64 s[50:51], vcc
	s_cbranch_execz .LBB101_139
.LBB101_15:
	s_andn2_b64 vcc, exec, s[6:7]
	s_cbranch_vccnz .LBB101_22
; %bb.16:
	s_andn2_b64 vcc, exec, s[48:49]
	s_cbranch_vccnz .LBB101_130
; %bb.17:
	s_add_i32 s61, s59, 1
	s_cmp_eq_u32 s56, 2
	s_cbranch_scc1 .LBB101_147
; %bb.18:
	s_and_b32 s60, s61, 28
	v_mov_b32_e32 v2, 0
	s_mov_b32 s62, 0
	s_mov_b64 s[52:53], s[34:35]
	s_mov_b64 s[54:55], s[46:47]
	v_mov_b32_e32 v0, 0
	v_mov_b32_e32 v1, v19
.LBB101_19:                             ; =>This Inner Loop Header: Depth=1
	s_load_dwordx8 s[16:23], s[52:53], 0x4
	s_load_dwordx4 s[36:39], s[52:53], 0x24
	s_load_dwordx8 s[8:15], s[54:55], 0x0
	s_add_u32 s52, s52, 48
	s_addc_u32 s53, s53, 0
	s_waitcnt lgkmcnt(0)
	v_mul_hi_u32 v3, s17, v1
	s_add_i32 s62, s62, 4
	s_add_u32 s54, s54, 32
	s_addc_u32 s55, s55, 0
	v_add_u32_e32 v3, v1, v3
	v_lshrrev_b32_e32 v3, s18, v3
	v_mul_lo_u32 v4, v3, s16
	v_mul_hi_u32 v5, s20, v3
	s_cmp_eq_u32 s60, s62
	v_sub_u32_e32 v1, v1, v4
	v_add_u32_e32 v4, v3, v5
	v_mul_lo_u32 v5, v1, s8
	v_mul_lo_u32 v6, v1, s9
	v_lshrrev_b32_e32 v1, s21, v4
	v_mul_lo_u32 v4, v1, s19
	v_mul_hi_u32 v7, s23, v1
	v_sub_u32_e32 v3, v3, v4
	v_add_u32_e32 v4, v1, v7
	v_lshrrev_b32_e32 v4, s36, v4
	v_mul_hi_u32 v8, s38, v4
	v_mul_lo_u32 v9, v4, s22
	v_mul_lo_u32 v7, v3, s10
	v_mul_lo_u32 v3, v3, s11
	v_sub_u32_e32 v9, v1, v9
	v_add_u32_e32 v1, v4, v8
	v_lshrrev_b32_e32 v1, s39, v1
	v_mul_lo_u32 v8, v1, s37
	v_mul_lo_u32 v10, v9, s12
	;; [unrolled: 1-line block ×3, first 2 shown]
	v_add3_u32 v0, v5, v0, v7
	v_sub_u32_e32 v4, v4, v8
	v_mul_lo_u32 v8, v4, s14
	v_mul_lo_u32 v4, v4, s15
	v_add3_u32 v2, v6, v2, v3
	v_add3_u32 v0, v10, v0, v8
	;; [unrolled: 1-line block ×3, first 2 shown]
	s_cbranch_scc0 .LBB101_19
	s_branch .LBB101_148
.LBB101_20:
                                        ; implicit-def: $vgpr0
                                        ; implicit-def: $vgpr2
	s_branch .LBB101_28
.LBB101_21:
                                        ; implicit-def: $vgpr0
                                        ; implicit-def: $vgpr2
	s_branch .LBB101_136
.LBB101_22:
                                        ; implicit-def: $vgpr0
                                        ; implicit-def: $vgpr2
	s_branch .LBB101_152
.LBB101_23:
	v_mov_b32_e32 v0, 0
	v_mov_b32_e32 v2, 0
	s_branch .LBB101_27
.LBB101_24:
	v_mov_b32_e32 v0, 0
	v_mov_b32_e32 v2, 0
	;; [unrolled: 1-line block ×3, first 2 shown]
	s_and_b32 s8, s29, 3
	s_cmp_eq_u32 s8, 0
	s_cbranch_scc1 .LBB101_27
.LBB101_25:
	s_lshl_b32 s2, s28, 3
	s_add_u32 s2, s34, s2
	s_addc_u32 s3, s35, 0
	s_add_u32 s2, s2, 0xc4
	s_addc_u32 s3, s3, 0
	s_mul_i32 s6, s28, 12
	s_add_u32 s6, s34, s6
	s_addc_u32 s7, s35, 0
.LBB101_26:                             ; =>This Inner Loop Header: Depth=1
	s_load_dwordx2 s[10:11], s[6:7], 0x4
	s_load_dword s9, s[6:7], 0xc
	s_load_dwordx2 s[12:13], s[2:3], 0x0
	s_add_u32 s6, s6, 12
	s_addc_u32 s7, s7, 0
	s_waitcnt lgkmcnt(0)
	v_mul_hi_u32 v4, s11, v1
	s_add_u32 s2, s2, 8
	s_addc_u32 s3, s3, 0
	s_add_i32 s8, s8, -1
	v_add_u32_e32 v4, v1, v4
	v_lshrrev_b32_e32 v4, s9, v4
	v_mul_lo_u32 v5, v4, s10
	s_cmp_lg_u32 s8, 0
	v_sub_u32_e32 v5, v1, v5
	v_mad_u64_u32 v[0:1], s[10:11], v5, s12, v[0:1]
	v_mad_u64_u32 v[2:3], s[10:11], v5, s13, v[2:3]
	v_mov_b32_e32 v1, v4
	s_cbranch_scc1 .LBB101_26
.LBB101_27:
	s_cbranch_execnz .LBB101_30
.LBB101_28:
	s_load_dwordx4 s[8:11], s[34:35], 0x4
	s_load_dwordx2 s[2:3], s[34:35], 0xc4
	s_cmp_lt_u32 s33, 2
	s_waitcnt lgkmcnt(0)
	v_mul_hi_u32 v0, s9, v19
	v_add_u32_e32 v0, v19, v0
	v_lshrrev_b32_e32 v1, s10, v0
	v_mul_lo_u32 v0, v1, s8
	v_sub_u32_e32 v2, v19, v0
	v_mul_lo_u32 v0, v2, s2
	v_mul_lo_u32 v2, v2, s3
	s_cbranch_scc1 .LBB101_30
; %bb.29:
	s_load_dwordx4 s[8:11], s[34:35], 0x10
	s_load_dwordx2 s[2:3], s[34:35], 0xcc
	s_waitcnt lgkmcnt(0)
	v_mul_hi_u32 v3, s9, v1
	v_add_u32_e32 v3, v1, v3
	v_lshrrev_b32_e32 v3, s10, v3
	v_mul_lo_u32 v3, v3, s8
	v_sub_u32_e32 v3, v1, v3
	v_mad_u64_u32 v[0:1], s[6:7], v3, s2, v[0:1]
	v_mad_u64_u32 v[2:3], s[2:3], v3, s3, v[2:3]
.LBB101_30:
	s_and_b64 vcc, exec, s[0:1]
	v_add_u32_e32 v1, 0x80, v19
	s_cbranch_vccnz .LBB101_36
; %bb.31:
	s_cmp_lg_u32 s33, 0
	s_mov_b32 s28, 0
	s_cbranch_scc0 .LBB101_37
; %bb.32:
	s_min_u32 s29, s56, 15
	s_add_i32 s29, s29, 1
	s_cmp_eq_u32 s56, 2
	s_cbranch_scc1 .LBB101_38
; %bb.33:
	s_and_b32 s28, s29, 28
	s_add_u32 s2, s34, 0xc4
	s_addc_u32 s3, s35, 0
	v_mov_b32_e32 v5, 0
	s_mov_b32 s30, 0
	s_mov_b64 s[6:7], s[34:35]
	v_mov_b32_e32 v3, 0
	v_mov_b32_e32 v4, v1
.LBB101_34:                             ; =>This Inner Loop Header: Depth=1
	s_load_dwordx8 s[16:23], s[6:7], 0x4
	s_load_dwordx4 s[24:27], s[6:7], 0x24
	s_load_dwordx8 s[8:15], s[2:3], 0x0
	s_add_u32 s6, s6, 48
	s_addc_u32 s7, s7, 0
	s_waitcnt lgkmcnt(0)
	v_mul_hi_u32 v6, s17, v4
	s_add_i32 s30, s30, 4
	s_add_u32 s2, s2, 32
	s_addc_u32 s3, s3, 0
	v_add_u32_e32 v6, v4, v6
	v_lshrrev_b32_e32 v6, s18, v6
	v_mul_lo_u32 v7, v6, s16
	v_mul_hi_u32 v8, s20, v6
	s_cmp_lg_u32 s28, s30
	v_sub_u32_e32 v4, v4, v7
	v_add_u32_e32 v7, v6, v8
	v_mul_lo_u32 v8, v4, s8
	v_mul_lo_u32 v9, v4, s9
	v_lshrrev_b32_e32 v4, s21, v7
	v_mul_lo_u32 v7, v4, s19
	v_mul_hi_u32 v10, s23, v4
	v_sub_u32_e32 v6, v6, v7
	v_add_u32_e32 v7, v4, v10
	v_lshrrev_b32_e32 v7, s24, v7
	v_mul_hi_u32 v11, s26, v7
	v_mul_lo_u32 v12, v7, s22
	v_mul_lo_u32 v10, v6, s10
	;; [unrolled: 1-line block ×3, first 2 shown]
	v_sub_u32_e32 v12, v4, v12
	v_add_u32_e32 v4, v7, v11
	v_lshrrev_b32_e32 v4, s27, v4
	v_mul_lo_u32 v11, v4, s25
	v_mul_lo_u32 v13, v12, s12
	;; [unrolled: 1-line block ×3, first 2 shown]
	v_add3_u32 v3, v8, v3, v10
	v_sub_u32_e32 v7, v7, v11
	v_mul_lo_u32 v11, v7, s14
	v_mul_lo_u32 v7, v7, s15
	v_add3_u32 v5, v9, v5, v6
	v_add3_u32 v3, v13, v3, v11
	;; [unrolled: 1-line block ×3, first 2 shown]
	s_cbranch_scc1 .LBB101_34
; %bb.35:
	s_and_b32 s8, s29, 3
	s_cmp_eq_u32 s8, 0
	s_cbranch_scc0 .LBB101_39
	s_branch .LBB101_41
.LBB101_36:
                                        ; implicit-def: $vgpr3
                                        ; implicit-def: $vgpr5
	s_branch .LBB101_42
.LBB101_37:
	v_mov_b32_e32 v3, 0
	v_mov_b32_e32 v5, 0
	s_branch .LBB101_41
.LBB101_38:
	v_mov_b32_e32 v3, 0
	v_mov_b32_e32 v5, 0
	;; [unrolled: 1-line block ×3, first 2 shown]
	s_and_b32 s8, s29, 3
	s_cmp_eq_u32 s8, 0
	s_cbranch_scc1 .LBB101_41
.LBB101_39:
	s_lshl_b32 s2, s28, 3
	s_add_u32 s2, s34, s2
	s_addc_u32 s3, s35, 0
	s_add_u32 s2, s2, 0xc4
	s_addc_u32 s3, s3, 0
	s_mul_i32 s6, s28, 12
	s_add_u32 s6, s34, s6
	s_addc_u32 s7, s35, 0
.LBB101_40:                             ; =>This Inner Loop Header: Depth=1
	s_load_dwordx2 s[10:11], s[6:7], 0x4
	s_load_dword s9, s[6:7], 0xc
	s_load_dwordx2 s[12:13], s[2:3], 0x0
	s_add_u32 s6, s6, 12
	s_addc_u32 s7, s7, 0
	s_waitcnt lgkmcnt(0)
	v_mul_hi_u32 v7, s11, v4
	s_add_u32 s2, s2, 8
	s_addc_u32 s3, s3, 0
	s_add_i32 s8, s8, -1
	v_add_u32_e32 v7, v4, v7
	v_lshrrev_b32_e32 v7, s9, v7
	v_mul_lo_u32 v8, v7, s10
	s_cmp_lg_u32 s8, 0
	v_sub_u32_e32 v8, v4, v8
	v_mad_u64_u32 v[3:4], s[10:11], v8, s12, v[3:4]
	v_mad_u64_u32 v[5:6], s[10:11], v8, s13, v[5:6]
	v_mov_b32_e32 v4, v7
	s_cbranch_scc1 .LBB101_40
.LBB101_41:
	s_cbranch_execnz .LBB101_44
.LBB101_42:
	s_load_dwordx4 s[8:11], s[34:35], 0x4
	s_load_dwordx2 s[2:3], s[34:35], 0xc4
	s_cmp_lt_u32 s33, 2
	s_waitcnt lgkmcnt(0)
	v_mul_hi_u32 v3, s9, v1
	v_add_u32_e32 v3, v1, v3
	v_lshrrev_b32_e32 v4, s10, v3
	v_mul_lo_u32 v3, v4, s8
	v_sub_u32_e32 v1, v1, v3
	v_mul_lo_u32 v3, v1, s2
	v_mul_lo_u32 v5, v1, s3
	s_cbranch_scc1 .LBB101_44
; %bb.43:
	s_load_dwordx4 s[8:11], s[34:35], 0x10
	s_load_dwordx2 s[2:3], s[34:35], 0xcc
	s_waitcnt lgkmcnt(0)
	v_mul_hi_u32 v1, s9, v4
	v_add_u32_e32 v1, v4, v1
	v_lshrrev_b32_e32 v1, s10, v1
	v_mul_lo_u32 v1, v1, s8
	v_sub_u32_e32 v1, v4, v1
	v_mad_u64_u32 v[3:4], s[6:7], v1, s2, v[3:4]
	v_mad_u64_u32 v[5:6], s[2:3], v1, s3, v[5:6]
.LBB101_44:
	s_and_b64 vcc, exec, s[0:1]
	v_add_u32_e32 v1, 0x100, v19
	s_cbranch_vccnz .LBB101_50
; %bb.45:
	s_cmp_lg_u32 s33, 0
	s_mov_b32 s28, 0
	s_cbranch_scc0 .LBB101_51
; %bb.46:
	s_min_u32 s29, s56, 15
	s_add_i32 s29, s29, 1
	s_cmp_eq_u32 s56, 2
	s_cbranch_scc1 .LBB101_52
; %bb.47:
	s_and_b32 s28, s29, 28
	s_add_u32 s2, s34, 0xc4
	s_addc_u32 s3, s35, 0
	v_mov_b32_e32 v8, 0
	s_mov_b32 s30, 0
	s_mov_b64 s[6:7], s[34:35]
	v_mov_b32_e32 v6, 0
	v_mov_b32_e32 v4, v1
.LBB101_48:                             ; =>This Inner Loop Header: Depth=1
	s_load_dwordx8 s[16:23], s[6:7], 0x4
	s_load_dwordx4 s[24:27], s[6:7], 0x24
	s_load_dwordx8 s[8:15], s[2:3], 0x0
	s_add_u32 s6, s6, 48
	s_addc_u32 s7, s7, 0
	s_waitcnt lgkmcnt(0)
	v_mul_hi_u32 v7, s17, v4
	s_add_i32 s30, s30, 4
	s_add_u32 s2, s2, 32
	s_addc_u32 s3, s3, 0
	v_add_u32_e32 v7, v4, v7
	v_lshrrev_b32_e32 v7, s18, v7
	v_mul_lo_u32 v9, v7, s16
	v_mul_hi_u32 v10, s20, v7
	s_cmp_lg_u32 s28, s30
	v_sub_u32_e32 v4, v4, v9
	v_add_u32_e32 v9, v7, v10
	v_mul_lo_u32 v10, v4, s8
	v_mul_lo_u32 v11, v4, s9
	v_lshrrev_b32_e32 v4, s21, v9
	v_mul_lo_u32 v9, v4, s19
	v_mul_hi_u32 v12, s23, v4
	v_sub_u32_e32 v7, v7, v9
	v_add_u32_e32 v9, v4, v12
	v_lshrrev_b32_e32 v9, s24, v9
	v_mul_hi_u32 v13, s26, v9
	v_mul_lo_u32 v14, v9, s22
	v_mul_lo_u32 v12, v7, s10
	;; [unrolled: 1-line block ×3, first 2 shown]
	v_sub_u32_e32 v14, v4, v14
	v_add_u32_e32 v4, v9, v13
	v_lshrrev_b32_e32 v4, s27, v4
	v_mul_lo_u32 v13, v4, s25
	v_mul_lo_u32 v15, v14, s12
	;; [unrolled: 1-line block ×3, first 2 shown]
	v_add3_u32 v6, v10, v6, v12
	v_sub_u32_e32 v9, v9, v13
	v_mul_lo_u32 v13, v9, s14
	v_mul_lo_u32 v9, v9, s15
	v_add3_u32 v7, v11, v8, v7
	v_add3_u32 v6, v15, v6, v13
	;; [unrolled: 1-line block ×3, first 2 shown]
	s_cbranch_scc1 .LBB101_48
; %bb.49:
	s_and_b32 s8, s29, 3
	s_cmp_eq_u32 s8, 0
	s_cbranch_scc0 .LBB101_53
	s_branch .LBB101_55
.LBB101_50:
                                        ; implicit-def: $vgpr6
                                        ; implicit-def: $vgpr8
	s_branch .LBB101_56
.LBB101_51:
	v_mov_b32_e32 v6, 0
	v_mov_b32_e32 v8, 0
	s_branch .LBB101_55
.LBB101_52:
	v_mov_b32_e32 v6, 0
	v_mov_b32_e32 v8, 0
	;; [unrolled: 1-line block ×3, first 2 shown]
	s_and_b32 s8, s29, 3
	s_cmp_eq_u32 s8, 0
	s_cbranch_scc1 .LBB101_55
.LBB101_53:
	s_lshl_b32 s2, s28, 3
	s_add_u32 s2, s34, s2
	s_addc_u32 s3, s35, 0
	s_add_u32 s2, s2, 0xc4
	s_addc_u32 s3, s3, 0
	s_mul_i32 s6, s28, 12
	s_add_u32 s6, s34, s6
	s_addc_u32 s7, s35, 0
.LBB101_54:                             ; =>This Inner Loop Header: Depth=1
	s_load_dwordx2 s[10:11], s[6:7], 0x4
	s_load_dword s9, s[6:7], 0xc
	s_load_dwordx2 s[12:13], s[2:3], 0x0
	s_add_u32 s6, s6, 12
	s_addc_u32 s7, s7, 0
	s_waitcnt lgkmcnt(0)
	v_mul_hi_u32 v7, s11, v4
	s_add_u32 s2, s2, 8
	s_addc_u32 s3, s3, 0
	s_add_i32 s8, s8, -1
	v_add_u32_e32 v7, v4, v7
	v_lshrrev_b32_e32 v10, s9, v7
	v_mul_lo_u32 v7, v10, s10
	s_cmp_lg_u32 s8, 0
	v_sub_u32_e32 v4, v4, v7
	v_mad_u64_u32 v[6:7], s[10:11], v4, s12, v[6:7]
	v_mad_u64_u32 v[8:9], s[10:11], v4, s13, v[8:9]
	v_mov_b32_e32 v4, v10
	s_cbranch_scc1 .LBB101_54
.LBB101_55:
	s_cbranch_execnz .LBB101_58
.LBB101_56:
	s_load_dwordx4 s[8:11], s[34:35], 0x4
	s_load_dwordx2 s[2:3], s[34:35], 0xc4
	s_cmp_lt_u32 s33, 2
	s_waitcnt lgkmcnt(0)
	v_mul_hi_u32 v4, s9, v1
	v_add_u32_e32 v4, v1, v4
	v_lshrrev_b32_e32 v4, s10, v4
	v_mul_lo_u32 v6, v4, s8
	v_sub_u32_e32 v1, v1, v6
	v_mul_lo_u32 v6, v1, s2
	v_mul_lo_u32 v8, v1, s3
	s_cbranch_scc1 .LBB101_58
; %bb.57:
	s_load_dwordx4 s[8:11], s[34:35], 0x10
	s_load_dwordx2 s[2:3], s[34:35], 0xcc
	s_waitcnt lgkmcnt(0)
	v_mul_hi_u32 v1, s9, v4
	v_add_u32_e32 v1, v4, v1
	v_lshrrev_b32_e32 v1, s10, v1
	v_mul_lo_u32 v1, v1, s8
	v_sub_u32_e32 v1, v4, v1
	v_mad_u64_u32 v[6:7], s[6:7], v1, s2, v[6:7]
	v_mad_u64_u32 v[8:9], s[2:3], v1, s3, v[8:9]
.LBB101_58:
	s_and_b64 vcc, exec, s[0:1]
	v_add_u32_e32 v1, 0x180, v19
	s_cbranch_vccnz .LBB101_64
; %bb.59:
	s_cmp_lg_u32 s33, 0
	s_mov_b32 s28, 0
	s_cbranch_scc0 .LBB101_65
; %bb.60:
	s_min_u32 s29, s56, 15
	s_add_i32 s29, s29, 1
	s_cmp_eq_u32 s56, 2
	s_cbranch_scc1 .LBB101_66
; %bb.61:
	s_and_b32 s28, s29, 28
	s_add_u32 s2, s34, 0xc4
	s_addc_u32 s3, s35, 0
	v_mov_b32_e32 v11, 0
	s_mov_b32 s30, 0
	s_mov_b64 s[6:7], s[34:35]
	v_mov_b32_e32 v9, 0
	v_mov_b32_e32 v4, v1
.LBB101_62:                             ; =>This Inner Loop Header: Depth=1
	s_load_dwordx8 s[16:23], s[6:7], 0x4
	s_load_dwordx4 s[24:27], s[6:7], 0x24
	s_load_dwordx8 s[8:15], s[2:3], 0x0
	s_add_u32 s6, s6, 48
	s_addc_u32 s7, s7, 0
	s_waitcnt lgkmcnt(0)
	v_mul_hi_u32 v7, s17, v4
	s_add_i32 s30, s30, 4
	s_add_u32 s2, s2, 32
	s_addc_u32 s3, s3, 0
	v_add_u32_e32 v7, v4, v7
	v_lshrrev_b32_e32 v7, s18, v7
	v_mul_lo_u32 v10, v7, s16
	v_mul_hi_u32 v12, s20, v7
	s_cmp_lg_u32 s28, s30
	v_sub_u32_e32 v4, v4, v10
	v_add_u32_e32 v10, v7, v12
	v_mul_lo_u32 v12, v4, s8
	v_mul_lo_u32 v13, v4, s9
	v_lshrrev_b32_e32 v4, s21, v10
	v_mul_lo_u32 v10, v4, s19
	v_mul_hi_u32 v14, s23, v4
	v_sub_u32_e32 v7, v7, v10
	v_add_u32_e32 v10, v4, v14
	v_lshrrev_b32_e32 v10, s24, v10
	v_mul_hi_u32 v15, s26, v10
	v_mul_lo_u32 v16, v10, s22
	v_mul_lo_u32 v14, v7, s10
	;; [unrolled: 1-line block ×3, first 2 shown]
	v_sub_u32_e32 v16, v4, v16
	v_add_u32_e32 v4, v10, v15
	v_lshrrev_b32_e32 v4, s27, v4
	v_mul_lo_u32 v15, v4, s25
	v_mul_lo_u32 v17, v16, s12
	;; [unrolled: 1-line block ×3, first 2 shown]
	v_add3_u32 v9, v12, v9, v14
	v_sub_u32_e32 v10, v10, v15
	v_mul_lo_u32 v15, v10, s14
	v_mul_lo_u32 v10, v10, s15
	v_add3_u32 v7, v13, v11, v7
	v_add3_u32 v9, v17, v9, v15
	;; [unrolled: 1-line block ×3, first 2 shown]
	s_cbranch_scc1 .LBB101_62
; %bb.63:
	s_and_b32 s8, s29, 3
	s_cmp_eq_u32 s8, 0
	s_cbranch_scc0 .LBB101_67
	s_branch .LBB101_69
.LBB101_64:
                                        ; implicit-def: $vgpr9
                                        ; implicit-def: $vgpr11
	s_branch .LBB101_70
.LBB101_65:
	v_mov_b32_e32 v9, 0
	v_mov_b32_e32 v11, 0
	s_branch .LBB101_69
.LBB101_66:
	v_mov_b32_e32 v9, 0
	v_mov_b32_e32 v11, 0
	;; [unrolled: 1-line block ×3, first 2 shown]
	s_and_b32 s8, s29, 3
	s_cmp_eq_u32 s8, 0
	s_cbranch_scc1 .LBB101_69
.LBB101_67:
	s_lshl_b32 s2, s28, 3
	s_add_u32 s2, s34, s2
	s_addc_u32 s3, s35, 0
	s_add_u32 s2, s2, 0xc4
	s_addc_u32 s3, s3, 0
	s_mul_i32 s6, s28, 12
	s_add_u32 s6, s34, s6
	s_addc_u32 s7, s35, 0
.LBB101_68:                             ; =>This Inner Loop Header: Depth=1
	s_load_dwordx2 s[10:11], s[6:7], 0x4
	s_load_dword s9, s[6:7], 0xc
	s_load_dwordx2 s[12:13], s[2:3], 0x0
	s_add_u32 s6, s6, 12
	s_addc_u32 s7, s7, 0
	s_waitcnt lgkmcnt(0)
	v_mul_hi_u32 v7, s11, v4
	s_add_u32 s2, s2, 8
	s_addc_u32 s3, s3, 0
	s_add_i32 s8, s8, -1
	v_add_u32_e32 v7, v4, v7
	v_lshrrev_b32_e32 v7, s9, v7
	v_mul_lo_u32 v10, v7, s10
	s_cmp_lg_u32 s8, 0
	v_sub_u32_e32 v4, v4, v10
	v_mad_u64_u32 v[9:10], s[10:11], v4, s12, v[9:10]
	v_mad_u64_u32 v[11:12], s[10:11], v4, s13, v[11:12]
	v_mov_b32_e32 v4, v7
	s_cbranch_scc1 .LBB101_68
.LBB101_69:
	s_cbranch_execnz .LBB101_72
.LBB101_70:
	s_load_dwordx4 s[8:11], s[34:35], 0x4
	s_load_dwordx2 s[2:3], s[34:35], 0xc4
	s_cmp_lt_u32 s33, 2
	s_waitcnt lgkmcnt(0)
	v_mul_hi_u32 v4, s9, v1
	v_add_u32_e32 v4, v1, v4
	v_lshrrev_b32_e32 v4, s10, v4
	v_mul_lo_u32 v7, v4, s8
	v_sub_u32_e32 v1, v1, v7
	v_mul_lo_u32 v9, v1, s2
	v_mul_lo_u32 v11, v1, s3
	s_cbranch_scc1 .LBB101_72
; %bb.71:
	s_load_dwordx4 s[8:11], s[34:35], 0x10
	s_load_dwordx2 s[2:3], s[34:35], 0xcc
	s_waitcnt lgkmcnt(0)
	v_mul_hi_u32 v1, s9, v4
	v_add_u32_e32 v1, v4, v1
	v_lshrrev_b32_e32 v1, s10, v1
	v_mul_lo_u32 v1, v1, s8
	v_sub_u32_e32 v1, v4, v1
	v_mad_u64_u32 v[9:10], s[6:7], v1, s2, v[9:10]
	v_mad_u64_u32 v[11:12], s[2:3], v1, s3, v[11:12]
.LBB101_72:
	s_and_b64 vcc, exec, s[0:1]
	v_add_u32_e32 v1, 0x200, v19
	s_cbranch_vccnz .LBB101_78
; %bb.73:
	s_cmp_lg_u32 s33, 0
	s_mov_b32 s28, 0
	s_cbranch_scc0 .LBB101_79
; %bb.74:
	s_min_u32 s29, s56, 15
	s_add_i32 s29, s29, 1
	s_cmp_eq_u32 s56, 2
	s_cbranch_scc1 .LBB101_80
; %bb.75:
	s_and_b32 s28, s29, 28
	s_add_u32 s2, s34, 0xc4
	s_addc_u32 s3, s35, 0
	v_mov_b32_e32 v14, 0
	s_mov_b32 s30, 0
	s_mov_b64 s[6:7], s[34:35]
	v_mov_b32_e32 v12, 0
	v_mov_b32_e32 v4, v1
.LBB101_76:                             ; =>This Inner Loop Header: Depth=1
	s_load_dwordx8 s[16:23], s[6:7], 0x4
	s_load_dwordx4 s[24:27], s[6:7], 0x24
	s_load_dwordx8 s[8:15], s[2:3], 0x0
	s_add_u32 s6, s6, 48
	s_addc_u32 s7, s7, 0
	s_waitcnt lgkmcnt(0)
	v_mul_hi_u32 v7, s17, v4
	s_add_i32 s30, s30, 4
	s_add_u32 s2, s2, 32
	s_addc_u32 s3, s3, 0
	v_add_u32_e32 v7, v4, v7
	v_lshrrev_b32_e32 v7, s18, v7
	v_mul_lo_u32 v10, v7, s16
	v_mul_hi_u32 v13, s20, v7
	s_cmp_lg_u32 s28, s30
	v_sub_u32_e32 v4, v4, v10
	v_add_u32_e32 v10, v7, v13
	v_mul_lo_u32 v13, v4, s8
	v_mul_lo_u32 v15, v4, s9
	v_lshrrev_b32_e32 v4, s21, v10
	v_mul_lo_u32 v10, v4, s19
	v_mul_hi_u32 v16, s23, v4
	v_sub_u32_e32 v7, v7, v10
	v_add_u32_e32 v10, v4, v16
	v_lshrrev_b32_e32 v10, s24, v10
	v_mul_hi_u32 v17, s26, v10
	v_mul_lo_u32 v18, v10, s22
	v_mul_lo_u32 v16, v7, s10
	v_mul_lo_u32 v7, v7, s11
	v_sub_u32_e32 v18, v4, v18
	v_add_u32_e32 v4, v10, v17
	v_lshrrev_b32_e32 v4, s27, v4
	v_mul_lo_u32 v17, v4, s25
	v_mul_lo_u32 v20, v18, s12
	;; [unrolled: 1-line block ×3, first 2 shown]
	v_add3_u32 v12, v13, v12, v16
	v_sub_u32_e32 v10, v10, v17
	v_mul_lo_u32 v17, v10, s14
	v_mul_lo_u32 v10, v10, s15
	v_add3_u32 v7, v15, v14, v7
	v_add3_u32 v12, v20, v12, v17
	;; [unrolled: 1-line block ×3, first 2 shown]
	s_cbranch_scc1 .LBB101_76
; %bb.77:
	s_and_b32 s8, s29, 3
	s_cmp_eq_u32 s8, 0
	s_cbranch_scc0 .LBB101_81
	s_branch .LBB101_83
.LBB101_78:
                                        ; implicit-def: $vgpr12
                                        ; implicit-def: $vgpr14
	s_branch .LBB101_84
.LBB101_79:
	v_mov_b32_e32 v12, 0
	v_mov_b32_e32 v14, 0
	s_branch .LBB101_83
.LBB101_80:
	v_mov_b32_e32 v12, 0
	v_mov_b32_e32 v14, 0
	;; [unrolled: 1-line block ×3, first 2 shown]
	s_and_b32 s8, s29, 3
	s_cmp_eq_u32 s8, 0
	s_cbranch_scc1 .LBB101_83
.LBB101_81:
	s_lshl_b32 s2, s28, 3
	s_add_u32 s2, s34, s2
	s_addc_u32 s3, s35, 0
	s_add_u32 s2, s2, 0xc4
	s_addc_u32 s3, s3, 0
	s_mul_i32 s6, s28, 12
	s_add_u32 s6, s34, s6
	s_addc_u32 s7, s35, 0
.LBB101_82:                             ; =>This Inner Loop Header: Depth=1
	s_load_dwordx2 s[10:11], s[6:7], 0x4
	s_load_dword s9, s[6:7], 0xc
	s_load_dwordx2 s[12:13], s[2:3], 0x0
	s_add_u32 s6, s6, 12
	s_addc_u32 s7, s7, 0
	s_waitcnt lgkmcnt(0)
	v_mul_hi_u32 v7, s11, v4
	s_add_u32 s2, s2, 8
	s_addc_u32 s3, s3, 0
	s_add_i32 s8, s8, -1
	v_add_u32_e32 v7, v4, v7
	v_lshrrev_b32_e32 v7, s9, v7
	v_mul_lo_u32 v10, v7, s10
	s_cmp_lg_u32 s8, 0
	v_sub_u32_e32 v4, v4, v10
	v_mad_u64_u32 v[12:13], s[10:11], v4, s12, v[12:13]
	v_mad_u64_u32 v[14:15], s[10:11], v4, s13, v[14:15]
	v_mov_b32_e32 v4, v7
	s_cbranch_scc1 .LBB101_82
.LBB101_83:
	s_cbranch_execnz .LBB101_86
.LBB101_84:
	s_load_dwordx4 s[8:11], s[34:35], 0x4
	s_load_dwordx2 s[2:3], s[34:35], 0xc4
	s_cmp_lt_u32 s33, 2
	s_waitcnt lgkmcnt(0)
	v_mul_hi_u32 v4, s9, v1
	v_add_u32_e32 v4, v1, v4
	v_lshrrev_b32_e32 v4, s10, v4
	v_mul_lo_u32 v7, v4, s8
	v_sub_u32_e32 v1, v1, v7
	v_mul_lo_u32 v12, v1, s2
	v_mul_lo_u32 v14, v1, s3
	s_cbranch_scc1 .LBB101_86
; %bb.85:
	s_load_dwordx4 s[8:11], s[34:35], 0x10
	s_load_dwordx2 s[2:3], s[34:35], 0xcc
	s_waitcnt lgkmcnt(0)
	v_mul_hi_u32 v1, s9, v4
	v_add_u32_e32 v1, v4, v1
	v_lshrrev_b32_e32 v1, s10, v1
	v_mul_lo_u32 v1, v1, s8
	v_sub_u32_e32 v1, v4, v1
	v_mad_u64_u32 v[12:13], s[6:7], v1, s2, v[12:13]
	v_mad_u64_u32 v[14:15], s[2:3], v1, s3, v[14:15]
.LBB101_86:
	s_and_b64 vcc, exec, s[0:1]
	v_add_u32_e32 v1, 0x280, v19
	s_cbranch_vccnz .LBB101_92
; %bb.87:
	s_cmp_lg_u32 s33, 0
	s_mov_b32 s28, 0
	s_cbranch_scc0 .LBB101_93
; %bb.88:
	s_min_u32 s29, s56, 15
	s_add_i32 s29, s29, 1
	s_cmp_eq_u32 s56, 2
	s_cbranch_scc1 .LBB101_94
; %bb.89:
	s_and_b32 s28, s29, 28
	s_add_u32 s2, s34, 0xc4
	s_addc_u32 s3, s35, 0
	v_mov_b32_e32 v17, 0
	s_mov_b32 s30, 0
	s_mov_b64 s[6:7], s[34:35]
	v_mov_b32_e32 v15, 0
	v_mov_b32_e32 v4, v1
.LBB101_90:                             ; =>This Inner Loop Header: Depth=1
	s_load_dwordx8 s[16:23], s[6:7], 0x4
	s_load_dwordx4 s[24:27], s[6:7], 0x24
	s_load_dwordx8 s[8:15], s[2:3], 0x0
	s_add_u32 s6, s6, 48
	s_addc_u32 s7, s7, 0
	s_waitcnt lgkmcnt(0)
	v_mul_hi_u32 v7, s17, v4
	s_add_i32 s30, s30, 4
	s_add_u32 s2, s2, 32
	s_addc_u32 s3, s3, 0
	v_add_u32_e32 v7, v4, v7
	v_lshrrev_b32_e32 v7, s18, v7
	v_mul_lo_u32 v10, v7, s16
	v_mul_hi_u32 v13, s20, v7
	s_cmp_lg_u32 s28, s30
	v_sub_u32_e32 v4, v4, v10
	v_add_u32_e32 v10, v7, v13
	v_mul_lo_u32 v13, v4, s8
	v_mul_lo_u32 v16, v4, s9
	v_lshrrev_b32_e32 v4, s21, v10
	v_mul_lo_u32 v10, v4, s19
	v_mul_hi_u32 v18, s23, v4
	v_sub_u32_e32 v7, v7, v10
	v_add_u32_e32 v10, v4, v18
	v_lshrrev_b32_e32 v10, s24, v10
	v_mul_hi_u32 v20, s26, v10
	v_mul_lo_u32 v21, v10, s22
	v_mul_lo_u32 v18, v7, s10
	;; [unrolled: 1-line block ×3, first 2 shown]
	v_sub_u32_e32 v21, v4, v21
	v_add_u32_e32 v4, v10, v20
	v_lshrrev_b32_e32 v4, s27, v4
	v_mul_lo_u32 v20, v4, s25
	v_mul_lo_u32 v22, v21, s12
	;; [unrolled: 1-line block ×3, first 2 shown]
	v_add3_u32 v13, v13, v15, v18
	v_sub_u32_e32 v10, v10, v20
	v_mul_lo_u32 v20, v10, s14
	v_mul_lo_u32 v10, v10, s15
	v_add3_u32 v7, v16, v17, v7
	v_add3_u32 v15, v22, v13, v20
	;; [unrolled: 1-line block ×3, first 2 shown]
	s_cbranch_scc1 .LBB101_90
; %bb.91:
	s_and_b32 s8, s29, 3
	s_cmp_eq_u32 s8, 0
	s_cbranch_scc0 .LBB101_95
	s_branch .LBB101_97
.LBB101_92:
                                        ; implicit-def: $vgpr15
                                        ; implicit-def: $vgpr17
	s_branch .LBB101_98
.LBB101_93:
	v_mov_b32_e32 v15, 0
	v_mov_b32_e32 v17, 0
	s_branch .LBB101_97
.LBB101_94:
	v_mov_b32_e32 v15, 0
	v_mov_b32_e32 v17, 0
	;; [unrolled: 1-line block ×3, first 2 shown]
	s_and_b32 s8, s29, 3
	s_cmp_eq_u32 s8, 0
	s_cbranch_scc1 .LBB101_97
.LBB101_95:
	s_lshl_b32 s2, s28, 3
	s_add_u32 s2, s34, s2
	s_addc_u32 s3, s35, 0
	s_add_u32 s2, s2, 0xc4
	s_addc_u32 s3, s3, 0
	s_mul_i32 s6, s28, 12
	s_add_u32 s6, s34, s6
	s_addc_u32 s7, s35, 0
.LBB101_96:                             ; =>This Inner Loop Header: Depth=1
	s_load_dwordx2 s[10:11], s[6:7], 0x4
	s_load_dword s9, s[6:7], 0xc
	s_load_dwordx2 s[12:13], s[2:3], 0x0
	s_add_u32 s6, s6, 12
	s_addc_u32 s7, s7, 0
	s_waitcnt lgkmcnt(0)
	v_mul_hi_u32 v7, s11, v4
	s_add_u32 s2, s2, 8
	s_addc_u32 s3, s3, 0
	s_add_i32 s8, s8, -1
	v_add_u32_e32 v7, v4, v7
	v_lshrrev_b32_e32 v7, s9, v7
	v_mul_lo_u32 v10, v7, s10
	s_cmp_lg_u32 s8, 0
	v_sub_u32_e32 v4, v4, v10
	v_mad_u64_u32 v[15:16], s[10:11], v4, s12, v[15:16]
	v_mad_u64_u32 v[17:18], s[10:11], v4, s13, v[17:18]
	v_mov_b32_e32 v4, v7
	s_cbranch_scc1 .LBB101_96
.LBB101_97:
	s_cbranch_execnz .LBB101_100
.LBB101_98:
	s_load_dwordx4 s[8:11], s[34:35], 0x4
	s_load_dwordx2 s[2:3], s[34:35], 0xc4
	s_cmp_lt_u32 s33, 2
	s_waitcnt lgkmcnt(0)
	v_mul_hi_u32 v4, s9, v1
	v_add_u32_e32 v4, v1, v4
	v_lshrrev_b32_e32 v4, s10, v4
	v_mul_lo_u32 v7, v4, s8
	v_sub_u32_e32 v1, v1, v7
	v_mul_lo_u32 v15, v1, s2
	v_mul_lo_u32 v17, v1, s3
	s_cbranch_scc1 .LBB101_100
; %bb.99:
	s_load_dwordx4 s[8:11], s[34:35], 0x10
	s_load_dwordx2 s[2:3], s[34:35], 0xcc
	s_waitcnt lgkmcnt(0)
	v_mul_hi_u32 v1, s9, v4
	v_add_u32_e32 v1, v4, v1
	v_lshrrev_b32_e32 v1, s10, v1
	v_mul_lo_u32 v1, v1, s8
	v_sub_u32_e32 v1, v4, v1
	v_mad_u64_u32 v[15:16], s[6:7], v1, s2, v[15:16]
	v_mad_u64_u32 v[17:18], s[2:3], v1, s3, v[17:18]
.LBB101_100:
	s_and_b64 vcc, exec, s[0:1]
	v_add_u32_e32 v1, 0x300, v19
	s_cbranch_vccnz .LBB101_106
; %bb.101:
	s_cmp_lg_u32 s33, 0
	s_mov_b32 s28, 0
	s_cbranch_scc0 .LBB101_107
; %bb.102:
	s_min_u32 s29, s56, 15
	s_add_i32 s29, s29, 1
	s_cmp_eq_u32 s56, 2
	s_cbranch_scc1 .LBB101_108
; %bb.103:
	s_and_b32 s28, s29, 28
	s_add_u32 s2, s34, 0xc4
	s_addc_u32 s3, s35, 0
	v_mov_b32_e32 v20, 0
	s_mov_b32 s30, 0
	s_mov_b64 s[6:7], s[34:35]
	v_mov_b32_e32 v18, 0
	v_mov_b32_e32 v4, v1
.LBB101_104:                            ; =>This Inner Loop Header: Depth=1
	s_load_dwordx8 s[16:23], s[6:7], 0x4
	s_load_dwordx4 s[24:27], s[6:7], 0x24
	s_load_dwordx8 s[8:15], s[2:3], 0x0
	s_add_u32 s6, s6, 48
	s_addc_u32 s7, s7, 0
	s_waitcnt lgkmcnt(0)
	v_mul_hi_u32 v7, s17, v4
	s_add_i32 s30, s30, 4
	s_add_u32 s2, s2, 32
	s_addc_u32 s3, s3, 0
	v_add_u32_e32 v7, v4, v7
	v_lshrrev_b32_e32 v7, s18, v7
	v_mul_lo_u32 v10, v7, s16
	v_mul_hi_u32 v13, s20, v7
	s_cmp_lg_u32 s28, s30
	v_sub_u32_e32 v4, v4, v10
	v_add_u32_e32 v10, v7, v13
	v_mul_lo_u32 v13, v4, s8
	v_mul_lo_u32 v16, v4, s9
	v_lshrrev_b32_e32 v4, s21, v10
	v_mul_lo_u32 v10, v4, s19
	v_mul_hi_u32 v19, s23, v4
	v_sub_u32_e32 v7, v7, v10
	v_add_u32_e32 v10, v4, v19
	v_lshrrev_b32_e32 v10, s24, v10
	v_mul_hi_u32 v21, s26, v10
	v_mul_lo_u32 v22, v10, s22
	v_mul_lo_u32 v19, v7, s10
	v_mul_lo_u32 v7, v7, s11
	v_sub_u32_e32 v22, v4, v22
	v_add_u32_e32 v4, v10, v21
	v_lshrrev_b32_e32 v4, s27, v4
	v_mul_lo_u32 v21, v4, s25
	v_mul_lo_u32 v23, v22, s12
	v_mul_lo_u32 v22, v22, s13
	v_add3_u32 v13, v13, v18, v19
	v_sub_u32_e32 v10, v10, v21
	v_mul_lo_u32 v21, v10, s14
	v_mul_lo_u32 v10, v10, s15
	v_add3_u32 v7, v16, v20, v7
	v_add3_u32 v18, v23, v13, v21
	v_add3_u32 v20, v22, v7, v10
	s_cbranch_scc1 .LBB101_104
; %bb.105:
	s_and_b32 s8, s29, 3
	s_cmp_eq_u32 s8, 0
	s_cbranch_scc0 .LBB101_109
	s_branch .LBB101_111
.LBB101_106:
                                        ; implicit-def: $vgpr18
                                        ; implicit-def: $vgpr20
	s_branch .LBB101_112
.LBB101_107:
	v_mov_b32_e32 v18, 0
	v_mov_b32_e32 v20, 0
	s_branch .LBB101_111
.LBB101_108:
	v_mov_b32_e32 v18, 0
	v_mov_b32_e32 v20, 0
	;; [unrolled: 1-line block ×3, first 2 shown]
	s_and_b32 s8, s29, 3
	s_cmp_eq_u32 s8, 0
	s_cbranch_scc1 .LBB101_111
.LBB101_109:
	s_lshl_b32 s2, s28, 3
	s_add_u32 s2, s34, s2
	s_addc_u32 s3, s35, 0
	s_add_u32 s2, s2, 0xc4
	s_addc_u32 s3, s3, 0
	s_mul_i32 s6, s28, 12
	s_add_u32 s6, s34, s6
	s_addc_u32 s7, s35, 0
.LBB101_110:                            ; =>This Inner Loop Header: Depth=1
	s_load_dwordx2 s[10:11], s[6:7], 0x4
	s_load_dword s9, s[6:7], 0xc
	s_load_dwordx2 s[12:13], s[2:3], 0x0
	s_add_u32 s6, s6, 12
	s_addc_u32 s7, s7, 0
	s_waitcnt lgkmcnt(0)
	v_mul_hi_u32 v7, s11, v4
	s_add_u32 s2, s2, 8
	s_addc_u32 s3, s3, 0
	s_add_i32 s8, s8, -1
	v_add_u32_e32 v7, v4, v7
	v_lshrrev_b32_e32 v7, s9, v7
	v_mul_lo_u32 v10, v7, s10
	s_cmp_lg_u32 s8, 0
	v_sub_u32_e32 v4, v4, v10
	v_mad_u64_u32 v[18:19], s[10:11], v4, s12, v[18:19]
	v_mad_u64_u32 v[20:21], s[10:11], v4, s13, v[20:21]
	v_mov_b32_e32 v4, v7
	s_cbranch_scc1 .LBB101_110
.LBB101_111:
	s_cbranch_execnz .LBB101_114
.LBB101_112:
	s_load_dwordx4 s[8:11], s[34:35], 0x4
	s_load_dwordx2 s[2:3], s[34:35], 0xc4
	s_cmp_lt_u32 s33, 2
	s_waitcnt lgkmcnt(0)
	v_mul_hi_u32 v4, s9, v1
	v_add_u32_e32 v4, v1, v4
	v_lshrrev_b32_e32 v4, s10, v4
	v_mul_lo_u32 v7, v4, s8
	v_sub_u32_e32 v1, v1, v7
	v_mul_lo_u32 v18, v1, s2
	v_mul_lo_u32 v20, v1, s3
	s_cbranch_scc1 .LBB101_114
; %bb.113:
	s_load_dwordx4 s[8:11], s[34:35], 0x10
	s_load_dwordx2 s[2:3], s[34:35], 0xcc
	s_waitcnt lgkmcnt(0)
	v_mul_hi_u32 v1, s9, v4
	v_add_u32_e32 v1, v4, v1
	v_lshrrev_b32_e32 v1, s10, v1
	v_mul_lo_u32 v1, v1, s8
	v_sub_u32_e32 v1, v4, v1
	v_mad_u64_u32 v[18:19], s[6:7], v1, s2, v[18:19]
	v_mad_u64_u32 v[20:21], s[2:3], v1, s3, v[20:21]
.LBB101_114:
	s_and_b64 vcc, exec, s[0:1]
	s_cbranch_vccnz .LBB101_120
; %bb.115:
	s_cmp_lg_u32 s33, 0
	s_mov_b32 s26, 0
	s_cbranch_scc0 .LBB101_121
; %bb.116:
	s_min_u32 s27, s56, 15
	s_add_i32 s27, s27, 1
	s_cmp_eq_u32 s56, 2
	s_cbranch_scc1 .LBB101_122
; %bb.117:
	s_and_b32 s26, s27, 28
	s_add_u32 s6, s34, 0xc4
	s_addc_u32 s7, s35, 0
	v_mov_b32_e32 v23, 0
	s_mov_b32 s28, 0
	s_mov_b64 s[24:25], s[34:35]
	v_mov_b32_e32 v21, 0
	v_mov_b32_e32 v1, v25
.LBB101_118:                            ; =>This Inner Loop Header: Depth=1
	s_load_dwordx8 s[16:23], s[24:25], 0x4
	s_load_dwordx4 s[0:3], s[24:25], 0x24
	s_load_dwordx8 s[8:15], s[6:7], 0x0
	s_add_u32 s24, s24, 48
	s_addc_u32 s25, s25, 0
	s_waitcnt lgkmcnt(0)
	v_mul_hi_u32 v4, s17, v1
	s_add_i32 s28, s28, 4
	s_add_u32 s6, s6, 32
	s_addc_u32 s7, s7, 0
	v_add_u32_e32 v4, v1, v4
	v_lshrrev_b32_e32 v4, s18, v4
	v_mul_lo_u32 v7, v4, s16
	v_mul_hi_u32 v10, s20, v4
	s_cmp_lg_u32 s26, s28
	v_sub_u32_e32 v1, v1, v7
	v_add_u32_e32 v7, v4, v10
	v_mul_lo_u32 v10, v1, s8
	v_mul_lo_u32 v13, v1, s9
	v_lshrrev_b32_e32 v1, s21, v7
	v_mul_lo_u32 v7, v1, s19
	v_mul_hi_u32 v16, s23, v1
	v_sub_u32_e32 v4, v4, v7
	v_add_u32_e32 v7, v1, v16
	v_lshrrev_b32_e32 v7, s0, v7
	v_mul_hi_u32 v19, s2, v7
	v_mul_lo_u32 v22, v7, s22
	v_mul_lo_u32 v16, v4, s10
	;; [unrolled: 1-line block ×3, first 2 shown]
	v_sub_u32_e32 v22, v1, v22
	v_add_u32_e32 v1, v7, v19
	v_lshrrev_b32_e32 v1, s3, v1
	v_mul_lo_u32 v19, v1, s1
	v_mul_lo_u32 v24, v22, s12
	;; [unrolled: 1-line block ×3, first 2 shown]
	v_add3_u32 v10, v10, v21, v16
	v_sub_u32_e32 v7, v7, v19
	v_mul_lo_u32 v19, v7, s14
	v_mul_lo_u32 v7, v7, s15
	v_add3_u32 v4, v13, v23, v4
	v_add3_u32 v21, v24, v10, v19
	v_add3_u32 v23, v22, v4, v7
	s_cbranch_scc1 .LBB101_118
; %bb.119:
	s_and_b32 s6, s27, 3
	s_cmp_eq_u32 s6, 0
	s_cbranch_scc0 .LBB101_123
	s_branch .LBB101_125
.LBB101_120:
                                        ; implicit-def: $vgpr21
                                        ; implicit-def: $vgpr23
	s_branch .LBB101_126
.LBB101_121:
	v_mov_b32_e32 v21, 0
	v_mov_b32_e32 v23, 0
	s_branch .LBB101_125
.LBB101_122:
	v_mov_b32_e32 v21, 0
	v_mov_b32_e32 v23, 0
	;; [unrolled: 1-line block ×3, first 2 shown]
	s_and_b32 s6, s27, 3
	s_cmp_eq_u32 s6, 0
	s_cbranch_scc1 .LBB101_125
.LBB101_123:
	s_lshl_b32 s0, s26, 3
	s_add_u32 s0, s34, s0
	s_addc_u32 s1, s35, 0
	s_add_u32 s0, s0, 0xc4
	s_addc_u32 s1, s1, 0
	s_mul_i32 s2, s26, 12
	s_add_u32 s2, s34, s2
	s_addc_u32 s3, s35, 0
.LBB101_124:                            ; =>This Inner Loop Header: Depth=1
	s_load_dwordx2 s[8:9], s[2:3], 0x4
	s_load_dword s7, s[2:3], 0xc
	s_load_dwordx2 s[10:11], s[0:1], 0x0
	s_add_u32 s2, s2, 12
	s_addc_u32 s3, s3, 0
	s_waitcnt lgkmcnt(0)
	v_mul_hi_u32 v4, s9, v1
	s_add_u32 s0, s0, 8
	s_addc_u32 s1, s1, 0
	s_add_i32 s6, s6, -1
	v_add_u32_e32 v4, v1, v4
	v_lshrrev_b32_e32 v4, s7, v4
	v_mul_lo_u32 v7, v4, s8
	s_cmp_lg_u32 s6, 0
	v_sub_u32_e32 v1, v1, v7
	v_mad_u64_u32 v[21:22], s[8:9], v1, s10, v[21:22]
	v_mad_u64_u32 v[23:24], s[8:9], v1, s11, v[23:24]
	v_mov_b32_e32 v1, v4
	s_cbranch_scc1 .LBB101_124
.LBB101_125:
	s_cbranch_execnz .LBB101_128
.LBB101_126:
	s_load_dwordx4 s[0:3], s[34:35], 0x4
	s_load_dwordx2 s[6:7], s[34:35], 0xc4
	s_cmp_lt_u32 s33, 2
	s_waitcnt lgkmcnt(0)
	v_mul_hi_u32 v1, s1, v25
	v_add_u32_e32 v1, v25, v1
	v_lshrrev_b32_e32 v1, s2, v1
	v_mul_lo_u32 v4, v1, s0
	v_sub_u32_e32 v4, v25, v4
	v_mul_lo_u32 v21, v4, s6
	v_mul_lo_u32 v23, v4, s7
	s_cbranch_scc1 .LBB101_128
; %bb.127:
	s_load_dwordx4 s[0:3], s[34:35], 0x10
	s_load_dwordx2 s[6:7], s[34:35], 0xcc
	s_waitcnt lgkmcnt(0)
	v_mul_hi_u32 v4, s1, v1
	v_add_u32_e32 v4, v1, v4
	v_lshrrev_b32_e32 v4, s2, v4
	v_mul_lo_u32 v4, v4, s0
	v_sub_u32_e32 v1, v1, v4
	v_mad_u64_u32 v[21:22], s[0:1], v1, s6, v[21:22]
	v_mad_u64_u32 v[23:24], s[0:1], v1, s7, v[23:24]
.LBB101_128:
	s_load_dwordx4 s[16:19], s[34:35], 0x148
	s_load_dword s0, s[4:5], 0x160
	s_waitcnt lgkmcnt(0)
	global_load_ushort v1, v5, s[18:19]
	global_load_ushort v4, v2, s[18:19]
	;; [unrolled: 1-line block ×8, first 2 shown]
	s_lshr_b32 s12, s0, 16
	s_waitcnt vmcnt(7)
	v_lshlrev_b32_e64 v2, v1, s12
	v_cmp_gt_u32_e32 vcc, 16, v1
	s_waitcnt vmcnt(5)
	v_lshlrev_b32_e64 v1, v7, s12
	v_cmp_gt_u32_e64 s[0:1], 16, v7
	s_waitcnt vmcnt(4)
	v_lshlrev_b32_e64 v5, v10, s12
	v_cmp_gt_u32_e64 s[2:3], 16, v10
	;; [unrolled: 3-line block ×3, first 2 shown]
	s_waitcnt vmcnt(2)
	v_lshlrev_b32_e64 v8, v16, s12
	s_waitcnt vmcnt(1)
	v_lshlrev_b32_e64 v10, v19, s12
	;; [unrolled: 2-line block ×3, first 2 shown]
	v_lshlrev_b32_e64 v13, v4, s12
	v_cmp_gt_u32_e64 s[12:13], 16, v4
	v_cmp_gt_u32_e64 s[6:7], 16, v16
	;; [unrolled: 1-line block ×4, first 2 shown]
	v_cndmask_b32_e64 v4, 0, v13, s[12:13]
	v_cndmask_b32_e32 v2, 0, v2, vcc
	v_cndmask_b32_e64 v1, 0, v1, s[0:1]
	v_cndmask_b32_e64 v5, 0, v5, s[2:3]
	;; [unrolled: 1-line block ×6, first 2 shown]
	global_store_short v0, v4, s[16:17]
	global_store_short v3, v2, s[16:17]
	global_store_short v6, v1, s[16:17]
	global_store_short v9, v5, s[16:17]
	global_store_short v12, v7, s[16:17]
	global_store_short v15, v8, s[16:17]
	global_store_short v18, v10, s[16:17]
	global_store_short v21, v11, s[16:17]
	s_endpgm
.LBB101_129:
	v_mov_b32_e32 v0, 0
	v_mov_b32_e32 v2, 0
	s_branch .LBB101_135
.LBB101_130:
	v_mov_b32_e32 v0, 0
	v_mov_b32_e32 v2, 0
	s_branch .LBB101_151
.LBB101_131:
	s_mov_b32 s60, 0
	v_mov_b32_e32 v0, 0
	v_mov_b32_e32 v2, 0
	;; [unrolled: 1-line block ×3, first 2 shown]
.LBB101_132:
	s_and_b32 s12, s61, 3
	s_cmp_eq_u32 s12, 0
	s_cbranch_scc1 .LBB101_135
; %bb.133:
	s_lshl_b32 s8, s60, 3
	s_add_u32 s8, s34, s8
	s_addc_u32 s9, s35, 0
	s_add_u32 s8, s8, 0xc4
	s_addc_u32 s9, s9, 0
	s_mul_i32 s10, s60, 12
	s_add_u32 s10, s34, s10
	s_addc_u32 s11, s35, 0
.LBB101_134:                            ; =>This Inner Loop Header: Depth=1
	s_load_dwordx2 s[14:15], s[10:11], 0x4
	s_load_dword s13, s[10:11], 0xc
	s_load_dwordx2 s[16:17], s[8:9], 0x0
	s_add_u32 s10, s10, 12
	s_addc_u32 s11, s11, 0
	s_waitcnt lgkmcnt(0)
	v_mul_hi_u32 v3, s15, v1
	s_add_u32 s8, s8, 8
	s_addc_u32 s9, s9, 0
	s_add_i32 s12, s12, -1
	v_add_u32_e32 v3, v1, v3
	v_lshrrev_b32_e32 v4, s13, v3
	v_mul_lo_u32 v3, v4, s14
	s_cmp_lg_u32 s12, 0
	v_sub_u32_e32 v3, v1, v3
	v_mad_u64_u32 v[0:1], s[14:15], v3, s16, v[0:1]
	v_mad_u64_u32 v[2:3], s[14:15], v3, s17, v[2:3]
	v_mov_b32_e32 v1, v4
	s_cbranch_scc1 .LBB101_134
.LBB101_135:
	s_cbranch_execnz .LBB101_138
.LBB101_136:
	v_mul_hi_u32 v0, s25, v19
	s_andn2_b64 vcc, exec, s[44:45]
	v_add_u32_e32 v0, v19, v0
	v_lshrrev_b32_e32 v1, s26, v0
	v_mul_lo_u32 v0, v1, s24
	v_sub_u32_e32 v2, v19, v0
	v_mul_lo_u32 v0, v2, s28
	v_mul_lo_u32 v2, v2, s29
	s_cbranch_vccnz .LBB101_138
; %bb.137:
	v_mul_hi_u32 v3, s42, v1
	v_add_u32_e32 v3, v1, v3
	v_lshrrev_b32_e32 v3, s43, v3
	v_mul_lo_u32 v3, v3, s27
	v_sub_u32_e32 v3, v1, v3
	v_mad_u64_u32 v[0:1], s[8:9], v3, s30, v[0:1]
	v_mad_u64_u32 v[2:3], s[8:9], v3, s31, v[2:3]
.LBB101_138:
	global_load_ushort v1, v2, s[2:3]
	v_add_u32_e32 v19, 0x80, v19
	s_waitcnt vmcnt(0)
	v_lshlrev_b32_e64 v2, v1, s57
	v_cmp_gt_u32_e32 vcc, 16, v1
	v_cndmask_b32_e32 v1, 0, v2, vcc
	global_store_short v0, v1, s[0:1]
	s_or_b64 exec, exec, s[50:51]
	v_cmp_gt_i32_e32 vcc, s58, v19
	s_and_saveexec_b64 s[50:51], vcc
	s_cbranch_execnz .LBB101_15
.LBB101_139:
	s_or_b64 exec, exec, s[50:51]
	v_cmp_gt_i32_e32 vcc, s58, v19
	s_and_saveexec_b64 s[50:51], vcc
	s_cbranch_execz .LBB101_155
.LBB101_140:
	s_andn2_b64 vcc, exec, s[6:7]
	s_cbranch_vccnz .LBB101_145
; %bb.141:
	s_andn2_b64 vcc, exec, s[48:49]
	s_cbranch_vccnz .LBB101_146
; %bb.142:
	s_add_i32 s61, s59, 1
	s_cmp_eq_u32 s56, 2
	s_cbranch_scc1 .LBB101_163
; %bb.143:
	s_and_b32 s60, s61, 28
	v_mov_b32_e32 v2, 0
	s_mov_b32 s62, 0
	s_mov_b64 s[52:53], s[34:35]
	s_mov_b64 s[54:55], s[46:47]
	v_mov_b32_e32 v0, 0
	v_mov_b32_e32 v1, v19
.LBB101_144:                            ; =>This Inner Loop Header: Depth=1
	s_load_dwordx8 s[16:23], s[52:53], 0x4
	s_load_dwordx4 s[36:39], s[52:53], 0x24
	s_load_dwordx8 s[8:15], s[54:55], 0x0
	s_add_u32 s52, s52, 48
	s_addc_u32 s53, s53, 0
	s_waitcnt lgkmcnt(0)
	v_mul_hi_u32 v3, s17, v1
	s_add_i32 s62, s62, 4
	s_add_u32 s54, s54, 32
	s_addc_u32 s55, s55, 0
	v_add_u32_e32 v3, v1, v3
	v_lshrrev_b32_e32 v3, s18, v3
	v_mul_lo_u32 v4, v3, s16
	v_mul_hi_u32 v5, s20, v3
	s_cmp_eq_u32 s60, s62
	v_sub_u32_e32 v1, v1, v4
	v_add_u32_e32 v4, v3, v5
	v_mul_lo_u32 v5, v1, s8
	v_mul_lo_u32 v6, v1, s9
	v_lshrrev_b32_e32 v1, s21, v4
	v_mul_lo_u32 v4, v1, s19
	v_mul_hi_u32 v7, s23, v1
	v_sub_u32_e32 v3, v3, v4
	v_add_u32_e32 v4, v1, v7
	v_lshrrev_b32_e32 v4, s36, v4
	v_mul_hi_u32 v8, s38, v4
	v_mul_lo_u32 v9, v4, s22
	v_mul_lo_u32 v7, v3, s10
	;; [unrolled: 1-line block ×3, first 2 shown]
	v_sub_u32_e32 v9, v1, v9
	v_add_u32_e32 v1, v4, v8
	v_lshrrev_b32_e32 v1, s39, v1
	v_mul_lo_u32 v8, v1, s37
	v_mul_lo_u32 v10, v9, s12
	;; [unrolled: 1-line block ×3, first 2 shown]
	v_add3_u32 v0, v5, v0, v7
	v_sub_u32_e32 v4, v4, v8
	v_mul_lo_u32 v8, v4, s14
	v_mul_lo_u32 v4, v4, s15
	v_add3_u32 v2, v6, v2, v3
	v_add3_u32 v0, v10, v0, v8
	;; [unrolled: 1-line block ×3, first 2 shown]
	s_cbranch_scc0 .LBB101_144
	s_branch .LBB101_164
.LBB101_145:
                                        ; implicit-def: $vgpr0
                                        ; implicit-def: $vgpr2
	s_branch .LBB101_168
.LBB101_146:
	v_mov_b32_e32 v0, 0
	v_mov_b32_e32 v2, 0
	s_branch .LBB101_167
.LBB101_147:
	s_mov_b32 s60, 0
	v_mov_b32_e32 v0, 0
	v_mov_b32_e32 v2, 0
	v_mov_b32_e32 v1, v19
.LBB101_148:
	s_and_b32 s12, s61, 3
	s_cmp_eq_u32 s12, 0
	s_cbranch_scc1 .LBB101_151
; %bb.149:
	s_lshl_b32 s8, s60, 3
	s_add_u32 s8, s34, s8
	s_addc_u32 s9, s35, 0
	s_add_u32 s8, s8, 0xc4
	s_addc_u32 s9, s9, 0
	s_mul_i32 s10, s60, 12
	s_add_u32 s10, s34, s10
	s_addc_u32 s11, s35, 0
.LBB101_150:                            ; =>This Inner Loop Header: Depth=1
	s_load_dwordx2 s[14:15], s[10:11], 0x4
	s_load_dword s13, s[10:11], 0xc
	s_load_dwordx2 s[16:17], s[8:9], 0x0
	s_add_u32 s10, s10, 12
	s_addc_u32 s11, s11, 0
	s_waitcnt lgkmcnt(0)
	v_mul_hi_u32 v3, s15, v1
	s_add_u32 s8, s8, 8
	s_addc_u32 s9, s9, 0
	s_add_i32 s12, s12, -1
	v_add_u32_e32 v3, v1, v3
	v_lshrrev_b32_e32 v4, s13, v3
	v_mul_lo_u32 v3, v4, s14
	s_cmp_lg_u32 s12, 0
	v_sub_u32_e32 v3, v1, v3
	v_mad_u64_u32 v[0:1], s[14:15], v3, s16, v[0:1]
	v_mad_u64_u32 v[2:3], s[14:15], v3, s17, v[2:3]
	v_mov_b32_e32 v1, v4
	s_cbranch_scc1 .LBB101_150
.LBB101_151:
	s_cbranch_execnz .LBB101_154
.LBB101_152:
	v_mul_hi_u32 v0, s25, v19
	s_andn2_b64 vcc, exec, s[44:45]
	v_add_u32_e32 v0, v19, v0
	v_lshrrev_b32_e32 v1, s26, v0
	v_mul_lo_u32 v0, v1, s24
	v_sub_u32_e32 v2, v19, v0
	v_mul_lo_u32 v0, v2, s28
	v_mul_lo_u32 v2, v2, s29
	s_cbranch_vccnz .LBB101_154
; %bb.153:
	v_mul_hi_u32 v3, s42, v1
	v_add_u32_e32 v3, v1, v3
	v_lshrrev_b32_e32 v3, s43, v3
	v_mul_lo_u32 v3, v3, s27
	v_sub_u32_e32 v3, v1, v3
	v_mad_u64_u32 v[0:1], s[8:9], v3, s30, v[0:1]
	v_mad_u64_u32 v[2:3], s[8:9], v3, s31, v[2:3]
.LBB101_154:
	global_load_ushort v1, v2, s[2:3]
	v_add_u32_e32 v19, 0x80, v19
	s_waitcnt vmcnt(0)
	v_lshlrev_b32_e64 v2, v1, s57
	v_cmp_gt_u32_e32 vcc, 16, v1
	v_cndmask_b32_e32 v1, 0, v2, vcc
	global_store_short v0, v1, s[0:1]
	s_or_b64 exec, exec, s[50:51]
	v_cmp_gt_i32_e32 vcc, s58, v19
	s_and_saveexec_b64 s[50:51], vcc
	s_cbranch_execnz .LBB101_140
.LBB101_155:
	s_or_b64 exec, exec, s[50:51]
	v_cmp_gt_i32_e32 vcc, s58, v19
	s_and_saveexec_b64 s[50:51], vcc
	s_cbranch_execz .LBB101_171
.LBB101_156:
	s_andn2_b64 vcc, exec, s[6:7]
	s_cbranch_vccnz .LBB101_161
; %bb.157:
	s_andn2_b64 vcc, exec, s[48:49]
	s_cbranch_vccnz .LBB101_162
; %bb.158:
	s_add_i32 s61, s59, 1
	s_cmp_eq_u32 s56, 2
	s_cbranch_scc1 .LBB101_179
; %bb.159:
	s_and_b32 s60, s61, 28
	v_mov_b32_e32 v2, 0
	s_mov_b32 s62, 0
	s_mov_b64 s[52:53], s[34:35]
	s_mov_b64 s[54:55], s[46:47]
	v_mov_b32_e32 v0, 0
	v_mov_b32_e32 v1, v19
.LBB101_160:                            ; =>This Inner Loop Header: Depth=1
	s_load_dwordx8 s[16:23], s[52:53], 0x4
	s_load_dwordx4 s[36:39], s[52:53], 0x24
	s_load_dwordx8 s[8:15], s[54:55], 0x0
	s_add_u32 s52, s52, 48
	s_addc_u32 s53, s53, 0
	s_waitcnt lgkmcnt(0)
	v_mul_hi_u32 v3, s17, v1
	s_add_i32 s62, s62, 4
	s_add_u32 s54, s54, 32
	s_addc_u32 s55, s55, 0
	v_add_u32_e32 v3, v1, v3
	v_lshrrev_b32_e32 v3, s18, v3
	v_mul_lo_u32 v4, v3, s16
	v_mul_hi_u32 v5, s20, v3
	s_cmp_eq_u32 s60, s62
	v_sub_u32_e32 v1, v1, v4
	v_add_u32_e32 v4, v3, v5
	v_mul_lo_u32 v5, v1, s8
	v_mul_lo_u32 v6, v1, s9
	v_lshrrev_b32_e32 v1, s21, v4
	v_mul_lo_u32 v4, v1, s19
	v_mul_hi_u32 v7, s23, v1
	v_sub_u32_e32 v3, v3, v4
	v_add_u32_e32 v4, v1, v7
	v_lshrrev_b32_e32 v4, s36, v4
	v_mul_hi_u32 v8, s38, v4
	v_mul_lo_u32 v9, v4, s22
	v_mul_lo_u32 v7, v3, s10
	;; [unrolled: 1-line block ×3, first 2 shown]
	v_sub_u32_e32 v9, v1, v9
	v_add_u32_e32 v1, v4, v8
	v_lshrrev_b32_e32 v1, s39, v1
	v_mul_lo_u32 v8, v1, s37
	v_mul_lo_u32 v10, v9, s12
	;; [unrolled: 1-line block ×3, first 2 shown]
	v_add3_u32 v0, v5, v0, v7
	v_sub_u32_e32 v4, v4, v8
	v_mul_lo_u32 v8, v4, s14
	v_mul_lo_u32 v4, v4, s15
	v_add3_u32 v2, v6, v2, v3
	v_add3_u32 v0, v10, v0, v8
	;; [unrolled: 1-line block ×3, first 2 shown]
	s_cbranch_scc0 .LBB101_160
	s_branch .LBB101_180
.LBB101_161:
                                        ; implicit-def: $vgpr0
                                        ; implicit-def: $vgpr2
	s_branch .LBB101_184
.LBB101_162:
	v_mov_b32_e32 v0, 0
	v_mov_b32_e32 v2, 0
	s_branch .LBB101_183
.LBB101_163:
	s_mov_b32 s60, 0
	v_mov_b32_e32 v0, 0
	v_mov_b32_e32 v2, 0
	;; [unrolled: 1-line block ×3, first 2 shown]
.LBB101_164:
	s_and_b32 s12, s61, 3
	s_cmp_eq_u32 s12, 0
	s_cbranch_scc1 .LBB101_167
; %bb.165:
	s_lshl_b32 s8, s60, 3
	s_add_u32 s8, s34, s8
	s_addc_u32 s9, s35, 0
	s_add_u32 s8, s8, 0xc4
	s_addc_u32 s9, s9, 0
	s_mul_i32 s10, s60, 12
	s_add_u32 s10, s34, s10
	s_addc_u32 s11, s35, 0
.LBB101_166:                            ; =>This Inner Loop Header: Depth=1
	s_load_dwordx2 s[14:15], s[10:11], 0x4
	s_load_dword s13, s[10:11], 0xc
	s_load_dwordx2 s[16:17], s[8:9], 0x0
	s_add_u32 s10, s10, 12
	s_addc_u32 s11, s11, 0
	s_waitcnt lgkmcnt(0)
	v_mul_hi_u32 v3, s15, v1
	s_add_u32 s8, s8, 8
	s_addc_u32 s9, s9, 0
	s_add_i32 s12, s12, -1
	v_add_u32_e32 v3, v1, v3
	v_lshrrev_b32_e32 v4, s13, v3
	v_mul_lo_u32 v3, v4, s14
	s_cmp_lg_u32 s12, 0
	v_sub_u32_e32 v3, v1, v3
	v_mad_u64_u32 v[0:1], s[14:15], v3, s16, v[0:1]
	v_mad_u64_u32 v[2:3], s[14:15], v3, s17, v[2:3]
	v_mov_b32_e32 v1, v4
	s_cbranch_scc1 .LBB101_166
.LBB101_167:
	s_cbranch_execnz .LBB101_170
.LBB101_168:
	v_mul_hi_u32 v0, s25, v19
	s_andn2_b64 vcc, exec, s[44:45]
	v_add_u32_e32 v0, v19, v0
	v_lshrrev_b32_e32 v1, s26, v0
	v_mul_lo_u32 v0, v1, s24
	v_sub_u32_e32 v2, v19, v0
	v_mul_lo_u32 v0, v2, s28
	v_mul_lo_u32 v2, v2, s29
	s_cbranch_vccnz .LBB101_170
; %bb.169:
	v_mul_hi_u32 v3, s42, v1
	v_add_u32_e32 v3, v1, v3
	v_lshrrev_b32_e32 v3, s43, v3
	v_mul_lo_u32 v3, v3, s27
	v_sub_u32_e32 v3, v1, v3
	v_mad_u64_u32 v[0:1], s[8:9], v3, s30, v[0:1]
	v_mad_u64_u32 v[2:3], s[8:9], v3, s31, v[2:3]
.LBB101_170:
	global_load_ushort v1, v2, s[2:3]
	v_add_u32_e32 v19, 0x80, v19
	s_waitcnt vmcnt(0)
	v_lshlrev_b32_e64 v2, v1, s57
	v_cmp_gt_u32_e32 vcc, 16, v1
	v_cndmask_b32_e32 v1, 0, v2, vcc
	global_store_short v0, v1, s[0:1]
	s_or_b64 exec, exec, s[50:51]
	v_cmp_gt_i32_e32 vcc, s58, v19
	s_and_saveexec_b64 s[50:51], vcc
	s_cbranch_execnz .LBB101_156
.LBB101_171:
	s_or_b64 exec, exec, s[50:51]
	v_cmp_gt_i32_e32 vcc, s58, v19
	s_and_saveexec_b64 s[50:51], vcc
	s_cbranch_execz .LBB101_187
.LBB101_172:
	s_andn2_b64 vcc, exec, s[6:7]
	s_cbranch_vccnz .LBB101_177
; %bb.173:
	s_andn2_b64 vcc, exec, s[48:49]
	s_cbranch_vccnz .LBB101_178
; %bb.174:
	s_add_i32 s61, s59, 1
	s_cmp_eq_u32 s56, 2
	s_cbranch_scc1 .LBB101_195
; %bb.175:
	s_and_b32 s60, s61, 28
	v_mov_b32_e32 v2, 0
	s_mov_b32 s62, 0
	s_mov_b64 s[52:53], s[34:35]
	s_mov_b64 s[54:55], s[46:47]
	v_mov_b32_e32 v0, 0
	v_mov_b32_e32 v1, v19
.LBB101_176:                            ; =>This Inner Loop Header: Depth=1
	s_load_dwordx8 s[16:23], s[52:53], 0x4
	s_load_dwordx4 s[36:39], s[52:53], 0x24
	s_load_dwordx8 s[8:15], s[54:55], 0x0
	s_add_u32 s52, s52, 48
	s_addc_u32 s53, s53, 0
	s_waitcnt lgkmcnt(0)
	v_mul_hi_u32 v3, s17, v1
	s_add_i32 s62, s62, 4
	s_add_u32 s54, s54, 32
	s_addc_u32 s55, s55, 0
	v_add_u32_e32 v3, v1, v3
	v_lshrrev_b32_e32 v3, s18, v3
	v_mul_lo_u32 v4, v3, s16
	v_mul_hi_u32 v5, s20, v3
	s_cmp_eq_u32 s60, s62
	v_sub_u32_e32 v1, v1, v4
	v_add_u32_e32 v4, v3, v5
	v_mul_lo_u32 v5, v1, s8
	v_mul_lo_u32 v6, v1, s9
	v_lshrrev_b32_e32 v1, s21, v4
	v_mul_lo_u32 v4, v1, s19
	v_mul_hi_u32 v7, s23, v1
	v_sub_u32_e32 v3, v3, v4
	v_add_u32_e32 v4, v1, v7
	v_lshrrev_b32_e32 v4, s36, v4
	v_mul_hi_u32 v8, s38, v4
	v_mul_lo_u32 v9, v4, s22
	v_mul_lo_u32 v7, v3, s10
	v_mul_lo_u32 v3, v3, s11
	v_sub_u32_e32 v9, v1, v9
	v_add_u32_e32 v1, v4, v8
	v_lshrrev_b32_e32 v1, s39, v1
	v_mul_lo_u32 v8, v1, s37
	v_mul_lo_u32 v10, v9, s12
	;; [unrolled: 1-line block ×3, first 2 shown]
	v_add3_u32 v0, v5, v0, v7
	v_sub_u32_e32 v4, v4, v8
	v_mul_lo_u32 v8, v4, s14
	v_mul_lo_u32 v4, v4, s15
	v_add3_u32 v2, v6, v2, v3
	v_add3_u32 v0, v10, v0, v8
	;; [unrolled: 1-line block ×3, first 2 shown]
	s_cbranch_scc0 .LBB101_176
	s_branch .LBB101_196
.LBB101_177:
                                        ; implicit-def: $vgpr0
                                        ; implicit-def: $vgpr2
	s_branch .LBB101_200
.LBB101_178:
	v_mov_b32_e32 v0, 0
	v_mov_b32_e32 v2, 0
	s_branch .LBB101_199
.LBB101_179:
	s_mov_b32 s60, 0
	v_mov_b32_e32 v0, 0
	v_mov_b32_e32 v2, 0
	;; [unrolled: 1-line block ×3, first 2 shown]
.LBB101_180:
	s_and_b32 s12, s61, 3
	s_cmp_eq_u32 s12, 0
	s_cbranch_scc1 .LBB101_183
; %bb.181:
	s_lshl_b32 s8, s60, 3
	s_add_u32 s8, s34, s8
	s_addc_u32 s9, s35, 0
	s_add_u32 s8, s8, 0xc4
	s_addc_u32 s9, s9, 0
	s_mul_i32 s10, s60, 12
	s_add_u32 s10, s34, s10
	s_addc_u32 s11, s35, 0
.LBB101_182:                            ; =>This Inner Loop Header: Depth=1
	s_load_dwordx2 s[14:15], s[10:11], 0x4
	s_load_dword s13, s[10:11], 0xc
	s_load_dwordx2 s[16:17], s[8:9], 0x0
	s_add_u32 s10, s10, 12
	s_addc_u32 s11, s11, 0
	s_waitcnt lgkmcnt(0)
	v_mul_hi_u32 v3, s15, v1
	s_add_u32 s8, s8, 8
	s_addc_u32 s9, s9, 0
	s_add_i32 s12, s12, -1
	v_add_u32_e32 v3, v1, v3
	v_lshrrev_b32_e32 v4, s13, v3
	v_mul_lo_u32 v3, v4, s14
	s_cmp_lg_u32 s12, 0
	v_sub_u32_e32 v3, v1, v3
	v_mad_u64_u32 v[0:1], s[14:15], v3, s16, v[0:1]
	v_mad_u64_u32 v[2:3], s[14:15], v3, s17, v[2:3]
	v_mov_b32_e32 v1, v4
	s_cbranch_scc1 .LBB101_182
.LBB101_183:
	s_cbranch_execnz .LBB101_186
.LBB101_184:
	v_mul_hi_u32 v0, s25, v19
	s_andn2_b64 vcc, exec, s[44:45]
	v_add_u32_e32 v0, v19, v0
	v_lshrrev_b32_e32 v1, s26, v0
	v_mul_lo_u32 v0, v1, s24
	v_sub_u32_e32 v2, v19, v0
	v_mul_lo_u32 v0, v2, s28
	v_mul_lo_u32 v2, v2, s29
	s_cbranch_vccnz .LBB101_186
; %bb.185:
	v_mul_hi_u32 v3, s42, v1
	v_add_u32_e32 v3, v1, v3
	v_lshrrev_b32_e32 v3, s43, v3
	v_mul_lo_u32 v3, v3, s27
	v_sub_u32_e32 v3, v1, v3
	v_mad_u64_u32 v[0:1], s[8:9], v3, s30, v[0:1]
	v_mad_u64_u32 v[2:3], s[8:9], v3, s31, v[2:3]
.LBB101_186:
	global_load_ushort v1, v2, s[2:3]
	v_add_u32_e32 v19, 0x80, v19
	s_waitcnt vmcnt(0)
	v_lshlrev_b32_e64 v2, v1, s57
	v_cmp_gt_u32_e32 vcc, 16, v1
	v_cndmask_b32_e32 v1, 0, v2, vcc
	global_store_short v0, v1, s[0:1]
	s_or_b64 exec, exec, s[50:51]
	v_cmp_gt_i32_e32 vcc, s58, v19
	s_and_saveexec_b64 s[50:51], vcc
	s_cbranch_execnz .LBB101_172
.LBB101_187:
	s_or_b64 exec, exec, s[50:51]
	v_cmp_gt_i32_e32 vcc, s58, v19
	s_and_saveexec_b64 s[50:51], vcc
	s_cbranch_execz .LBB101_203
.LBB101_188:
	s_andn2_b64 vcc, exec, s[6:7]
	s_cbranch_vccnz .LBB101_193
; %bb.189:
	s_andn2_b64 vcc, exec, s[48:49]
	s_cbranch_vccnz .LBB101_194
; %bb.190:
	s_add_i32 s61, s59, 1
	s_cmp_eq_u32 s56, 2
	s_cbranch_scc1 .LBB101_211
; %bb.191:
	s_and_b32 s60, s61, 28
	v_mov_b32_e32 v2, 0
	s_mov_b32 s62, 0
	s_mov_b64 s[52:53], s[34:35]
	s_mov_b64 s[54:55], s[46:47]
	v_mov_b32_e32 v0, 0
	v_mov_b32_e32 v1, v19
.LBB101_192:                            ; =>This Inner Loop Header: Depth=1
	s_load_dwordx8 s[16:23], s[52:53], 0x4
	s_load_dwordx4 s[36:39], s[52:53], 0x24
	s_load_dwordx8 s[8:15], s[54:55], 0x0
	s_add_u32 s52, s52, 48
	s_addc_u32 s53, s53, 0
	s_waitcnt lgkmcnt(0)
	v_mul_hi_u32 v3, s17, v1
	s_add_i32 s62, s62, 4
	s_add_u32 s54, s54, 32
	s_addc_u32 s55, s55, 0
	v_add_u32_e32 v3, v1, v3
	v_lshrrev_b32_e32 v3, s18, v3
	v_mul_lo_u32 v4, v3, s16
	v_mul_hi_u32 v5, s20, v3
	s_cmp_eq_u32 s60, s62
	v_sub_u32_e32 v1, v1, v4
	v_add_u32_e32 v4, v3, v5
	v_mul_lo_u32 v5, v1, s8
	v_mul_lo_u32 v6, v1, s9
	v_lshrrev_b32_e32 v1, s21, v4
	v_mul_lo_u32 v4, v1, s19
	v_mul_hi_u32 v7, s23, v1
	v_sub_u32_e32 v3, v3, v4
	v_add_u32_e32 v4, v1, v7
	v_lshrrev_b32_e32 v4, s36, v4
	v_mul_hi_u32 v8, s38, v4
	v_mul_lo_u32 v9, v4, s22
	v_mul_lo_u32 v7, v3, s10
	;; [unrolled: 1-line block ×3, first 2 shown]
	v_sub_u32_e32 v9, v1, v9
	v_add_u32_e32 v1, v4, v8
	v_lshrrev_b32_e32 v1, s39, v1
	v_mul_lo_u32 v8, v1, s37
	v_mul_lo_u32 v10, v9, s12
	;; [unrolled: 1-line block ×3, first 2 shown]
	v_add3_u32 v0, v5, v0, v7
	v_sub_u32_e32 v4, v4, v8
	v_mul_lo_u32 v8, v4, s14
	v_mul_lo_u32 v4, v4, s15
	v_add3_u32 v2, v6, v2, v3
	v_add3_u32 v0, v10, v0, v8
	;; [unrolled: 1-line block ×3, first 2 shown]
	s_cbranch_scc0 .LBB101_192
	s_branch .LBB101_212
.LBB101_193:
                                        ; implicit-def: $vgpr0
                                        ; implicit-def: $vgpr2
	s_branch .LBB101_216
.LBB101_194:
	v_mov_b32_e32 v0, 0
	v_mov_b32_e32 v2, 0
	s_branch .LBB101_215
.LBB101_195:
	s_mov_b32 s60, 0
	v_mov_b32_e32 v0, 0
	v_mov_b32_e32 v2, 0
	;; [unrolled: 1-line block ×3, first 2 shown]
.LBB101_196:
	s_and_b32 s12, s61, 3
	s_cmp_eq_u32 s12, 0
	s_cbranch_scc1 .LBB101_199
; %bb.197:
	s_lshl_b32 s8, s60, 3
	s_add_u32 s8, s34, s8
	s_addc_u32 s9, s35, 0
	s_add_u32 s8, s8, 0xc4
	s_addc_u32 s9, s9, 0
	s_mul_i32 s10, s60, 12
	s_add_u32 s10, s34, s10
	s_addc_u32 s11, s35, 0
.LBB101_198:                            ; =>This Inner Loop Header: Depth=1
	s_load_dwordx2 s[14:15], s[10:11], 0x4
	s_load_dword s13, s[10:11], 0xc
	s_load_dwordx2 s[16:17], s[8:9], 0x0
	s_add_u32 s10, s10, 12
	s_addc_u32 s11, s11, 0
	s_waitcnt lgkmcnt(0)
	v_mul_hi_u32 v3, s15, v1
	s_add_u32 s8, s8, 8
	s_addc_u32 s9, s9, 0
	s_add_i32 s12, s12, -1
	v_add_u32_e32 v3, v1, v3
	v_lshrrev_b32_e32 v4, s13, v3
	v_mul_lo_u32 v3, v4, s14
	s_cmp_lg_u32 s12, 0
	v_sub_u32_e32 v3, v1, v3
	v_mad_u64_u32 v[0:1], s[14:15], v3, s16, v[0:1]
	v_mad_u64_u32 v[2:3], s[14:15], v3, s17, v[2:3]
	v_mov_b32_e32 v1, v4
	s_cbranch_scc1 .LBB101_198
.LBB101_199:
	s_cbranch_execnz .LBB101_202
.LBB101_200:
	v_mul_hi_u32 v0, s25, v19
	s_andn2_b64 vcc, exec, s[44:45]
	v_add_u32_e32 v0, v19, v0
	v_lshrrev_b32_e32 v1, s26, v0
	v_mul_lo_u32 v0, v1, s24
	v_sub_u32_e32 v2, v19, v0
	v_mul_lo_u32 v0, v2, s28
	v_mul_lo_u32 v2, v2, s29
	s_cbranch_vccnz .LBB101_202
; %bb.201:
	v_mul_hi_u32 v3, s42, v1
	v_add_u32_e32 v3, v1, v3
	v_lshrrev_b32_e32 v3, s43, v3
	v_mul_lo_u32 v3, v3, s27
	v_sub_u32_e32 v3, v1, v3
	v_mad_u64_u32 v[0:1], s[8:9], v3, s30, v[0:1]
	v_mad_u64_u32 v[2:3], s[8:9], v3, s31, v[2:3]
.LBB101_202:
	global_load_ushort v1, v2, s[2:3]
	v_add_u32_e32 v19, 0x80, v19
	s_waitcnt vmcnt(0)
	v_lshlrev_b32_e64 v2, v1, s57
	v_cmp_gt_u32_e32 vcc, 16, v1
	v_cndmask_b32_e32 v1, 0, v2, vcc
	global_store_short v0, v1, s[0:1]
	s_or_b64 exec, exec, s[50:51]
	v_cmp_gt_i32_e32 vcc, s58, v19
	s_and_saveexec_b64 s[50:51], vcc
	s_cbranch_execnz .LBB101_188
.LBB101_203:
	s_or_b64 exec, exec, s[50:51]
	v_cmp_gt_i32_e32 vcc, s58, v19
	s_and_saveexec_b64 s[50:51], vcc
	s_cbranch_execz .LBB101_219
.LBB101_204:
	s_andn2_b64 vcc, exec, s[6:7]
	s_cbranch_vccnz .LBB101_209
; %bb.205:
	s_andn2_b64 vcc, exec, s[48:49]
	s_cbranch_vccnz .LBB101_210
; %bb.206:
	s_add_i32 s61, s59, 1
	s_cmp_eq_u32 s56, 2
	s_cbranch_scc1 .LBB101_222
; %bb.207:
	s_and_b32 s60, s61, 28
	v_mov_b32_e32 v2, 0
	s_mov_b32 s62, 0
	s_mov_b64 s[52:53], s[34:35]
	s_mov_b64 s[54:55], s[46:47]
	v_mov_b32_e32 v0, 0
	v_mov_b32_e32 v1, v19
.LBB101_208:                            ; =>This Inner Loop Header: Depth=1
	s_load_dwordx8 s[16:23], s[52:53], 0x4
	s_load_dwordx4 s[36:39], s[52:53], 0x24
	s_load_dwordx8 s[8:15], s[54:55], 0x0
	s_add_u32 s52, s52, 48
	s_addc_u32 s53, s53, 0
	s_waitcnt lgkmcnt(0)
	v_mul_hi_u32 v3, s17, v1
	s_add_i32 s62, s62, 4
	s_add_u32 s54, s54, 32
	s_addc_u32 s55, s55, 0
	v_add_u32_e32 v3, v1, v3
	v_lshrrev_b32_e32 v3, s18, v3
	v_mul_lo_u32 v4, v3, s16
	v_mul_hi_u32 v5, s20, v3
	s_cmp_eq_u32 s60, s62
	v_sub_u32_e32 v1, v1, v4
	v_add_u32_e32 v4, v3, v5
	v_mul_lo_u32 v5, v1, s8
	v_mul_lo_u32 v6, v1, s9
	v_lshrrev_b32_e32 v1, s21, v4
	v_mul_lo_u32 v4, v1, s19
	v_mul_hi_u32 v7, s23, v1
	v_sub_u32_e32 v3, v3, v4
	v_add_u32_e32 v4, v1, v7
	v_lshrrev_b32_e32 v4, s36, v4
	v_mul_hi_u32 v8, s38, v4
	v_mul_lo_u32 v9, v4, s22
	v_mul_lo_u32 v7, v3, s10
	;; [unrolled: 1-line block ×3, first 2 shown]
	v_sub_u32_e32 v9, v1, v9
	v_add_u32_e32 v1, v4, v8
	v_lshrrev_b32_e32 v1, s39, v1
	v_mul_lo_u32 v8, v1, s37
	v_mul_lo_u32 v10, v9, s12
	;; [unrolled: 1-line block ×3, first 2 shown]
	v_add3_u32 v0, v5, v0, v7
	v_sub_u32_e32 v4, v4, v8
	v_mul_lo_u32 v8, v4, s14
	v_mul_lo_u32 v4, v4, s15
	v_add3_u32 v2, v6, v2, v3
	v_add3_u32 v0, v10, v0, v8
	;; [unrolled: 1-line block ×3, first 2 shown]
	s_cbranch_scc0 .LBB101_208
	s_branch .LBB101_223
.LBB101_209:
                                        ; implicit-def: $vgpr0
                                        ; implicit-def: $vgpr2
	s_branch .LBB101_227
.LBB101_210:
	v_mov_b32_e32 v0, 0
	v_mov_b32_e32 v2, 0
	s_branch .LBB101_226
.LBB101_211:
	s_mov_b32 s60, 0
	v_mov_b32_e32 v0, 0
	v_mov_b32_e32 v2, 0
	;; [unrolled: 1-line block ×3, first 2 shown]
.LBB101_212:
	s_and_b32 s12, s61, 3
	s_cmp_eq_u32 s12, 0
	s_cbranch_scc1 .LBB101_215
; %bb.213:
	s_lshl_b32 s8, s60, 3
	s_add_u32 s8, s34, s8
	s_addc_u32 s9, s35, 0
	s_add_u32 s8, s8, 0xc4
	s_addc_u32 s9, s9, 0
	s_mul_i32 s10, s60, 12
	s_add_u32 s10, s34, s10
	s_addc_u32 s11, s35, 0
.LBB101_214:                            ; =>This Inner Loop Header: Depth=1
	s_load_dwordx2 s[14:15], s[10:11], 0x4
	s_load_dword s13, s[10:11], 0xc
	s_load_dwordx2 s[16:17], s[8:9], 0x0
	s_add_u32 s10, s10, 12
	s_addc_u32 s11, s11, 0
	s_waitcnt lgkmcnt(0)
	v_mul_hi_u32 v3, s15, v1
	s_add_u32 s8, s8, 8
	s_addc_u32 s9, s9, 0
	s_add_i32 s12, s12, -1
	v_add_u32_e32 v3, v1, v3
	v_lshrrev_b32_e32 v4, s13, v3
	v_mul_lo_u32 v3, v4, s14
	s_cmp_lg_u32 s12, 0
	v_sub_u32_e32 v3, v1, v3
	v_mad_u64_u32 v[0:1], s[14:15], v3, s16, v[0:1]
	v_mad_u64_u32 v[2:3], s[14:15], v3, s17, v[2:3]
	v_mov_b32_e32 v1, v4
	s_cbranch_scc1 .LBB101_214
.LBB101_215:
	s_cbranch_execnz .LBB101_218
.LBB101_216:
	v_mul_hi_u32 v0, s25, v19
	s_andn2_b64 vcc, exec, s[44:45]
	v_add_u32_e32 v0, v19, v0
	v_lshrrev_b32_e32 v1, s26, v0
	v_mul_lo_u32 v0, v1, s24
	v_sub_u32_e32 v2, v19, v0
	v_mul_lo_u32 v0, v2, s28
	v_mul_lo_u32 v2, v2, s29
	s_cbranch_vccnz .LBB101_218
; %bb.217:
	v_mul_hi_u32 v3, s42, v1
	v_add_u32_e32 v3, v1, v3
	v_lshrrev_b32_e32 v3, s43, v3
	v_mul_lo_u32 v3, v3, s27
	v_sub_u32_e32 v3, v1, v3
	v_mad_u64_u32 v[0:1], s[8:9], v3, s30, v[0:1]
	v_mad_u64_u32 v[2:3], s[8:9], v3, s31, v[2:3]
.LBB101_218:
	global_load_ushort v1, v2, s[2:3]
	v_add_u32_e32 v19, 0x80, v19
	s_waitcnt vmcnt(0)
	v_lshlrev_b32_e64 v2, v1, s57
	v_cmp_gt_u32_e32 vcc, 16, v1
	v_cndmask_b32_e32 v1, 0, v2, vcc
	global_store_short v0, v1, s[0:1]
	s_or_b64 exec, exec, s[50:51]
	v_cmp_gt_i32_e32 vcc, s58, v19
	s_and_saveexec_b64 s[50:51], vcc
	s_cbranch_execnz .LBB101_204
.LBB101_219:
	s_or_b64 exec, exec, s[50:51]
	v_cmp_gt_i32_e32 vcc, s58, v19
	s_and_saveexec_b64 s[50:51], vcc
	s_cbranch_execnz .LBB101_230
.LBB101_220:
	s_or_b64 exec, exec, s[50:51]
                                        ; implicit-def: $vgpr25
                                        ; implicit-def: $vgpr19
	s_andn2_saveexec_b64 s[0:1], s[40:41]
	s_cbranch_execnz .LBB101_8
.LBB101_221:
	s_endpgm
.LBB101_222:
	s_mov_b32 s60, 0
	v_mov_b32_e32 v0, 0
	v_mov_b32_e32 v2, 0
	v_mov_b32_e32 v1, v19
.LBB101_223:
	s_and_b32 s12, s61, 3
	s_cmp_eq_u32 s12, 0
	s_cbranch_scc1 .LBB101_226
; %bb.224:
	s_lshl_b32 s8, s60, 3
	s_add_u32 s8, s34, s8
	s_addc_u32 s9, s35, 0
	s_add_u32 s8, s8, 0xc4
	s_addc_u32 s9, s9, 0
	s_mul_i32 s10, s60, 12
	s_add_u32 s10, s34, s10
	s_addc_u32 s11, s35, 0
.LBB101_225:                            ; =>This Inner Loop Header: Depth=1
	s_load_dwordx2 s[14:15], s[10:11], 0x4
	s_load_dword s13, s[10:11], 0xc
	s_load_dwordx2 s[16:17], s[8:9], 0x0
	s_add_u32 s10, s10, 12
	s_addc_u32 s11, s11, 0
	s_waitcnt lgkmcnt(0)
	v_mul_hi_u32 v3, s15, v1
	s_add_u32 s8, s8, 8
	s_addc_u32 s9, s9, 0
	s_add_i32 s12, s12, -1
	v_add_u32_e32 v3, v1, v3
	v_lshrrev_b32_e32 v4, s13, v3
	v_mul_lo_u32 v3, v4, s14
	s_cmp_lg_u32 s12, 0
	v_sub_u32_e32 v3, v1, v3
	v_mad_u64_u32 v[0:1], s[14:15], v3, s16, v[0:1]
	v_mad_u64_u32 v[2:3], s[14:15], v3, s17, v[2:3]
	v_mov_b32_e32 v1, v4
	s_cbranch_scc1 .LBB101_225
.LBB101_226:
	s_cbranch_execnz .LBB101_229
.LBB101_227:
	v_mul_hi_u32 v0, s25, v19
	s_andn2_b64 vcc, exec, s[44:45]
	v_add_u32_e32 v0, v19, v0
	v_lshrrev_b32_e32 v1, s26, v0
	v_mul_lo_u32 v0, v1, s24
	v_sub_u32_e32 v2, v19, v0
	v_mul_lo_u32 v0, v2, s28
	v_mul_lo_u32 v2, v2, s29
	s_cbranch_vccnz .LBB101_229
; %bb.228:
	v_mul_hi_u32 v3, s42, v1
	v_add_u32_e32 v3, v1, v3
	v_lshrrev_b32_e32 v3, s43, v3
	v_mul_lo_u32 v3, v3, s27
	v_sub_u32_e32 v3, v1, v3
	v_mad_u64_u32 v[0:1], s[8:9], v3, s30, v[0:1]
	v_mad_u64_u32 v[2:3], s[8:9], v3, s31, v[2:3]
.LBB101_229:
	global_load_ushort v1, v2, s[2:3]
	v_add_u32_e32 v19, 0x80, v19
	s_waitcnt vmcnt(0)
	v_lshlrev_b32_e64 v2, v1, s57
	v_cmp_gt_u32_e32 vcc, 16, v1
	v_cndmask_b32_e32 v1, 0, v2, vcc
	global_store_short v0, v1, s[0:1]
	s_or_b64 exec, exec, s[50:51]
	v_cmp_gt_i32_e32 vcc, s58, v19
	s_and_saveexec_b64 s[50:51], vcc
	s_cbranch_execz .LBB101_220
.LBB101_230:
	s_andn2_b64 vcc, exec, s[6:7]
	s_cbranch_vccnz .LBB101_235
; %bb.231:
	s_andn2_b64 vcc, exec, s[48:49]
	s_cbranch_vccnz .LBB101_236
; %bb.232:
	s_add_i32 s59, s59, 1
	s_cmp_eq_u32 s56, 2
	s_cbranch_scc1 .LBB101_237
; %bb.233:
	s_and_b32 s52, s59, 28
	v_mov_b32_e32 v2, 0
	s_mov_b32 s53, 0
	s_mov_b64 s[48:49], s[34:35]
	v_mov_b32_e32 v0, 0
	v_mov_b32_e32 v1, v19
.LBB101_234:                            ; =>This Inner Loop Header: Depth=1
	s_load_dwordx8 s[16:23], s[48:49], 0x4
	s_load_dwordx4 s[36:39], s[48:49], 0x24
	s_load_dwordx8 s[8:15], s[46:47], 0x0
	s_add_u32 s48, s48, 48
	s_addc_u32 s49, s49, 0
	s_waitcnt lgkmcnt(0)
	v_mul_hi_u32 v3, s17, v1
	s_add_i32 s53, s53, 4
	s_add_u32 s46, s46, 32
	s_addc_u32 s47, s47, 0
	v_add_u32_e32 v3, v1, v3
	v_lshrrev_b32_e32 v3, s18, v3
	v_mul_lo_u32 v4, v3, s16
	v_mul_hi_u32 v5, s20, v3
	s_cmp_eq_u32 s52, s53
	v_sub_u32_e32 v1, v1, v4
	v_add_u32_e32 v4, v3, v5
	v_mul_lo_u32 v5, v1, s8
	v_mul_lo_u32 v6, v1, s9
	v_lshrrev_b32_e32 v1, s21, v4
	v_mul_lo_u32 v4, v1, s19
	v_mul_hi_u32 v7, s23, v1
	v_sub_u32_e32 v3, v3, v4
	v_add_u32_e32 v4, v1, v7
	v_lshrrev_b32_e32 v4, s36, v4
	v_mul_hi_u32 v8, s38, v4
	v_mul_lo_u32 v9, v4, s22
	v_mul_lo_u32 v7, v3, s10
	;; [unrolled: 1-line block ×3, first 2 shown]
	v_sub_u32_e32 v9, v1, v9
	v_add_u32_e32 v1, v4, v8
	v_lshrrev_b32_e32 v1, s39, v1
	v_mul_lo_u32 v8, v1, s37
	v_mul_lo_u32 v10, v9, s12
	;; [unrolled: 1-line block ×3, first 2 shown]
	v_add3_u32 v0, v5, v0, v7
	v_sub_u32_e32 v4, v4, v8
	v_mul_lo_u32 v8, v4, s14
	v_mul_lo_u32 v4, v4, s15
	v_add3_u32 v2, v6, v2, v3
	v_add3_u32 v0, v10, v0, v8
	;; [unrolled: 1-line block ×3, first 2 shown]
	s_cbranch_scc0 .LBB101_234
	s_branch .LBB101_238
.LBB101_235:
                                        ; implicit-def: $vgpr0
                                        ; implicit-def: $vgpr2
	s_branch .LBB101_242
.LBB101_236:
	v_mov_b32_e32 v0, 0
	v_mov_b32_e32 v2, 0
	s_branch .LBB101_241
.LBB101_237:
	s_mov_b32 s52, 0
	v_mov_b32_e32 v0, 0
	v_mov_b32_e32 v2, 0
	;; [unrolled: 1-line block ×3, first 2 shown]
.LBB101_238:
	s_and_b32 s12, s59, 3
	s_cmp_eq_u32 s12, 0
	s_cbranch_scc1 .LBB101_241
; %bb.239:
	s_lshl_b32 s8, s52, 3
	s_add_u32 s8, s34, s8
	s_addc_u32 s9, s35, 0
	s_add_u32 s8, s8, 0xc4
	s_addc_u32 s9, s9, 0
	s_mul_i32 s10, s52, 12
	s_add_u32 s10, s34, s10
	s_addc_u32 s11, s35, 0
.LBB101_240:                            ; =>This Inner Loop Header: Depth=1
	s_load_dwordx2 s[14:15], s[10:11], 0x4
	s_load_dword s13, s[10:11], 0xc
	s_load_dwordx2 s[16:17], s[8:9], 0x0
	s_add_u32 s10, s10, 12
	s_addc_u32 s11, s11, 0
	s_waitcnt lgkmcnt(0)
	v_mul_hi_u32 v3, s15, v1
	s_add_u32 s8, s8, 8
	s_addc_u32 s9, s9, 0
	s_add_i32 s12, s12, -1
	v_add_u32_e32 v3, v1, v3
	v_lshrrev_b32_e32 v4, s13, v3
	v_mul_lo_u32 v3, v4, s14
	s_cmp_lg_u32 s12, 0
	v_sub_u32_e32 v3, v1, v3
	v_mad_u64_u32 v[0:1], s[14:15], v3, s16, v[0:1]
	v_mad_u64_u32 v[2:3], s[14:15], v3, s17, v[2:3]
	v_mov_b32_e32 v1, v4
	s_cbranch_scc1 .LBB101_240
.LBB101_241:
	s_cbranch_execnz .LBB101_244
.LBB101_242:
	v_mul_hi_u32 v0, s25, v19
	s_andn2_b64 vcc, exec, s[44:45]
	v_add_u32_e32 v0, v19, v0
	v_lshrrev_b32_e32 v1, s26, v0
	v_mul_lo_u32 v0, v1, s24
	v_sub_u32_e32 v2, v19, v0
	v_mul_lo_u32 v0, v2, s28
	v_mul_lo_u32 v2, v2, s29
	s_cbranch_vccnz .LBB101_244
; %bb.243:
	v_mul_hi_u32 v3, s42, v1
	v_add_u32_e32 v3, v1, v3
	v_lshrrev_b32_e32 v3, s43, v3
	v_mul_lo_u32 v3, v3, s27
	v_sub_u32_e32 v3, v1, v3
	v_mad_u64_u32 v[0:1], s[8:9], v3, s30, v[0:1]
	v_mad_u64_u32 v[2:3], s[8:9], v3, s31, v[2:3]
.LBB101_244:
	global_load_ushort v1, v2, s[2:3]
	s_waitcnt vmcnt(0)
	v_lshlrev_b32_e64 v2, v1, s57
	v_cmp_gt_u32_e32 vcc, 16, v1
	v_cndmask_b32_e32 v1, 0, v2, vcc
	global_store_short v0, v1, s[0:1]
	s_or_b64 exec, exec, s[50:51]
                                        ; implicit-def: $vgpr25
                                        ; implicit-def: $vgpr19
	s_andn2_saveexec_b64 s[0:1], s[40:41]
	s_cbranch_execz .LBB101_221
	s_branch .LBB101_8
	.section	.rodata,"a",@progbits
	.p2align	6, 0x0
	.amdhsa_kernel _ZN2at6native32elementwise_kernel_manual_unrollILi128ELi8EZNS0_22gpu_kernel_impl_nocastINS0_13AUnaryFunctorIsssZZZNS0_18lshift_kernel_cudaERNS_18TensorIteratorBaseEENKUlvE_clEvENKUlvE3_clEvEUlssE_EEEEvS5_RKT_EUlibE_EEviT1_
		.amdhsa_group_segment_fixed_size 0
		.amdhsa_private_segment_fixed_size 0
		.amdhsa_kernarg_size 360
		.amdhsa_user_sgpr_count 6
		.amdhsa_user_sgpr_private_segment_buffer 1
		.amdhsa_user_sgpr_dispatch_ptr 0
		.amdhsa_user_sgpr_queue_ptr 0
		.amdhsa_user_sgpr_kernarg_segment_ptr 1
		.amdhsa_user_sgpr_dispatch_id 0
		.amdhsa_user_sgpr_flat_scratch_init 0
		.amdhsa_user_sgpr_private_segment_size 0
		.amdhsa_uses_dynamic_stack 0
		.amdhsa_system_sgpr_private_segment_wavefront_offset 0
		.amdhsa_system_sgpr_workgroup_id_x 1
		.amdhsa_system_sgpr_workgroup_id_y 0
		.amdhsa_system_sgpr_workgroup_id_z 0
		.amdhsa_system_sgpr_workgroup_info 0
		.amdhsa_system_vgpr_workitem_id 0
		.amdhsa_next_free_vgpr 26
		.amdhsa_next_free_sgpr 63
		.amdhsa_reserve_vcc 1
		.amdhsa_reserve_flat_scratch 0
		.amdhsa_float_round_mode_32 0
		.amdhsa_float_round_mode_16_64 0
		.amdhsa_float_denorm_mode_32 3
		.amdhsa_float_denorm_mode_16_64 3
		.amdhsa_dx10_clamp 1
		.amdhsa_ieee_mode 1
		.amdhsa_fp16_overflow 0
		.amdhsa_exception_fp_ieee_invalid_op 0
		.amdhsa_exception_fp_denorm_src 0
		.amdhsa_exception_fp_ieee_div_zero 0
		.amdhsa_exception_fp_ieee_overflow 0
		.amdhsa_exception_fp_ieee_underflow 0
		.amdhsa_exception_fp_ieee_inexact 0
		.amdhsa_exception_int_div_zero 0
	.end_amdhsa_kernel
	.section	.text._ZN2at6native32elementwise_kernel_manual_unrollILi128ELi8EZNS0_22gpu_kernel_impl_nocastINS0_13AUnaryFunctorIsssZZZNS0_18lshift_kernel_cudaERNS_18TensorIteratorBaseEENKUlvE_clEvENKUlvE3_clEvEUlssE_EEEEvS5_RKT_EUlibE_EEviT1_,"axG",@progbits,_ZN2at6native32elementwise_kernel_manual_unrollILi128ELi8EZNS0_22gpu_kernel_impl_nocastINS0_13AUnaryFunctorIsssZZZNS0_18lshift_kernel_cudaERNS_18TensorIteratorBaseEENKUlvE_clEvENKUlvE3_clEvEUlssE_EEEEvS5_RKT_EUlibE_EEviT1_,comdat
.Lfunc_end101:
	.size	_ZN2at6native32elementwise_kernel_manual_unrollILi128ELi8EZNS0_22gpu_kernel_impl_nocastINS0_13AUnaryFunctorIsssZZZNS0_18lshift_kernel_cudaERNS_18TensorIteratorBaseEENKUlvE_clEvENKUlvE3_clEvEUlssE_EEEEvS5_RKT_EUlibE_EEviT1_, .Lfunc_end101-_ZN2at6native32elementwise_kernel_manual_unrollILi128ELi8EZNS0_22gpu_kernel_impl_nocastINS0_13AUnaryFunctorIsssZZZNS0_18lshift_kernel_cudaERNS_18TensorIteratorBaseEENKUlvE_clEvENKUlvE3_clEvEUlssE_EEEEvS5_RKT_EUlibE_EEviT1_
                                        ; -- End function
	.set _ZN2at6native32elementwise_kernel_manual_unrollILi128ELi8EZNS0_22gpu_kernel_impl_nocastINS0_13AUnaryFunctorIsssZZZNS0_18lshift_kernel_cudaERNS_18TensorIteratorBaseEENKUlvE_clEvENKUlvE3_clEvEUlssE_EEEEvS5_RKT_EUlibE_EEviT1_.num_vgpr, 26
	.set _ZN2at6native32elementwise_kernel_manual_unrollILi128ELi8EZNS0_22gpu_kernel_impl_nocastINS0_13AUnaryFunctorIsssZZZNS0_18lshift_kernel_cudaERNS_18TensorIteratorBaseEENKUlvE_clEvENKUlvE3_clEvEUlssE_EEEEvS5_RKT_EUlibE_EEviT1_.num_agpr, 0
	.set _ZN2at6native32elementwise_kernel_manual_unrollILi128ELi8EZNS0_22gpu_kernel_impl_nocastINS0_13AUnaryFunctorIsssZZZNS0_18lshift_kernel_cudaERNS_18TensorIteratorBaseEENKUlvE_clEvENKUlvE3_clEvEUlssE_EEEEvS5_RKT_EUlibE_EEviT1_.numbered_sgpr, 63
	.set _ZN2at6native32elementwise_kernel_manual_unrollILi128ELi8EZNS0_22gpu_kernel_impl_nocastINS0_13AUnaryFunctorIsssZZZNS0_18lshift_kernel_cudaERNS_18TensorIteratorBaseEENKUlvE_clEvENKUlvE3_clEvEUlssE_EEEEvS5_RKT_EUlibE_EEviT1_.num_named_barrier, 0
	.set _ZN2at6native32elementwise_kernel_manual_unrollILi128ELi8EZNS0_22gpu_kernel_impl_nocastINS0_13AUnaryFunctorIsssZZZNS0_18lshift_kernel_cudaERNS_18TensorIteratorBaseEENKUlvE_clEvENKUlvE3_clEvEUlssE_EEEEvS5_RKT_EUlibE_EEviT1_.private_seg_size, 0
	.set _ZN2at6native32elementwise_kernel_manual_unrollILi128ELi8EZNS0_22gpu_kernel_impl_nocastINS0_13AUnaryFunctorIsssZZZNS0_18lshift_kernel_cudaERNS_18TensorIteratorBaseEENKUlvE_clEvENKUlvE3_clEvEUlssE_EEEEvS5_RKT_EUlibE_EEviT1_.uses_vcc, 1
	.set _ZN2at6native32elementwise_kernel_manual_unrollILi128ELi8EZNS0_22gpu_kernel_impl_nocastINS0_13AUnaryFunctorIsssZZZNS0_18lshift_kernel_cudaERNS_18TensorIteratorBaseEENKUlvE_clEvENKUlvE3_clEvEUlssE_EEEEvS5_RKT_EUlibE_EEviT1_.uses_flat_scratch, 0
	.set _ZN2at6native32elementwise_kernel_manual_unrollILi128ELi8EZNS0_22gpu_kernel_impl_nocastINS0_13AUnaryFunctorIsssZZZNS0_18lshift_kernel_cudaERNS_18TensorIteratorBaseEENKUlvE_clEvENKUlvE3_clEvEUlssE_EEEEvS5_RKT_EUlibE_EEviT1_.has_dyn_sized_stack, 0
	.set _ZN2at6native32elementwise_kernel_manual_unrollILi128ELi8EZNS0_22gpu_kernel_impl_nocastINS0_13AUnaryFunctorIsssZZZNS0_18lshift_kernel_cudaERNS_18TensorIteratorBaseEENKUlvE_clEvENKUlvE3_clEvEUlssE_EEEEvS5_RKT_EUlibE_EEviT1_.has_recursion, 0
	.set _ZN2at6native32elementwise_kernel_manual_unrollILi128ELi8EZNS0_22gpu_kernel_impl_nocastINS0_13AUnaryFunctorIsssZZZNS0_18lshift_kernel_cudaERNS_18TensorIteratorBaseEENKUlvE_clEvENKUlvE3_clEvEUlssE_EEEEvS5_RKT_EUlibE_EEviT1_.has_indirect_call, 0
	.section	.AMDGPU.csdata,"",@progbits
; Kernel info:
; codeLenInByte = 11440
; TotalNumSgprs: 67
; NumVgprs: 26
; ScratchSize: 0
; MemoryBound: 0
; FloatMode: 240
; IeeeMode: 1
; LDSByteSize: 0 bytes/workgroup (compile time only)
; SGPRBlocks: 8
; VGPRBlocks: 6
; NumSGPRsForWavesPerEU: 67
; NumVGPRsForWavesPerEU: 26
; Occupancy: 9
; WaveLimiterHint : 1
; COMPUTE_PGM_RSRC2:SCRATCH_EN: 0
; COMPUTE_PGM_RSRC2:USER_SGPR: 6
; COMPUTE_PGM_RSRC2:TRAP_HANDLER: 0
; COMPUTE_PGM_RSRC2:TGID_X_EN: 1
; COMPUTE_PGM_RSRC2:TGID_Y_EN: 0
; COMPUTE_PGM_RSRC2:TGID_Z_EN: 0
; COMPUTE_PGM_RSRC2:TIDIG_COMP_CNT: 0
	.section	.text._ZN2at6native32elementwise_kernel_manual_unrollILi128ELi4EZNS0_15gpu_kernel_implINS0_13AUnaryFunctorIsssZZZNS0_18lshift_kernel_cudaERNS_18TensorIteratorBaseEENKUlvE_clEvENKUlvE3_clEvEUlssE_EEEEvS5_RKT_EUlibE_EEviT1_,"axG",@progbits,_ZN2at6native32elementwise_kernel_manual_unrollILi128ELi4EZNS0_15gpu_kernel_implINS0_13AUnaryFunctorIsssZZZNS0_18lshift_kernel_cudaERNS_18TensorIteratorBaseEENKUlvE_clEvENKUlvE3_clEvEUlssE_EEEEvS5_RKT_EUlibE_EEviT1_,comdat
	.globl	_ZN2at6native32elementwise_kernel_manual_unrollILi128ELi4EZNS0_15gpu_kernel_implINS0_13AUnaryFunctorIsssZZZNS0_18lshift_kernel_cudaERNS_18TensorIteratorBaseEENKUlvE_clEvENKUlvE3_clEvEUlssE_EEEEvS5_RKT_EUlibE_EEviT1_ ; -- Begin function _ZN2at6native32elementwise_kernel_manual_unrollILi128ELi4EZNS0_15gpu_kernel_implINS0_13AUnaryFunctorIsssZZZNS0_18lshift_kernel_cudaERNS_18TensorIteratorBaseEENKUlvE_clEvENKUlvE3_clEvEUlssE_EEEEvS5_RKT_EUlibE_EEviT1_
	.p2align	8
	.type	_ZN2at6native32elementwise_kernel_manual_unrollILi128ELi4EZNS0_15gpu_kernel_implINS0_13AUnaryFunctorIsssZZZNS0_18lshift_kernel_cudaERNS_18TensorIteratorBaseEENKUlvE_clEvENKUlvE3_clEvEUlssE_EEEEvS5_RKT_EUlibE_EEviT1_,@function
_ZN2at6native32elementwise_kernel_manual_unrollILi128ELi4EZNS0_15gpu_kernel_implINS0_13AUnaryFunctorIsssZZZNS0_18lshift_kernel_cudaERNS_18TensorIteratorBaseEENKUlvE_clEvENKUlvE3_clEvEUlssE_EEEEvS5_RKT_EUlibE_EEviT1_: ; @_ZN2at6native32elementwise_kernel_manual_unrollILi128ELi4EZNS0_15gpu_kernel_implINS0_13AUnaryFunctorIsssZZZNS0_18lshift_kernel_cudaERNS_18TensorIteratorBaseEENKUlvE_clEvENKUlvE3_clEvEUlssE_EEEEvS5_RKT_EUlibE_EEviT1_
; %bb.0:
	s_load_dwordx8 s[8:15], s[4:5], 0x8
	s_load_dword s40, s[4:5], 0x0
	v_lshl_or_b32 v9, s6, 9, v0
	v_or_b32_e32 v0, 0x180, v9
	s_mov_b64 s[2:3], 0
	s_waitcnt lgkmcnt(0)
	s_lshr_b32 s33, s14, 16
	s_bfe_u32 s14, s15, 0x80008
	v_cmp_le_i32_e32 vcc, s40, v0
	s_mov_b64 s[6:7], 0
	s_and_saveexec_b64 s[0:1], vcc
	s_xor_b64 s[4:5], exec, s[0:1]
	s_cbranch_execz .LBB102_1011
; %bb.1:
	v_cmp_gt_i32_e32 vcc, s40, v9
	s_mov_b64 s[20:21], -1
	s_mov_b64 s[22:23], 0
	s_mov_b64 s[16:17], 0
	s_and_saveexec_b64 s[18:19], vcc
	s_cbranch_execz .LBB102_248
; %bb.2:
	v_mul_lo_u32 v0, v9, s13
	v_mov_b32_e32 v1, s11
	s_and_b32 s20, 0xffff, s14
	s_cmp_lt_i32 s20, 11
	v_ashrrev_i32_e32 v2, 31, v0
	v_add_co_u32_e32 v0, vcc, s10, v0
	v_addc_co_u32_e32 v1, vcc, v1, v2, vcc
	s_cbranch_scc1 .LBB102_9
; %bb.3:
	s_cmp_gt_i32 s20, 25
	s_cbranch_scc0 .LBB102_18
; %bb.4:
	s_cmp_gt_i32 s20, 28
	s_cbranch_scc0 .LBB102_22
	;; [unrolled: 3-line block ×4, first 2 shown]
; %bb.7:
	s_cmp_eq_u32 s20, 46
	s_cbranch_scc0 .LBB102_28
; %bb.8:
	global_load_dword v2, v[0:1], off
	s_mov_b64 s[0:1], -1
	s_waitcnt vmcnt(0)
	v_lshlrev_b32_e32 v2, 16, v2
	v_cvt_i32_f32_e32 v2, v2
	s_branch .LBB102_30
.LBB102_9:
                                        ; implicit-def: $vgpr2
	s_mov_b64 s[0:1], 0
	s_cbranch_execnz .LBB102_199
.LBB102_10:
	s_andn2_b64 vcc, exec, s[0:1]
	s_cbranch_vccnz .LBB102_246
.LBB102_11:
	v_mul_lo_u32 v0, v9, s12
	s_waitcnt vmcnt(0)
	v_lshlrev_b32_sdwa v1, v2, s33 dst_sel:DWORD dst_unused:UNUSED_PAD src0_sel:WORD_0 src1_sel:DWORD
	v_cmp_gt_u16_e32 vcc, 16, v2
	v_cndmask_b32_e32 v4, 0, v1, vcc
	v_ashrrev_i32_e32 v1, 31, v0
	v_mov_b32_e32 v2, s9
	s_and_b32 s26, s15, 0xff
	v_add_co_u32_e32 v0, vcc, s8, v0
	s_cmp_lt_i32 s26, 11
	v_addc_co_u32_e32 v1, vcc, v2, v1, vcc
	s_cbranch_scc1 .LBB102_19
; %bb.12:
	s_and_b32 s27, 0xffff, s26
	s_cmp_gt_i32 s27, 25
	s_cbranch_scc0 .LBB102_23
; %bb.13:
	s_cmp_gt_i32 s27, 28
	s_cbranch_scc0 .LBB102_25
; %bb.14:
	;; [unrolled: 3-line block ×4, first 2 shown]
	s_mov_b64 s[20:21], 0
	s_mov_b64 s[0:1], -1
	s_cmp_eq_u32 s27, 46
	s_mov_b64 s[6:7], 0
	s_cbranch_scc0 .LBB102_34
; %bb.17:
	v_cvt_f32_i32_sdwa v2, sext(v4) dst_sel:DWORD dst_unused:UNUSED_PAD src0_sel:WORD_0
	s_movk_i32 s0, 0x7fff
	s_mov_b64 s[6:7], -1
	v_bfe_u32 v3, v2, 16, 1
	v_add3_u32 v2, v2, v3, s0
	v_lshrrev_b32_e32 v2, 16, v2
	global_store_dword v[0:1], v2, off
	s_mov_b64 s[0:1], 0
	s_branch .LBB102_34
.LBB102_18:
	s_mov_b64 s[0:1], 0
                                        ; implicit-def: $vgpr2
	s_cbranch_execnz .LBB102_166
	s_branch .LBB102_198
.LBB102_19:
	s_mov_b64 s[0:1], 0
	s_mov_b64 s[6:7], 0
	s_cbranch_execnz .LBB102_103
.LBB102_20:
	s_andn2_b64 vcc, exec, s[6:7]
	s_cbranch_vccnz .LBB102_141
.LBB102_21:
	v_add_u32_e32 v9, 0x80, v9
	s_mov_b64 s[20:21], -1
	s_branch .LBB102_247
.LBB102_22:
	s_mov_b64 s[6:7], -1
	s_mov_b64 s[0:1], 0
                                        ; implicit-def: $vgpr2
	s_branch .LBB102_149
.LBB102_23:
	s_mov_b64 s[20:21], -1
	s_mov_b64 s[0:1], 0
	s_mov_b64 s[6:7], 0
	s_branch .LBB102_61
.LBB102_24:
	s_mov_b64 s[6:7], -1
	s_mov_b64 s[0:1], 0
                                        ; implicit-def: $vgpr2
	s_branch .LBB102_144
.LBB102_25:
	s_mov_b64 s[20:21], -1
	s_mov_b64 s[0:1], 0
	s_mov_b64 s[6:7], 0
	s_branch .LBB102_44
.LBB102_26:
	s_mov_b64 s[6:7], -1
	s_branch .LBB102_29
.LBB102_27:
	s_mov_b64 s[20:21], -1
	s_mov_b64 s[0:1], 0
	s_mov_b64 s[6:7], 0
	s_branch .LBB102_40
.LBB102_28:
	s_mov_b64 s[16:17], -1
.LBB102_29:
	s_mov_b64 s[0:1], 0
                                        ; implicit-def: $vgpr2
.LBB102_30:
	s_and_b64 vcc, exec, s[6:7]
	s_cbranch_vccz .LBB102_143
; %bb.31:
	s_cmp_eq_u32 s20, 44
	s_cbranch_scc0 .LBB102_142
; %bb.32:
	global_load_ubyte v2, v[0:1], off
	s_mov_b64 s[0:1], -1
	s_mov_b64 s[16:17], 0
	s_waitcnt vmcnt(0)
	v_lshlrev_b32_e32 v3, 23, v2
	v_cvt_i32_f32_e32 v3, v3
	v_cmp_ne_u32_e32 vcc, 0, v2
	v_cndmask_b32_e32 v2, 0, v3, vcc
	s_branch .LBB102_143
.LBB102_33:
	s_mov_b64 s[20:21], -1
	s_mov_b64 s[0:1], 0
	s_mov_b64 s[6:7], 0
.LBB102_34:
	s_and_b64 vcc, exec, s[20:21]
	s_cbranch_vccz .LBB102_39
; %bb.35:
	s_cmp_eq_u32 s27, 44
	s_mov_b64 s[0:1], -1
	s_cbranch_scc0 .LBB102_39
; %bb.36:
	v_cvt_f32_i32_sdwa v2, sext(v4) dst_sel:DWORD dst_unused:UNUSED_PAD src0_sel:WORD_0
	s_movk_i32 s0, 0xff
	v_mov_b32_e32 v5, 0xff
	v_bfe_u32 v3, v2, 23, 8
	v_cmp_ne_u32_e32 vcc, s0, v3
	s_and_saveexec_b64 s[6:7], vcc
; %bb.37:
	s_mov_b32 s0, 0x3fffff
	v_lshrrev_b32_e32 v5, 23, v2
	v_and_b32_e32 v6, 0x400000, v2
	v_and_or_b32 v2, v2, s0, v3
	v_cmp_ne_u32_e32 vcc, 0, v6
	v_cmp_ne_u32_e64 s[0:1], 0, v2
	s_and_b64 s[0:1], vcc, s[0:1]
	v_cndmask_b32_e64 v2, 0, 1, s[0:1]
	v_add_u32_e32 v5, v5, v2
; %bb.38:
	s_or_b64 exec, exec, s[6:7]
	s_mov_b64 s[6:7], -1
	s_mov_b64 s[0:1], 0
	global_store_byte v[0:1], v5, off
.LBB102_39:
	s_mov_b64 s[20:21], 0
.LBB102_40:
	s_and_b64 vcc, exec, s[20:21]
	s_cbranch_vccz .LBB102_43
; %bb.41:
	s_cmp_eq_u32 s27, 29
	s_mov_b64 s[0:1], -1
	s_cbranch_scc0 .LBB102_43
; %bb.42:
	v_bfe_i32 v2, v4, 0, 16
	v_ashrrev_i32_e32 v3, 31, v2
	global_store_dwordx2 v[0:1], v[2:3], off
	s_mov_b64 s[6:7], -1
	s_mov_b64 s[0:1], 0
.LBB102_43:
	s_mov_b64 s[20:21], 0
.LBB102_44:
	s_and_b64 vcc, exec, s[20:21]
	s_cbranch_vccz .LBB102_60
; %bb.45:
	s_cmp_lt_i32 s27, 27
	s_mov_b64 s[6:7], -1
	s_cbranch_scc1 .LBB102_51
; %bb.46:
	s_cmp_gt_i32 s27, 27
	s_cbranch_scc0 .LBB102_48
; %bb.47:
	v_bfe_i32 v2, v4, 0, 16
	s_mov_b64 s[6:7], 0
	global_store_dword v[0:1], v2, off
.LBB102_48:
	s_andn2_b64 vcc, exec, s[6:7]
	s_cbranch_vccnz .LBB102_50
; %bb.49:
	global_store_short v[0:1], v4, off
.LBB102_50:
	s_mov_b64 s[6:7], 0
.LBB102_51:
	s_andn2_b64 vcc, exec, s[6:7]
	s_cbranch_vccnz .LBB102_59
; %bb.52:
	v_cvt_f32_i32_sdwa v2, sext(v4) dst_sel:DWORD dst_unused:UNUSED_PAD src0_sel:WORD_0
	s_mov_b32 s6, 0x43800000
	v_mov_b32_e32 v5, 0x80
	v_and_b32_e32 v3, 0x7fffffff, v2
	v_cmp_gt_u32_e32 vcc, s6, v3
	s_and_saveexec_b64 s[6:7], vcc
	s_cbranch_execz .LBB102_58
; %bb.53:
	s_mov_b32 s20, 0x3bffffff
	v_cmp_lt_u32_e32 vcc, s20, v3
	s_mov_b64 s[20:21], 0
                                        ; implicit-def: $vgpr3
	s_and_saveexec_b64 s[24:25], vcc
	s_xor_b64 s[24:25], exec, s[24:25]
	s_cbranch_execz .LBB102_275
; %bb.54:
	v_bfe_u32 v3, v2, 20, 1
	s_mov_b32 s28, 0x487ffff
	v_add3_u32 v3, v2, v3, s28
	s_mov_b64 s[20:21], exec
	v_lshrrev_b32_e32 v3, 20, v3
	s_andn2_saveexec_b64 s[24:25], s[24:25]
	s_cbranch_execnz .LBB102_276
.LBB102_55:
	s_or_b64 exec, exec, s[24:25]
	v_mov_b32_e32 v5, 0
	s_and_saveexec_b64 s[24:25], s[20:21]
.LBB102_56:
	v_lshrrev_b32_e32 v2, 24, v2
	s_movk_i32 s20, 0x80
	v_and_or_b32 v5, v2, s20, v3
.LBB102_57:
	s_or_b64 exec, exec, s[24:25]
.LBB102_58:
	s_or_b64 exec, exec, s[6:7]
	global_store_byte v[0:1], v5, off
.LBB102_59:
	s_mov_b64 s[6:7], -1
.LBB102_60:
	s_mov_b64 s[20:21], 0
.LBB102_61:
	s_and_b64 vcc, exec, s[20:21]
	s_cbranch_vccz .LBB102_102
; %bb.62:
	s_cmp_gt_i32 s27, 22
	s_mov_b64 s[20:21], -1
	s_cbranch_scc0 .LBB102_94
; %bb.63:
	s_cmp_lt_i32 s27, 24
	s_mov_b64 s[6:7], -1
	s_cbranch_scc1 .LBB102_83
; %bb.64:
	s_cmp_gt_i32 s27, 24
	s_cbranch_scc0 .LBB102_72
; %bb.65:
	v_cvt_f32_i32_sdwa v2, sext(v4) dst_sel:DWORD dst_unused:UNUSED_PAD src0_sel:WORD_0
	s_mov_b32 s6, 0x47800000
	v_mov_b32_e32 v5, 0x80
	v_and_b32_e32 v3, 0x7fffffff, v2
	v_cmp_gt_u32_e32 vcc, s6, v3
	s_and_saveexec_b64 s[6:7], vcc
	s_cbranch_execz .LBB102_71
; %bb.66:
	s_mov_b32 s20, 0x37ffffff
	v_cmp_lt_u32_e32 vcc, s20, v3
	s_mov_b64 s[20:21], 0
                                        ; implicit-def: $vgpr3
	s_and_saveexec_b64 s[24:25], vcc
	s_xor_b64 s[24:25], exec, s[24:25]
	s_cbranch_execz .LBB102_279
; %bb.67:
	v_bfe_u32 v3, v2, 21, 1
	s_mov_b32 s28, 0x88fffff
	v_add3_u32 v3, v2, v3, s28
	s_mov_b64 s[20:21], exec
	v_lshrrev_b32_e32 v3, 21, v3
	s_andn2_saveexec_b64 s[24:25], s[24:25]
	s_cbranch_execnz .LBB102_280
.LBB102_68:
	s_or_b64 exec, exec, s[24:25]
	v_mov_b32_e32 v5, 0
	s_and_saveexec_b64 s[24:25], s[20:21]
.LBB102_69:
	v_lshrrev_b32_e32 v2, 24, v2
	s_movk_i32 s20, 0x80
	v_and_or_b32 v5, v2, s20, v3
.LBB102_70:
	s_or_b64 exec, exec, s[24:25]
.LBB102_71:
	s_or_b64 exec, exec, s[6:7]
	s_mov_b64 s[6:7], 0
	global_store_byte v[0:1], v5, off
.LBB102_72:
	s_and_b64 vcc, exec, s[6:7]
	s_cbranch_vccz .LBB102_82
; %bb.73:
	v_cvt_f32_i32_sdwa v2, sext(v4) dst_sel:DWORD dst_unused:UNUSED_PAD src0_sel:WORD_0
	s_mov_b32 s6, 0x43f00000
                                        ; implicit-def: $vgpr3
	v_and_b32_e32 v5, 0x7fffffff, v2
	v_cmp_gt_u32_e32 vcc, s6, v5
	s_and_saveexec_b64 s[6:7], vcc
	s_xor_b64 s[6:7], exec, s[6:7]
	s_cbranch_execz .LBB102_79
; %bb.74:
	s_mov_b32 s20, 0x3c7fffff
	v_cmp_lt_u32_e32 vcc, s20, v5
                                        ; implicit-def: $vgpr3
	s_and_saveexec_b64 s[20:21], vcc
	s_xor_b64 s[20:21], exec, s[20:21]
; %bb.75:
	v_bfe_u32 v3, v2, 20, 1
	s_mov_b32 s24, 0x407ffff
	v_add3_u32 v3, v2, v3, s24
	v_lshrrev_b32_e32 v5, 20, v3
	v_and_b32_e32 v3, 0xff00000, v3
	s_mov_b32 s24, 0x7f00000
	v_mov_b32_e32 v6, 0x7e
	v_cmp_ne_u32_e32 vcc, s24, v3
	v_cndmask_b32_e32 v3, v6, v5, vcc
; %bb.76:
	s_andn2_saveexec_b64 s[20:21], s[20:21]
; %bb.77:
	s_mov_b32 s24, 0x46800000
	v_add_f32_e64 v3, |v2|, s24
; %bb.78:
	s_or_b64 exec, exec, s[20:21]
                                        ; implicit-def: $vgpr5
.LBB102_79:
	s_andn2_saveexec_b64 s[6:7], s[6:7]
; %bb.80:
	s_mov_b32 s20, 0x7f800000
	v_mov_b32_e32 v3, 0x7e
	v_mov_b32_e32 v6, 0x7f
	v_cmp_lt_u32_e32 vcc, s20, v5
	v_cndmask_b32_e32 v3, v3, v6, vcc
; %bb.81:
	s_or_b64 exec, exec, s[6:7]
	v_lshrrev_b32_e32 v2, 24, v2
	s_movk_i32 s6, 0x80
	v_and_or_b32 v2, v2, s6, v3
	global_store_byte v[0:1], v2, off
.LBB102_82:
	s_mov_b64 s[6:7], 0
.LBB102_83:
	s_andn2_b64 vcc, exec, s[6:7]
	s_cbranch_vccnz .LBB102_93
; %bb.84:
	v_cvt_f32_i32_sdwa v2, sext(v4) dst_sel:DWORD dst_unused:UNUSED_PAD src0_sel:WORD_0
	s_mov_b32 s6, 0x47800000
                                        ; implicit-def: $vgpr3
	v_and_b32_e32 v5, 0x7fffffff, v2
	v_cmp_gt_u32_e32 vcc, s6, v5
	s_and_saveexec_b64 s[6:7], vcc
	s_xor_b64 s[6:7], exec, s[6:7]
	s_cbranch_execz .LBB102_90
; %bb.85:
	s_mov_b32 s20, 0x387fffff
	v_cmp_lt_u32_e32 vcc, s20, v5
                                        ; implicit-def: $vgpr3
	s_and_saveexec_b64 s[20:21], vcc
	s_xor_b64 s[20:21], exec, s[20:21]
; %bb.86:
	v_bfe_u32 v3, v2, 21, 1
	s_mov_b32 s24, 0x80fffff
	v_add3_u32 v3, v2, v3, s24
	v_lshrrev_b32_e32 v3, 21, v3
; %bb.87:
	s_andn2_saveexec_b64 s[20:21], s[20:21]
; %bb.88:
	s_mov_b32 s24, 0x43000000
	v_add_f32_e64 v3, |v2|, s24
; %bb.89:
	s_or_b64 exec, exec, s[20:21]
                                        ; implicit-def: $vgpr5
.LBB102_90:
	s_andn2_saveexec_b64 s[6:7], s[6:7]
; %bb.91:
	s_mov_b32 s20, 0x7f800000
	v_mov_b32_e32 v3, 0x7c
	v_mov_b32_e32 v6, 0x7f
	v_cmp_lt_u32_e32 vcc, s20, v5
	v_cndmask_b32_e32 v3, v3, v6, vcc
; %bb.92:
	s_or_b64 exec, exec, s[6:7]
	v_lshrrev_b32_e32 v2, 24, v2
	s_movk_i32 s6, 0x80
	v_and_or_b32 v2, v2, s6, v3
	global_store_byte v[0:1], v2, off
.LBB102_93:
	s_mov_b64 s[20:21], 0
	s_mov_b64 s[6:7], -1
.LBB102_94:
	s_andn2_b64 vcc, exec, s[20:21]
	s_cbranch_vccnz .LBB102_102
; %bb.95:
	s_cmp_gt_i32 s27, 14
	s_mov_b64 s[20:21], -1
	s_cbranch_scc0 .LBB102_99
; %bb.96:
	s_cmp_eq_u32 s27, 15
	s_mov_b64 s[0:1], -1
	s_cbranch_scc0 .LBB102_98
; %bb.97:
	v_cvt_f32_i32_sdwa v2, sext(v4) dst_sel:DWORD dst_unused:UNUSED_PAD src0_sel:WORD_0
	s_movk_i32 s0, 0x7fff
	s_mov_b64 s[6:7], -1
	v_bfe_u32 v3, v2, 16, 1
	v_add3_u32 v2, v2, v3, s0
	global_store_short_d16_hi v[0:1], v2, off
	s_mov_b64 s[0:1], 0
.LBB102_98:
	s_mov_b64 s[20:21], 0
.LBB102_99:
	s_and_b64 vcc, exec, s[20:21]
	s_cbranch_vccz .LBB102_102
; %bb.100:
	s_cmp_eq_u32 s27, 11
	s_mov_b64 s[0:1], -1
	s_cbranch_scc0 .LBB102_102
; %bb.101:
	v_cmp_ne_u16_e32 vcc, 0, v4
	v_cndmask_b32_e64 v2, 0, 1, vcc
	s_mov_b64 s[6:7], -1
	s_mov_b64 s[0:1], 0
	global_store_byte v[0:1], v2, off
.LBB102_102:
	s_branch .LBB102_20
.LBB102_103:
	s_and_b32 s20, 0xffff, s26
	s_cmp_lt_i32 s20, 5
	s_mov_b64 s[6:7], -1
	s_cbranch_scc1 .LBB102_124
; %bb.104:
	s_cmp_lt_i32 s20, 8
	s_cbranch_scc1 .LBB102_114
; %bb.105:
	s_cmp_lt_i32 s20, 9
	s_cbranch_scc1 .LBB102_111
; %bb.106:
	s_cmp_gt_i32 s20, 9
	s_cbranch_scc0 .LBB102_108
; %bb.107:
	v_bfe_i32 v2, v4, 0, 16
	v_cvt_f64_i32_e32 v[5:6], v2
	v_mov_b32_e32 v7, 0
	v_mov_b32_e32 v8, v7
	s_mov_b64 s[6:7], 0
	global_store_dwordx4 v[0:1], v[5:8], off
.LBB102_108:
	s_andn2_b64 vcc, exec, s[6:7]
	s_cbranch_vccnz .LBB102_110
; %bb.109:
	v_cvt_f32_i32_sdwa v2, sext(v4) dst_sel:DWORD dst_unused:UNUSED_PAD src0_sel:WORD_0
	v_mov_b32_e32 v3, 0
	global_store_dwordx2 v[0:1], v[2:3], off
.LBB102_110:
	s_mov_b64 s[6:7], 0
.LBB102_111:
	s_andn2_b64 vcc, exec, s[6:7]
	s_cbranch_vccnz .LBB102_113
; %bb.112:
	v_cvt_f16_i16_e32 v2, v4
	global_store_dword v[0:1], v2, off
.LBB102_113:
	s_mov_b64 s[6:7], 0
.LBB102_114:
	s_andn2_b64 vcc, exec, s[6:7]
	s_cbranch_vccnz .LBB102_123
; %bb.115:
	s_cmp_lt_i32 s20, 6
	s_mov_b64 s[6:7], -1
	s_cbranch_scc1 .LBB102_121
; %bb.116:
	s_cmp_gt_i32 s20, 6
	s_cbranch_scc0 .LBB102_118
; %bb.117:
	v_bfe_i32 v2, v4, 0, 16
	v_cvt_f64_i32_e32 v[2:3], v2
	s_mov_b64 s[6:7], 0
	global_store_dwordx2 v[0:1], v[2:3], off
.LBB102_118:
	s_andn2_b64 vcc, exec, s[6:7]
	s_cbranch_vccnz .LBB102_120
; %bb.119:
	v_cvt_f32_i32_sdwa v2, sext(v4) dst_sel:DWORD dst_unused:UNUSED_PAD src0_sel:WORD_0
	global_store_dword v[0:1], v2, off
.LBB102_120:
	s_mov_b64 s[6:7], 0
.LBB102_121:
	s_andn2_b64 vcc, exec, s[6:7]
	s_cbranch_vccnz .LBB102_123
; %bb.122:
	v_cvt_f16_i16_e32 v2, v4
	global_store_short v[0:1], v2, off
.LBB102_123:
	s_mov_b64 s[6:7], 0
.LBB102_124:
	s_andn2_b64 vcc, exec, s[6:7]
	s_cbranch_vccnz .LBB102_140
; %bb.125:
	s_cmp_lt_i32 s20, 2
	s_mov_b64 s[6:7], -1
	s_cbranch_scc1 .LBB102_135
; %bb.126:
	s_cmp_lt_i32 s20, 3
	s_cbranch_scc1 .LBB102_132
; %bb.127:
	s_cmp_gt_i32 s20, 3
	v_bfe_i32 v2, v4, 0, 16
	s_cbranch_scc0 .LBB102_129
; %bb.128:
	v_ashrrev_i32_e32 v3, 31, v2
	global_store_dwordx2 v[0:1], v[2:3], off
	s_mov_b64 s[6:7], 0
.LBB102_129:
	s_andn2_b64 vcc, exec, s[6:7]
	s_cbranch_vccnz .LBB102_131
; %bb.130:
	global_store_dword v[0:1], v2, off
.LBB102_131:
	s_mov_b64 s[6:7], 0
.LBB102_132:
	s_andn2_b64 vcc, exec, s[6:7]
	s_cbranch_vccnz .LBB102_134
; %bb.133:
	global_store_short v[0:1], v4, off
.LBB102_134:
	s_mov_b64 s[6:7], 0
.LBB102_135:
	s_andn2_b64 vcc, exec, s[6:7]
	s_cbranch_vccnz .LBB102_140
; %bb.136:
	s_cmp_gt_i32 s20, 0
	s_mov_b64 s[6:7], -1
	s_cbranch_scc0 .LBB102_138
; %bb.137:
	global_store_byte v[0:1], v4, off
	s_mov_b64 s[6:7], 0
.LBB102_138:
	s_andn2_b64 vcc, exec, s[6:7]
	s_cbranch_vccnz .LBB102_140
; %bb.139:
	global_store_byte v[0:1], v4, off
.LBB102_140:
	s_branch .LBB102_21
.LBB102_141:
	s_mov_b64 s[20:21], 0
                                        ; implicit-def: $vgpr9
	s_branch .LBB102_247
.LBB102_142:
	s_mov_b64 s[16:17], -1
                                        ; implicit-def: $vgpr2
.LBB102_143:
	s_mov_b64 s[6:7], 0
.LBB102_144:
	s_and_b64 vcc, exec, s[6:7]
	s_cbranch_vccz .LBB102_148
; %bb.145:
	s_cmp_eq_u32 s20, 29
	s_cbranch_scc0 .LBB102_147
; %bb.146:
	global_load_dwordx2 v[2:3], v[0:1], off
	s_mov_b64 s[0:1], -1
	s_mov_b64 s[16:17], 0
	s_branch .LBB102_148
.LBB102_147:
	s_mov_b64 s[16:17], -1
                                        ; implicit-def: $vgpr2
.LBB102_148:
	s_mov_b64 s[6:7], 0
.LBB102_149:
	s_and_b64 vcc, exec, s[6:7]
	s_cbranch_vccz .LBB102_165
; %bb.150:
	s_cmp_lt_i32 s20, 27
	s_cbranch_scc1 .LBB102_153
; %bb.151:
	s_cmp_gt_i32 s20, 27
	s_cbranch_scc0 .LBB102_154
; %bb.152:
	global_load_dword v2, v[0:1], off
	s_mov_b64 s[0:1], 0
	s_branch .LBB102_155
.LBB102_153:
	s_mov_b64 s[0:1], -1
                                        ; implicit-def: $vgpr2
	s_branch .LBB102_158
.LBB102_154:
	s_mov_b64 s[0:1], -1
                                        ; implicit-def: $vgpr2
.LBB102_155:
	s_andn2_b64 vcc, exec, s[0:1]
	s_cbranch_vccnz .LBB102_157
; %bb.156:
	global_load_ushort v2, v[0:1], off
.LBB102_157:
	s_mov_b64 s[0:1], 0
.LBB102_158:
	s_andn2_b64 vcc, exec, s[0:1]
	s_cbranch_vccnz .LBB102_164
; %bb.159:
	global_load_ubyte v3, v[0:1], off
	s_movk_i32 s0, 0x7f
	s_mov_b64 s[6:7], 0
	s_waitcnt vmcnt(0)
	v_cmp_lt_i16_e32 vcc, s0, v3
	s_and_saveexec_b64 s[0:1], vcc
	s_xor_b64 s[0:1], exec, s[0:1]
	s_cbranch_execz .LBB102_175
; %bb.160:
	s_movk_i32 s6, 0x80
	v_cmp_ne_u16_e32 vcc, s6, v3
	s_and_b64 s[6:7], vcc, exec
	s_andn2_saveexec_b64 s[0:1], s[0:1]
	s_cbranch_execnz .LBB102_176
.LBB102_161:
	s_or_b64 exec, exec, s[0:1]
	v_mov_b32_e32 v2, 0
	s_and_saveexec_b64 s[0:1], s[6:7]
	s_cbranch_execz .LBB102_163
.LBB102_162:
	v_lshlrev_b32_e32 v2, 24, v3
	v_and_b32_e32 v3, 0xffff, v3
	v_and_b32_e32 v4, 7, v3
	v_ffbh_u32_e32 v6, v4
	v_min_u32_e32 v6, 32, v6
	v_subrev_u32_e32 v7, 28, v6
	v_bfe_u32 v5, v3, 3, 4
	v_lshlrev_b32_e32 v3, v7, v3
	v_sub_u32_e32 v6, 29, v6
	v_and_b32_e32 v3, 7, v3
	v_cmp_eq_u32_e32 vcc, 0, v5
	v_cndmask_b32_e32 v5, v5, v6, vcc
	v_cndmask_b32_e32 v3, v4, v3, vcc
	v_mov_b32_e32 v4, 0x3b800000
	v_lshlrev_b32_e32 v3, 20, v3
	v_and_b32_e32 v2, 0x80000000, v2
	v_lshl_add_u32 v4, v5, 23, v4
	v_or3_b32 v2, v2, v4, v3
	v_cvt_i32_f32_e32 v2, v2
.LBB102_163:
	s_or_b64 exec, exec, s[0:1]
.LBB102_164:
	s_mov_b64 s[0:1], -1
.LBB102_165:
	s_branch .LBB102_198
.LBB102_166:
	s_cmp_gt_i32 s20, 22
	s_cbranch_scc0 .LBB102_174
; %bb.167:
	s_cmp_lt_i32 s20, 24
	s_cbranch_scc1 .LBB102_177
; %bb.168:
	s_cmp_gt_i32 s20, 24
	s_cbranch_scc0 .LBB102_178
; %bb.169:
	global_load_ubyte v3, v[0:1], off
	s_movk_i32 s0, 0x7f
	s_mov_b64 s[6:7], 0
	s_waitcnt vmcnt(0)
	v_cmp_lt_i16_e32 vcc, s0, v3
	s_and_saveexec_b64 s[0:1], vcc
	s_xor_b64 s[0:1], exec, s[0:1]
	s_cbranch_execz .LBB102_190
; %bb.170:
	s_movk_i32 s6, 0x80
	v_cmp_ne_u16_e32 vcc, s6, v3
	s_and_b64 s[6:7], vcc, exec
	s_andn2_saveexec_b64 s[0:1], s[0:1]
	s_cbranch_execnz .LBB102_191
.LBB102_171:
	s_or_b64 exec, exec, s[0:1]
	v_mov_b32_e32 v2, 0
	s_and_saveexec_b64 s[0:1], s[6:7]
	s_cbranch_execz .LBB102_173
.LBB102_172:
	v_lshlrev_b32_e32 v2, 24, v3
	v_and_b32_e32 v3, 0xffff, v3
	v_and_b32_e32 v4, 3, v3
	v_ffbh_u32_e32 v6, v4
	v_min_u32_e32 v6, 32, v6
	v_subrev_u32_e32 v7, 29, v6
	v_bfe_u32 v5, v3, 2, 5
	v_lshlrev_b32_e32 v3, v7, v3
	v_sub_u32_e32 v6, 30, v6
	v_and_b32_e32 v3, 3, v3
	v_cmp_eq_u32_e32 vcc, 0, v5
	v_cndmask_b32_e32 v5, v5, v6, vcc
	v_cndmask_b32_e32 v3, v4, v3, vcc
	v_mov_b32_e32 v4, 0x37800000
	v_lshlrev_b32_e32 v3, 21, v3
	v_and_b32_e32 v2, 0x80000000, v2
	v_lshl_add_u32 v4, v5, 23, v4
	v_or3_b32 v2, v2, v4, v3
	v_cvt_i32_f32_e32 v2, v2
.LBB102_173:
	s_or_b64 exec, exec, s[0:1]
	s_mov_b64 s[0:1], 0
	s_branch .LBB102_179
.LBB102_174:
	s_mov_b64 s[6:7], -1
                                        ; implicit-def: $vgpr2
	s_branch .LBB102_185
.LBB102_175:
	s_andn2_saveexec_b64 s[0:1], s[0:1]
	s_cbranch_execz .LBB102_161
.LBB102_176:
	v_cmp_ne_u16_e32 vcc, 0, v3
	s_andn2_b64 s[6:7], s[6:7], exec
	s_and_b64 s[24:25], vcc, exec
	s_or_b64 s[6:7], s[6:7], s[24:25]
	s_or_b64 exec, exec, s[0:1]
	v_mov_b32_e32 v2, 0
	s_and_saveexec_b64 s[0:1], s[6:7]
	s_cbranch_execnz .LBB102_162
	s_branch .LBB102_163
.LBB102_177:
	s_mov_b64 s[0:1], -1
                                        ; implicit-def: $vgpr2
	s_branch .LBB102_182
.LBB102_178:
	s_mov_b64 s[0:1], -1
                                        ; implicit-def: $vgpr2
.LBB102_179:
	s_and_b64 vcc, exec, s[0:1]
	s_cbranch_vccz .LBB102_181
; %bb.180:
	global_load_ubyte v2, v[0:1], off
	s_mov_b32 s0, 0x7f800000
	s_waitcnt vmcnt(0)
	v_lshlrev_b32_e32 v2, 24, v2
	v_and_b32_e32 v3, 0x7f000000, v2
	v_ffbh_u32_e32 v4, v3
	v_min_u32_e32 v4, 32, v4
	v_sub_u32_e64 v4, v4, 4 clamp
	v_lshlrev_b32_e32 v6, v4, v3
	v_lshlrev_b32_e32 v4, 23, v4
	v_lshrrev_b32_e32 v6, 4, v6
	v_add_u32_e32 v5, 0x1000000, v3
	v_sub_u32_e32 v4, v6, v4
	v_ashrrev_i32_e32 v5, 8, v5
	v_add_u32_e32 v4, 0x3c000000, v4
	v_and_or_b32 v4, v5, s0, v4
	v_cmp_ne_u32_e32 vcc, 0, v3
	v_cndmask_b32_e32 v3, 0, v4, vcc
	s_brev_b32 s0, 1
	v_and_or_b32 v2, v2, s0, v3
	v_cvt_i32_f32_e32 v2, v2
.LBB102_181:
	s_mov_b64 s[0:1], 0
.LBB102_182:
	s_andn2_b64 vcc, exec, s[0:1]
	s_cbranch_vccnz .LBB102_184
; %bb.183:
	global_load_ubyte v2, v[0:1], off
	s_movk_i32 s0, 0x7f00
	s_brev_b32 s1, 16
	s_waitcnt vmcnt(0)
	v_lshlrev_b16_e32 v3, 8, v2
	v_lshlrev_b32_e32 v2, 25, v2
	v_lshrrev_b32_e32 v4, 4, v2
	v_and_or_b32 v5, v3, s0, 0.5
	v_or_b32_e32 v4, 0x70000000, v4
	v_add_f32_e32 v5, -0.5, v5
	v_mul_f32_e32 v4, 0x7800000, v4
	v_cmp_gt_u32_e32 vcc, s1, v2
	v_bfe_i32 v3, v3, 0, 16
	v_cndmask_b32_e32 v2, v4, v5, vcc
	s_brev_b32 s0, 1
	v_and_or_b32 v2, v3, s0, v2
	v_cvt_i32_f32_e32 v2, v2
.LBB102_184:
	s_mov_b64 s[6:7], 0
	s_mov_b64 s[0:1], -1
.LBB102_185:
	s_andn2_b64 vcc, exec, s[6:7]
	s_cbranch_vccnz .LBB102_198
; %bb.186:
	s_cmp_gt_i32 s20, 14
	s_cbranch_scc0 .LBB102_189
; %bb.187:
	s_cmp_eq_u32 s20, 15
	s_cbranch_scc0 .LBB102_192
; %bb.188:
	global_load_ushort v2, v[0:1], off
	s_mov_b64 s[0:1], -1
	s_mov_b64 s[16:17], 0
	s_waitcnt vmcnt(0)
	v_lshlrev_b32_e32 v2, 16, v2
	v_cvt_i32_f32_e32 v2, v2
	s_branch .LBB102_193
.LBB102_189:
	s_mov_b64 s[6:7], -1
                                        ; implicit-def: $vgpr2
	s_branch .LBB102_194
.LBB102_190:
	s_andn2_saveexec_b64 s[0:1], s[0:1]
	s_cbranch_execz .LBB102_171
.LBB102_191:
	v_cmp_ne_u16_e32 vcc, 0, v3
	s_andn2_b64 s[6:7], s[6:7], exec
	s_and_b64 s[24:25], vcc, exec
	s_or_b64 s[6:7], s[6:7], s[24:25]
	s_or_b64 exec, exec, s[0:1]
	v_mov_b32_e32 v2, 0
	s_and_saveexec_b64 s[0:1], s[6:7]
	s_cbranch_execnz .LBB102_172
	s_branch .LBB102_173
.LBB102_192:
	s_mov_b64 s[16:17], -1
                                        ; implicit-def: $vgpr2
.LBB102_193:
	s_mov_b64 s[6:7], 0
.LBB102_194:
	s_and_b64 vcc, exec, s[6:7]
	s_cbranch_vccz .LBB102_198
; %bb.195:
	s_cmp_eq_u32 s20, 11
	s_cbranch_scc0 .LBB102_197
; %bb.196:
	global_load_ubyte v2, v[0:1], off
	s_mov_b64 s[0:1], -1
	s_mov_b64 s[16:17], 0
	s_waitcnt vmcnt(0)
	v_cmp_ne_u16_e32 vcc, 0, v2
	v_cndmask_b32_e64 v2, 0, 1, vcc
	s_branch .LBB102_198
.LBB102_197:
	s_mov_b64 s[16:17], -1
                                        ; implicit-def: $vgpr2
.LBB102_198:
	s_branch .LBB102_10
.LBB102_199:
	s_cmp_lt_i32 s20, 5
	s_cbranch_scc1 .LBB102_204
; %bb.200:
	s_cmp_lt_i32 s20, 8
	s_cbranch_scc1 .LBB102_205
; %bb.201:
	s_cmp_lt_i32 s20, 9
	s_cbranch_scc1 .LBB102_206
; %bb.202:
	s_cmp_gt_i32 s20, 9
	s_cbranch_scc0 .LBB102_207
; %bb.203:
	global_load_dwordx2 v[2:3], v[0:1], off
	s_mov_b64 s[0:1], 0
	s_waitcnt vmcnt(0)
	v_cvt_i32_f64_e32 v2, v[2:3]
	s_branch .LBB102_208
.LBB102_204:
                                        ; implicit-def: $vgpr2
	s_branch .LBB102_226
.LBB102_205:
	s_mov_b64 s[0:1], -1
                                        ; implicit-def: $vgpr2
	s_branch .LBB102_214
.LBB102_206:
	s_mov_b64 s[0:1], -1
                                        ; implicit-def: $vgpr2
	s_branch .LBB102_211
.LBB102_207:
	s_mov_b64 s[0:1], -1
                                        ; implicit-def: $vgpr2
.LBB102_208:
	s_andn2_b64 vcc, exec, s[0:1]
	s_cbranch_vccnz .LBB102_210
; %bb.209:
	global_load_dword v2, v[0:1], off
	s_waitcnt vmcnt(0)
	v_cvt_i32_f32_e32 v2, v2
.LBB102_210:
	s_mov_b64 s[0:1], 0
.LBB102_211:
	s_andn2_b64 vcc, exec, s[0:1]
	s_cbranch_vccnz .LBB102_213
; %bb.212:
	global_load_dword v2, v[0:1], off
	s_waitcnt vmcnt(0)
	v_cvt_i16_f16_e32 v2, v2
.LBB102_213:
	s_mov_b64 s[0:1], 0
.LBB102_214:
	s_andn2_b64 vcc, exec, s[0:1]
	s_cbranch_vccnz .LBB102_225
; %bb.215:
	s_cmp_lt_i32 s20, 6
	s_cbranch_scc1 .LBB102_218
; %bb.216:
	s_cmp_gt_i32 s20, 6
	s_cbranch_scc0 .LBB102_219
; %bb.217:
	global_load_dwordx2 v[2:3], v[0:1], off
	s_mov_b64 s[0:1], 0
	s_waitcnt vmcnt(0)
	v_cvt_i32_f64_e32 v2, v[2:3]
	s_branch .LBB102_220
.LBB102_218:
	s_mov_b64 s[0:1], -1
                                        ; implicit-def: $vgpr2
	s_branch .LBB102_223
.LBB102_219:
	s_mov_b64 s[0:1], -1
                                        ; implicit-def: $vgpr2
.LBB102_220:
	s_andn2_b64 vcc, exec, s[0:1]
	s_cbranch_vccnz .LBB102_222
; %bb.221:
	global_load_dword v2, v[0:1], off
	s_waitcnt vmcnt(0)
	v_cvt_i32_f32_e32 v2, v2
.LBB102_222:
	s_mov_b64 s[0:1], 0
.LBB102_223:
	s_andn2_b64 vcc, exec, s[0:1]
	s_cbranch_vccnz .LBB102_225
; %bb.224:
	global_load_ushort v2, v[0:1], off
	s_waitcnt vmcnt(0)
	v_cvt_i16_f16_e32 v2, v2
.LBB102_225:
	s_cbranch_execnz .LBB102_245
.LBB102_226:
	s_cmp_lt_i32 s20, 2
	s_cbranch_scc1 .LBB102_230
; %bb.227:
	s_cmp_lt_i32 s20, 3
	s_cbranch_scc1 .LBB102_231
; %bb.228:
	s_cmp_gt_i32 s20, 3
	s_cbranch_scc0 .LBB102_232
; %bb.229:
	global_load_dwordx2 v[2:3], v[0:1], off
	s_mov_b64 s[0:1], 0
	s_branch .LBB102_233
.LBB102_230:
	s_mov_b64 s[0:1], -1
                                        ; implicit-def: $vgpr2
	s_branch .LBB102_239
.LBB102_231:
	s_mov_b64 s[0:1], -1
                                        ; implicit-def: $vgpr2
	s_branch .LBB102_236
.LBB102_232:
	s_mov_b64 s[0:1], -1
                                        ; implicit-def: $vgpr2
.LBB102_233:
	s_andn2_b64 vcc, exec, s[0:1]
	s_cbranch_vccnz .LBB102_235
; %bb.234:
	global_load_dword v2, v[0:1], off
.LBB102_235:
	s_mov_b64 s[0:1], 0
.LBB102_236:
	s_andn2_b64 vcc, exec, s[0:1]
	s_cbranch_vccnz .LBB102_238
; %bb.237:
	global_load_ushort v2, v[0:1], off
.LBB102_238:
	s_mov_b64 s[0:1], 0
.LBB102_239:
	s_andn2_b64 vcc, exec, s[0:1]
	s_cbranch_vccnz .LBB102_245
; %bb.240:
	s_cmp_gt_i32 s20, 0
	s_cbranch_scc0 .LBB102_242
; %bb.241:
	global_load_sbyte v2, v[0:1], off
	s_mov_b64 s[0:1], 0
	s_branch .LBB102_243
.LBB102_242:
	s_mov_b64 s[0:1], -1
                                        ; implicit-def: $vgpr2
.LBB102_243:
	s_andn2_b64 vcc, exec, s[0:1]
	s_cbranch_vccnz .LBB102_245
; %bb.244:
	global_load_ubyte v2, v[0:1], off
.LBB102_245:
	s_branch .LBB102_11
.LBB102_246:
	s_mov_b64 s[0:1], 0
                                        ; implicit-def: $vgpr9
	s_mov_b64 s[20:21], 0
.LBB102_247:
	s_and_b64 s[6:7], s[0:1], exec
	s_and_b64 s[16:17], s[16:17], exec
	s_orn2_b64 s[20:21], s[20:21], exec
.LBB102_248:
	s_or_b64 exec, exec, s[18:19]
	s_mov_b64 s[24:25], 0
	s_mov_b64 s[0:1], 0
                                        ; implicit-def: $vgpr0_vgpr1
                                        ; implicit-def: $vgpr2
	s_and_saveexec_b64 s[18:19], s[20:21]
	s_cbranch_execz .LBB102_257
; %bb.249:
	v_cmp_gt_i32_e32 vcc, s40, v9
	s_mov_b64 s[0:1], -1
	s_mov_b64 s[20:21], s[16:17]
	s_mov_b64 s[22:23], s[6:7]
	s_and_saveexec_b64 s[24:25], vcc
	s_cbranch_execz .LBB102_505
; %bb.250:
	v_mul_lo_u32 v0, v9, s13
	v_mov_b32_e32 v1, s11
	s_and_b32 s26, 0xffff, s14
	s_cmp_lt_i32 s26, 11
	s_waitcnt vmcnt(0)
	v_ashrrev_i32_e32 v2, 31, v0
	v_add_co_u32_e32 v0, vcc, s10, v0
	v_addc_co_u32_e32 v1, vcc, v1, v2, vcc
	s_cbranch_scc1 .LBB102_260
; %bb.251:
	s_cmp_gt_i32 s26, 25
	s_cbranch_scc0 .LBB102_269
; %bb.252:
	s_cmp_gt_i32 s26, 28
	s_cbranch_scc0 .LBB102_271
	;; [unrolled: 3-line block ×4, first 2 shown]
; %bb.255:
	s_cmp_eq_u32 s26, 46
	s_mov_b64 s[22:23], 0
	s_cbranch_scc0 .LBB102_281
; %bb.256:
	global_load_dword v2, v[0:1], off
	s_mov_b64 s[20:21], 0
	s_waitcnt vmcnt(0)
	v_lshlrev_b32_e32 v2, 16, v2
	v_cvt_i32_f32_e32 v2, v2
	s_branch .LBB102_282
.LBB102_257:
	s_or_b64 exec, exec, s[18:19]
	s_mov_b64 s[18:19], 0
	s_and_saveexec_b64 s[20:21], s[16:17]
	s_cbranch_execnz .LBB102_843
.LBB102_258:
	s_or_b64 exec, exec, s[20:21]
	s_and_saveexec_b64 s[16:17], s[22:23]
	s_xor_b64 s[16:17], exec, s[16:17]
	s_cbranch_execz .LBB102_844
.LBB102_259:
	global_load_ubyte v2, v[0:1], off
	s_or_b64 s[0:1], s[0:1], exec
	s_waitcnt vmcnt(0)
	v_cmp_ne_u16_e32 vcc, 0, v2
	v_cndmask_b32_e64 v2, 0, 1, vcc
	s_or_b64 exec, exec, s[16:17]
	s_and_saveexec_b64 s[16:17], s[24:25]
	s_cbranch_execz .LBB102_890
	s_branch .LBB102_845
.LBB102_260:
	s_mov_b64 s[0:1], 0
                                        ; implicit-def: $vgpr2
	s_mov_b64 s[20:21], s[16:17]
	s_cbranch_execnz .LBB102_455
.LBB102_261:
	s_andn2_b64 vcc, exec, s[0:1]
	s_cbranch_vccnz .LBB102_503
.LBB102_262:
	v_mul_lo_u32 v0, v9, s12
	s_waitcnt vmcnt(0)
	v_lshlrev_b32_sdwa v1, v2, s33 dst_sel:DWORD dst_unused:UNUSED_PAD src0_sel:WORD_0 src1_sel:DWORD
	v_cmp_gt_u16_e32 vcc, 16, v2
	v_cndmask_b32_e32 v4, 0, v1, vcc
	v_ashrrev_i32_e32 v1, 31, v0
	v_mov_b32_e32 v2, s9
	s_and_b32 s30, s15, 0xff
	v_add_co_u32_e32 v0, vcc, s8, v0
	s_cmp_lt_i32 s30, 11
	v_addc_co_u32_e32 v1, vcc, v2, v1, vcc
	s_cbranch_scc1 .LBB102_270
; %bb.263:
	s_and_b32 s31, 0xffff, s30
	s_cmp_gt_i32 s31, 25
	s_cbranch_scc0 .LBB102_272
; %bb.264:
	s_cmp_gt_i32 s31, 28
	s_cbranch_scc0 .LBB102_274
; %bb.265:
	;; [unrolled: 3-line block ×4, first 2 shown]
	s_mov_b64 s[26:27], 0
	s_mov_b64 s[0:1], -1
	s_cmp_eq_u32 s31, 46
	s_mov_b64 s[22:23], 0
	s_cbranch_scc0 .LBB102_286
; %bb.268:
	v_cvt_f32_i32_sdwa v2, sext(v4) dst_sel:DWORD dst_unused:UNUSED_PAD src0_sel:WORD_0
	s_movk_i32 s0, 0x7fff
	s_mov_b64 s[22:23], -1
	v_bfe_u32 v3, v2, 16, 1
	v_add3_u32 v2, v2, v3, s0
	v_lshrrev_b32_e32 v2, 16, v2
	global_store_dword v[0:1], v2, off
	s_mov_b64 s[0:1], 0
	s_branch .LBB102_286
.LBB102_269:
	s_mov_b64 s[22:23], -1
	s_mov_b64 s[0:1], 0
	s_mov_b64 s[20:21], s[16:17]
                                        ; implicit-def: $vgpr2
	s_branch .LBB102_421
.LBB102_270:
	s_mov_b64 s[26:27], -1
	s_mov_b64 s[22:23], 0
	s_mov_b64 s[0:1], s[6:7]
	s_branch .LBB102_355
.LBB102_271:
	s_mov_b64 s[22:23], -1
	s_mov_b64 s[0:1], 0
	s_mov_b64 s[20:21], s[16:17]
                                        ; implicit-def: $vgpr2
	s_branch .LBB102_404
.LBB102_272:
	s_mov_b64 s[26:27], -1
	s_mov_b64 s[22:23], 0
	s_mov_b64 s[0:1], s[6:7]
	s_branch .LBB102_313
.LBB102_273:
	s_mov_b64 s[22:23], -1
	s_mov_b64 s[0:1], 0
	s_mov_b64 s[20:21], s[16:17]
                                        ; implicit-def: $vgpr2
	s_branch .LBB102_399
.LBB102_274:
	s_mov_b64 s[26:27], -1
	s_mov_b64 s[22:23], 0
	s_mov_b64 s[0:1], s[6:7]
	s_branch .LBB102_296
.LBB102_275:
	s_andn2_saveexec_b64 s[24:25], s[24:25]
	s_cbranch_execz .LBB102_55
.LBB102_276:
	s_mov_b32 s28, 0x46000000
	v_add_f32_e64 v3, |v2|, s28
	v_and_b32_e32 v3, 0xff, v3
	v_cmp_ne_u32_e32 vcc, 0, v3
	s_andn2_b64 s[20:21], s[20:21], exec
	s_and_b64 s[28:29], vcc, exec
	s_or_b64 s[20:21], s[20:21], s[28:29]
	s_or_b64 exec, exec, s[24:25]
	v_mov_b32_e32 v5, 0
	s_and_saveexec_b64 s[24:25], s[20:21]
	s_cbranch_execnz .LBB102_56
	s_branch .LBB102_57
.LBB102_277:
	s_mov_b64 s[22:23], -1
	s_mov_b64 s[0:1], 0
	s_mov_b64 s[20:21], s[16:17]
                                        ; implicit-def: $vgpr2
	s_branch .LBB102_282
.LBB102_278:
	s_mov_b64 s[26:27], -1
	s_mov_b64 s[22:23], 0
	s_mov_b64 s[0:1], s[6:7]
	s_branch .LBB102_292
.LBB102_279:
	s_andn2_saveexec_b64 s[24:25], s[24:25]
	s_cbranch_execz .LBB102_68
.LBB102_280:
	s_mov_b32 s28, 0x42800000
	v_add_f32_e64 v3, |v2|, s28
	v_and_b32_e32 v3, 0xff, v3
	v_cmp_ne_u32_e32 vcc, 0, v3
	s_andn2_b64 s[20:21], s[20:21], exec
	s_and_b64 s[28:29], vcc, exec
	s_or_b64 s[20:21], s[20:21], s[28:29]
	s_or_b64 exec, exec, s[24:25]
	v_mov_b32_e32 v5, 0
	s_and_saveexec_b64 s[24:25], s[20:21]
	s_cbranch_execnz .LBB102_69
	s_branch .LBB102_70
.LBB102_281:
	s_mov_b64 s[20:21], -1
                                        ; implicit-def: $vgpr2
	s_mov_b64 s[0:1], 0
.LBB102_282:
	s_and_b64 vcc, exec, s[22:23]
	s_cbranch_vccz .LBB102_398
; %bb.283:
	s_cmp_eq_u32 s26, 44
	s_cbranch_scc0 .LBB102_397
; %bb.284:
	global_load_ubyte v2, v[0:1], off
	s_mov_b64 s[0:1], -1
	s_mov_b64 s[20:21], 0
	s_waitcnt vmcnt(0)
	v_lshlrev_b32_e32 v3, 23, v2
	v_cvt_i32_f32_e32 v3, v3
	v_cmp_ne_u32_e32 vcc, 0, v2
	v_cndmask_b32_e32 v2, 0, v3, vcc
	s_branch .LBB102_398
.LBB102_285:
	s_mov_b64 s[26:27], -1
	s_mov_b64 s[22:23], 0
	s_mov_b64 s[0:1], s[6:7]
.LBB102_286:
	s_and_b64 vcc, exec, s[26:27]
	s_cbranch_vccz .LBB102_291
; %bb.287:
	s_cmp_eq_u32 s31, 44
	s_mov_b64 s[0:1], -1
	s_cbranch_scc0 .LBB102_291
; %bb.288:
	v_cvt_f32_i32_sdwa v2, sext(v4) dst_sel:DWORD dst_unused:UNUSED_PAD src0_sel:WORD_0
	s_movk_i32 s0, 0xff
	v_mov_b32_e32 v5, 0xff
	v_bfe_u32 v3, v2, 23, 8
	v_cmp_ne_u32_e32 vcc, s0, v3
	s_and_saveexec_b64 s[22:23], vcc
; %bb.289:
	s_mov_b32 s0, 0x3fffff
	v_lshrrev_b32_e32 v5, 23, v2
	v_and_b32_e32 v6, 0x400000, v2
	v_and_or_b32 v2, v2, s0, v3
	v_cmp_ne_u32_e32 vcc, 0, v6
	v_cmp_ne_u32_e64 s[0:1], 0, v2
	s_and_b64 s[0:1], vcc, s[0:1]
	v_cndmask_b32_e64 v2, 0, 1, s[0:1]
	v_add_u32_e32 v5, v5, v2
; %bb.290:
	s_or_b64 exec, exec, s[22:23]
	s_mov_b64 s[22:23], -1
	s_mov_b64 s[0:1], 0
	global_store_byte v[0:1], v5, off
.LBB102_291:
	s_mov_b64 s[26:27], 0
.LBB102_292:
	s_and_b64 vcc, exec, s[26:27]
	s_cbranch_vccz .LBB102_295
; %bb.293:
	s_cmp_eq_u32 s31, 29
	s_mov_b64 s[0:1], -1
	s_cbranch_scc0 .LBB102_295
; %bb.294:
	v_bfe_i32 v2, v4, 0, 16
	v_ashrrev_i32_e32 v3, 31, v2
	global_store_dwordx2 v[0:1], v[2:3], off
	s_mov_b64 s[22:23], -1
	s_mov_b64 s[0:1], 0
.LBB102_295:
	s_mov_b64 s[26:27], 0
.LBB102_296:
	s_and_b64 vcc, exec, s[26:27]
	s_cbranch_vccz .LBB102_312
; %bb.297:
	s_cmp_lt_i32 s31, 27
	s_mov_b64 s[22:23], -1
	s_cbranch_scc1 .LBB102_303
; %bb.298:
	s_cmp_gt_i32 s31, 27
	s_cbranch_scc0 .LBB102_300
; %bb.299:
	v_bfe_i32 v2, v4, 0, 16
	s_mov_b64 s[22:23], 0
	global_store_dword v[0:1], v2, off
.LBB102_300:
	s_andn2_b64 vcc, exec, s[22:23]
	s_cbranch_vccnz .LBB102_302
; %bb.301:
	global_store_short v[0:1], v4, off
.LBB102_302:
	s_mov_b64 s[22:23], 0
.LBB102_303:
	s_andn2_b64 vcc, exec, s[22:23]
	s_cbranch_vccnz .LBB102_311
; %bb.304:
	v_cvt_f32_i32_sdwa v2, sext(v4) dst_sel:DWORD dst_unused:UNUSED_PAD src0_sel:WORD_0
	s_mov_b32 s22, 0x43800000
	v_mov_b32_e32 v5, 0x80
	v_and_b32_e32 v3, 0x7fffffff, v2
	v_cmp_gt_u32_e32 vcc, s22, v3
	s_and_saveexec_b64 s[22:23], vcc
	s_cbranch_execz .LBB102_310
; %bb.305:
	s_mov_b32 s26, 0x3bffffff
	v_cmp_lt_u32_e32 vcc, s26, v3
	s_mov_b64 s[26:27], 0
                                        ; implicit-def: $vgpr3
	s_and_saveexec_b64 s[28:29], vcc
	s_xor_b64 s[28:29], exec, s[28:29]
	s_cbranch_execz .LBB102_518
; %bb.306:
	v_bfe_u32 v3, v2, 20, 1
	s_mov_b32 s34, 0x487ffff
	v_add3_u32 v3, v2, v3, s34
	s_mov_b64 s[26:27], exec
	v_lshrrev_b32_e32 v3, 20, v3
	s_andn2_saveexec_b64 s[28:29], s[28:29]
	s_cbranch_execnz .LBB102_519
.LBB102_307:
	s_or_b64 exec, exec, s[28:29]
	v_mov_b32_e32 v5, 0
	s_and_saveexec_b64 s[28:29], s[26:27]
.LBB102_308:
	v_lshrrev_b32_e32 v2, 24, v2
	s_movk_i32 s26, 0x80
	v_and_or_b32 v5, v2, s26, v3
.LBB102_309:
	s_or_b64 exec, exec, s[28:29]
.LBB102_310:
	s_or_b64 exec, exec, s[22:23]
	global_store_byte v[0:1], v5, off
.LBB102_311:
	s_mov_b64 s[22:23], -1
.LBB102_312:
	s_mov_b64 s[26:27], 0
.LBB102_313:
	s_and_b64 vcc, exec, s[26:27]
	s_cbranch_vccz .LBB102_354
; %bb.314:
	s_cmp_gt_i32 s31, 22
	s_mov_b64 s[26:27], -1
	s_cbranch_scc0 .LBB102_346
; %bb.315:
	s_cmp_lt_i32 s31, 24
	s_mov_b64 s[22:23], -1
	s_cbranch_scc1 .LBB102_335
; %bb.316:
	s_cmp_gt_i32 s31, 24
	s_cbranch_scc0 .LBB102_324
; %bb.317:
	v_cvt_f32_i32_sdwa v2, sext(v4) dst_sel:DWORD dst_unused:UNUSED_PAD src0_sel:WORD_0
	s_mov_b32 s22, 0x47800000
	v_mov_b32_e32 v5, 0x80
	v_and_b32_e32 v3, 0x7fffffff, v2
	v_cmp_gt_u32_e32 vcc, s22, v3
	s_and_saveexec_b64 s[22:23], vcc
	s_cbranch_execz .LBB102_323
; %bb.318:
	s_mov_b32 s26, 0x37ffffff
	v_cmp_lt_u32_e32 vcc, s26, v3
	s_mov_b64 s[26:27], 0
                                        ; implicit-def: $vgpr3
	s_and_saveexec_b64 s[28:29], vcc
	s_xor_b64 s[28:29], exec, s[28:29]
	s_cbranch_execz .LBB102_521
; %bb.319:
	v_bfe_u32 v3, v2, 21, 1
	s_mov_b32 s34, 0x88fffff
	v_add3_u32 v3, v2, v3, s34
	s_mov_b64 s[26:27], exec
	v_lshrrev_b32_e32 v3, 21, v3
	s_andn2_saveexec_b64 s[28:29], s[28:29]
	s_cbranch_execnz .LBB102_522
.LBB102_320:
	s_or_b64 exec, exec, s[28:29]
	v_mov_b32_e32 v5, 0
	s_and_saveexec_b64 s[28:29], s[26:27]
.LBB102_321:
	v_lshrrev_b32_e32 v2, 24, v2
	s_movk_i32 s26, 0x80
	v_and_or_b32 v5, v2, s26, v3
.LBB102_322:
	s_or_b64 exec, exec, s[28:29]
.LBB102_323:
	s_or_b64 exec, exec, s[22:23]
	s_mov_b64 s[22:23], 0
	global_store_byte v[0:1], v5, off
.LBB102_324:
	s_and_b64 vcc, exec, s[22:23]
	s_cbranch_vccz .LBB102_334
; %bb.325:
	v_cvt_f32_i32_sdwa v2, sext(v4) dst_sel:DWORD dst_unused:UNUSED_PAD src0_sel:WORD_0
	s_mov_b32 s22, 0x43f00000
                                        ; implicit-def: $vgpr3
	v_and_b32_e32 v5, 0x7fffffff, v2
	v_cmp_gt_u32_e32 vcc, s22, v5
	s_and_saveexec_b64 s[22:23], vcc
	s_xor_b64 s[22:23], exec, s[22:23]
	s_cbranch_execz .LBB102_331
; %bb.326:
	s_mov_b32 s26, 0x3c7fffff
	v_cmp_lt_u32_e32 vcc, s26, v5
                                        ; implicit-def: $vgpr3
	s_and_saveexec_b64 s[26:27], vcc
	s_xor_b64 s[26:27], exec, s[26:27]
; %bb.327:
	v_bfe_u32 v3, v2, 20, 1
	s_mov_b32 s28, 0x407ffff
	v_add3_u32 v3, v2, v3, s28
	v_lshrrev_b32_e32 v5, 20, v3
	v_and_b32_e32 v3, 0xff00000, v3
	s_mov_b32 s28, 0x7f00000
	v_mov_b32_e32 v6, 0x7e
	v_cmp_ne_u32_e32 vcc, s28, v3
	v_cndmask_b32_e32 v3, v6, v5, vcc
; %bb.328:
	s_andn2_saveexec_b64 s[26:27], s[26:27]
; %bb.329:
	s_mov_b32 s28, 0x46800000
	v_add_f32_e64 v3, |v2|, s28
; %bb.330:
	s_or_b64 exec, exec, s[26:27]
                                        ; implicit-def: $vgpr5
.LBB102_331:
	s_andn2_saveexec_b64 s[22:23], s[22:23]
; %bb.332:
	s_mov_b32 s26, 0x7f800000
	v_mov_b32_e32 v3, 0x7e
	v_mov_b32_e32 v6, 0x7f
	v_cmp_lt_u32_e32 vcc, s26, v5
	v_cndmask_b32_e32 v3, v3, v6, vcc
; %bb.333:
	s_or_b64 exec, exec, s[22:23]
	v_lshrrev_b32_e32 v2, 24, v2
	s_movk_i32 s22, 0x80
	v_and_or_b32 v2, v2, s22, v3
	global_store_byte v[0:1], v2, off
.LBB102_334:
	s_mov_b64 s[22:23], 0
.LBB102_335:
	s_andn2_b64 vcc, exec, s[22:23]
	s_cbranch_vccnz .LBB102_345
; %bb.336:
	v_cvt_f32_i32_sdwa v2, sext(v4) dst_sel:DWORD dst_unused:UNUSED_PAD src0_sel:WORD_0
	s_mov_b32 s22, 0x47800000
                                        ; implicit-def: $vgpr3
	v_and_b32_e32 v5, 0x7fffffff, v2
	v_cmp_gt_u32_e32 vcc, s22, v5
	s_and_saveexec_b64 s[22:23], vcc
	s_xor_b64 s[22:23], exec, s[22:23]
	s_cbranch_execz .LBB102_342
; %bb.337:
	s_mov_b32 s26, 0x387fffff
	v_cmp_lt_u32_e32 vcc, s26, v5
                                        ; implicit-def: $vgpr3
	s_and_saveexec_b64 s[26:27], vcc
	s_xor_b64 s[26:27], exec, s[26:27]
; %bb.338:
	v_bfe_u32 v3, v2, 21, 1
	s_mov_b32 s28, 0x80fffff
	v_add3_u32 v3, v2, v3, s28
	v_lshrrev_b32_e32 v3, 21, v3
; %bb.339:
	s_andn2_saveexec_b64 s[26:27], s[26:27]
; %bb.340:
	s_mov_b32 s28, 0x43000000
	v_add_f32_e64 v3, |v2|, s28
; %bb.341:
	s_or_b64 exec, exec, s[26:27]
                                        ; implicit-def: $vgpr5
.LBB102_342:
	s_andn2_saveexec_b64 s[22:23], s[22:23]
; %bb.343:
	s_mov_b32 s26, 0x7f800000
	v_mov_b32_e32 v3, 0x7c
	v_mov_b32_e32 v6, 0x7f
	v_cmp_lt_u32_e32 vcc, s26, v5
	v_cndmask_b32_e32 v3, v3, v6, vcc
; %bb.344:
	s_or_b64 exec, exec, s[22:23]
	v_lshrrev_b32_e32 v2, 24, v2
	s_movk_i32 s22, 0x80
	v_and_or_b32 v2, v2, s22, v3
	global_store_byte v[0:1], v2, off
.LBB102_345:
	s_mov_b64 s[26:27], 0
	s_mov_b64 s[22:23], -1
.LBB102_346:
	s_andn2_b64 vcc, exec, s[26:27]
	s_cbranch_vccnz .LBB102_354
; %bb.347:
	s_cmp_gt_i32 s31, 14
	s_mov_b64 s[26:27], -1
	s_cbranch_scc0 .LBB102_351
; %bb.348:
	s_cmp_eq_u32 s31, 15
	s_mov_b64 s[0:1], -1
	s_cbranch_scc0 .LBB102_350
; %bb.349:
	v_cvt_f32_i32_sdwa v2, sext(v4) dst_sel:DWORD dst_unused:UNUSED_PAD src0_sel:WORD_0
	s_movk_i32 s0, 0x7fff
	s_mov_b64 s[22:23], -1
	v_bfe_u32 v3, v2, 16, 1
	v_add3_u32 v2, v2, v3, s0
	global_store_short_d16_hi v[0:1], v2, off
	s_mov_b64 s[0:1], 0
.LBB102_350:
	s_mov_b64 s[26:27], 0
.LBB102_351:
	s_and_b64 vcc, exec, s[26:27]
	s_cbranch_vccz .LBB102_354
; %bb.352:
	s_cmp_eq_u32 s31, 11
	s_mov_b64 s[0:1], -1
	s_cbranch_scc0 .LBB102_354
; %bb.353:
	v_cmp_ne_u16_e32 vcc, 0, v4
	v_cndmask_b32_e64 v2, 0, 1, vcc
	s_mov_b64 s[22:23], -1
	s_mov_b64 s[0:1], 0
	global_store_byte v[0:1], v2, off
.LBB102_354:
	s_mov_b64 s[26:27], 0
.LBB102_355:
	s_and_b64 vcc, exec, s[26:27]
	s_cbranch_vccz .LBB102_394
; %bb.356:
	s_and_b32 s26, 0xffff, s30
	s_cmp_lt_i32 s26, 5
	s_mov_b64 s[22:23], -1
	s_cbranch_scc1 .LBB102_377
; %bb.357:
	s_cmp_lt_i32 s26, 8
	s_cbranch_scc1 .LBB102_367
; %bb.358:
	s_cmp_lt_i32 s26, 9
	s_cbranch_scc1 .LBB102_364
; %bb.359:
	s_cmp_gt_i32 s26, 9
	s_cbranch_scc0 .LBB102_361
; %bb.360:
	v_bfe_i32 v2, v4, 0, 16
	v_cvt_f64_i32_e32 v[5:6], v2
	v_mov_b32_e32 v7, 0
	v_mov_b32_e32 v8, v7
	s_mov_b64 s[22:23], 0
	global_store_dwordx4 v[0:1], v[5:8], off
.LBB102_361:
	s_andn2_b64 vcc, exec, s[22:23]
	s_cbranch_vccnz .LBB102_363
; %bb.362:
	v_cvt_f32_i32_sdwa v2, sext(v4) dst_sel:DWORD dst_unused:UNUSED_PAD src0_sel:WORD_0
	v_mov_b32_e32 v3, 0
	global_store_dwordx2 v[0:1], v[2:3], off
.LBB102_363:
	s_mov_b64 s[22:23], 0
.LBB102_364:
	s_andn2_b64 vcc, exec, s[22:23]
	s_cbranch_vccnz .LBB102_366
; %bb.365:
	v_cvt_f16_i16_e32 v2, v4
	global_store_dword v[0:1], v2, off
.LBB102_366:
	s_mov_b64 s[22:23], 0
.LBB102_367:
	s_andn2_b64 vcc, exec, s[22:23]
	s_cbranch_vccnz .LBB102_376
; %bb.368:
	s_cmp_lt_i32 s26, 6
	s_mov_b64 s[22:23], -1
	s_cbranch_scc1 .LBB102_374
; %bb.369:
	s_cmp_gt_i32 s26, 6
	s_cbranch_scc0 .LBB102_371
; %bb.370:
	v_bfe_i32 v2, v4, 0, 16
	v_cvt_f64_i32_e32 v[2:3], v2
	s_mov_b64 s[22:23], 0
	global_store_dwordx2 v[0:1], v[2:3], off
.LBB102_371:
	s_andn2_b64 vcc, exec, s[22:23]
	s_cbranch_vccnz .LBB102_373
; %bb.372:
	v_cvt_f32_i32_sdwa v2, sext(v4) dst_sel:DWORD dst_unused:UNUSED_PAD src0_sel:WORD_0
	global_store_dword v[0:1], v2, off
.LBB102_373:
	s_mov_b64 s[22:23], 0
.LBB102_374:
	s_andn2_b64 vcc, exec, s[22:23]
	s_cbranch_vccnz .LBB102_376
; %bb.375:
	v_cvt_f16_i16_e32 v2, v4
	global_store_short v[0:1], v2, off
.LBB102_376:
	s_mov_b64 s[22:23], 0
.LBB102_377:
	s_andn2_b64 vcc, exec, s[22:23]
	s_cbranch_vccnz .LBB102_393
; %bb.378:
	s_cmp_lt_i32 s26, 2
	s_mov_b64 s[22:23], -1
	s_cbranch_scc1 .LBB102_388
; %bb.379:
	s_cmp_lt_i32 s26, 3
	s_cbranch_scc1 .LBB102_385
; %bb.380:
	s_cmp_gt_i32 s26, 3
	v_bfe_i32 v2, v4, 0, 16
	s_cbranch_scc0 .LBB102_382
; %bb.381:
	v_ashrrev_i32_e32 v3, 31, v2
	s_mov_b64 s[22:23], 0
	global_store_dwordx2 v[0:1], v[2:3], off
.LBB102_382:
	s_andn2_b64 vcc, exec, s[22:23]
	s_cbranch_vccnz .LBB102_384
; %bb.383:
	global_store_dword v[0:1], v2, off
.LBB102_384:
	s_mov_b64 s[22:23], 0
.LBB102_385:
	s_andn2_b64 vcc, exec, s[22:23]
	s_cbranch_vccnz .LBB102_387
; %bb.386:
	global_store_short v[0:1], v4, off
.LBB102_387:
	s_mov_b64 s[22:23], 0
.LBB102_388:
	s_andn2_b64 vcc, exec, s[22:23]
	s_cbranch_vccnz .LBB102_393
; %bb.389:
	s_cmp_gt_i32 s26, 0
	s_mov_b64 s[22:23], -1
	s_cbranch_scc0 .LBB102_391
; %bb.390:
	s_mov_b64 s[22:23], 0
	global_store_byte v[0:1], v4, off
.LBB102_391:
	s_andn2_b64 vcc, exec, s[22:23]
	s_cbranch_vccnz .LBB102_393
; %bb.392:
	global_store_byte v[0:1], v4, off
.LBB102_393:
	s_mov_b64 s[22:23], -1
.LBB102_394:
	s_andn2_b64 vcc, exec, s[22:23]
	s_cbranch_vccnz .LBB102_396
; %bb.395:
	v_add_u32_e32 v9, 0x80, v9
	s_mov_b64 s[26:27], -1
	s_branch .LBB102_504
.LBB102_396:
	s_mov_b64 s[26:27], 0
                                        ; implicit-def: $vgpr9
	s_branch .LBB102_504
.LBB102_397:
	s_mov_b64 s[20:21], -1
                                        ; implicit-def: $vgpr2
.LBB102_398:
	s_mov_b64 s[22:23], 0
.LBB102_399:
	s_and_b64 vcc, exec, s[22:23]
	s_cbranch_vccz .LBB102_403
; %bb.400:
	s_cmp_eq_u32 s26, 29
	s_cbranch_scc0 .LBB102_402
; %bb.401:
	global_load_dwordx2 v[2:3], v[0:1], off
	s_mov_b64 s[0:1], -1
	s_mov_b64 s[20:21], 0
	s_branch .LBB102_403
.LBB102_402:
	s_mov_b64 s[20:21], -1
                                        ; implicit-def: $vgpr2
.LBB102_403:
	s_mov_b64 s[22:23], 0
.LBB102_404:
	s_and_b64 vcc, exec, s[22:23]
	s_cbranch_vccz .LBB102_420
; %bb.405:
	s_cmp_lt_i32 s26, 27
	s_cbranch_scc1 .LBB102_408
; %bb.406:
	s_cmp_gt_i32 s26, 27
	s_cbranch_scc0 .LBB102_409
; %bb.407:
	global_load_dword v2, v[0:1], off
	s_mov_b64 s[0:1], 0
	s_branch .LBB102_410
.LBB102_408:
	s_mov_b64 s[0:1], -1
                                        ; implicit-def: $vgpr2
	s_branch .LBB102_413
.LBB102_409:
	s_mov_b64 s[0:1], -1
                                        ; implicit-def: $vgpr2
.LBB102_410:
	s_andn2_b64 vcc, exec, s[0:1]
	s_cbranch_vccnz .LBB102_412
; %bb.411:
	global_load_ushort v2, v[0:1], off
.LBB102_412:
	s_mov_b64 s[0:1], 0
.LBB102_413:
	s_andn2_b64 vcc, exec, s[0:1]
	s_cbranch_vccnz .LBB102_419
; %bb.414:
	global_load_ubyte v3, v[0:1], off
	s_movk_i32 s0, 0x7f
	s_mov_b64 s[22:23], 0
	s_waitcnt vmcnt(0)
	v_cmp_lt_i16_e32 vcc, s0, v3
	s_and_saveexec_b64 s[0:1], vcc
	s_xor_b64 s[0:1], exec, s[0:1]
	s_cbranch_execz .LBB102_431
; %bb.415:
	s_movk_i32 s22, 0x80
	v_cmp_ne_u16_e32 vcc, s22, v3
	s_and_b64 s[22:23], vcc, exec
	s_andn2_saveexec_b64 s[0:1], s[0:1]
	s_cbranch_execnz .LBB102_432
.LBB102_416:
	s_or_b64 exec, exec, s[0:1]
	v_mov_b32_e32 v2, 0
	s_and_saveexec_b64 s[0:1], s[22:23]
	s_cbranch_execz .LBB102_418
.LBB102_417:
	v_lshlrev_b32_e32 v2, 24, v3
	v_and_b32_e32 v3, 0xffff, v3
	v_and_b32_e32 v4, 7, v3
	v_ffbh_u32_e32 v6, v4
	v_min_u32_e32 v6, 32, v6
	v_subrev_u32_e32 v7, 28, v6
	v_bfe_u32 v5, v3, 3, 4
	v_lshlrev_b32_e32 v3, v7, v3
	v_sub_u32_e32 v6, 29, v6
	v_and_b32_e32 v3, 7, v3
	v_cmp_eq_u32_e32 vcc, 0, v5
	v_cndmask_b32_e32 v5, v5, v6, vcc
	v_cndmask_b32_e32 v3, v4, v3, vcc
	v_mov_b32_e32 v4, 0x3b800000
	v_lshlrev_b32_e32 v3, 20, v3
	v_and_b32_e32 v2, 0x80000000, v2
	v_lshl_add_u32 v4, v5, 23, v4
	v_or3_b32 v2, v2, v4, v3
	v_cvt_i32_f32_e32 v2, v2
.LBB102_418:
	s_or_b64 exec, exec, s[0:1]
.LBB102_419:
	s_mov_b64 s[0:1], -1
.LBB102_420:
	s_mov_b64 s[22:23], 0
.LBB102_421:
	s_and_b64 vcc, exec, s[22:23]
	s_cbranch_vccz .LBB102_454
; %bb.422:
	s_cmp_gt_i32 s26, 22
	s_cbranch_scc0 .LBB102_430
; %bb.423:
	s_cmp_lt_i32 s26, 24
	s_cbranch_scc1 .LBB102_433
; %bb.424:
	s_cmp_gt_i32 s26, 24
	s_cbranch_scc0 .LBB102_434
; %bb.425:
	global_load_ubyte v3, v[0:1], off
	s_movk_i32 s0, 0x7f
	s_mov_b64 s[22:23], 0
	s_waitcnt vmcnt(0)
	v_cmp_lt_i16_e32 vcc, s0, v3
	s_and_saveexec_b64 s[0:1], vcc
	s_xor_b64 s[0:1], exec, s[0:1]
	s_cbranch_execz .LBB102_446
; %bb.426:
	s_movk_i32 s22, 0x80
	v_cmp_ne_u16_e32 vcc, s22, v3
	s_and_b64 s[22:23], vcc, exec
	s_andn2_saveexec_b64 s[0:1], s[0:1]
	s_cbranch_execnz .LBB102_447
.LBB102_427:
	s_or_b64 exec, exec, s[0:1]
	v_mov_b32_e32 v2, 0
	s_and_saveexec_b64 s[0:1], s[22:23]
	s_cbranch_execz .LBB102_429
.LBB102_428:
	v_lshlrev_b32_e32 v2, 24, v3
	v_and_b32_e32 v3, 0xffff, v3
	v_and_b32_e32 v4, 3, v3
	v_ffbh_u32_e32 v6, v4
	v_min_u32_e32 v6, 32, v6
	v_subrev_u32_e32 v7, 29, v6
	v_bfe_u32 v5, v3, 2, 5
	v_lshlrev_b32_e32 v3, v7, v3
	v_sub_u32_e32 v6, 30, v6
	v_and_b32_e32 v3, 3, v3
	v_cmp_eq_u32_e32 vcc, 0, v5
	v_cndmask_b32_e32 v5, v5, v6, vcc
	v_cndmask_b32_e32 v3, v4, v3, vcc
	v_mov_b32_e32 v4, 0x37800000
	v_lshlrev_b32_e32 v3, 21, v3
	v_and_b32_e32 v2, 0x80000000, v2
	v_lshl_add_u32 v4, v5, 23, v4
	v_or3_b32 v2, v2, v4, v3
	v_cvt_i32_f32_e32 v2, v2
.LBB102_429:
	s_or_b64 exec, exec, s[0:1]
	s_mov_b64 s[0:1], 0
	s_branch .LBB102_435
.LBB102_430:
	s_mov_b64 s[22:23], -1
                                        ; implicit-def: $vgpr2
	s_branch .LBB102_441
.LBB102_431:
	s_andn2_saveexec_b64 s[0:1], s[0:1]
	s_cbranch_execz .LBB102_416
.LBB102_432:
	v_cmp_ne_u16_e32 vcc, 0, v3
	s_andn2_b64 s[22:23], s[22:23], exec
	s_and_b64 s[28:29], vcc, exec
	s_or_b64 s[22:23], s[22:23], s[28:29]
	s_or_b64 exec, exec, s[0:1]
	v_mov_b32_e32 v2, 0
	s_and_saveexec_b64 s[0:1], s[22:23]
	s_cbranch_execnz .LBB102_417
	s_branch .LBB102_418
.LBB102_433:
	s_mov_b64 s[0:1], -1
                                        ; implicit-def: $vgpr2
	s_branch .LBB102_438
.LBB102_434:
	s_mov_b64 s[0:1], -1
                                        ; implicit-def: $vgpr2
.LBB102_435:
	s_and_b64 vcc, exec, s[0:1]
	s_cbranch_vccz .LBB102_437
; %bb.436:
	global_load_ubyte v2, v[0:1], off
	s_mov_b32 s0, 0x7f800000
	s_waitcnt vmcnt(0)
	v_lshlrev_b32_e32 v2, 24, v2
	v_and_b32_e32 v3, 0x7f000000, v2
	v_ffbh_u32_e32 v4, v3
	v_min_u32_e32 v4, 32, v4
	v_sub_u32_e64 v4, v4, 4 clamp
	v_lshlrev_b32_e32 v6, v4, v3
	v_lshlrev_b32_e32 v4, 23, v4
	v_lshrrev_b32_e32 v6, 4, v6
	v_add_u32_e32 v5, 0x1000000, v3
	v_sub_u32_e32 v4, v6, v4
	v_ashrrev_i32_e32 v5, 8, v5
	v_add_u32_e32 v4, 0x3c000000, v4
	v_and_or_b32 v4, v5, s0, v4
	v_cmp_ne_u32_e32 vcc, 0, v3
	v_cndmask_b32_e32 v3, 0, v4, vcc
	s_brev_b32 s0, 1
	v_and_or_b32 v2, v2, s0, v3
	v_cvt_i32_f32_e32 v2, v2
.LBB102_437:
	s_mov_b64 s[0:1], 0
.LBB102_438:
	s_andn2_b64 vcc, exec, s[0:1]
	s_cbranch_vccnz .LBB102_440
; %bb.439:
	global_load_ubyte v2, v[0:1], off
	s_movk_i32 s0, 0x7f00
	s_brev_b32 s1, 16
	s_waitcnt vmcnt(0)
	v_lshlrev_b16_e32 v3, 8, v2
	v_lshlrev_b32_e32 v2, 25, v2
	v_lshrrev_b32_e32 v4, 4, v2
	v_and_or_b32 v5, v3, s0, 0.5
	v_or_b32_e32 v4, 0x70000000, v4
	v_add_f32_e32 v5, -0.5, v5
	v_mul_f32_e32 v4, 0x7800000, v4
	v_cmp_gt_u32_e32 vcc, s1, v2
	v_bfe_i32 v3, v3, 0, 16
	v_cndmask_b32_e32 v2, v4, v5, vcc
	s_brev_b32 s0, 1
	v_and_or_b32 v2, v3, s0, v2
	v_cvt_i32_f32_e32 v2, v2
.LBB102_440:
	s_mov_b64 s[22:23], 0
	s_mov_b64 s[0:1], -1
.LBB102_441:
	s_andn2_b64 vcc, exec, s[22:23]
	s_cbranch_vccnz .LBB102_454
; %bb.442:
	s_cmp_gt_i32 s26, 14
	s_cbranch_scc0 .LBB102_445
; %bb.443:
	s_cmp_eq_u32 s26, 15
	s_cbranch_scc0 .LBB102_448
; %bb.444:
	global_load_ushort v2, v[0:1], off
	s_mov_b64 s[0:1], -1
	s_mov_b64 s[20:21], 0
	s_waitcnt vmcnt(0)
	v_lshlrev_b32_e32 v2, 16, v2
	v_cvt_i32_f32_e32 v2, v2
	s_branch .LBB102_449
.LBB102_445:
	s_mov_b64 s[22:23], -1
                                        ; implicit-def: $vgpr2
	s_branch .LBB102_450
.LBB102_446:
	s_andn2_saveexec_b64 s[0:1], s[0:1]
	s_cbranch_execz .LBB102_427
.LBB102_447:
	v_cmp_ne_u16_e32 vcc, 0, v3
	s_andn2_b64 s[22:23], s[22:23], exec
	s_and_b64 s[28:29], vcc, exec
	s_or_b64 s[22:23], s[22:23], s[28:29]
	s_or_b64 exec, exec, s[0:1]
	v_mov_b32_e32 v2, 0
	s_and_saveexec_b64 s[0:1], s[22:23]
	s_cbranch_execnz .LBB102_428
	s_branch .LBB102_429
.LBB102_448:
	s_mov_b64 s[20:21], -1
                                        ; implicit-def: $vgpr2
.LBB102_449:
	s_mov_b64 s[22:23], 0
.LBB102_450:
	s_and_b64 vcc, exec, s[22:23]
	s_cbranch_vccz .LBB102_454
; %bb.451:
	s_cmp_eq_u32 s26, 11
	s_cbranch_scc0 .LBB102_453
; %bb.452:
	global_load_ubyte v2, v[0:1], off
	s_mov_b64 s[0:1], -1
	s_mov_b64 s[20:21], 0
	s_waitcnt vmcnt(0)
	v_cmp_ne_u16_e32 vcc, 0, v2
	v_cndmask_b32_e64 v2, 0, 1, vcc
	s_branch .LBB102_454
.LBB102_453:
	s_mov_b64 s[20:21], -1
                                        ; implicit-def: $vgpr2
.LBB102_454:
	s_branch .LBB102_261
.LBB102_455:
	s_cmp_lt_i32 s26, 5
	s_cbranch_scc1 .LBB102_460
; %bb.456:
	s_cmp_lt_i32 s26, 8
	s_cbranch_scc1 .LBB102_461
; %bb.457:
	;; [unrolled: 3-line block ×3, first 2 shown]
	s_cmp_gt_i32 s26, 9
	s_cbranch_scc0 .LBB102_463
; %bb.459:
	global_load_dwordx2 v[2:3], v[0:1], off
	s_mov_b64 s[0:1], 0
	s_waitcnt vmcnt(0)
	v_cvt_i32_f64_e32 v2, v[2:3]
	s_branch .LBB102_464
.LBB102_460:
	s_mov_b64 s[0:1], -1
                                        ; implicit-def: $vgpr2
	s_branch .LBB102_482
.LBB102_461:
	s_mov_b64 s[0:1], -1
                                        ; implicit-def: $vgpr2
	s_branch .LBB102_470
.LBB102_462:
	s_mov_b64 s[0:1], -1
                                        ; implicit-def: $vgpr2
	s_branch .LBB102_467
.LBB102_463:
	s_mov_b64 s[0:1], -1
                                        ; implicit-def: $vgpr2
.LBB102_464:
	s_andn2_b64 vcc, exec, s[0:1]
	s_cbranch_vccnz .LBB102_466
; %bb.465:
	global_load_dword v2, v[0:1], off
	s_waitcnt vmcnt(0)
	v_cvt_i32_f32_e32 v2, v2
.LBB102_466:
	s_mov_b64 s[0:1], 0
.LBB102_467:
	s_andn2_b64 vcc, exec, s[0:1]
	s_cbranch_vccnz .LBB102_469
; %bb.468:
	global_load_dword v2, v[0:1], off
	s_waitcnt vmcnt(0)
	v_cvt_i16_f16_e32 v2, v2
.LBB102_469:
	s_mov_b64 s[0:1], 0
.LBB102_470:
	s_andn2_b64 vcc, exec, s[0:1]
	s_cbranch_vccnz .LBB102_481
; %bb.471:
	s_cmp_lt_i32 s26, 6
	s_cbranch_scc1 .LBB102_474
; %bb.472:
	s_cmp_gt_i32 s26, 6
	s_cbranch_scc0 .LBB102_475
; %bb.473:
	global_load_dwordx2 v[2:3], v[0:1], off
	s_mov_b64 s[0:1], 0
	s_waitcnt vmcnt(0)
	v_cvt_i32_f64_e32 v2, v[2:3]
	s_branch .LBB102_476
.LBB102_474:
	s_mov_b64 s[0:1], -1
                                        ; implicit-def: $vgpr2
	s_branch .LBB102_479
.LBB102_475:
	s_mov_b64 s[0:1], -1
                                        ; implicit-def: $vgpr2
.LBB102_476:
	s_andn2_b64 vcc, exec, s[0:1]
	s_cbranch_vccnz .LBB102_478
; %bb.477:
	global_load_dword v2, v[0:1], off
	s_waitcnt vmcnt(0)
	v_cvt_i32_f32_e32 v2, v2
.LBB102_478:
	s_mov_b64 s[0:1], 0
.LBB102_479:
	s_andn2_b64 vcc, exec, s[0:1]
	s_cbranch_vccnz .LBB102_481
; %bb.480:
	global_load_ushort v2, v[0:1], off
	s_waitcnt vmcnt(0)
	v_cvt_i16_f16_e32 v2, v2
.LBB102_481:
	s_mov_b64 s[0:1], 0
.LBB102_482:
	s_andn2_b64 vcc, exec, s[0:1]
	s_cbranch_vccnz .LBB102_502
; %bb.483:
	s_cmp_lt_i32 s26, 2
	s_cbranch_scc1 .LBB102_487
; %bb.484:
	s_cmp_lt_i32 s26, 3
	s_cbranch_scc1 .LBB102_488
; %bb.485:
	s_cmp_gt_i32 s26, 3
	s_cbranch_scc0 .LBB102_489
; %bb.486:
	global_load_dwordx2 v[2:3], v[0:1], off
	s_mov_b64 s[0:1], 0
	s_branch .LBB102_490
.LBB102_487:
	s_mov_b64 s[0:1], -1
                                        ; implicit-def: $vgpr2
	s_branch .LBB102_496
.LBB102_488:
	s_mov_b64 s[0:1], -1
                                        ; implicit-def: $vgpr2
	s_branch .LBB102_493
.LBB102_489:
	s_mov_b64 s[0:1], -1
                                        ; implicit-def: $vgpr2
.LBB102_490:
	s_andn2_b64 vcc, exec, s[0:1]
	s_cbranch_vccnz .LBB102_492
; %bb.491:
	global_load_dword v2, v[0:1], off
.LBB102_492:
	s_mov_b64 s[0:1], 0
.LBB102_493:
	s_andn2_b64 vcc, exec, s[0:1]
	s_cbranch_vccnz .LBB102_495
; %bb.494:
	global_load_ushort v2, v[0:1], off
.LBB102_495:
	s_mov_b64 s[0:1], 0
.LBB102_496:
	s_andn2_b64 vcc, exec, s[0:1]
	s_cbranch_vccnz .LBB102_502
; %bb.497:
	s_cmp_gt_i32 s26, 0
	s_cbranch_scc0 .LBB102_499
; %bb.498:
	global_load_sbyte v2, v[0:1], off
	s_mov_b64 s[0:1], 0
	s_branch .LBB102_500
.LBB102_499:
	s_mov_b64 s[0:1], -1
                                        ; implicit-def: $vgpr2
.LBB102_500:
	s_andn2_b64 vcc, exec, s[0:1]
	s_cbranch_vccnz .LBB102_502
; %bb.501:
	global_load_ubyte v2, v[0:1], off
.LBB102_502:
	s_branch .LBB102_262
.LBB102_503:
	s_mov_b64 s[26:27], 0
                                        ; implicit-def: $vgpr9
	s_mov_b64 s[0:1], s[6:7]
.LBB102_504:
	s_andn2_b64 s[22:23], s[6:7], exec
	s_and_b64 s[0:1], s[0:1], exec
	s_or_b64 s[22:23], s[22:23], s[0:1]
	s_andn2_b64 s[0:1], s[16:17], exec
	s_and_b64 s[20:21], s[20:21], exec
	s_or_b64 s[20:21], s[0:1], s[20:21]
	s_orn2_b64 s[0:1], s[26:27], exec
.LBB102_505:
	s_or_b64 exec, exec, s[24:25]
	s_mov_b64 s[26:27], 0
	s_mov_b64 s[28:29], 0
	;; [unrolled: 1-line block ×3, first 2 shown]
                                        ; implicit-def: $vgpr0_vgpr1
                                        ; implicit-def: $vgpr2
	s_and_saveexec_b64 s[24:25], s[0:1]
	s_cbranch_execz .LBB102_842
; %bb.506:
	v_cmp_gt_i32_e32 vcc, s40, v9
	s_mov_b64 s[36:37], -1
	s_mov_b64 s[0:1], s[20:21]
	s_mov_b64 s[30:31], s[22:23]
	s_and_saveexec_b64 s[26:27], vcc
	s_cbranch_execz .LBB102_760
; %bb.507:
	v_mul_lo_u32 v0, v9, s13
	v_mov_b32_e32 v1, s11
	s_and_b32 s34, 0xffff, s14
	s_cmp_lt_i32 s34, 11
	s_waitcnt vmcnt(0)
	v_ashrrev_i32_e32 v2, 31, v0
	v_add_co_u32_e32 v0, vcc, s10, v0
	v_addc_co_u32_e32 v1, vcc, v1, v2, vcc
	s_cbranch_scc1 .LBB102_514
; %bb.508:
	s_cmp_gt_i32 s34, 25
	s_cbranch_scc0 .LBB102_515
; %bb.509:
	s_cmp_gt_i32 s34, 28
	s_cbranch_scc0 .LBB102_516
	;; [unrolled: 3-line block ×4, first 2 shown]
; %bb.512:
	s_cmp_eq_u32 s34, 46
	s_mov_b64 s[30:31], 0
	s_cbranch_scc0 .LBB102_523
; %bb.513:
	global_load_dword v2, v[0:1], off
	s_mov_b64 s[0:1], -1
	s_waitcnt vmcnt(0)
	v_lshlrev_b32_e32 v2, 16, v2
	v_cvt_i32_f32_e32 v2, v2
	s_branch .LBB102_524
.LBB102_514:
	s_mov_b64 s[30:31], -1
	s_mov_b64 s[0:1], 0
                                        ; implicit-def: $vgpr2
	s_mov_b64 s[28:29], s[20:21]
	s_branch .LBB102_585
.LBB102_515:
	s_mov_b64 s[30:31], -1
	s_mov_b64 s[0:1], 0
	s_mov_b64 s[28:29], s[20:21]
                                        ; implicit-def: $vgpr2
	s_branch .LBB102_551
.LBB102_516:
	s_mov_b64 s[30:31], -1
	s_mov_b64 s[0:1], 0
	s_mov_b64 s[28:29], s[20:21]
                                        ; implicit-def: $vgpr2
	s_branch .LBB102_534
.LBB102_517:
	s_mov_b64 s[30:31], -1
	s_mov_b64 s[0:1], 0
	s_mov_b64 s[28:29], s[20:21]
                                        ; implicit-def: $vgpr2
	s_branch .LBB102_529
.LBB102_518:
	s_andn2_saveexec_b64 s[28:29], s[28:29]
	s_cbranch_execz .LBB102_307
.LBB102_519:
	s_mov_b32 s34, 0x46000000
	v_add_f32_e64 v3, |v2|, s34
	v_and_b32_e32 v3, 0xff, v3
	v_cmp_ne_u32_e32 vcc, 0, v3
	s_andn2_b64 s[26:27], s[26:27], exec
	s_and_b64 s[34:35], vcc, exec
	s_or_b64 s[26:27], s[26:27], s[34:35]
	s_or_b64 exec, exec, s[28:29]
	v_mov_b32_e32 v5, 0
	s_and_saveexec_b64 s[28:29], s[26:27]
	s_cbranch_execnz .LBB102_308
	s_branch .LBB102_309
.LBB102_520:
	s_mov_b64 s[30:31], -1
	s_mov_b64 s[0:1], 0
	s_mov_b64 s[28:29], s[20:21]
                                        ; implicit-def: $vgpr2
	s_branch .LBB102_524
.LBB102_521:
	s_andn2_saveexec_b64 s[28:29], s[28:29]
	s_cbranch_execz .LBB102_320
.LBB102_522:
	s_mov_b32 s34, 0x42800000
	v_add_f32_e64 v3, |v2|, s34
	v_and_b32_e32 v3, 0xff, v3
	v_cmp_ne_u32_e32 vcc, 0, v3
	s_andn2_b64 s[26:27], s[26:27], exec
	s_and_b64 s[34:35], vcc, exec
	s_or_b64 s[26:27], s[26:27], s[34:35]
	s_or_b64 exec, exec, s[28:29]
	v_mov_b32_e32 v5, 0
	s_and_saveexec_b64 s[28:29], s[26:27]
	s_cbranch_execnz .LBB102_321
	s_branch .LBB102_322
.LBB102_523:
	s_mov_b64 s[28:29], -1
                                        ; implicit-def: $vgpr2
	s_mov_b64 s[0:1], 0
.LBB102_524:
	s_and_b64 vcc, exec, s[30:31]
	s_cbranch_vccz .LBB102_528
; %bb.525:
	s_cmp_eq_u32 s34, 44
	s_cbranch_scc0 .LBB102_527
; %bb.526:
	global_load_ubyte v2, v[0:1], off
	s_mov_b64 s[0:1], -1
	s_mov_b64 s[28:29], 0
	s_waitcnt vmcnt(0)
	v_lshlrev_b32_e32 v3, 23, v2
	v_cvt_i32_f32_e32 v3, v3
	v_cmp_ne_u32_e32 vcc, 0, v2
	v_cndmask_b32_e32 v2, 0, v3, vcc
	s_branch .LBB102_528
.LBB102_527:
	s_mov_b64 s[28:29], -1
                                        ; implicit-def: $vgpr2
.LBB102_528:
	s_mov_b64 s[30:31], 0
.LBB102_529:
	s_and_b64 vcc, exec, s[30:31]
	s_cbranch_vccz .LBB102_533
; %bb.530:
	s_cmp_eq_u32 s34, 29
	s_cbranch_scc0 .LBB102_532
; %bb.531:
	global_load_dwordx2 v[2:3], v[0:1], off
	s_mov_b64 s[0:1], -1
	s_mov_b64 s[28:29], 0
	s_branch .LBB102_533
.LBB102_532:
	s_mov_b64 s[28:29], -1
                                        ; implicit-def: $vgpr2
.LBB102_533:
	s_mov_b64 s[30:31], 0
.LBB102_534:
	s_and_b64 vcc, exec, s[30:31]
	s_cbranch_vccz .LBB102_550
; %bb.535:
	s_cmp_lt_i32 s34, 27
	s_cbranch_scc1 .LBB102_538
; %bb.536:
	s_cmp_gt_i32 s34, 27
	s_cbranch_scc0 .LBB102_539
; %bb.537:
	global_load_dword v2, v[0:1], off
	s_mov_b64 s[0:1], 0
	s_branch .LBB102_540
.LBB102_538:
	s_mov_b64 s[0:1], -1
                                        ; implicit-def: $vgpr2
	s_branch .LBB102_543
.LBB102_539:
	s_mov_b64 s[0:1], -1
                                        ; implicit-def: $vgpr2
.LBB102_540:
	s_andn2_b64 vcc, exec, s[0:1]
	s_cbranch_vccnz .LBB102_542
; %bb.541:
	global_load_ushort v2, v[0:1], off
.LBB102_542:
	s_mov_b64 s[0:1], 0
.LBB102_543:
	s_andn2_b64 vcc, exec, s[0:1]
	s_cbranch_vccnz .LBB102_549
; %bb.544:
	global_load_ubyte v3, v[0:1], off
	s_movk_i32 s0, 0x7f
	s_mov_b64 s[30:31], 0
	s_waitcnt vmcnt(0)
	v_cmp_lt_i16_e32 vcc, s0, v3
	s_and_saveexec_b64 s[0:1], vcc
	s_xor_b64 s[0:1], exec, s[0:1]
	s_cbranch_execz .LBB102_561
; %bb.545:
	s_movk_i32 s30, 0x80
	v_cmp_ne_u16_e32 vcc, s30, v3
	s_and_b64 s[30:31], vcc, exec
	s_andn2_saveexec_b64 s[0:1], s[0:1]
	s_cbranch_execnz .LBB102_562
.LBB102_546:
	s_or_b64 exec, exec, s[0:1]
	v_mov_b32_e32 v2, 0
	s_and_saveexec_b64 s[0:1], s[30:31]
	s_cbranch_execz .LBB102_548
.LBB102_547:
	v_lshlrev_b32_e32 v2, 24, v3
	v_and_b32_e32 v3, 0xffff, v3
	v_and_b32_e32 v4, 7, v3
	v_ffbh_u32_e32 v6, v4
	v_min_u32_e32 v6, 32, v6
	v_subrev_u32_e32 v7, 28, v6
	v_bfe_u32 v5, v3, 3, 4
	v_lshlrev_b32_e32 v3, v7, v3
	v_sub_u32_e32 v6, 29, v6
	v_and_b32_e32 v3, 7, v3
	v_cmp_eq_u32_e32 vcc, 0, v5
	v_cndmask_b32_e32 v5, v5, v6, vcc
	v_cndmask_b32_e32 v3, v4, v3, vcc
	v_mov_b32_e32 v4, 0x3b800000
	v_lshlrev_b32_e32 v3, 20, v3
	v_and_b32_e32 v2, 0x80000000, v2
	v_lshl_add_u32 v4, v5, 23, v4
	v_or3_b32 v2, v2, v4, v3
	v_cvt_i32_f32_e32 v2, v2
.LBB102_548:
	s_or_b64 exec, exec, s[0:1]
.LBB102_549:
	s_mov_b64 s[0:1], -1
.LBB102_550:
	s_mov_b64 s[30:31], 0
.LBB102_551:
	s_and_b64 vcc, exec, s[30:31]
	s_cbranch_vccz .LBB102_584
; %bb.552:
	s_cmp_gt_i32 s34, 22
	s_cbranch_scc0 .LBB102_560
; %bb.553:
	s_cmp_lt_i32 s34, 24
	s_cbranch_scc1 .LBB102_563
; %bb.554:
	s_cmp_gt_i32 s34, 24
	s_cbranch_scc0 .LBB102_564
; %bb.555:
	global_load_ubyte v3, v[0:1], off
	s_movk_i32 s0, 0x7f
	s_mov_b64 s[30:31], 0
	s_waitcnt vmcnt(0)
	v_cmp_lt_i16_e32 vcc, s0, v3
	s_and_saveexec_b64 s[0:1], vcc
	s_xor_b64 s[0:1], exec, s[0:1]
	s_cbranch_execz .LBB102_576
; %bb.556:
	s_movk_i32 s30, 0x80
	v_cmp_ne_u16_e32 vcc, s30, v3
	s_and_b64 s[30:31], vcc, exec
	s_andn2_saveexec_b64 s[0:1], s[0:1]
	s_cbranch_execnz .LBB102_577
.LBB102_557:
	s_or_b64 exec, exec, s[0:1]
	v_mov_b32_e32 v2, 0
	s_and_saveexec_b64 s[0:1], s[30:31]
	s_cbranch_execz .LBB102_559
.LBB102_558:
	v_lshlrev_b32_e32 v2, 24, v3
	v_and_b32_e32 v3, 0xffff, v3
	v_and_b32_e32 v4, 3, v3
	v_ffbh_u32_e32 v6, v4
	v_min_u32_e32 v6, 32, v6
	v_subrev_u32_e32 v7, 29, v6
	v_bfe_u32 v5, v3, 2, 5
	v_lshlrev_b32_e32 v3, v7, v3
	v_sub_u32_e32 v6, 30, v6
	v_and_b32_e32 v3, 3, v3
	v_cmp_eq_u32_e32 vcc, 0, v5
	v_cndmask_b32_e32 v5, v5, v6, vcc
	v_cndmask_b32_e32 v3, v4, v3, vcc
	v_mov_b32_e32 v4, 0x37800000
	v_lshlrev_b32_e32 v3, 21, v3
	v_and_b32_e32 v2, 0x80000000, v2
	v_lshl_add_u32 v4, v5, 23, v4
	v_or3_b32 v2, v2, v4, v3
	v_cvt_i32_f32_e32 v2, v2
.LBB102_559:
	s_or_b64 exec, exec, s[0:1]
	s_mov_b64 s[0:1], 0
	s_branch .LBB102_565
.LBB102_560:
	s_mov_b64 s[30:31], -1
                                        ; implicit-def: $vgpr2
	s_branch .LBB102_571
.LBB102_561:
	s_andn2_saveexec_b64 s[0:1], s[0:1]
	s_cbranch_execz .LBB102_546
.LBB102_562:
	v_cmp_ne_u16_e32 vcc, 0, v3
	s_andn2_b64 s[30:31], s[30:31], exec
	s_and_b64 s[36:37], vcc, exec
	s_or_b64 s[30:31], s[30:31], s[36:37]
	s_or_b64 exec, exec, s[0:1]
	v_mov_b32_e32 v2, 0
	s_and_saveexec_b64 s[0:1], s[30:31]
	s_cbranch_execnz .LBB102_547
	s_branch .LBB102_548
.LBB102_563:
	s_mov_b64 s[0:1], -1
                                        ; implicit-def: $vgpr2
	s_branch .LBB102_568
.LBB102_564:
	s_mov_b64 s[0:1], -1
                                        ; implicit-def: $vgpr2
.LBB102_565:
	s_and_b64 vcc, exec, s[0:1]
	s_cbranch_vccz .LBB102_567
; %bb.566:
	global_load_ubyte v2, v[0:1], off
	s_mov_b32 s0, 0x7f800000
	s_waitcnt vmcnt(0)
	v_lshlrev_b32_e32 v2, 24, v2
	v_and_b32_e32 v3, 0x7f000000, v2
	v_ffbh_u32_e32 v4, v3
	v_min_u32_e32 v4, 32, v4
	v_sub_u32_e64 v4, v4, 4 clamp
	v_lshlrev_b32_e32 v6, v4, v3
	v_lshlrev_b32_e32 v4, 23, v4
	v_lshrrev_b32_e32 v6, 4, v6
	v_add_u32_e32 v5, 0x1000000, v3
	v_sub_u32_e32 v4, v6, v4
	v_ashrrev_i32_e32 v5, 8, v5
	v_add_u32_e32 v4, 0x3c000000, v4
	v_and_or_b32 v4, v5, s0, v4
	v_cmp_ne_u32_e32 vcc, 0, v3
	v_cndmask_b32_e32 v3, 0, v4, vcc
	s_brev_b32 s0, 1
	v_and_or_b32 v2, v2, s0, v3
	v_cvt_i32_f32_e32 v2, v2
.LBB102_567:
	s_mov_b64 s[0:1], 0
.LBB102_568:
	s_andn2_b64 vcc, exec, s[0:1]
	s_cbranch_vccnz .LBB102_570
; %bb.569:
	global_load_ubyte v2, v[0:1], off
	s_movk_i32 s0, 0x7f00
	s_brev_b32 s1, 16
	s_waitcnt vmcnt(0)
	v_lshlrev_b16_e32 v3, 8, v2
	v_lshlrev_b32_e32 v2, 25, v2
	v_lshrrev_b32_e32 v4, 4, v2
	v_and_or_b32 v5, v3, s0, 0.5
	v_or_b32_e32 v4, 0x70000000, v4
	v_add_f32_e32 v5, -0.5, v5
	v_mul_f32_e32 v4, 0x7800000, v4
	v_cmp_gt_u32_e32 vcc, s1, v2
	v_bfe_i32 v3, v3, 0, 16
	v_cndmask_b32_e32 v2, v4, v5, vcc
	s_brev_b32 s0, 1
	v_and_or_b32 v2, v3, s0, v2
	v_cvt_i32_f32_e32 v2, v2
.LBB102_570:
	s_mov_b64 s[30:31], 0
	s_mov_b64 s[0:1], -1
.LBB102_571:
	s_andn2_b64 vcc, exec, s[30:31]
	s_cbranch_vccnz .LBB102_584
; %bb.572:
	s_cmp_gt_i32 s34, 14
	s_cbranch_scc0 .LBB102_575
; %bb.573:
	s_cmp_eq_u32 s34, 15
	s_cbranch_scc0 .LBB102_578
; %bb.574:
	global_load_ushort v2, v[0:1], off
	s_mov_b64 s[0:1], -1
	s_mov_b64 s[28:29], 0
	s_waitcnt vmcnt(0)
	v_lshlrev_b32_e32 v2, 16, v2
	v_cvt_i32_f32_e32 v2, v2
	s_branch .LBB102_579
.LBB102_575:
	s_mov_b64 s[30:31], -1
                                        ; implicit-def: $vgpr2
	s_branch .LBB102_580
.LBB102_576:
	s_andn2_saveexec_b64 s[0:1], s[0:1]
	s_cbranch_execz .LBB102_557
.LBB102_577:
	v_cmp_ne_u16_e32 vcc, 0, v3
	s_andn2_b64 s[30:31], s[30:31], exec
	s_and_b64 s[36:37], vcc, exec
	s_or_b64 s[30:31], s[30:31], s[36:37]
	s_or_b64 exec, exec, s[0:1]
	v_mov_b32_e32 v2, 0
	s_and_saveexec_b64 s[0:1], s[30:31]
	s_cbranch_execnz .LBB102_558
	s_branch .LBB102_559
.LBB102_578:
	s_mov_b64 s[28:29], -1
                                        ; implicit-def: $vgpr2
.LBB102_579:
	s_mov_b64 s[30:31], 0
.LBB102_580:
	s_and_b64 vcc, exec, s[30:31]
	s_cbranch_vccz .LBB102_584
; %bb.581:
	s_cmp_eq_u32 s34, 11
	s_cbranch_scc0 .LBB102_583
; %bb.582:
	global_load_ubyte v2, v[0:1], off
	s_mov_b64 s[0:1], -1
	s_mov_b64 s[28:29], 0
	s_waitcnt vmcnt(0)
	v_cmp_ne_u16_e32 vcc, 0, v2
	v_cndmask_b32_e64 v2, 0, 1, vcc
	s_branch .LBB102_584
.LBB102_583:
	s_mov_b64 s[28:29], -1
                                        ; implicit-def: $vgpr2
.LBB102_584:
	s_mov_b64 s[30:31], 0
.LBB102_585:
	s_and_b64 vcc, exec, s[30:31]
	s_cbranch_vccz .LBB102_634
; %bb.586:
	s_cmp_lt_i32 s34, 5
	s_cbranch_scc1 .LBB102_591
; %bb.587:
	s_cmp_lt_i32 s34, 8
	s_cbranch_scc1 .LBB102_592
	;; [unrolled: 3-line block ×3, first 2 shown]
; %bb.589:
	s_cmp_gt_i32 s34, 9
	s_cbranch_scc0 .LBB102_594
; %bb.590:
	global_load_dwordx2 v[2:3], v[0:1], off
	s_mov_b64 s[0:1], 0
	s_waitcnt vmcnt(0)
	v_cvt_i32_f64_e32 v2, v[2:3]
	s_branch .LBB102_595
.LBB102_591:
	s_mov_b64 s[0:1], -1
                                        ; implicit-def: $vgpr2
	s_branch .LBB102_613
.LBB102_592:
	s_mov_b64 s[0:1], -1
                                        ; implicit-def: $vgpr2
	s_branch .LBB102_601
.LBB102_593:
	s_mov_b64 s[0:1], -1
                                        ; implicit-def: $vgpr2
	s_branch .LBB102_598
.LBB102_594:
	s_mov_b64 s[0:1], -1
                                        ; implicit-def: $vgpr2
.LBB102_595:
	s_andn2_b64 vcc, exec, s[0:1]
	s_cbranch_vccnz .LBB102_597
; %bb.596:
	global_load_dword v2, v[0:1], off
	s_waitcnt vmcnt(0)
	v_cvt_i32_f32_e32 v2, v2
.LBB102_597:
	s_mov_b64 s[0:1], 0
.LBB102_598:
	s_andn2_b64 vcc, exec, s[0:1]
	s_cbranch_vccnz .LBB102_600
; %bb.599:
	global_load_dword v2, v[0:1], off
	s_waitcnt vmcnt(0)
	v_cvt_i16_f16_e32 v2, v2
.LBB102_600:
	s_mov_b64 s[0:1], 0
.LBB102_601:
	s_andn2_b64 vcc, exec, s[0:1]
	s_cbranch_vccnz .LBB102_612
; %bb.602:
	s_cmp_lt_i32 s34, 6
	s_cbranch_scc1 .LBB102_605
; %bb.603:
	s_cmp_gt_i32 s34, 6
	s_cbranch_scc0 .LBB102_606
; %bb.604:
	global_load_dwordx2 v[2:3], v[0:1], off
	s_mov_b64 s[0:1], 0
	s_waitcnt vmcnt(0)
	v_cvt_i32_f64_e32 v2, v[2:3]
	s_branch .LBB102_607
.LBB102_605:
	s_mov_b64 s[0:1], -1
                                        ; implicit-def: $vgpr2
	s_branch .LBB102_610
.LBB102_606:
	s_mov_b64 s[0:1], -1
                                        ; implicit-def: $vgpr2
.LBB102_607:
	s_andn2_b64 vcc, exec, s[0:1]
	s_cbranch_vccnz .LBB102_609
; %bb.608:
	global_load_dword v2, v[0:1], off
	s_waitcnt vmcnt(0)
	v_cvt_i32_f32_e32 v2, v2
.LBB102_609:
	s_mov_b64 s[0:1], 0
.LBB102_610:
	s_andn2_b64 vcc, exec, s[0:1]
	s_cbranch_vccnz .LBB102_612
; %bb.611:
	global_load_ushort v2, v[0:1], off
	s_waitcnt vmcnt(0)
	v_cvt_i16_f16_e32 v2, v2
.LBB102_612:
	s_mov_b64 s[0:1], 0
.LBB102_613:
	s_andn2_b64 vcc, exec, s[0:1]
	s_cbranch_vccnz .LBB102_633
; %bb.614:
	s_cmp_lt_i32 s34, 2
	s_cbranch_scc1 .LBB102_618
; %bb.615:
	s_cmp_lt_i32 s34, 3
	s_cbranch_scc1 .LBB102_619
; %bb.616:
	s_cmp_gt_i32 s34, 3
	s_cbranch_scc0 .LBB102_620
; %bb.617:
	global_load_dwordx2 v[2:3], v[0:1], off
	s_mov_b64 s[0:1], 0
	s_branch .LBB102_621
.LBB102_618:
	s_mov_b64 s[0:1], -1
                                        ; implicit-def: $vgpr2
	s_branch .LBB102_627
.LBB102_619:
	s_mov_b64 s[0:1], -1
                                        ; implicit-def: $vgpr2
	s_branch .LBB102_624
.LBB102_620:
	s_mov_b64 s[0:1], -1
                                        ; implicit-def: $vgpr2
.LBB102_621:
	s_andn2_b64 vcc, exec, s[0:1]
	s_cbranch_vccnz .LBB102_623
; %bb.622:
	global_load_dword v2, v[0:1], off
.LBB102_623:
	s_mov_b64 s[0:1], 0
.LBB102_624:
	s_andn2_b64 vcc, exec, s[0:1]
	s_cbranch_vccnz .LBB102_626
; %bb.625:
	global_load_ushort v2, v[0:1], off
.LBB102_626:
	s_mov_b64 s[0:1], 0
.LBB102_627:
	s_andn2_b64 vcc, exec, s[0:1]
	s_cbranch_vccnz .LBB102_633
; %bb.628:
	s_cmp_gt_i32 s34, 0
	s_cbranch_scc0 .LBB102_630
; %bb.629:
	global_load_sbyte v2, v[0:1], off
	s_mov_b64 s[0:1], 0
	s_branch .LBB102_631
.LBB102_630:
	s_mov_b64 s[0:1], -1
                                        ; implicit-def: $vgpr2
.LBB102_631:
	s_andn2_b64 vcc, exec, s[0:1]
	s_cbranch_vccnz .LBB102_633
; %bb.632:
	global_load_ubyte v2, v[0:1], off
.LBB102_633:
	s_mov_b64 s[0:1], -1
.LBB102_634:
	s_andn2_b64 vcc, exec, s[0:1]
	s_cbranch_vccnz .LBB102_642
; %bb.635:
	v_mul_lo_u32 v0, v9, s12
	s_waitcnt vmcnt(0)
	v_lshlrev_b32_sdwa v1, v2, s33 dst_sel:DWORD dst_unused:UNUSED_PAD src0_sel:WORD_0 src1_sel:DWORD
	v_cmp_gt_u16_e32 vcc, 16, v2
	v_cndmask_b32_e32 v4, 0, v1, vcc
	v_ashrrev_i32_e32 v1, 31, v0
	v_mov_b32_e32 v2, s9
	s_and_b32 s38, s15, 0xff
	v_add_co_u32_e32 v0, vcc, s8, v0
	s_cmp_lt_i32 s38, 11
	v_addc_co_u32_e32 v1, vcc, v2, v1, vcc
	s_cbranch_scc1 .LBB102_643
; %bb.636:
	s_and_b32 s39, 0xffff, s38
	s_cmp_gt_i32 s39, 25
	s_cbranch_scc0 .LBB102_644
; %bb.637:
	s_cmp_gt_i32 s39, 28
	s_cbranch_scc0 .LBB102_645
; %bb.638:
	;; [unrolled: 3-line block ×4, first 2 shown]
	s_mov_b64 s[34:35], 0
	s_mov_b64 s[0:1], -1
	s_cmp_eq_u32 s39, 46
	s_mov_b64 s[30:31], 0
	s_cbranch_scc0 .LBB102_648
; %bb.641:
	v_cvt_f32_i32_sdwa v2, sext(v4) dst_sel:DWORD dst_unused:UNUSED_PAD src0_sel:WORD_0
	s_movk_i32 s0, 0x7fff
	s_mov_b64 s[30:31], -1
	v_bfe_u32 v3, v2, 16, 1
	v_add3_u32 v2, v2, v3, s0
	v_lshrrev_b32_e32 v2, 16, v2
	global_store_dword v[0:1], v2, off
	s_mov_b64 s[0:1], 0
	s_branch .LBB102_648
.LBB102_642:
	s_mov_b64 s[34:35], 0
                                        ; implicit-def: $vgpr9
	s_mov_b64 s[0:1], s[22:23]
	s_branch .LBB102_759
.LBB102_643:
	s_mov_b64 s[34:35], -1
	s_mov_b64 s[30:31], 0
	s_mov_b64 s[0:1], s[22:23]
	s_branch .LBB102_717
.LBB102_644:
	s_mov_b64 s[34:35], -1
	s_mov_b64 s[30:31], 0
	s_mov_b64 s[0:1], s[22:23]
	s_branch .LBB102_675
.LBB102_645:
	s_mov_b64 s[34:35], -1
	s_mov_b64 s[30:31], 0
	s_mov_b64 s[0:1], s[22:23]
	s_branch .LBB102_658
.LBB102_646:
	s_mov_b64 s[34:35], -1
	s_mov_b64 s[30:31], 0
	s_mov_b64 s[0:1], s[22:23]
	s_branch .LBB102_654
.LBB102_647:
	s_mov_b64 s[34:35], -1
	s_mov_b64 s[30:31], 0
	s_mov_b64 s[0:1], s[22:23]
.LBB102_648:
	s_and_b64 vcc, exec, s[34:35]
	s_cbranch_vccz .LBB102_653
; %bb.649:
	s_cmp_eq_u32 s39, 44
	s_mov_b64 s[0:1], -1
	s_cbranch_scc0 .LBB102_653
; %bb.650:
	v_cvt_f32_i32_sdwa v2, sext(v4) dst_sel:DWORD dst_unused:UNUSED_PAD src0_sel:WORD_0
	s_movk_i32 s0, 0xff
	v_mov_b32_e32 v5, 0xff
	v_bfe_u32 v3, v2, 23, 8
	v_cmp_ne_u32_e32 vcc, s0, v3
	s_and_saveexec_b64 s[30:31], vcc
; %bb.651:
	s_mov_b32 s0, 0x3fffff
	v_lshrrev_b32_e32 v5, 23, v2
	v_and_b32_e32 v6, 0x400000, v2
	v_and_or_b32 v2, v2, s0, v3
	v_cmp_ne_u32_e32 vcc, 0, v6
	v_cmp_ne_u32_e64 s[0:1], 0, v2
	s_and_b64 s[0:1], vcc, s[0:1]
	v_cndmask_b32_e64 v2, 0, 1, s[0:1]
	v_add_u32_e32 v5, v5, v2
; %bb.652:
	s_or_b64 exec, exec, s[30:31]
	s_mov_b64 s[30:31], -1
	s_mov_b64 s[0:1], 0
	global_store_byte v[0:1], v5, off
.LBB102_653:
	s_mov_b64 s[34:35], 0
.LBB102_654:
	s_and_b64 vcc, exec, s[34:35]
	s_cbranch_vccz .LBB102_657
; %bb.655:
	s_cmp_eq_u32 s39, 29
	s_mov_b64 s[0:1], -1
	s_cbranch_scc0 .LBB102_657
; %bb.656:
	v_bfe_i32 v2, v4, 0, 16
	v_ashrrev_i32_e32 v3, 31, v2
	global_store_dwordx2 v[0:1], v[2:3], off
	s_mov_b64 s[30:31], -1
	s_mov_b64 s[0:1], 0
.LBB102_657:
	s_mov_b64 s[34:35], 0
.LBB102_658:
	s_and_b64 vcc, exec, s[34:35]
	s_cbranch_vccz .LBB102_674
; %bb.659:
	s_cmp_lt_i32 s39, 27
	s_mov_b64 s[30:31], -1
	s_cbranch_scc1 .LBB102_665
; %bb.660:
	s_cmp_gt_i32 s39, 27
	s_cbranch_scc0 .LBB102_662
; %bb.661:
	v_bfe_i32 v2, v4, 0, 16
	s_mov_b64 s[30:31], 0
	global_store_dword v[0:1], v2, off
.LBB102_662:
	s_andn2_b64 vcc, exec, s[30:31]
	s_cbranch_vccnz .LBB102_664
; %bb.663:
	global_store_short v[0:1], v4, off
.LBB102_664:
	s_mov_b64 s[30:31], 0
.LBB102_665:
	s_andn2_b64 vcc, exec, s[30:31]
	s_cbranch_vccnz .LBB102_673
; %bb.666:
	v_cvt_f32_i32_sdwa v2, sext(v4) dst_sel:DWORD dst_unused:UNUSED_PAD src0_sel:WORD_0
	s_mov_b32 s30, 0x43800000
	v_mov_b32_e32 v5, 0x80
	v_and_b32_e32 v3, 0x7fffffff, v2
	v_cmp_gt_u32_e32 vcc, s30, v3
	s_and_saveexec_b64 s[30:31], vcc
	s_cbranch_execz .LBB102_672
; %bb.667:
	s_mov_b32 s34, 0x3bffffff
	v_cmp_lt_u32_e32 vcc, s34, v3
	s_mov_b64 s[34:35], 0
                                        ; implicit-def: $vgpr3
	s_and_saveexec_b64 s[36:37], vcc
	s_xor_b64 s[36:37], exec, s[36:37]
	s_cbranch_execz .LBB102_773
; %bb.668:
	v_bfe_u32 v3, v2, 20, 1
	s_mov_b32 s41, 0x487ffff
	v_add3_u32 v3, v2, v3, s41
	s_mov_b64 s[34:35], exec
	v_lshrrev_b32_e32 v3, 20, v3
	s_andn2_saveexec_b64 s[36:37], s[36:37]
	s_cbranch_execnz .LBB102_774
.LBB102_669:
	s_or_b64 exec, exec, s[36:37]
	v_mov_b32_e32 v5, 0
	s_and_saveexec_b64 s[36:37], s[34:35]
.LBB102_670:
	v_lshrrev_b32_e32 v2, 24, v2
	s_movk_i32 s34, 0x80
	v_and_or_b32 v5, v2, s34, v3
.LBB102_671:
	s_or_b64 exec, exec, s[36:37]
.LBB102_672:
	s_or_b64 exec, exec, s[30:31]
	global_store_byte v[0:1], v5, off
.LBB102_673:
	s_mov_b64 s[30:31], -1
.LBB102_674:
	s_mov_b64 s[34:35], 0
.LBB102_675:
	s_and_b64 vcc, exec, s[34:35]
	s_cbranch_vccz .LBB102_716
; %bb.676:
	s_cmp_gt_i32 s39, 22
	s_mov_b64 s[34:35], -1
	s_cbranch_scc0 .LBB102_708
; %bb.677:
	s_cmp_lt_i32 s39, 24
	s_mov_b64 s[30:31], -1
	s_cbranch_scc1 .LBB102_697
; %bb.678:
	s_cmp_gt_i32 s39, 24
	s_cbranch_scc0 .LBB102_686
; %bb.679:
	v_cvt_f32_i32_sdwa v2, sext(v4) dst_sel:DWORD dst_unused:UNUSED_PAD src0_sel:WORD_0
	s_mov_b32 s30, 0x47800000
	v_mov_b32_e32 v5, 0x80
	v_and_b32_e32 v3, 0x7fffffff, v2
	v_cmp_gt_u32_e32 vcc, s30, v3
	s_and_saveexec_b64 s[30:31], vcc
	s_cbranch_execz .LBB102_685
; %bb.680:
	s_mov_b32 s34, 0x37ffffff
	v_cmp_lt_u32_e32 vcc, s34, v3
	s_mov_b64 s[34:35], 0
                                        ; implicit-def: $vgpr3
	s_and_saveexec_b64 s[36:37], vcc
	s_xor_b64 s[36:37], exec, s[36:37]
	s_cbranch_execz .LBB102_776
; %bb.681:
	v_bfe_u32 v3, v2, 21, 1
	s_mov_b32 s41, 0x88fffff
	v_add3_u32 v3, v2, v3, s41
	s_mov_b64 s[34:35], exec
	v_lshrrev_b32_e32 v3, 21, v3
	s_andn2_saveexec_b64 s[36:37], s[36:37]
	s_cbranch_execnz .LBB102_777
.LBB102_682:
	s_or_b64 exec, exec, s[36:37]
	v_mov_b32_e32 v5, 0
	s_and_saveexec_b64 s[36:37], s[34:35]
.LBB102_683:
	v_lshrrev_b32_e32 v2, 24, v2
	s_movk_i32 s34, 0x80
	v_and_or_b32 v5, v2, s34, v3
.LBB102_684:
	s_or_b64 exec, exec, s[36:37]
.LBB102_685:
	s_or_b64 exec, exec, s[30:31]
	s_mov_b64 s[30:31], 0
	global_store_byte v[0:1], v5, off
.LBB102_686:
	s_and_b64 vcc, exec, s[30:31]
	s_cbranch_vccz .LBB102_696
; %bb.687:
	v_cvt_f32_i32_sdwa v2, sext(v4) dst_sel:DWORD dst_unused:UNUSED_PAD src0_sel:WORD_0
	s_mov_b32 s30, 0x43f00000
                                        ; implicit-def: $vgpr3
	v_and_b32_e32 v5, 0x7fffffff, v2
	v_cmp_gt_u32_e32 vcc, s30, v5
	s_and_saveexec_b64 s[30:31], vcc
	s_xor_b64 s[30:31], exec, s[30:31]
	s_cbranch_execz .LBB102_693
; %bb.688:
	s_mov_b32 s34, 0x3c7fffff
	v_cmp_lt_u32_e32 vcc, s34, v5
                                        ; implicit-def: $vgpr3
	s_and_saveexec_b64 s[34:35], vcc
	s_xor_b64 s[34:35], exec, s[34:35]
; %bb.689:
	v_bfe_u32 v3, v2, 20, 1
	s_mov_b32 s36, 0x407ffff
	v_add3_u32 v3, v2, v3, s36
	v_lshrrev_b32_e32 v5, 20, v3
	v_and_b32_e32 v3, 0xff00000, v3
	s_mov_b32 s36, 0x7f00000
	v_mov_b32_e32 v6, 0x7e
	v_cmp_ne_u32_e32 vcc, s36, v3
	v_cndmask_b32_e32 v3, v6, v5, vcc
; %bb.690:
	s_andn2_saveexec_b64 s[34:35], s[34:35]
; %bb.691:
	s_mov_b32 s36, 0x46800000
	v_add_f32_e64 v3, |v2|, s36
; %bb.692:
	s_or_b64 exec, exec, s[34:35]
                                        ; implicit-def: $vgpr5
.LBB102_693:
	s_andn2_saveexec_b64 s[30:31], s[30:31]
; %bb.694:
	s_mov_b32 s34, 0x7f800000
	v_mov_b32_e32 v3, 0x7e
	v_mov_b32_e32 v6, 0x7f
	v_cmp_lt_u32_e32 vcc, s34, v5
	v_cndmask_b32_e32 v3, v3, v6, vcc
; %bb.695:
	s_or_b64 exec, exec, s[30:31]
	v_lshrrev_b32_e32 v2, 24, v2
	s_movk_i32 s30, 0x80
	v_and_or_b32 v2, v2, s30, v3
	global_store_byte v[0:1], v2, off
.LBB102_696:
	s_mov_b64 s[30:31], 0
.LBB102_697:
	s_andn2_b64 vcc, exec, s[30:31]
	s_cbranch_vccnz .LBB102_707
; %bb.698:
	v_cvt_f32_i32_sdwa v2, sext(v4) dst_sel:DWORD dst_unused:UNUSED_PAD src0_sel:WORD_0
	s_mov_b32 s30, 0x47800000
                                        ; implicit-def: $vgpr3
	v_and_b32_e32 v5, 0x7fffffff, v2
	v_cmp_gt_u32_e32 vcc, s30, v5
	s_and_saveexec_b64 s[30:31], vcc
	s_xor_b64 s[30:31], exec, s[30:31]
	s_cbranch_execz .LBB102_704
; %bb.699:
	s_mov_b32 s34, 0x387fffff
	v_cmp_lt_u32_e32 vcc, s34, v5
                                        ; implicit-def: $vgpr3
	s_and_saveexec_b64 s[34:35], vcc
	s_xor_b64 s[34:35], exec, s[34:35]
; %bb.700:
	v_bfe_u32 v3, v2, 21, 1
	s_mov_b32 s36, 0x80fffff
	v_add3_u32 v3, v2, v3, s36
	v_lshrrev_b32_e32 v3, 21, v3
; %bb.701:
	s_andn2_saveexec_b64 s[34:35], s[34:35]
; %bb.702:
	s_mov_b32 s36, 0x43000000
	v_add_f32_e64 v3, |v2|, s36
; %bb.703:
	s_or_b64 exec, exec, s[34:35]
                                        ; implicit-def: $vgpr5
.LBB102_704:
	s_andn2_saveexec_b64 s[30:31], s[30:31]
; %bb.705:
	s_mov_b32 s34, 0x7f800000
	v_mov_b32_e32 v3, 0x7c
	v_mov_b32_e32 v6, 0x7f
	v_cmp_lt_u32_e32 vcc, s34, v5
	v_cndmask_b32_e32 v3, v3, v6, vcc
; %bb.706:
	s_or_b64 exec, exec, s[30:31]
	v_lshrrev_b32_e32 v2, 24, v2
	s_movk_i32 s30, 0x80
	v_and_or_b32 v2, v2, s30, v3
	global_store_byte v[0:1], v2, off
.LBB102_707:
	s_mov_b64 s[34:35], 0
	s_mov_b64 s[30:31], -1
.LBB102_708:
	s_andn2_b64 vcc, exec, s[34:35]
	s_cbranch_vccnz .LBB102_716
; %bb.709:
	s_cmp_gt_i32 s39, 14
	s_mov_b64 s[34:35], -1
	s_cbranch_scc0 .LBB102_713
; %bb.710:
	s_cmp_eq_u32 s39, 15
	s_mov_b64 s[0:1], -1
	s_cbranch_scc0 .LBB102_712
; %bb.711:
	v_cvt_f32_i32_sdwa v2, sext(v4) dst_sel:DWORD dst_unused:UNUSED_PAD src0_sel:WORD_0
	s_movk_i32 s0, 0x7fff
	s_mov_b64 s[30:31], -1
	v_bfe_u32 v3, v2, 16, 1
	v_add3_u32 v2, v2, v3, s0
	global_store_short_d16_hi v[0:1], v2, off
	s_mov_b64 s[0:1], 0
.LBB102_712:
	s_mov_b64 s[34:35], 0
.LBB102_713:
	s_and_b64 vcc, exec, s[34:35]
	s_cbranch_vccz .LBB102_716
; %bb.714:
	s_cmp_eq_u32 s39, 11
	s_mov_b64 s[0:1], -1
	s_cbranch_scc0 .LBB102_716
; %bb.715:
	v_cmp_ne_u16_e32 vcc, 0, v4
	v_cndmask_b32_e64 v2, 0, 1, vcc
	s_mov_b64 s[30:31], -1
	s_mov_b64 s[0:1], 0
	global_store_byte v[0:1], v2, off
.LBB102_716:
	s_mov_b64 s[34:35], 0
.LBB102_717:
	s_and_b64 vcc, exec, s[34:35]
	s_cbranch_vccz .LBB102_756
; %bb.718:
	s_and_b32 s34, 0xffff, s38
	s_cmp_lt_i32 s34, 5
	s_mov_b64 s[30:31], -1
	s_cbranch_scc1 .LBB102_739
; %bb.719:
	s_cmp_lt_i32 s34, 8
	s_cbranch_scc1 .LBB102_729
; %bb.720:
	s_cmp_lt_i32 s34, 9
	s_cbranch_scc1 .LBB102_726
; %bb.721:
	s_cmp_gt_i32 s34, 9
	s_cbranch_scc0 .LBB102_723
; %bb.722:
	v_bfe_i32 v2, v4, 0, 16
	v_cvt_f64_i32_e32 v[5:6], v2
	v_mov_b32_e32 v7, 0
	v_mov_b32_e32 v8, v7
	s_mov_b64 s[30:31], 0
	global_store_dwordx4 v[0:1], v[5:8], off
.LBB102_723:
	s_andn2_b64 vcc, exec, s[30:31]
	s_cbranch_vccnz .LBB102_725
; %bb.724:
	v_cvt_f32_i32_sdwa v2, sext(v4) dst_sel:DWORD dst_unused:UNUSED_PAD src0_sel:WORD_0
	v_mov_b32_e32 v3, 0
	global_store_dwordx2 v[0:1], v[2:3], off
.LBB102_725:
	s_mov_b64 s[30:31], 0
.LBB102_726:
	s_andn2_b64 vcc, exec, s[30:31]
	s_cbranch_vccnz .LBB102_728
; %bb.727:
	v_cvt_f16_i16_e32 v2, v4
	global_store_dword v[0:1], v2, off
.LBB102_728:
	s_mov_b64 s[30:31], 0
.LBB102_729:
	s_andn2_b64 vcc, exec, s[30:31]
	s_cbranch_vccnz .LBB102_738
; %bb.730:
	s_cmp_lt_i32 s34, 6
	s_mov_b64 s[30:31], -1
	s_cbranch_scc1 .LBB102_736
; %bb.731:
	s_cmp_gt_i32 s34, 6
	s_cbranch_scc0 .LBB102_733
; %bb.732:
	v_bfe_i32 v2, v4, 0, 16
	v_cvt_f64_i32_e32 v[2:3], v2
	s_mov_b64 s[30:31], 0
	global_store_dwordx2 v[0:1], v[2:3], off
.LBB102_733:
	s_andn2_b64 vcc, exec, s[30:31]
	s_cbranch_vccnz .LBB102_735
; %bb.734:
	v_cvt_f32_i32_sdwa v2, sext(v4) dst_sel:DWORD dst_unused:UNUSED_PAD src0_sel:WORD_0
	global_store_dword v[0:1], v2, off
.LBB102_735:
	s_mov_b64 s[30:31], 0
.LBB102_736:
	s_andn2_b64 vcc, exec, s[30:31]
	s_cbranch_vccnz .LBB102_738
; %bb.737:
	v_cvt_f16_i16_e32 v2, v4
	global_store_short v[0:1], v2, off
.LBB102_738:
	s_mov_b64 s[30:31], 0
.LBB102_739:
	s_andn2_b64 vcc, exec, s[30:31]
	s_cbranch_vccnz .LBB102_755
; %bb.740:
	s_cmp_lt_i32 s34, 2
	s_mov_b64 s[30:31], -1
	s_cbranch_scc1 .LBB102_750
; %bb.741:
	s_cmp_lt_i32 s34, 3
	s_cbranch_scc1 .LBB102_747
; %bb.742:
	s_cmp_gt_i32 s34, 3
	v_bfe_i32 v2, v4, 0, 16
	s_cbranch_scc0 .LBB102_744
; %bb.743:
	v_ashrrev_i32_e32 v3, 31, v2
	s_mov_b64 s[30:31], 0
	global_store_dwordx2 v[0:1], v[2:3], off
.LBB102_744:
	s_andn2_b64 vcc, exec, s[30:31]
	s_cbranch_vccnz .LBB102_746
; %bb.745:
	global_store_dword v[0:1], v2, off
.LBB102_746:
	s_mov_b64 s[30:31], 0
.LBB102_747:
	s_andn2_b64 vcc, exec, s[30:31]
	s_cbranch_vccnz .LBB102_749
; %bb.748:
	global_store_short v[0:1], v4, off
.LBB102_749:
	s_mov_b64 s[30:31], 0
.LBB102_750:
	s_andn2_b64 vcc, exec, s[30:31]
	s_cbranch_vccnz .LBB102_755
; %bb.751:
	s_cmp_gt_i32 s34, 0
	s_mov_b64 s[30:31], -1
	s_cbranch_scc0 .LBB102_753
; %bb.752:
	s_mov_b64 s[30:31], 0
	global_store_byte v[0:1], v4, off
.LBB102_753:
	s_andn2_b64 vcc, exec, s[30:31]
	s_cbranch_vccnz .LBB102_755
; %bb.754:
	global_store_byte v[0:1], v4, off
.LBB102_755:
	s_mov_b64 s[30:31], -1
.LBB102_756:
	s_andn2_b64 vcc, exec, s[30:31]
	s_cbranch_vccnz .LBB102_758
; %bb.757:
	v_add_u32_e32 v9, 0x80, v9
	s_mov_b64 s[34:35], -1
	s_branch .LBB102_759
.LBB102_758:
	s_mov_b64 s[34:35], 0
                                        ; implicit-def: $vgpr9
.LBB102_759:
	s_andn2_b64 s[30:31], s[22:23], exec
	s_and_b64 s[0:1], s[0:1], exec
	s_or_b64 s[30:31], s[30:31], s[0:1]
	s_andn2_b64 s[0:1], s[20:21], exec
	s_and_b64 s[28:29], s[28:29], exec
	s_or_b64 s[0:1], s[0:1], s[28:29]
	s_orn2_b64 s[36:37], s[34:35], exec
.LBB102_760:
	s_or_b64 exec, exec, s[26:27]
	s_mov_b64 s[34:35], 0
	s_mov_b64 s[28:29], 0
	;; [unrolled: 1-line block ×3, first 2 shown]
                                        ; implicit-def: $vgpr0_vgpr1
                                        ; implicit-def: $vgpr2
	s_and_saveexec_b64 s[26:27], s[36:37]
	s_cbranch_execz .LBB102_841
; %bb.761:
	v_cmp_gt_i32_e32 vcc, s40, v9
	s_mov_b64 s[36:37], 0
	s_mov_b64 s[40:41], s[0:1]
	;; [unrolled: 1-line block ×3, first 2 shown]
                                        ; implicit-def: $vgpr0_vgpr1
                                        ; implicit-def: $vgpr2
	s_and_saveexec_b64 s[28:29], vcc
	s_cbranch_execz .LBB102_840
; %bb.762:
	v_mul_lo_u32 v0, v9, s13
	v_mov_b32_e32 v1, s11
	s_and_b32 s42, 0xffff, s14
	s_cmp_lt_i32 s42, 11
	s_waitcnt vmcnt(0)
	v_ashrrev_i32_e32 v2, 31, v0
	v_add_co_u32_e32 v0, vcc, s10, v0
	v_addc_co_u32_e32 v1, vcc, v1, v2, vcc
	s_cbranch_scc1 .LBB102_769
; %bb.763:
	s_cmp_gt_i32 s42, 25
	s_cbranch_scc0 .LBB102_770
; %bb.764:
	s_cmp_gt_i32 s42, 28
	s_cbranch_scc0 .LBB102_771
	;; [unrolled: 3-line block ×4, first 2 shown]
; %bb.767:
	s_cmp_eq_u32 s42, 46
	s_mov_b64 s[40:41], 0
	s_cbranch_scc0 .LBB102_778
; %bb.768:
	global_load_dword v2, v[0:1], off
	s_mov_b64 s[38:39], -1
	s_waitcnt vmcnt(0)
	v_lshlrev_b32_e32 v2, 16, v2
	v_cvt_i32_f32_e32 v2, v2
	s_branch .LBB102_780
.LBB102_769:
	s_mov_b64 s[40:41], -1
                                        ; implicit-def: $vgpr2
	s_mov_b64 s[34:35], s[0:1]
	s_branch .LBB102_839
.LBB102_770:
	s_mov_b64 s[40:41], -1
	s_mov_b64 s[34:35], s[0:1]
                                        ; implicit-def: $vgpr2
	s_branch .LBB102_807
.LBB102_771:
	s_mov_b64 s[40:41], -1
	s_mov_b64 s[34:35], s[0:1]
                                        ; implicit-def: $vgpr2
	s_branch .LBB102_790
.LBB102_772:
	s_mov_b64 s[40:41], -1
	s_mov_b64 s[34:35], s[0:1]
                                        ; implicit-def: $vgpr2
	s_branch .LBB102_785
.LBB102_773:
	s_andn2_saveexec_b64 s[36:37], s[36:37]
	s_cbranch_execz .LBB102_669
.LBB102_774:
	s_mov_b32 s41, 0x46000000
	v_add_f32_e64 v3, |v2|, s41
	v_and_b32_e32 v3, 0xff, v3
	v_cmp_ne_u32_e32 vcc, 0, v3
	s_andn2_b64 s[34:35], s[34:35], exec
	s_and_b64 s[42:43], vcc, exec
	s_or_b64 s[34:35], s[34:35], s[42:43]
	s_or_b64 exec, exec, s[36:37]
	v_mov_b32_e32 v5, 0
	s_and_saveexec_b64 s[36:37], s[34:35]
	s_cbranch_execnz .LBB102_670
	s_branch .LBB102_671
.LBB102_775:
	s_mov_b64 s[40:41], -1
	s_mov_b64 s[34:35], s[0:1]
	s_branch .LBB102_779
.LBB102_776:
	s_andn2_saveexec_b64 s[36:37], s[36:37]
	s_cbranch_execz .LBB102_682
.LBB102_777:
	s_mov_b32 s41, 0x42800000
	v_add_f32_e64 v3, |v2|, s41
	v_and_b32_e32 v3, 0xff, v3
	v_cmp_ne_u32_e32 vcc, 0, v3
	s_andn2_b64 s[34:35], s[34:35], exec
	s_and_b64 s[42:43], vcc, exec
	s_or_b64 s[34:35], s[34:35], s[42:43]
	s_or_b64 exec, exec, s[36:37]
	v_mov_b32_e32 v5, 0
	s_and_saveexec_b64 s[36:37], s[34:35]
	s_cbranch_execnz .LBB102_683
	s_branch .LBB102_684
.LBB102_778:
	s_mov_b64 s[34:35], -1
.LBB102_779:
                                        ; implicit-def: $vgpr2
.LBB102_780:
	s_and_b64 vcc, exec, s[40:41]
	s_cbranch_vccz .LBB102_784
; %bb.781:
	s_cmp_eq_u32 s42, 44
	s_cbranch_scc0 .LBB102_783
; %bb.782:
	global_load_ubyte v2, v[0:1], off
	s_mov_b64 s[34:35], 0
	s_mov_b64 s[38:39], -1
	s_waitcnt vmcnt(0)
	v_lshlrev_b32_e32 v3, 23, v2
	v_cvt_i32_f32_e32 v3, v3
	v_cmp_ne_u32_e32 vcc, 0, v2
	v_cndmask_b32_e32 v2, 0, v3, vcc
	s_branch .LBB102_784
.LBB102_783:
	s_mov_b64 s[34:35], -1
                                        ; implicit-def: $vgpr2
.LBB102_784:
	s_mov_b64 s[40:41], 0
.LBB102_785:
	s_and_b64 vcc, exec, s[40:41]
	s_cbranch_vccz .LBB102_789
; %bb.786:
	s_cmp_eq_u32 s42, 29
	s_cbranch_scc0 .LBB102_788
; %bb.787:
	global_load_dwordx2 v[2:3], v[0:1], off
	s_mov_b64 s[34:35], 0
	s_mov_b64 s[38:39], -1
	s_branch .LBB102_789
.LBB102_788:
	s_mov_b64 s[34:35], -1
                                        ; implicit-def: $vgpr2
.LBB102_789:
	s_mov_b64 s[40:41], 0
.LBB102_790:
	s_and_b64 vcc, exec, s[40:41]
	s_cbranch_vccz .LBB102_806
; %bb.791:
	s_cmp_lt_i32 s42, 27
	s_cbranch_scc1 .LBB102_794
; %bb.792:
	s_cmp_gt_i32 s42, 27
	s_cbranch_scc0 .LBB102_795
; %bb.793:
	global_load_dword v2, v[0:1], off
	s_mov_b64 s[38:39], 0
	s_branch .LBB102_796
.LBB102_794:
	s_mov_b64 s[38:39], -1
                                        ; implicit-def: $vgpr2
	s_branch .LBB102_799
.LBB102_795:
	s_mov_b64 s[38:39], -1
                                        ; implicit-def: $vgpr2
.LBB102_796:
	s_andn2_b64 vcc, exec, s[38:39]
	s_cbranch_vccnz .LBB102_798
; %bb.797:
	global_load_ushort v2, v[0:1], off
.LBB102_798:
	s_mov_b64 s[38:39], 0
.LBB102_799:
	s_andn2_b64 vcc, exec, s[38:39]
	s_cbranch_vccnz .LBB102_805
; %bb.800:
	global_load_ubyte v3, v[0:1], off
	s_movk_i32 s38, 0x7f
	s_mov_b64 s[40:41], 0
	s_waitcnt vmcnt(0)
	v_cmp_lt_i16_e32 vcc, s38, v3
	s_and_saveexec_b64 s[38:39], vcc
	s_xor_b64 s[38:39], exec, s[38:39]
	s_cbranch_execz .LBB102_817
; %bb.801:
	s_movk_i32 s40, 0x80
	v_cmp_ne_u16_e32 vcc, s40, v3
	s_and_b64 s[40:41], vcc, exec
	s_andn2_saveexec_b64 s[38:39], s[38:39]
	s_cbranch_execnz .LBB102_818
.LBB102_802:
	s_or_b64 exec, exec, s[38:39]
	v_mov_b32_e32 v2, 0
	s_and_saveexec_b64 s[38:39], s[40:41]
	s_cbranch_execz .LBB102_804
.LBB102_803:
	v_lshlrev_b32_e32 v2, 24, v3
	v_and_b32_e32 v3, 0xffff, v3
	v_and_b32_e32 v4, 7, v3
	v_ffbh_u32_e32 v6, v4
	v_min_u32_e32 v6, 32, v6
	v_subrev_u32_e32 v7, 28, v6
	v_bfe_u32 v5, v3, 3, 4
	v_lshlrev_b32_e32 v3, v7, v3
	v_sub_u32_e32 v6, 29, v6
	v_and_b32_e32 v3, 7, v3
	v_cmp_eq_u32_e32 vcc, 0, v5
	v_cndmask_b32_e32 v5, v5, v6, vcc
	v_cndmask_b32_e32 v3, v4, v3, vcc
	v_mov_b32_e32 v4, 0x3b800000
	v_lshlrev_b32_e32 v3, 20, v3
	v_and_b32_e32 v2, 0x80000000, v2
	v_lshl_add_u32 v4, v5, 23, v4
	v_or3_b32 v2, v2, v4, v3
	v_cvt_i32_f32_e32 v2, v2
.LBB102_804:
	s_or_b64 exec, exec, s[38:39]
.LBB102_805:
	s_mov_b64 s[38:39], -1
.LBB102_806:
	s_mov_b64 s[40:41], 0
.LBB102_807:
	s_and_b64 vcc, exec, s[40:41]
	s_cbranch_vccz .LBB102_838
; %bb.808:
	s_cmp_gt_i32 s42, 22
	s_cbranch_scc0 .LBB102_816
; %bb.809:
	s_cmp_lt_i32 s42, 24
	s_cbranch_scc1 .LBB102_819
; %bb.810:
	s_cmp_gt_i32 s42, 24
	s_cbranch_scc0 .LBB102_820
; %bb.811:
	global_load_ubyte v3, v[0:1], off
	s_movk_i32 s36, 0x7f
	s_mov_b64 s[38:39], 0
	s_waitcnt vmcnt(0)
	v_cmp_lt_i16_e32 vcc, s36, v3
	s_and_saveexec_b64 s[36:37], vcc
	s_xor_b64 s[36:37], exec, s[36:37]
	s_cbranch_execz .LBB102_832
; %bb.812:
	s_movk_i32 s38, 0x80
	v_cmp_ne_u16_e32 vcc, s38, v3
	s_and_b64 s[38:39], vcc, exec
	s_andn2_saveexec_b64 s[36:37], s[36:37]
	s_cbranch_execnz .LBB102_833
.LBB102_813:
	s_or_b64 exec, exec, s[36:37]
	v_mov_b32_e32 v2, 0
	s_and_saveexec_b64 s[36:37], s[38:39]
	s_cbranch_execz .LBB102_815
.LBB102_814:
	v_lshlrev_b32_e32 v2, 24, v3
	v_and_b32_e32 v3, 0xffff, v3
	v_and_b32_e32 v4, 3, v3
	v_ffbh_u32_e32 v6, v4
	v_min_u32_e32 v6, 32, v6
	v_subrev_u32_e32 v7, 29, v6
	v_bfe_u32 v5, v3, 2, 5
	v_lshlrev_b32_e32 v3, v7, v3
	v_sub_u32_e32 v6, 30, v6
	v_and_b32_e32 v3, 3, v3
	v_cmp_eq_u32_e32 vcc, 0, v5
	v_cndmask_b32_e32 v5, v5, v6, vcc
	v_cndmask_b32_e32 v3, v4, v3, vcc
	v_mov_b32_e32 v4, 0x37800000
	v_lshlrev_b32_e32 v3, 21, v3
	v_and_b32_e32 v2, 0x80000000, v2
	v_lshl_add_u32 v4, v5, 23, v4
	v_or3_b32 v2, v2, v4, v3
	v_cvt_i32_f32_e32 v2, v2
.LBB102_815:
	s_or_b64 exec, exec, s[36:37]
	s_mov_b64 s[36:37], 0
	s_branch .LBB102_821
.LBB102_816:
	s_mov_b64 s[36:37], -1
                                        ; implicit-def: $vgpr2
	s_branch .LBB102_827
.LBB102_817:
	s_andn2_saveexec_b64 s[38:39], s[38:39]
	s_cbranch_execz .LBB102_802
.LBB102_818:
	v_cmp_ne_u16_e32 vcc, 0, v3
	s_andn2_b64 s[40:41], s[40:41], exec
	s_and_b64 s[44:45], vcc, exec
	s_or_b64 s[40:41], s[40:41], s[44:45]
	s_or_b64 exec, exec, s[38:39]
	v_mov_b32_e32 v2, 0
	s_and_saveexec_b64 s[38:39], s[40:41]
	s_cbranch_execnz .LBB102_803
	s_branch .LBB102_804
.LBB102_819:
	s_mov_b64 s[36:37], -1
                                        ; implicit-def: $vgpr2
	s_branch .LBB102_824
.LBB102_820:
	s_mov_b64 s[36:37], -1
                                        ; implicit-def: $vgpr2
.LBB102_821:
	s_and_b64 vcc, exec, s[36:37]
	s_cbranch_vccz .LBB102_823
; %bb.822:
	global_load_ubyte v2, v[0:1], off
	s_mov_b32 s36, 0x7f800000
	s_waitcnt vmcnt(0)
	v_lshlrev_b32_e32 v2, 24, v2
	v_and_b32_e32 v3, 0x7f000000, v2
	v_ffbh_u32_e32 v4, v3
	v_min_u32_e32 v4, 32, v4
	v_sub_u32_e64 v4, v4, 4 clamp
	v_lshlrev_b32_e32 v6, v4, v3
	v_lshlrev_b32_e32 v4, 23, v4
	v_lshrrev_b32_e32 v6, 4, v6
	v_add_u32_e32 v5, 0x1000000, v3
	v_sub_u32_e32 v4, v6, v4
	v_ashrrev_i32_e32 v5, 8, v5
	v_add_u32_e32 v4, 0x3c000000, v4
	v_and_or_b32 v4, v5, s36, v4
	v_cmp_ne_u32_e32 vcc, 0, v3
	v_cndmask_b32_e32 v3, 0, v4, vcc
	s_brev_b32 s36, 1
	v_and_or_b32 v2, v2, s36, v3
	v_cvt_i32_f32_e32 v2, v2
.LBB102_823:
	s_mov_b64 s[36:37], 0
.LBB102_824:
	s_andn2_b64 vcc, exec, s[36:37]
	s_cbranch_vccnz .LBB102_826
; %bb.825:
	global_load_ubyte v2, v[0:1], off
	s_movk_i32 s36, 0x7f00
	s_brev_b32 s37, 16
	s_waitcnt vmcnt(0)
	v_lshlrev_b16_e32 v3, 8, v2
	v_lshlrev_b32_e32 v2, 25, v2
	v_lshrrev_b32_e32 v4, 4, v2
	v_and_or_b32 v5, v3, s36, 0.5
	v_or_b32_e32 v4, 0x70000000, v4
	v_add_f32_e32 v5, -0.5, v5
	v_mul_f32_e32 v4, 0x7800000, v4
	v_cmp_gt_u32_e32 vcc, s37, v2
	v_bfe_i32 v3, v3, 0, 16
	v_cndmask_b32_e32 v2, v4, v5, vcc
	s_brev_b32 s36, 1
	v_and_or_b32 v2, v3, s36, v2
	v_cvt_i32_f32_e32 v2, v2
.LBB102_826:
	s_mov_b64 s[36:37], 0
	s_mov_b64 s[38:39], -1
.LBB102_827:
	s_andn2_b64 vcc, exec, s[36:37]
	s_mov_b64 s[36:37], 0
	s_cbranch_vccnz .LBB102_838
; %bb.828:
	s_cmp_gt_i32 s42, 14
	s_cbranch_scc0 .LBB102_831
; %bb.829:
	s_cmp_eq_u32 s42, 15
	s_cbranch_scc0 .LBB102_834
; %bb.830:
	global_load_ushort v2, v[0:1], off
	s_mov_b64 s[34:35], 0
	s_mov_b64 s[38:39], -1
	s_waitcnt vmcnt(0)
	v_lshlrev_b32_e32 v2, 16, v2
	v_cvt_i32_f32_e32 v2, v2
	s_branch .LBB102_835
.LBB102_831:
	s_mov_b64 s[40:41], -1
                                        ; implicit-def: $vgpr2
	s_branch .LBB102_836
.LBB102_832:
	s_andn2_saveexec_b64 s[36:37], s[36:37]
	s_cbranch_execz .LBB102_813
.LBB102_833:
	v_cmp_ne_u16_e32 vcc, 0, v3
	s_andn2_b64 s[38:39], s[38:39], exec
	s_and_b64 s[40:41], vcc, exec
	s_or_b64 s[38:39], s[38:39], s[40:41]
	s_or_b64 exec, exec, s[36:37]
	v_mov_b32_e32 v2, 0
	s_and_saveexec_b64 s[36:37], s[38:39]
	s_cbranch_execnz .LBB102_814
	s_branch .LBB102_815
.LBB102_834:
	s_mov_b64 s[34:35], -1
                                        ; implicit-def: $vgpr2
.LBB102_835:
	s_mov_b64 s[40:41], 0
.LBB102_836:
	s_and_b64 vcc, exec, s[40:41]
	s_cbranch_vccz .LBB102_838
; %bb.837:
	s_cmp_lg_u32 s42, 11
	s_cselect_b64 s[40:41], -1, 0
	s_andn2_b64 s[34:35], s[34:35], exec
	s_and_b64 s[40:41], s[40:41], exec
	s_mov_b64 s[36:37], -1
	s_or_b64 s[34:35], s[34:35], s[40:41]
.LBB102_838:
	s_mov_b64 s[40:41], 0
.LBB102_839:
	s_and_b64 s[42:43], s[40:41], exec
	s_andn2_b64 s[40:41], s[0:1], exec
	s_and_b64 s[34:35], s[34:35], exec
	s_and_b64 s[38:39], s[38:39], exec
	;; [unrolled: 1-line block ×3, first 2 shown]
	s_or_b64 s[40:41], s[40:41], s[34:35]
.LBB102_840:
	s_or_b64 exec, exec, s[28:29]
	s_and_b64 s[34:35], s[36:37], exec
	s_andn2_b64 s[0:1], s[0:1], exec
	s_and_b64 s[36:37], s[40:41], exec
	s_and_b64 s[38:39], s[38:39], exec
	;; [unrolled: 1-line block ×3, first 2 shown]
	s_or_b64 s[0:1], s[0:1], s[36:37]
.LBB102_841:
	s_or_b64 exec, exec, s[26:27]
	s_andn2_b64 s[22:23], s[22:23], exec
	s_and_b64 s[26:27], s[30:31], exec
	s_andn2_b64 s[20:21], s[20:21], exec
	s_and_b64 s[0:1], s[0:1], exec
	s_or_b64 s[22:23], s[22:23], s[26:27]
	s_and_b64 s[30:31], s[38:39], exec
	s_and_b64 s[28:29], s[28:29], exec
	;; [unrolled: 1-line block ×3, first 2 shown]
	s_or_b64 s[20:21], s[20:21], s[0:1]
.LBB102_842:
	s_or_b64 exec, exec, s[24:25]
	s_andn2_b64 s[0:1], s[6:7], exec
	s_and_b64 s[6:7], s[22:23], exec
	s_andn2_b64 s[16:17], s[16:17], exec
	s_and_b64 s[20:21], s[20:21], exec
	s_or_b64 s[6:7], s[0:1], s[6:7]
	s_and_b64 s[0:1], s[30:31], exec
	s_and_b64 s[24:25], s[28:29], exec
	;; [unrolled: 1-line block ×3, first 2 shown]
	s_or_b64 s[16:17], s[16:17], s[20:21]
	s_or_b64 exec, exec, s[18:19]
	s_mov_b64 s[18:19], 0
	s_and_saveexec_b64 s[20:21], s[16:17]
	s_cbranch_execz .LBB102_258
.LBB102_843:
	s_mov_b64 s[18:19], exec
	s_andn2_b64 s[22:23], s[22:23], exec
	s_trap 2
	s_or_b64 exec, exec, s[20:21]
	s_and_saveexec_b64 s[16:17], s[22:23]
	s_xor_b64 s[16:17], exec, s[16:17]
	s_cbranch_execnz .LBB102_259
.LBB102_844:
	s_or_b64 exec, exec, s[16:17]
	s_and_saveexec_b64 s[16:17], s[24:25]
	s_cbranch_execz .LBB102_890
.LBB102_845:
	s_sext_i32_i16 s20, s14
	s_cmp_lt_i32 s20, 5
	s_cbranch_scc1 .LBB102_850
; %bb.846:
	s_cmp_lt_i32 s20, 8
	s_cbranch_scc1 .LBB102_851
; %bb.847:
	;; [unrolled: 3-line block ×3, first 2 shown]
	s_cmp_gt_i32 s20, 9
	s_cbranch_scc0 .LBB102_853
; %bb.849:
	global_load_dwordx2 v[2:3], v[0:1], off
	s_mov_b64 s[20:21], 0
	s_waitcnt vmcnt(0)
	v_cvt_i32_f64_e32 v2, v[2:3]
	s_branch .LBB102_854
.LBB102_850:
                                        ; implicit-def: $vgpr2
	s_branch .LBB102_871
.LBB102_851:
                                        ; implicit-def: $vgpr2
	s_branch .LBB102_860
.LBB102_852:
	s_mov_b64 s[20:21], -1
                                        ; implicit-def: $vgpr2
	s_branch .LBB102_857
.LBB102_853:
	s_mov_b64 s[20:21], -1
                                        ; implicit-def: $vgpr2
.LBB102_854:
	s_andn2_b64 vcc, exec, s[20:21]
	s_cbranch_vccnz .LBB102_856
; %bb.855:
	global_load_dword v2, v[0:1], off
	s_waitcnt vmcnt(0)
	v_cvt_i32_f32_e32 v2, v2
.LBB102_856:
	s_mov_b64 s[20:21], 0
.LBB102_857:
	s_andn2_b64 vcc, exec, s[20:21]
	s_cbranch_vccnz .LBB102_859
; %bb.858:
	global_load_dword v2, v[0:1], off
	s_waitcnt vmcnt(0)
	v_cvt_i16_f16_e32 v2, v2
.LBB102_859:
	s_cbranch_execnz .LBB102_870
.LBB102_860:
	s_sext_i32_i16 s20, s14
	s_cmp_lt_i32 s20, 6
	s_cbranch_scc1 .LBB102_863
; %bb.861:
	s_cmp_gt_i32 s20, 6
	s_cbranch_scc0 .LBB102_864
; %bb.862:
	global_load_dwordx2 v[2:3], v[0:1], off
	s_mov_b64 s[20:21], 0
	s_waitcnt vmcnt(0)
	v_cvt_i32_f64_e32 v2, v[2:3]
	s_branch .LBB102_865
.LBB102_863:
	s_mov_b64 s[20:21], -1
                                        ; implicit-def: $vgpr2
	s_branch .LBB102_868
.LBB102_864:
	s_mov_b64 s[20:21], -1
                                        ; implicit-def: $vgpr2
.LBB102_865:
	s_andn2_b64 vcc, exec, s[20:21]
	s_cbranch_vccnz .LBB102_867
; %bb.866:
	global_load_dword v2, v[0:1], off
	s_waitcnt vmcnt(0)
	v_cvt_i32_f32_e32 v2, v2
.LBB102_867:
	s_mov_b64 s[20:21], 0
.LBB102_868:
	s_andn2_b64 vcc, exec, s[20:21]
	s_cbranch_vccnz .LBB102_870
; %bb.869:
	global_load_ushort v2, v[0:1], off
	s_waitcnt vmcnt(0)
	v_cvt_i16_f16_e32 v2, v2
.LBB102_870:
	s_cbranch_execnz .LBB102_889
.LBB102_871:
	s_sext_i32_i16 s20, s14
	s_cmp_lt_i32 s20, 2
	s_cbranch_scc1 .LBB102_875
; %bb.872:
	s_cmp_lt_i32 s20, 3
	s_cbranch_scc1 .LBB102_876
; %bb.873:
	s_cmp_gt_i32 s20, 3
	s_cbranch_scc0 .LBB102_877
; %bb.874:
	global_load_dwordx2 v[2:3], v[0:1], off
	s_mov_b64 s[20:21], 0
	s_branch .LBB102_878
.LBB102_875:
                                        ; implicit-def: $vgpr2
	s_branch .LBB102_884
.LBB102_876:
	s_mov_b64 s[20:21], -1
                                        ; implicit-def: $vgpr2
	s_branch .LBB102_881
.LBB102_877:
	s_mov_b64 s[20:21], -1
                                        ; implicit-def: $vgpr2
.LBB102_878:
	s_andn2_b64 vcc, exec, s[20:21]
	s_cbranch_vccnz .LBB102_880
; %bb.879:
	global_load_dword v2, v[0:1], off
.LBB102_880:
	s_mov_b64 s[20:21], 0
.LBB102_881:
	s_andn2_b64 vcc, exec, s[20:21]
	s_cbranch_vccnz .LBB102_883
; %bb.882:
	global_load_ushort v2, v[0:1], off
.LBB102_883:
	s_cbranch_execnz .LBB102_889
.LBB102_884:
	s_sext_i32_i16 s20, s14
	s_cmp_gt_i32 s20, 0
	s_cbranch_scc0 .LBB102_886
; %bb.885:
	global_load_sbyte v2, v[0:1], off
	s_mov_b64 s[20:21], 0
	s_branch .LBB102_887
.LBB102_886:
	s_mov_b64 s[20:21], -1
                                        ; implicit-def: $vgpr2
.LBB102_887:
	s_andn2_b64 vcc, exec, s[20:21]
	s_cbranch_vccnz .LBB102_889
; %bb.888:
	global_load_ubyte v2, v[0:1], off
.LBB102_889:
	s_or_b64 s[0:1], s[0:1], exec
.LBB102_890:
	s_or_b64 exec, exec, s[16:17]
	s_mov_b64 s[22:23], 0
	s_mov_b64 s[20:21], 0
                                        ; implicit-def: $sgpr28
                                        ; implicit-def: $vgpr0_vgpr1
                                        ; implicit-def: $vgpr4
	s_and_saveexec_b64 s[16:17], s[0:1]
	s_cbranch_execz .LBB102_898
; %bb.891:
	v_mul_lo_u32 v0, v9, s12
	s_waitcnt vmcnt(0)
	v_lshlrev_b32_sdwa v1, v2, s33 dst_sel:DWORD dst_unused:UNUSED_PAD src0_sel:WORD_0 src1_sel:DWORD
	v_cmp_gt_u16_e32 vcc, 16, v2
	v_cndmask_b32_e32 v4, 0, v1, vcc
	v_ashrrev_i32_e32 v1, 31, v0
	v_mov_b32_e32 v2, s9
	s_and_b32 s28, s15, 0xff
	v_add_co_u32_e32 v0, vcc, s8, v0
	s_cmp_lt_i32 s28, 11
	v_addc_co_u32_e32 v1, vcc, v2, v1, vcc
	s_cbranch_scc1 .LBB102_901
; %bb.892:
	s_and_b32 s29, 0xffff, s28
	s_mov_b64 s[22:23], -1
	s_cmp_gt_i32 s29, 25
	s_mov_b64 s[0:1], s[6:7]
	s_cbranch_scc0 .LBB102_929
; %bb.893:
	s_mov_b64 s[20:21], -1
	s_cmp_gt_i32 s29, 28
	s_mov_b64 s[0:1], s[6:7]
	s_cbranch_scc0 .LBB102_913
; %bb.894:
	s_cmp_gt_i32 s29, 43
	s_mov_b64 s[0:1], s[6:7]
	s_cbranch_scc0 .LBB102_909
; %bb.895:
	;; [unrolled: 4-line block ×3, first 2 shown]
	s_cmp_eq_u32 s29, 46
	s_mov_b64 s[0:1], -1
	s_cbranch_scc0 .LBB102_902
; %bb.897:
	v_cvt_f32_i32_sdwa v2, sext(v4) dst_sel:DWORD dst_unused:UNUSED_PAD src0_sel:WORD_0
	s_movk_i32 s0, 0x7fff
	s_mov_b64 s[20:21], 0
	v_bfe_u32 v3, v2, 16, 1
	v_add3_u32 v2, v2, v3, s0
	v_lshrrev_b32_e32 v2, 16, v2
	global_store_dword v[0:1], v2, off
	s_mov_b64 s[0:1], 0
	s_branch .LBB102_903
.LBB102_898:
	s_or_b64 exec, exec, s[16:17]
	s_and_saveexec_b64 s[0:1], s[6:7]
	s_cbranch_execnz .LBB102_971
.LBB102_899:
	s_or_b64 exec, exec, s[0:1]
	s_and_saveexec_b64 s[0:1], s[22:23]
	s_xor_b64 s[0:1], exec, s[0:1]
	s_cbranch_execz .LBB102_972
.LBB102_900:
	v_cmp_ne_u16_e32 vcc, 0, v4
	s_waitcnt vmcnt(0)
	v_cndmask_b32_e64 v2, 0, 1, vcc
	global_store_byte v[0:1], v2, off
	s_or_b64 exec, exec, s[0:1]
	s_and_saveexec_b64 s[0:1], s[20:21]
	s_xor_b64 s[0:1], exec, s[0:1]
	s_cbranch_execz .LBB102_1010
	s_branch .LBB102_973
.LBB102_901:
	s_mov_b64 s[20:21], -1
	s_mov_b64 s[0:1], s[6:7]
	s_branch .LBB102_970
.LBB102_902:
	s_mov_b64 s[20:21], 0
.LBB102_903:
	s_and_b64 vcc, exec, s[20:21]
	s_cbranch_vccz .LBB102_908
; %bb.904:
	s_cmp_eq_u32 s29, 44
	s_mov_b64 s[0:1], -1
	s_cbranch_scc0 .LBB102_908
; %bb.905:
	v_cvt_f32_i32_sdwa v2, sext(v4) dst_sel:DWORD dst_unused:UNUSED_PAD src0_sel:WORD_0
	s_movk_i32 s0, 0xff
	v_mov_b32_e32 v5, 0xff
	v_bfe_u32 v3, v2, 23, 8
	v_cmp_ne_u32_e32 vcc, s0, v3
	s_and_saveexec_b64 s[20:21], vcc
; %bb.906:
	s_mov_b32 s0, 0x3fffff
	v_lshrrev_b32_e32 v5, 23, v2
	v_and_b32_e32 v6, 0x400000, v2
	v_and_or_b32 v2, v2, s0, v3
	v_cmp_ne_u32_e32 vcc, 0, v6
	v_cmp_ne_u32_e64 s[0:1], 0, v2
	s_and_b64 s[0:1], vcc, s[0:1]
	v_cndmask_b32_e64 v2, 0, 1, s[0:1]
	v_add_u32_e32 v5, v5, v2
; %bb.907:
	s_or_b64 exec, exec, s[20:21]
	s_mov_b64 s[0:1], 0
	global_store_byte v[0:1], v5, off
.LBB102_908:
	s_mov_b64 s[20:21], 0
.LBB102_909:
	s_and_b64 vcc, exec, s[20:21]
	s_cbranch_vccz .LBB102_912
; %bb.910:
	s_cmp_eq_u32 s29, 29
	s_mov_b64 s[0:1], -1
	s_cbranch_scc0 .LBB102_912
; %bb.911:
	v_bfe_i32 v2, v4, 0, 16
	v_ashrrev_i32_e32 v3, 31, v2
	global_store_dwordx2 v[0:1], v[2:3], off
	s_mov_b64 s[0:1], 0
.LBB102_912:
	s_mov_b64 s[20:21], 0
.LBB102_913:
	s_and_b64 vcc, exec, s[20:21]
	s_cbranch_vccz .LBB102_928
; %bb.914:
	s_cmp_lt_i32 s29, 27
	s_mov_b64 s[20:21], -1
	s_cbranch_scc1 .LBB102_920
; %bb.915:
	s_cmp_gt_i32 s29, 27
	s_cbranch_scc0 .LBB102_917
; %bb.916:
	v_bfe_i32 v2, v4, 0, 16
	s_mov_b64 s[20:21], 0
	global_store_dword v[0:1], v2, off
.LBB102_917:
	s_andn2_b64 vcc, exec, s[20:21]
	s_cbranch_vccnz .LBB102_919
; %bb.918:
	global_store_short v[0:1], v4, off
.LBB102_919:
	s_mov_b64 s[20:21], 0
.LBB102_920:
	s_andn2_b64 vcc, exec, s[20:21]
	s_cbranch_vccnz .LBB102_928
; %bb.921:
	v_cvt_f32_i32_sdwa v2, sext(v4) dst_sel:DWORD dst_unused:UNUSED_PAD src0_sel:WORD_0
	s_mov_b32 s20, 0x43800000
	v_mov_b32_e32 v5, 0x80
	v_and_b32_e32 v3, 0x7fffffff, v2
	v_cmp_gt_u32_e32 vcc, s20, v3
	s_and_saveexec_b64 s[20:21], vcc
	s_cbranch_execz .LBB102_927
; %bb.922:
	s_mov_b32 s22, 0x3bffffff
	v_cmp_lt_u32_e32 vcc, s22, v3
	s_mov_b64 s[22:23], 0
                                        ; implicit-def: $vgpr3
	s_and_saveexec_b64 s[24:25], vcc
	s_xor_b64 s[24:25], exec, s[24:25]
	s_cbranch_execz .LBB102_1025
; %bb.923:
	v_bfe_u32 v3, v2, 20, 1
	s_mov_b32 s26, 0x487ffff
	v_add3_u32 v3, v2, v3, s26
	s_mov_b64 s[22:23], exec
	v_lshrrev_b32_e32 v3, 20, v3
	s_andn2_saveexec_b64 s[24:25], s[24:25]
	s_cbranch_execnz .LBB102_1026
.LBB102_924:
	s_or_b64 exec, exec, s[24:25]
	v_mov_b32_e32 v5, 0
	s_and_saveexec_b64 s[24:25], s[22:23]
.LBB102_925:
	v_lshrrev_b32_e32 v2, 24, v2
	s_movk_i32 s22, 0x80
	v_and_or_b32 v5, v2, s22, v3
.LBB102_926:
	s_or_b64 exec, exec, s[24:25]
.LBB102_927:
	s_or_b64 exec, exec, s[20:21]
	global_store_byte v[0:1], v5, off
.LBB102_928:
	s_mov_b64 s[22:23], 0
.LBB102_929:
	s_mov_b64 s[20:21], 0
	s_and_b64 vcc, exec, s[22:23]
	s_cbranch_vccz .LBB102_969
; %bb.930:
	s_cmp_gt_i32 s29, 22
	s_mov_b64 s[22:23], -1
	s_cbranch_scc0 .LBB102_962
; %bb.931:
	s_cmp_lt_i32 s29, 24
	s_cbranch_scc1 .LBB102_951
; %bb.932:
	s_cmp_gt_i32 s29, 24
	s_cbranch_scc0 .LBB102_940
; %bb.933:
	v_cvt_f32_i32_sdwa v2, sext(v4) dst_sel:DWORD dst_unused:UNUSED_PAD src0_sel:WORD_0
	s_mov_b32 s22, 0x47800000
	v_mov_b32_e32 v5, 0x80
	v_and_b32_e32 v3, 0x7fffffff, v2
	v_cmp_gt_u32_e32 vcc, s22, v3
	s_and_saveexec_b64 s[22:23], vcc
	s_cbranch_execz .LBB102_939
; %bb.934:
	s_mov_b32 s24, 0x37ffffff
	v_cmp_lt_u32_e32 vcc, s24, v3
	s_mov_b64 s[24:25], 0
                                        ; implicit-def: $vgpr3
	s_and_saveexec_b64 s[26:27], vcc
	s_xor_b64 s[26:27], exec, s[26:27]
	s_cbranch_execz .LBB102_1145
; %bb.935:
	v_bfe_u32 v3, v2, 21, 1
	s_mov_b32 s30, 0x88fffff
	v_add3_u32 v3, v2, v3, s30
	s_mov_b64 s[24:25], exec
	v_lshrrev_b32_e32 v3, 21, v3
	s_andn2_saveexec_b64 s[26:27], s[26:27]
	s_cbranch_execnz .LBB102_1146
.LBB102_936:
	s_or_b64 exec, exec, s[26:27]
	v_mov_b32_e32 v5, 0
	s_and_saveexec_b64 s[26:27], s[24:25]
.LBB102_937:
	v_lshrrev_b32_e32 v2, 24, v2
	s_movk_i32 s24, 0x80
	v_and_or_b32 v5, v2, s24, v3
.LBB102_938:
	s_or_b64 exec, exec, s[26:27]
.LBB102_939:
	s_or_b64 exec, exec, s[22:23]
	s_mov_b64 s[22:23], 0
	global_store_byte v[0:1], v5, off
.LBB102_940:
	s_and_b64 vcc, exec, s[22:23]
	s_cbranch_vccz .LBB102_950
; %bb.941:
	v_cvt_f32_i32_sdwa v2, sext(v4) dst_sel:DWORD dst_unused:UNUSED_PAD src0_sel:WORD_0
	s_mov_b32 s22, 0x43f00000
                                        ; implicit-def: $vgpr3
	v_and_b32_e32 v5, 0x7fffffff, v2
	v_cmp_gt_u32_e32 vcc, s22, v5
	s_and_saveexec_b64 s[22:23], vcc
	s_xor_b64 s[22:23], exec, s[22:23]
	s_cbranch_execz .LBB102_947
; %bb.942:
	s_mov_b32 s24, 0x3c7fffff
	v_cmp_lt_u32_e32 vcc, s24, v5
                                        ; implicit-def: $vgpr3
	s_and_saveexec_b64 s[24:25], vcc
	s_xor_b64 s[24:25], exec, s[24:25]
; %bb.943:
	v_bfe_u32 v3, v2, 20, 1
	s_mov_b32 s26, 0x407ffff
	v_add3_u32 v3, v2, v3, s26
	v_lshrrev_b32_e32 v5, 20, v3
	v_and_b32_e32 v3, 0xff00000, v3
	s_mov_b32 s26, 0x7f00000
	v_mov_b32_e32 v6, 0x7e
	v_cmp_ne_u32_e32 vcc, s26, v3
	v_cndmask_b32_e32 v3, v6, v5, vcc
; %bb.944:
	s_andn2_saveexec_b64 s[24:25], s[24:25]
; %bb.945:
	s_mov_b32 s26, 0x46800000
	v_add_f32_e64 v3, |v2|, s26
; %bb.946:
	s_or_b64 exec, exec, s[24:25]
                                        ; implicit-def: $vgpr5
.LBB102_947:
	s_andn2_saveexec_b64 s[22:23], s[22:23]
; %bb.948:
	s_mov_b32 s24, 0x7f800000
	v_mov_b32_e32 v3, 0x7e
	v_mov_b32_e32 v6, 0x7f
	v_cmp_lt_u32_e32 vcc, s24, v5
	v_cndmask_b32_e32 v3, v3, v6, vcc
; %bb.949:
	s_or_b64 exec, exec, s[22:23]
	v_lshrrev_b32_e32 v2, 24, v2
	s_movk_i32 s22, 0x80
	v_and_or_b32 v2, v2, s22, v3
	global_store_byte v[0:1], v2, off
.LBB102_950:
	s_mov_b64 s[22:23], 0
.LBB102_951:
	s_andn2_b64 vcc, exec, s[22:23]
	s_cbranch_vccnz .LBB102_961
; %bb.952:
	v_cvt_f32_i32_sdwa v2, sext(v4) dst_sel:DWORD dst_unused:UNUSED_PAD src0_sel:WORD_0
	s_mov_b32 s22, 0x47800000
                                        ; implicit-def: $vgpr3
	v_and_b32_e32 v5, 0x7fffffff, v2
	v_cmp_gt_u32_e32 vcc, s22, v5
	s_and_saveexec_b64 s[22:23], vcc
	s_xor_b64 s[22:23], exec, s[22:23]
	s_cbranch_execz .LBB102_958
; %bb.953:
	s_mov_b32 s24, 0x387fffff
	v_cmp_lt_u32_e32 vcc, s24, v5
                                        ; implicit-def: $vgpr3
	s_and_saveexec_b64 s[24:25], vcc
	s_xor_b64 s[24:25], exec, s[24:25]
; %bb.954:
	v_bfe_u32 v3, v2, 21, 1
	s_mov_b32 s26, 0x80fffff
	v_add3_u32 v3, v2, v3, s26
	v_lshrrev_b32_e32 v3, 21, v3
; %bb.955:
	s_andn2_saveexec_b64 s[24:25], s[24:25]
; %bb.956:
	s_mov_b32 s26, 0x43000000
	v_add_f32_e64 v3, |v2|, s26
; %bb.957:
	s_or_b64 exec, exec, s[24:25]
                                        ; implicit-def: $vgpr5
.LBB102_958:
	s_andn2_saveexec_b64 s[22:23], s[22:23]
; %bb.959:
	s_mov_b32 s24, 0x7f800000
	v_mov_b32_e32 v3, 0x7c
	v_mov_b32_e32 v6, 0x7f
	v_cmp_lt_u32_e32 vcc, s24, v5
	v_cndmask_b32_e32 v3, v3, v6, vcc
; %bb.960:
	s_or_b64 exec, exec, s[22:23]
	v_lshrrev_b32_e32 v2, 24, v2
	s_movk_i32 s22, 0x80
	v_and_or_b32 v2, v2, s22, v3
	global_store_byte v[0:1], v2, off
.LBB102_961:
	s_mov_b64 s[22:23], 0
.LBB102_962:
	s_andn2_b64 vcc, exec, s[22:23]
	s_mov_b64 s[22:23], 0
	s_cbranch_vccnz .LBB102_970
; %bb.963:
	s_cmp_gt_i32 s29, 14
	s_mov_b64 s[24:25], -1
	s_cbranch_scc0 .LBB102_967
; %bb.964:
	s_cmp_eq_u32 s29, 15
	s_mov_b64 s[0:1], -1
	s_cbranch_scc0 .LBB102_966
; %bb.965:
	v_cvt_f32_i32_sdwa v2, sext(v4) dst_sel:DWORD dst_unused:UNUSED_PAD src0_sel:WORD_0
	s_movk_i32 s0, 0x7fff
	v_bfe_u32 v3, v2, 16, 1
	v_add3_u32 v2, v2, v3, s0
	global_store_short_d16_hi v[0:1], v2, off
	s_mov_b64 s[0:1], 0
.LBB102_966:
	s_mov_b64 s[24:25], 0
.LBB102_967:
	s_and_b64 vcc, exec, s[24:25]
	s_cbranch_vccz .LBB102_970
; %bb.968:
	s_cmp_lg_u32 s29, 11
	s_cselect_b64 s[24:25], -1, 0
	s_andn2_b64 s[0:1], s[0:1], exec
	s_and_b64 s[24:25], s[24:25], exec
	s_mov_b64 s[22:23], -1
	s_or_b64 s[0:1], s[0:1], s[24:25]
	s_branch .LBB102_970
.LBB102_969:
	s_mov_b64 s[22:23], 0
.LBB102_970:
	s_andn2_b64 s[6:7], s[6:7], exec
	s_and_b64 s[0:1], s[0:1], exec
	s_and_b64 s[20:21], s[20:21], exec
	;; [unrolled: 1-line block ×3, first 2 shown]
	s_or_b64 s[6:7], s[6:7], s[0:1]
	s_or_b64 exec, exec, s[16:17]
	s_and_saveexec_b64 s[0:1], s[6:7]
	s_cbranch_execz .LBB102_899
.LBB102_971:
	s_or_b64 s[18:19], s[18:19], exec
	s_andn2_b64 s[22:23], s[22:23], exec
	s_trap 2
	s_or_b64 exec, exec, s[0:1]
	s_and_saveexec_b64 s[0:1], s[22:23]
	s_xor_b64 s[0:1], exec, s[0:1]
	s_cbranch_execnz .LBB102_900
.LBB102_972:
	s_or_b64 exec, exec, s[0:1]
	s_and_saveexec_b64 s[0:1], s[20:21]
	s_xor_b64 s[0:1], exec, s[0:1]
	s_cbranch_execz .LBB102_1010
.LBB102_973:
	s_sext_i32_i16 s16, s28
	s_cmp_lt_i32 s16, 5
	s_mov_b64 s[6:7], -1
	s_cbranch_scc1 .LBB102_994
; %bb.974:
	s_cmp_lt_i32 s16, 8
	s_cbranch_scc1 .LBB102_984
; %bb.975:
	s_cmp_lt_i32 s16, 9
	s_cbranch_scc1 .LBB102_981
; %bb.976:
	s_cmp_gt_i32 s16, 9
	s_cbranch_scc0 .LBB102_978
; %bb.977:
	s_waitcnt vmcnt(0)
	v_bfe_i32 v2, v4, 0, 16
	v_cvt_f64_i32_e32 v[5:6], v2
	v_mov_b32_e32 v7, 0
	v_mov_b32_e32 v8, v7
	s_mov_b64 s[6:7], 0
	global_store_dwordx4 v[0:1], v[5:8], off
.LBB102_978:
	s_andn2_b64 vcc, exec, s[6:7]
	s_cbranch_vccnz .LBB102_980
; %bb.979:
	s_waitcnt vmcnt(0)
	v_cvt_f32_i32_sdwa v2, sext(v4) dst_sel:DWORD dst_unused:UNUSED_PAD src0_sel:WORD_0
	v_mov_b32_e32 v3, 0
	global_store_dwordx2 v[0:1], v[2:3], off
.LBB102_980:
	s_mov_b64 s[6:7], 0
.LBB102_981:
	s_andn2_b64 vcc, exec, s[6:7]
	s_cbranch_vccnz .LBB102_983
; %bb.982:
	s_waitcnt vmcnt(0)
	v_cvt_f16_i16_e32 v2, v4
	global_store_dword v[0:1], v2, off
.LBB102_983:
	s_mov_b64 s[6:7], 0
.LBB102_984:
	s_andn2_b64 vcc, exec, s[6:7]
	s_cbranch_vccnz .LBB102_993
; %bb.985:
	s_sext_i32_i16 s16, s28
	s_cmp_lt_i32 s16, 6
	s_mov_b64 s[6:7], -1
	s_cbranch_scc1 .LBB102_991
; %bb.986:
	s_cmp_gt_i32 s16, 6
	s_cbranch_scc0 .LBB102_988
; %bb.987:
	s_waitcnt vmcnt(0)
	v_bfe_i32 v2, v4, 0, 16
	v_cvt_f64_i32_e32 v[2:3], v2
	s_mov_b64 s[6:7], 0
	global_store_dwordx2 v[0:1], v[2:3], off
.LBB102_988:
	s_andn2_b64 vcc, exec, s[6:7]
	s_cbranch_vccnz .LBB102_990
; %bb.989:
	s_waitcnt vmcnt(0)
	v_cvt_f32_i32_sdwa v2, sext(v4) dst_sel:DWORD dst_unused:UNUSED_PAD src0_sel:WORD_0
	global_store_dword v[0:1], v2, off
.LBB102_990:
	s_mov_b64 s[6:7], 0
.LBB102_991:
	s_andn2_b64 vcc, exec, s[6:7]
	s_cbranch_vccnz .LBB102_993
; %bb.992:
	s_waitcnt vmcnt(0)
	v_cvt_f16_i16_e32 v2, v4
	global_store_short v[0:1], v2, off
.LBB102_993:
	s_mov_b64 s[6:7], 0
.LBB102_994:
	s_andn2_b64 vcc, exec, s[6:7]
	s_cbranch_vccnz .LBB102_1010
; %bb.995:
	s_sext_i32_i16 s16, s28
	s_cmp_lt_i32 s16, 2
	s_mov_b64 s[6:7], -1
	s_cbranch_scc1 .LBB102_1005
; %bb.996:
	s_cmp_lt_i32 s16, 3
	s_cbranch_scc1 .LBB102_1002
; %bb.997:
	s_cmp_gt_i32 s16, 3
	s_waitcnt vmcnt(0)
	v_bfe_i32 v2, v4, 0, 16
	s_cbranch_scc0 .LBB102_999
; %bb.998:
	v_ashrrev_i32_e32 v3, 31, v2
	s_mov_b64 s[6:7], 0
	global_store_dwordx2 v[0:1], v[2:3], off
.LBB102_999:
	s_andn2_b64 vcc, exec, s[6:7]
	s_cbranch_vccnz .LBB102_1001
; %bb.1000:
	global_store_dword v[0:1], v2, off
.LBB102_1001:
	s_mov_b64 s[6:7], 0
.LBB102_1002:
	s_andn2_b64 vcc, exec, s[6:7]
	s_cbranch_vccnz .LBB102_1004
; %bb.1003:
	global_store_short v[0:1], v4, off
.LBB102_1004:
	s_mov_b64 s[6:7], 0
.LBB102_1005:
	s_andn2_b64 vcc, exec, s[6:7]
	s_cbranch_vccnz .LBB102_1010
; %bb.1006:
	s_sext_i32_i16 s6, s28
	s_cmp_gt_i32 s6, 0
	s_mov_b64 s[6:7], -1
	s_cbranch_scc0 .LBB102_1008
; %bb.1007:
	s_mov_b64 s[6:7], 0
	global_store_byte v[0:1], v4, off
.LBB102_1008:
	s_andn2_b64 vcc, exec, s[6:7]
	s_cbranch_vccnz .LBB102_1010
; %bb.1009:
	global_store_byte v[0:1], v4, off
.LBB102_1010:
	s_or_b64 exec, exec, s[0:1]
	s_and_b64 s[6:7], s[18:19], exec
                                        ; implicit-def: $vgpr9
.LBB102_1011:
	s_or_saveexec_b64 s[4:5], s[4:5]
	s_mov_b64 s[0:1], 0
                                        ; implicit-def: $sgpr20
                                        ; implicit-def: $vgpr0_vgpr1
                                        ; implicit-def: $vgpr4
	s_xor_b64 exec, exec, s[4:5]
	s_cbranch_execz .LBB102_1942
; %bb.1012:
	s_waitcnt vmcnt(0)
	v_mul_lo_u32 v2, s13, v9
	v_mov_b32_e32 v1, s11
	s_and_b32 s14, 0xffff, s14
	s_cmp_lt_i32 s14, 11
	v_ashrrev_i32_e32 v3, 31, v2
	v_add_co_u32_e32 v0, vcc, s10, v2
	v_addc_co_u32_e32 v1, vcc, v1, v3, vcc
	s_cbranch_scc1 .LBB102_1019
; %bb.1013:
	s_cmp_gt_i32 s14, 25
	s_cbranch_scc0 .LBB102_1021
; %bb.1014:
	s_cmp_gt_i32 s14, 28
	s_cbranch_scc0 .LBB102_1022
	;; [unrolled: 3-line block ×4, first 2 shown]
; %bb.1017:
	s_cmp_eq_u32 s14, 46
	s_mov_b64 s[16:17], 0
	s_cbranch_scc0 .LBB102_1027
; %bb.1018:
	global_load_dword v3, v[0:1], off
	s_mov_b64 s[18:19], -1
	s_waitcnt vmcnt(0)
	v_lshlrev_b32_e32 v3, 16, v3
	v_cvt_i32_f32_e32 v6, v3
	s_branch .LBB102_1028
.LBB102_1019:
	s_mov_b64 s[18:19], 0
                                        ; implicit-def: $vgpr6
	s_mov_b64 s[16:17], s[6:7]
	s_cbranch_execnz .LBB102_1086
.LBB102_1020:
	s_andn2_b64 vcc, exec, s[18:19]
	s_cbranch_vccz .LBB102_1131
	s_branch .LBB102_1940
.LBB102_1021:
	s_mov_b64 s[18:19], 0
                                        ; implicit-def: $vgpr6
	s_cbranch_execnz .LBB102_1053
	s_branch .LBB102_1082
.LBB102_1022:
	s_mov_b64 s[18:19], 0
                                        ; implicit-def: $vgpr6
	s_cbranch_execz .LBB102_1052
	s_branch .LBB102_1037
.LBB102_1023:
	s_mov_b64 s[18:19], 0
                                        ; implicit-def: $vgpr6
	s_cbranch_execnz .LBB102_1033
	s_branch .LBB102_1036
.LBB102_1024:
	s_mov_b64 s[16:17], -1
	s_mov_b64 s[18:19], 0
                                        ; implicit-def: $vgpr6
	s_branch .LBB102_1028
.LBB102_1025:
	s_andn2_saveexec_b64 s[24:25], s[24:25]
	s_cbranch_execz .LBB102_924
.LBB102_1026:
	s_mov_b32 s26, 0x46000000
	v_add_f32_e64 v3, |v2|, s26
	v_and_b32_e32 v3, 0xff, v3
	v_cmp_ne_u32_e32 vcc, 0, v3
	s_andn2_b64 s[22:23], s[22:23], exec
	s_and_b64 s[26:27], vcc, exec
	s_or_b64 s[22:23], s[22:23], s[26:27]
	s_or_b64 exec, exec, s[24:25]
	v_mov_b32_e32 v5, 0
	s_and_saveexec_b64 s[24:25], s[22:23]
	s_cbranch_execnz .LBB102_925
	s_branch .LBB102_926
.LBB102_1027:
	s_mov_b64 s[0:1], -1
                                        ; implicit-def: $vgpr6
	s_mov_b64 s[18:19], 0
.LBB102_1028:
	s_and_b64 vcc, exec, s[16:17]
	s_cbranch_vccz .LBB102_1031
; %bb.1029:
	s_cmp_eq_u32 s14, 44
	s_cbranch_scc0 .LBB102_1032
; %bb.1030:
	global_load_ubyte v3, v[0:1], off
	s_mov_b64 s[0:1], 0
	s_mov_b64 s[18:19], -1
	s_waitcnt vmcnt(0)
	v_lshlrev_b32_e32 v4, 23, v3
	v_cvt_i32_f32_e32 v4, v4
	v_cmp_ne_u32_e32 vcc, 0, v3
	v_cndmask_b32_e32 v6, 0, v4, vcc
.LBB102_1031:
	s_branch .LBB102_1036
.LBB102_1032:
	s_mov_b64 s[0:1], -1
                                        ; implicit-def: $vgpr6
	s_branch .LBB102_1036
.LBB102_1033:
	s_cmp_eq_u32 s14, 29
	s_cbranch_scc0 .LBB102_1035
; %bb.1034:
	global_load_dwordx2 v[6:7], v[0:1], off
	s_mov_b64 s[0:1], 0
	s_mov_b64 s[18:19], -1
	s_branch .LBB102_1036
.LBB102_1035:
	s_mov_b64 s[0:1], -1
                                        ; implicit-def: $vgpr6
.LBB102_1036:
	s_branch .LBB102_1052
.LBB102_1037:
	s_cmp_lt_i32 s14, 27
	s_cbranch_scc1 .LBB102_1040
; %bb.1038:
	s_cmp_gt_i32 s14, 27
	s_cbranch_scc0 .LBB102_1041
; %bb.1039:
	global_load_dword v6, v[0:1], off
	s_mov_b64 s[16:17], 0
	s_branch .LBB102_1042
.LBB102_1040:
	s_mov_b64 s[16:17], -1
                                        ; implicit-def: $vgpr6
	s_branch .LBB102_1045
.LBB102_1041:
	s_mov_b64 s[16:17], -1
                                        ; implicit-def: $vgpr6
.LBB102_1042:
	s_andn2_b64 vcc, exec, s[16:17]
	s_cbranch_vccnz .LBB102_1044
; %bb.1043:
	global_load_ushort v6, v[0:1], off
.LBB102_1044:
	s_mov_b64 s[16:17], 0
.LBB102_1045:
	s_andn2_b64 vcc, exec, s[16:17]
	s_cbranch_vccnz .LBB102_1051
; %bb.1046:
	global_load_ubyte v3, v[0:1], off
	s_movk_i32 s16, 0x7f
	s_mov_b64 s[18:19], 0
	s_waitcnt vmcnt(0)
	v_cmp_lt_i16_e32 vcc, s16, v3
	s_and_saveexec_b64 s[16:17], vcc
	s_xor_b64 s[16:17], exec, s[16:17]
	s_cbranch_execz .LBB102_1062
; %bb.1047:
	s_movk_i32 s18, 0x80
	v_cmp_ne_u16_e32 vcc, s18, v3
	s_and_b64 s[18:19], vcc, exec
	s_andn2_saveexec_b64 s[16:17], s[16:17]
	s_cbranch_execnz .LBB102_1063
.LBB102_1048:
	s_or_b64 exec, exec, s[16:17]
	v_mov_b32_e32 v6, 0
	s_and_saveexec_b64 s[16:17], s[18:19]
	s_cbranch_execz .LBB102_1050
.LBB102_1049:
	v_lshlrev_b32_e32 v4, 24, v3
	v_and_b32_e32 v3, 0xffff, v3
	v_and_b32_e32 v5, 7, v3
	v_ffbh_u32_e32 v7, v5
	v_min_u32_e32 v7, 32, v7
	v_subrev_u32_e32 v8, 28, v7
	v_bfe_u32 v6, v3, 3, 4
	v_lshlrev_b32_e32 v3, v8, v3
	v_sub_u32_e32 v7, 29, v7
	v_and_b32_e32 v3, 7, v3
	v_cmp_eq_u32_e32 vcc, 0, v6
	v_cndmask_b32_e32 v6, v6, v7, vcc
	v_cndmask_b32_e32 v3, v5, v3, vcc
	v_mov_b32_e32 v5, 0x3b800000
	v_lshlrev_b32_e32 v3, 20, v3
	v_and_b32_e32 v4, 0x80000000, v4
	v_lshl_add_u32 v5, v6, 23, v5
	v_or3_b32 v3, v4, v5, v3
	v_cvt_i32_f32_e32 v6, v3
.LBB102_1050:
	s_or_b64 exec, exec, s[16:17]
.LBB102_1051:
	s_mov_b64 s[18:19], -1
.LBB102_1052:
	s_branch .LBB102_1082
.LBB102_1053:
	s_cmp_gt_i32 s14, 22
	s_cbranch_scc0 .LBB102_1061
; %bb.1054:
	s_cmp_lt_i32 s14, 24
	s_cbranch_scc1 .LBB102_1064
; %bb.1055:
	s_cmp_gt_i32 s14, 24
	s_cbranch_scc0 .LBB102_1065
; %bb.1056:
	global_load_ubyte v3, v[0:1], off
	s_movk_i32 s2, 0x7f
	s_mov_b64 s[16:17], 0
	s_waitcnt vmcnt(0)
	v_cmp_lt_i16_e32 vcc, s2, v3
	s_and_saveexec_b64 s[2:3], vcc
	s_xor_b64 s[2:3], exec, s[2:3]
	s_cbranch_execz .LBB102_1076
; %bb.1057:
	s_movk_i32 s16, 0x80
	v_cmp_ne_u16_e32 vcc, s16, v3
	s_and_b64 s[16:17], vcc, exec
	s_andn2_saveexec_b64 s[2:3], s[2:3]
	s_cbranch_execnz .LBB102_1077
.LBB102_1058:
	s_or_b64 exec, exec, s[2:3]
	v_mov_b32_e32 v6, 0
	s_and_saveexec_b64 s[2:3], s[16:17]
	s_cbranch_execz .LBB102_1060
.LBB102_1059:
	v_lshlrev_b32_e32 v4, 24, v3
	v_and_b32_e32 v3, 0xffff, v3
	v_and_b32_e32 v5, 3, v3
	v_ffbh_u32_e32 v7, v5
	v_min_u32_e32 v7, 32, v7
	v_subrev_u32_e32 v8, 29, v7
	v_bfe_u32 v6, v3, 2, 5
	v_lshlrev_b32_e32 v3, v8, v3
	v_sub_u32_e32 v7, 30, v7
	v_and_b32_e32 v3, 3, v3
	v_cmp_eq_u32_e32 vcc, 0, v6
	v_cndmask_b32_e32 v6, v6, v7, vcc
	v_cndmask_b32_e32 v3, v5, v3, vcc
	v_mov_b32_e32 v5, 0x37800000
	v_lshlrev_b32_e32 v3, 21, v3
	v_and_b32_e32 v4, 0x80000000, v4
	v_lshl_add_u32 v5, v6, 23, v5
	v_or3_b32 v3, v4, v5, v3
	v_cvt_i32_f32_e32 v6, v3
.LBB102_1060:
	s_or_b64 exec, exec, s[2:3]
	s_mov_b64 s[2:3], 0
	s_branch .LBB102_1066
.LBB102_1061:
                                        ; implicit-def: $vgpr6
	s_mov_b64 s[2:3], 0
	s_branch .LBB102_1072
.LBB102_1062:
	s_andn2_saveexec_b64 s[16:17], s[16:17]
	s_cbranch_execz .LBB102_1048
.LBB102_1063:
	v_cmp_ne_u16_e32 vcc, 0, v3
	s_andn2_b64 s[18:19], s[18:19], exec
	s_and_b64 s[20:21], vcc, exec
	s_or_b64 s[18:19], s[18:19], s[20:21]
	s_or_b64 exec, exec, s[16:17]
	v_mov_b32_e32 v6, 0
	s_and_saveexec_b64 s[16:17], s[18:19]
	s_cbranch_execnz .LBB102_1049
	s_branch .LBB102_1050
.LBB102_1064:
	s_mov_b64 s[2:3], -1
                                        ; implicit-def: $vgpr6
	s_branch .LBB102_1069
.LBB102_1065:
	s_mov_b64 s[2:3], -1
                                        ; implicit-def: $vgpr6
.LBB102_1066:
	s_and_b64 vcc, exec, s[2:3]
	s_cbranch_vccz .LBB102_1068
; %bb.1067:
	global_load_ubyte v3, v[0:1], off
	s_mov_b32 s2, 0x7f800000
	s_waitcnt vmcnt(0)
	v_lshlrev_b32_e32 v3, 24, v3
	v_and_b32_e32 v4, 0x7f000000, v3
	v_ffbh_u32_e32 v5, v4
	v_min_u32_e32 v5, 32, v5
	v_sub_u32_e64 v5, v5, 4 clamp
	v_lshlrev_b32_e32 v7, v5, v4
	v_lshlrev_b32_e32 v5, 23, v5
	v_lshrrev_b32_e32 v7, 4, v7
	v_add_u32_e32 v6, 0x1000000, v4
	v_sub_u32_e32 v5, v7, v5
	v_ashrrev_i32_e32 v6, 8, v6
	v_add_u32_e32 v5, 0x3c000000, v5
	v_and_or_b32 v5, v6, s2, v5
	v_cmp_ne_u32_e32 vcc, 0, v4
	v_cndmask_b32_e32 v4, 0, v5, vcc
	s_brev_b32 s2, 1
	v_and_or_b32 v3, v3, s2, v4
	v_cvt_i32_f32_e32 v6, v3
.LBB102_1068:
	s_mov_b64 s[2:3], 0
.LBB102_1069:
	s_andn2_b64 vcc, exec, s[2:3]
	s_cbranch_vccnz .LBB102_1071
; %bb.1070:
	global_load_ubyte v3, v[0:1], off
	s_movk_i32 s2, 0x7f00
	s_brev_b32 s3, 16
	s_waitcnt vmcnt(0)
	v_lshlrev_b16_e32 v4, 8, v3
	v_lshlrev_b32_e32 v3, 25, v3
	v_lshrrev_b32_e32 v5, 4, v3
	v_and_or_b32 v6, v4, s2, 0.5
	v_or_b32_e32 v5, 0x70000000, v5
	v_add_f32_e32 v6, -0.5, v6
	v_mul_f32_e32 v5, 0x7800000, v5
	v_cmp_gt_u32_e32 vcc, s3, v3
	v_bfe_i32 v4, v4, 0, 16
	v_cndmask_b32_e32 v3, v5, v6, vcc
	s_brev_b32 s2, 1
	v_and_or_b32 v3, v4, s2, v3
	v_cvt_i32_f32_e32 v6, v3
.LBB102_1071:
	s_mov_b64 s[18:19], -1
	s_mov_b64 s[2:3], 0
	s_cbranch_execnz .LBB102_1082
.LBB102_1072:
	s_cmp_gt_i32 s14, 14
	s_cbranch_scc0 .LBB102_1075
; %bb.1073:
	s_cmp_eq_u32 s14, 15
	s_cbranch_scc0 .LBB102_1078
; %bb.1074:
	global_load_ushort v3, v[0:1], off
	s_mov_b64 s[0:1], 0
	s_mov_b64 s[18:19], -1
	s_waitcnt vmcnt(0)
	v_lshlrev_b32_e32 v3, 16, v3
	v_cvt_i32_f32_e32 v6, v3
	s_branch .LBB102_1079
.LBB102_1075:
	s_mov_b64 s[16:17], -1
                                        ; implicit-def: $vgpr6
	s_branch .LBB102_1080
.LBB102_1076:
	s_andn2_saveexec_b64 s[2:3], s[2:3]
	s_cbranch_execz .LBB102_1058
.LBB102_1077:
	v_cmp_ne_u16_e32 vcc, 0, v3
	s_andn2_b64 s[16:17], s[16:17], exec
	s_and_b64 s[18:19], vcc, exec
	s_or_b64 s[16:17], s[16:17], s[18:19]
	s_or_b64 exec, exec, s[2:3]
	v_mov_b32_e32 v6, 0
	s_and_saveexec_b64 s[2:3], s[16:17]
	s_cbranch_execnz .LBB102_1059
	s_branch .LBB102_1060
.LBB102_1078:
	s_mov_b64 s[0:1], -1
                                        ; implicit-def: $vgpr6
.LBB102_1079:
	s_mov_b64 s[16:17], 0
.LBB102_1080:
	s_and_b64 vcc, exec, s[16:17]
	s_cbranch_vccz .LBB102_1082
; %bb.1081:
	s_cmp_lg_u32 s14, 11
	s_mov_b64 s[2:3], -1
	s_cselect_b64 s[0:1], -1, 0
.LBB102_1082:
	s_and_b64 vcc, exec, s[0:1]
	s_mov_b64 s[16:17], s[6:7]
	s_cbranch_vccnz .LBB102_1143
; %bb.1083:
	s_andn2_b64 vcc, exec, s[2:3]
	s_cbranch_vccnz .LBB102_1085
.LBB102_1084:
	global_load_ubyte v3, v[0:1], off
	s_mov_b64 s[18:19], -1
	s_waitcnt vmcnt(0)
	v_cmp_ne_u16_e32 vcc, 0, v3
	v_cndmask_b32_e64 v6, 0, 1, vcc
.LBB102_1085:
	s_branch .LBB102_1020
.LBB102_1086:
	s_cmp_lt_i32 s14, 5
	s_cbranch_scc1 .LBB102_1091
; %bb.1087:
	s_cmp_lt_i32 s14, 8
	s_cbranch_scc1 .LBB102_1092
; %bb.1088:
	;; [unrolled: 3-line block ×3, first 2 shown]
	s_cmp_gt_i32 s14, 9
	s_cbranch_scc0 .LBB102_1094
; %bb.1090:
	global_load_dwordx2 v[3:4], v[0:1], off
	s_mov_b64 s[0:1], 0
	s_waitcnt vmcnt(0)
	v_cvt_i32_f64_e32 v6, v[3:4]
	s_branch .LBB102_1095
.LBB102_1091:
                                        ; implicit-def: $vgpr6
	s_branch .LBB102_1112
.LBB102_1092:
                                        ; implicit-def: $vgpr6
	s_branch .LBB102_1101
.LBB102_1093:
	s_mov_b64 s[0:1], -1
                                        ; implicit-def: $vgpr6
	s_branch .LBB102_1098
.LBB102_1094:
	s_mov_b64 s[0:1], -1
                                        ; implicit-def: $vgpr6
.LBB102_1095:
	s_andn2_b64 vcc, exec, s[0:1]
	s_cbranch_vccnz .LBB102_1097
; %bb.1096:
	global_load_dword v3, v[0:1], off
	s_waitcnt vmcnt(0)
	v_cvt_i32_f32_e32 v6, v3
.LBB102_1097:
	s_mov_b64 s[0:1], 0
.LBB102_1098:
	s_andn2_b64 vcc, exec, s[0:1]
	s_cbranch_vccnz .LBB102_1100
; %bb.1099:
	global_load_dword v3, v[0:1], off
	s_waitcnt vmcnt(0)
	v_cvt_i16_f16_e32 v6, v3
.LBB102_1100:
	s_cbranch_execnz .LBB102_1111
.LBB102_1101:
	s_cmp_lt_i32 s14, 6
	s_cbranch_scc1 .LBB102_1104
; %bb.1102:
	s_cmp_gt_i32 s14, 6
	s_cbranch_scc0 .LBB102_1105
; %bb.1103:
	global_load_dwordx2 v[3:4], v[0:1], off
	s_mov_b64 s[0:1], 0
	s_waitcnt vmcnt(0)
	v_cvt_i32_f64_e32 v6, v[3:4]
	s_branch .LBB102_1106
.LBB102_1104:
	s_mov_b64 s[0:1], -1
                                        ; implicit-def: $vgpr6
	s_branch .LBB102_1109
.LBB102_1105:
	s_mov_b64 s[0:1], -1
                                        ; implicit-def: $vgpr6
.LBB102_1106:
	s_andn2_b64 vcc, exec, s[0:1]
	s_cbranch_vccnz .LBB102_1108
; %bb.1107:
	global_load_dword v3, v[0:1], off
	s_waitcnt vmcnt(0)
	v_cvt_i32_f32_e32 v6, v3
.LBB102_1108:
	s_mov_b64 s[0:1], 0
.LBB102_1109:
	s_andn2_b64 vcc, exec, s[0:1]
	s_cbranch_vccnz .LBB102_1111
; %bb.1110:
	global_load_ushort v3, v[0:1], off
	s_waitcnt vmcnt(0)
	v_cvt_i16_f16_e32 v6, v3
.LBB102_1111:
	s_cbranch_execnz .LBB102_1130
.LBB102_1112:
	s_cmp_lt_i32 s14, 2
	s_cbranch_scc1 .LBB102_1116
; %bb.1113:
	s_cmp_lt_i32 s14, 3
	s_cbranch_scc1 .LBB102_1117
; %bb.1114:
	s_cmp_gt_i32 s14, 3
	s_cbranch_scc0 .LBB102_1118
; %bb.1115:
	global_load_dwordx2 v[6:7], v[0:1], off
	s_mov_b64 s[0:1], 0
	s_branch .LBB102_1119
.LBB102_1116:
                                        ; implicit-def: $vgpr6
	s_branch .LBB102_1125
.LBB102_1117:
	s_mov_b64 s[0:1], -1
                                        ; implicit-def: $vgpr6
	s_branch .LBB102_1122
.LBB102_1118:
	s_mov_b64 s[0:1], -1
                                        ; implicit-def: $vgpr6
.LBB102_1119:
	s_andn2_b64 vcc, exec, s[0:1]
	s_cbranch_vccnz .LBB102_1121
; %bb.1120:
	global_load_dword v6, v[0:1], off
.LBB102_1121:
	s_mov_b64 s[0:1], 0
.LBB102_1122:
	s_andn2_b64 vcc, exec, s[0:1]
	s_cbranch_vccnz .LBB102_1124
; %bb.1123:
	global_load_ushort v6, v[0:1], off
.LBB102_1124:
	s_cbranch_execnz .LBB102_1130
.LBB102_1125:
	s_cmp_gt_i32 s14, 0
	s_cbranch_scc0 .LBB102_1127
; %bb.1126:
	global_load_sbyte v6, v[0:1], off
	s_mov_b64 s[0:1], 0
	s_branch .LBB102_1128
.LBB102_1127:
	s_mov_b64 s[0:1], -1
                                        ; implicit-def: $vgpr6
.LBB102_1128:
	s_andn2_b64 vcc, exec, s[0:1]
	s_cbranch_vccnz .LBB102_1130
; %bb.1129:
	global_load_ubyte v6, v[0:1], off
.LBB102_1130:
.LBB102_1131:
	s_lshl_b32 s13, s13, 7
	v_add_u32_e32 v2, s13, v2
	v_ashrrev_i32_e32 v1, 31, v2
	v_mov_b32_e32 v3, s11
	v_add_co_u32_e32 v0, vcc, s10, v2
	s_cmp_lt_i32 s14, 11
	v_addc_co_u32_e32 v1, vcc, v3, v1, vcc
	s_cbranch_scc1 .LBB102_1138
; %bb.1132:
	s_cmp_gt_i32 s14, 25
	s_mov_b64 s[2:3], 0
	s_cbranch_scc0 .LBB102_1140
; %bb.1133:
	s_cmp_gt_i32 s14, 28
	s_cbranch_scc0 .LBB102_1141
; %bb.1134:
	s_cmp_gt_i32 s14, 43
	;; [unrolled: 3-line block ×3, first 2 shown]
	s_cbranch_scc0 .LBB102_1144
; %bb.1136:
	s_cmp_eq_u32 s14, 46
	s_mov_b64 s[20:21], 0
	s_cbranch_scc0 .LBB102_1147
; %bb.1137:
	global_load_dword v3, v[0:1], off
	s_mov_b64 s[0:1], 0
	s_mov_b64 s[18:19], -1
	s_waitcnt vmcnt(0)
	v_lshlrev_b32_e32 v3, 16, v3
	v_cvt_i32_f32_e32 v4, v3
	s_branch .LBB102_1148
.LBB102_1138:
	s_mov_b64 s[18:19], 0
                                        ; implicit-def: $vgpr4
	s_cbranch_execnz .LBB102_1209
.LBB102_1139:
	s_andn2_b64 vcc, exec, s[18:19]
	s_cbranch_vccnz .LBB102_1940
	s_branch .LBB102_1256
.LBB102_1140:
	s_mov_b64 s[18:19], 0
	s_mov_b64 s[0:1], 0
                                        ; implicit-def: $vgpr4
	s_cbranch_execnz .LBB102_1175
	s_branch .LBB102_1205
.LBB102_1141:
	s_mov_b64 s[20:21], -1
	s_mov_b64 s[18:19], 0
	s_mov_b64 s[0:1], 0
                                        ; implicit-def: $vgpr4
	s_branch .LBB102_1158
.LBB102_1142:
	s_mov_b64 s[20:21], -1
	s_mov_b64 s[18:19], 0
	s_mov_b64 s[0:1], 0
                                        ; implicit-def: $vgpr4
	s_branch .LBB102_1153
.LBB102_1143:
	s_or_b64 s[16:17], s[6:7], exec
	s_trap 2
	s_cbranch_execz .LBB102_1084
	s_branch .LBB102_1085
.LBB102_1144:
	s_mov_b64 s[20:21], -1
	s_mov_b64 s[18:19], 0
	s_mov_b64 s[0:1], 0
                                        ; implicit-def: $vgpr4
	s_branch .LBB102_1148
.LBB102_1145:
	s_andn2_saveexec_b64 s[26:27], s[26:27]
	s_cbranch_execz .LBB102_936
.LBB102_1146:
	s_mov_b32 s30, 0x42800000
	v_add_f32_e64 v3, |v2|, s30
	v_and_b32_e32 v3, 0xff, v3
	v_cmp_ne_u32_e32 vcc, 0, v3
	s_andn2_b64 s[24:25], s[24:25], exec
	s_and_b64 s[30:31], vcc, exec
	s_or_b64 s[24:25], s[24:25], s[30:31]
	s_or_b64 exec, exec, s[26:27]
	v_mov_b32_e32 v5, 0
	s_and_saveexec_b64 s[26:27], s[24:25]
	s_cbranch_execnz .LBB102_937
	s_branch .LBB102_938
.LBB102_1147:
	s_mov_b64 s[0:1], -1
                                        ; implicit-def: $vgpr4
	s_mov_b64 s[18:19], 0
.LBB102_1148:
	s_and_b64 vcc, exec, s[20:21]
	s_cbranch_vccz .LBB102_1152
; %bb.1149:
	s_cmp_eq_u32 s14, 44
	s_cbranch_scc0 .LBB102_1151
; %bb.1150:
	global_load_ubyte v3, v[0:1], off
	s_mov_b64 s[0:1], 0
	s_mov_b64 s[18:19], -1
	s_waitcnt vmcnt(0)
	v_lshlrev_b32_e32 v4, 23, v3
	v_cvt_i32_f32_e32 v4, v4
	v_cmp_ne_u32_e32 vcc, 0, v3
	v_cndmask_b32_e32 v4, 0, v4, vcc
	s_branch .LBB102_1152
.LBB102_1151:
	s_mov_b64 s[0:1], -1
                                        ; implicit-def: $vgpr4
.LBB102_1152:
	s_mov_b64 s[20:21], 0
.LBB102_1153:
	s_and_b64 vcc, exec, s[20:21]
	s_cbranch_vccz .LBB102_1157
; %bb.1154:
	s_cmp_eq_u32 s14, 29
	s_cbranch_scc0 .LBB102_1156
; %bb.1155:
	global_load_dwordx2 v[4:5], v[0:1], off
	s_mov_b64 s[0:1], 0
	s_mov_b64 s[18:19], -1
	s_branch .LBB102_1157
.LBB102_1156:
	s_mov_b64 s[0:1], -1
                                        ; implicit-def: $vgpr4
.LBB102_1157:
	s_mov_b64 s[20:21], 0
.LBB102_1158:
	s_and_b64 vcc, exec, s[20:21]
	s_cbranch_vccz .LBB102_1174
; %bb.1159:
	s_cmp_lt_i32 s14, 27
	s_cbranch_scc1 .LBB102_1162
; %bb.1160:
	s_cmp_gt_i32 s14, 27
	s_cbranch_scc0 .LBB102_1163
; %bb.1161:
	global_load_dword v4, v[0:1], off
	s_mov_b64 s[18:19], 0
	s_branch .LBB102_1164
.LBB102_1162:
	s_mov_b64 s[18:19], -1
                                        ; implicit-def: $vgpr4
	s_branch .LBB102_1167
.LBB102_1163:
	s_mov_b64 s[18:19], -1
                                        ; implicit-def: $vgpr4
.LBB102_1164:
	s_andn2_b64 vcc, exec, s[18:19]
	s_cbranch_vccnz .LBB102_1166
; %bb.1165:
	global_load_ushort v4, v[0:1], off
.LBB102_1166:
	s_mov_b64 s[18:19], 0
.LBB102_1167:
	s_andn2_b64 vcc, exec, s[18:19]
	s_cbranch_vccnz .LBB102_1173
; %bb.1168:
	global_load_ubyte v3, v[0:1], off
	s_movk_i32 s18, 0x7f
	s_mov_b64 s[20:21], 0
	s_waitcnt vmcnt(0)
	v_cmp_lt_i16_e32 vcc, s18, v3
	s_and_saveexec_b64 s[18:19], vcc
	s_xor_b64 s[18:19], exec, s[18:19]
	s_cbranch_execz .LBB102_1184
; %bb.1169:
	s_movk_i32 s20, 0x80
	v_cmp_ne_u16_e32 vcc, s20, v3
	s_and_b64 s[20:21], vcc, exec
	s_andn2_saveexec_b64 s[18:19], s[18:19]
	s_cbranch_execnz .LBB102_1185
.LBB102_1170:
	s_or_b64 exec, exec, s[18:19]
	v_mov_b32_e32 v4, 0
	s_and_saveexec_b64 s[18:19], s[20:21]
	s_cbranch_execz .LBB102_1172
.LBB102_1171:
	v_lshlrev_b32_e32 v4, 24, v3
	v_and_b32_e32 v3, 0xffff, v3
	v_and_b32_e32 v5, 7, v3
	v_ffbh_u32_e32 v8, v5
	v_min_u32_e32 v8, 32, v8
	v_subrev_u32_e32 v10, 28, v8
	v_bfe_u32 v7, v3, 3, 4
	v_lshlrev_b32_e32 v3, v10, v3
	v_sub_u32_e32 v8, 29, v8
	v_and_b32_e32 v3, 7, v3
	v_cmp_eq_u32_e32 vcc, 0, v7
	v_cndmask_b32_e32 v7, v7, v8, vcc
	v_cndmask_b32_e32 v3, v5, v3, vcc
	v_mov_b32_e32 v5, 0x3b800000
	v_lshlrev_b32_e32 v3, 20, v3
	v_and_b32_e32 v4, 0x80000000, v4
	v_lshl_add_u32 v5, v7, 23, v5
	v_or3_b32 v3, v4, v5, v3
	v_cvt_i32_f32_e32 v4, v3
.LBB102_1172:
	s_or_b64 exec, exec, s[18:19]
.LBB102_1173:
	s_mov_b64 s[18:19], -1
.LBB102_1174:
	s_branch .LBB102_1205
.LBB102_1175:
	s_cmp_gt_i32 s14, 22
	s_cbranch_scc0 .LBB102_1183
; %bb.1176:
	s_cmp_lt_i32 s14, 24
	s_cbranch_scc1 .LBB102_1186
; %bb.1177:
	s_cmp_gt_i32 s14, 24
	s_cbranch_scc0 .LBB102_1187
; %bb.1178:
	global_load_ubyte v3, v[0:1], off
	s_movk_i32 s2, 0x7f
	s_mov_b64 s[18:19], 0
	s_waitcnt vmcnt(0)
	v_cmp_lt_i16_e32 vcc, s2, v3
	s_and_saveexec_b64 s[2:3], vcc
	s_xor_b64 s[2:3], exec, s[2:3]
	s_cbranch_execz .LBB102_1199
; %bb.1179:
	s_movk_i32 s18, 0x80
	v_cmp_ne_u16_e32 vcc, s18, v3
	s_and_b64 s[18:19], vcc, exec
	s_andn2_saveexec_b64 s[2:3], s[2:3]
	s_cbranch_execnz .LBB102_1200
.LBB102_1180:
	s_or_b64 exec, exec, s[2:3]
	v_mov_b32_e32 v4, 0
	s_and_saveexec_b64 s[2:3], s[18:19]
	s_cbranch_execz .LBB102_1182
.LBB102_1181:
	v_lshlrev_b32_e32 v4, 24, v3
	v_and_b32_e32 v3, 0xffff, v3
	v_and_b32_e32 v5, 3, v3
	v_ffbh_u32_e32 v8, v5
	v_min_u32_e32 v8, 32, v8
	v_subrev_u32_e32 v10, 29, v8
	v_bfe_u32 v7, v3, 2, 5
	v_lshlrev_b32_e32 v3, v10, v3
	v_sub_u32_e32 v8, 30, v8
	v_and_b32_e32 v3, 3, v3
	v_cmp_eq_u32_e32 vcc, 0, v7
	v_cndmask_b32_e32 v7, v7, v8, vcc
	v_cndmask_b32_e32 v3, v5, v3, vcc
	v_mov_b32_e32 v5, 0x37800000
	v_lshlrev_b32_e32 v3, 21, v3
	v_and_b32_e32 v4, 0x80000000, v4
	v_lshl_add_u32 v5, v7, 23, v5
	v_or3_b32 v3, v4, v5, v3
	v_cvt_i32_f32_e32 v4, v3
.LBB102_1182:
	s_or_b64 exec, exec, s[2:3]
	s_mov_b64 s[2:3], 0
	s_branch .LBB102_1188
.LBB102_1183:
	s_mov_b64 s[2:3], -1
                                        ; implicit-def: $vgpr4
	s_branch .LBB102_1194
.LBB102_1184:
	s_andn2_saveexec_b64 s[18:19], s[18:19]
	s_cbranch_execz .LBB102_1170
.LBB102_1185:
	v_cmp_ne_u16_e32 vcc, 0, v3
	s_andn2_b64 s[20:21], s[20:21], exec
	s_and_b64 s[22:23], vcc, exec
	s_or_b64 s[20:21], s[20:21], s[22:23]
	s_or_b64 exec, exec, s[18:19]
	v_mov_b32_e32 v4, 0
	s_and_saveexec_b64 s[18:19], s[20:21]
	s_cbranch_execnz .LBB102_1171
	s_branch .LBB102_1172
.LBB102_1186:
	s_mov_b64 s[2:3], -1
                                        ; implicit-def: $vgpr4
	s_branch .LBB102_1191
.LBB102_1187:
	s_mov_b64 s[2:3], -1
                                        ; implicit-def: $vgpr4
.LBB102_1188:
	s_and_b64 vcc, exec, s[2:3]
	s_cbranch_vccz .LBB102_1190
; %bb.1189:
	global_load_ubyte v3, v[0:1], off
	s_mov_b32 s2, 0x7f800000
	s_waitcnt vmcnt(0)
	v_lshlrev_b32_e32 v3, 24, v3
	v_and_b32_e32 v4, 0x7f000000, v3
	v_ffbh_u32_e32 v5, v4
	v_min_u32_e32 v5, 32, v5
	v_sub_u32_e64 v5, v5, 4 clamp
	v_lshlrev_b32_e32 v8, v5, v4
	v_lshlrev_b32_e32 v5, 23, v5
	v_lshrrev_b32_e32 v8, 4, v8
	v_add_u32_e32 v7, 0x1000000, v4
	v_sub_u32_e32 v5, v8, v5
	v_ashrrev_i32_e32 v7, 8, v7
	v_add_u32_e32 v5, 0x3c000000, v5
	v_and_or_b32 v5, v7, s2, v5
	v_cmp_ne_u32_e32 vcc, 0, v4
	v_cndmask_b32_e32 v4, 0, v5, vcc
	s_brev_b32 s2, 1
	v_and_or_b32 v3, v3, s2, v4
	v_cvt_i32_f32_e32 v4, v3
.LBB102_1190:
	s_mov_b64 s[2:3], 0
.LBB102_1191:
	s_andn2_b64 vcc, exec, s[2:3]
	s_cbranch_vccnz .LBB102_1193
; %bb.1192:
	global_load_ubyte v3, v[0:1], off
	s_movk_i32 s2, 0x7f00
	s_brev_b32 s3, 16
	s_waitcnt vmcnt(0)
	v_lshlrev_b16_e32 v4, 8, v3
	v_lshlrev_b32_e32 v3, 25, v3
	v_lshrrev_b32_e32 v5, 4, v3
	v_and_or_b32 v7, v4, s2, 0.5
	v_or_b32_e32 v5, 0x70000000, v5
	v_add_f32_e32 v7, -0.5, v7
	v_mul_f32_e32 v5, 0x7800000, v5
	v_cmp_gt_u32_e32 vcc, s3, v3
	v_bfe_i32 v4, v4, 0, 16
	v_cndmask_b32_e32 v3, v5, v7, vcc
	s_brev_b32 s2, 1
	v_and_or_b32 v3, v4, s2, v3
	v_cvt_i32_f32_e32 v4, v3
.LBB102_1193:
	s_mov_b64 s[2:3], 0
	s_mov_b64 s[18:19], -1
.LBB102_1194:
	s_andn2_b64 vcc, exec, s[2:3]
	s_mov_b64 s[2:3], 0
	s_cbranch_vccnz .LBB102_1205
; %bb.1195:
	s_cmp_gt_i32 s14, 14
	s_cbranch_scc0 .LBB102_1198
; %bb.1196:
	s_cmp_eq_u32 s14, 15
	s_cbranch_scc0 .LBB102_1201
; %bb.1197:
	global_load_ushort v3, v[0:1], off
	s_mov_b64 s[0:1], 0
	s_mov_b64 s[18:19], -1
	s_waitcnt vmcnt(0)
	v_lshlrev_b32_e32 v3, 16, v3
	v_cvt_i32_f32_e32 v4, v3
	s_branch .LBB102_1202
.LBB102_1198:
	s_mov_b64 s[20:21], -1
                                        ; implicit-def: $vgpr4
	s_branch .LBB102_1203
.LBB102_1199:
	s_andn2_saveexec_b64 s[2:3], s[2:3]
	s_cbranch_execz .LBB102_1180
.LBB102_1200:
	v_cmp_ne_u16_e32 vcc, 0, v3
	s_andn2_b64 s[18:19], s[18:19], exec
	s_and_b64 s[20:21], vcc, exec
	s_or_b64 s[18:19], s[18:19], s[20:21]
	s_or_b64 exec, exec, s[2:3]
	v_mov_b32_e32 v4, 0
	s_and_saveexec_b64 s[2:3], s[18:19]
	s_cbranch_execnz .LBB102_1181
	s_branch .LBB102_1182
.LBB102_1201:
	s_mov_b64 s[0:1], -1
                                        ; implicit-def: $vgpr4
.LBB102_1202:
	s_mov_b64 s[20:21], 0
.LBB102_1203:
	s_and_b64 vcc, exec, s[20:21]
	s_cbranch_vccz .LBB102_1205
; %bb.1204:
	s_cmp_lg_u32 s14, 11
	s_mov_b64 s[2:3], -1
	s_cselect_b64 s[0:1], -1, 0
.LBB102_1205:
	s_and_b64 vcc, exec, s[0:1]
	s_cbranch_vccnz .LBB102_1268
; %bb.1206:
	s_andn2_b64 vcc, exec, s[2:3]
	s_cbranch_vccnz .LBB102_1208
.LBB102_1207:
	global_load_ubyte v3, v[0:1], off
	s_mov_b64 s[18:19], -1
	s_waitcnt vmcnt(0)
	v_cmp_ne_u16_e32 vcc, 0, v3
	v_cndmask_b32_e64 v4, 0, 1, vcc
.LBB102_1208:
	s_branch .LBB102_1139
.LBB102_1209:
	s_cmp_lt_i32 s14, 5
	s_cbranch_scc1 .LBB102_1214
; %bb.1210:
	s_cmp_lt_i32 s14, 8
	s_cbranch_scc1 .LBB102_1215
; %bb.1211:
	;; [unrolled: 3-line block ×3, first 2 shown]
	s_cmp_gt_i32 s14, 9
	s_cbranch_scc0 .LBB102_1217
; %bb.1213:
	global_load_dwordx2 v[3:4], v[0:1], off
	s_mov_b64 s[0:1], 0
	s_waitcnt vmcnt(0)
	v_cvt_i32_f64_e32 v4, v[3:4]
	s_branch .LBB102_1218
.LBB102_1214:
                                        ; implicit-def: $vgpr4
	s_branch .LBB102_1236
.LBB102_1215:
	s_mov_b64 s[0:1], -1
                                        ; implicit-def: $vgpr4
	s_branch .LBB102_1224
.LBB102_1216:
	s_mov_b64 s[0:1], -1
                                        ; implicit-def: $vgpr4
	s_branch .LBB102_1221
.LBB102_1217:
	s_mov_b64 s[0:1], -1
                                        ; implicit-def: $vgpr4
.LBB102_1218:
	s_andn2_b64 vcc, exec, s[0:1]
	s_cbranch_vccnz .LBB102_1220
; %bb.1219:
	global_load_dword v3, v[0:1], off
	s_waitcnt vmcnt(0)
	v_cvt_i32_f32_e32 v4, v3
.LBB102_1220:
	s_mov_b64 s[0:1], 0
.LBB102_1221:
	s_andn2_b64 vcc, exec, s[0:1]
	s_cbranch_vccnz .LBB102_1223
; %bb.1222:
	global_load_dword v3, v[0:1], off
	s_waitcnt vmcnt(0)
	v_cvt_i16_f16_e32 v4, v3
.LBB102_1223:
	s_mov_b64 s[0:1], 0
.LBB102_1224:
	s_andn2_b64 vcc, exec, s[0:1]
	s_cbranch_vccnz .LBB102_1235
; %bb.1225:
	s_cmp_lt_i32 s14, 6
	s_cbranch_scc1 .LBB102_1228
; %bb.1226:
	s_cmp_gt_i32 s14, 6
	s_cbranch_scc0 .LBB102_1229
; %bb.1227:
	global_load_dwordx2 v[3:4], v[0:1], off
	s_mov_b64 s[0:1], 0
	s_waitcnt vmcnt(0)
	v_cvt_i32_f64_e32 v4, v[3:4]
	s_branch .LBB102_1230
.LBB102_1228:
	s_mov_b64 s[0:1], -1
                                        ; implicit-def: $vgpr4
	s_branch .LBB102_1233
.LBB102_1229:
	s_mov_b64 s[0:1], -1
                                        ; implicit-def: $vgpr4
.LBB102_1230:
	s_andn2_b64 vcc, exec, s[0:1]
	s_cbranch_vccnz .LBB102_1232
; %bb.1231:
	global_load_dword v3, v[0:1], off
	s_waitcnt vmcnt(0)
	v_cvt_i32_f32_e32 v4, v3
.LBB102_1232:
	s_mov_b64 s[0:1], 0
.LBB102_1233:
	s_andn2_b64 vcc, exec, s[0:1]
	s_cbranch_vccnz .LBB102_1235
; %bb.1234:
	global_load_ushort v3, v[0:1], off
	s_waitcnt vmcnt(0)
	v_cvt_i16_f16_e32 v4, v3
.LBB102_1235:
	s_cbranch_execnz .LBB102_1255
.LBB102_1236:
	s_cmp_lt_i32 s14, 2
	s_cbranch_scc1 .LBB102_1240
; %bb.1237:
	s_cmp_lt_i32 s14, 3
	s_cbranch_scc1 .LBB102_1241
; %bb.1238:
	s_cmp_gt_i32 s14, 3
	s_cbranch_scc0 .LBB102_1242
; %bb.1239:
	global_load_dwordx2 v[4:5], v[0:1], off
	s_mov_b64 s[0:1], 0
	s_branch .LBB102_1243
.LBB102_1240:
	s_mov_b64 s[0:1], -1
                                        ; implicit-def: $vgpr4
	s_branch .LBB102_1249
.LBB102_1241:
	s_mov_b64 s[0:1], -1
                                        ; implicit-def: $vgpr4
	s_branch .LBB102_1246
.LBB102_1242:
	s_mov_b64 s[0:1], -1
                                        ; implicit-def: $vgpr4
.LBB102_1243:
	s_andn2_b64 vcc, exec, s[0:1]
	s_cbranch_vccnz .LBB102_1245
; %bb.1244:
	global_load_dword v4, v[0:1], off
.LBB102_1245:
	s_mov_b64 s[0:1], 0
.LBB102_1246:
	s_andn2_b64 vcc, exec, s[0:1]
	s_cbranch_vccnz .LBB102_1248
; %bb.1247:
	global_load_ushort v4, v[0:1], off
.LBB102_1248:
	s_mov_b64 s[0:1], 0
.LBB102_1249:
	s_andn2_b64 vcc, exec, s[0:1]
	s_cbranch_vccnz .LBB102_1255
; %bb.1250:
	s_cmp_gt_i32 s14, 0
	s_cbranch_scc0 .LBB102_1252
; %bb.1251:
	global_load_sbyte v4, v[0:1], off
	s_mov_b64 s[0:1], 0
	s_branch .LBB102_1253
.LBB102_1252:
	s_mov_b64 s[0:1], -1
                                        ; implicit-def: $vgpr4
.LBB102_1253:
	s_andn2_b64 vcc, exec, s[0:1]
	s_cbranch_vccnz .LBB102_1255
; %bb.1254:
	global_load_ubyte v4, v[0:1], off
.LBB102_1255:
.LBB102_1256:
	s_waitcnt vmcnt(0)
	v_add_u32_e32 v5, s13, v2
	v_ashrrev_i32_e32 v1, 31, v5
	v_mov_b32_e32 v2, s11
	v_add_co_u32_e32 v0, vcc, s10, v5
	s_cmp_lt_i32 s14, 11
	v_addc_co_u32_e32 v1, vcc, v2, v1, vcc
	s_cbranch_scc1 .LBB102_1263
; %bb.1257:
	s_cmp_gt_i32 s14, 25
	s_mov_b64 s[2:3], 0
	s_cbranch_scc0 .LBB102_1265
; %bb.1258:
	s_cmp_gt_i32 s14, 28
	s_cbranch_scc0 .LBB102_1266
; %bb.1259:
	s_cmp_gt_i32 s14, 43
	;; [unrolled: 3-line block ×3, first 2 shown]
	s_cbranch_scc0 .LBB102_1269
; %bb.1261:
	s_cmp_eq_u32 s14, 46
	s_mov_b64 s[20:21], 0
	s_cbranch_scc0 .LBB102_1270
; %bb.1262:
	global_load_dword v2, v[0:1], off
	s_mov_b64 s[0:1], 0
	s_mov_b64 s[18:19], -1
	s_waitcnt vmcnt(0)
	v_lshlrev_b32_e32 v2, 16, v2
	v_cvt_i32_f32_e32 v2, v2
	s_branch .LBB102_1271
.LBB102_1263:
	s_mov_b64 s[18:19], 0
                                        ; implicit-def: $vgpr2
	s_cbranch_execnz .LBB102_1333
.LBB102_1264:
	s_andn2_b64 vcc, exec, s[18:19]
	s_cbranch_vccnz .LBB102_1940
	s_branch .LBB102_1381
.LBB102_1265:
	s_mov_b64 s[20:21], -1
	s_mov_b64 s[18:19], 0
	s_mov_b64 s[0:1], 0
                                        ; implicit-def: $vgpr2
	s_branch .LBB102_1298
.LBB102_1266:
	s_mov_b64 s[20:21], -1
	s_mov_b64 s[18:19], 0
	s_mov_b64 s[0:1], 0
                                        ; implicit-def: $vgpr2
	s_branch .LBB102_1281
.LBB102_1267:
	s_mov_b64 s[20:21], -1
	s_mov_b64 s[18:19], 0
	s_mov_b64 s[0:1], 0
                                        ; implicit-def: $vgpr2
	s_branch .LBB102_1276
.LBB102_1268:
	s_trap 2
	s_or_b64 s[16:17], s[16:17], exec
	s_cbranch_execz .LBB102_1207
	s_branch .LBB102_1208
.LBB102_1269:
	s_mov_b64 s[20:21], -1
	s_mov_b64 s[18:19], 0
	s_mov_b64 s[0:1], 0
                                        ; implicit-def: $vgpr2
	s_branch .LBB102_1271
.LBB102_1270:
	s_mov_b64 s[0:1], -1
                                        ; implicit-def: $vgpr2
	s_mov_b64 s[18:19], 0
.LBB102_1271:
	s_and_b64 vcc, exec, s[20:21]
	s_cbranch_vccz .LBB102_1275
; %bb.1272:
	s_cmp_eq_u32 s14, 44
	s_cbranch_scc0 .LBB102_1274
; %bb.1273:
	global_load_ubyte v2, v[0:1], off
	s_mov_b64 s[0:1], 0
	s_mov_b64 s[18:19], -1
	s_waitcnt vmcnt(0)
	v_lshlrev_b32_e32 v3, 23, v2
	v_cvt_i32_f32_e32 v3, v3
	v_cmp_ne_u32_e32 vcc, 0, v2
	v_cndmask_b32_e32 v2, 0, v3, vcc
	s_branch .LBB102_1275
.LBB102_1274:
	s_mov_b64 s[0:1], -1
                                        ; implicit-def: $vgpr2
.LBB102_1275:
	s_mov_b64 s[20:21], 0
.LBB102_1276:
	s_and_b64 vcc, exec, s[20:21]
	s_cbranch_vccz .LBB102_1280
; %bb.1277:
	s_cmp_eq_u32 s14, 29
	s_cbranch_scc0 .LBB102_1279
; %bb.1278:
	global_load_dwordx2 v[2:3], v[0:1], off
	s_mov_b64 s[0:1], 0
	s_mov_b64 s[18:19], -1
	s_branch .LBB102_1280
.LBB102_1279:
	s_mov_b64 s[0:1], -1
                                        ; implicit-def: $vgpr2
.LBB102_1280:
	s_mov_b64 s[20:21], 0
.LBB102_1281:
	s_and_b64 vcc, exec, s[20:21]
	s_cbranch_vccz .LBB102_1297
; %bb.1282:
	s_cmp_lt_i32 s14, 27
	s_cbranch_scc1 .LBB102_1285
; %bb.1283:
	s_cmp_gt_i32 s14, 27
	s_cbranch_scc0 .LBB102_1286
; %bb.1284:
	global_load_dword v2, v[0:1], off
	s_mov_b64 s[18:19], 0
	s_branch .LBB102_1287
.LBB102_1285:
	s_mov_b64 s[18:19], -1
                                        ; implicit-def: $vgpr2
	s_branch .LBB102_1290
.LBB102_1286:
	s_mov_b64 s[18:19], -1
                                        ; implicit-def: $vgpr2
.LBB102_1287:
	s_andn2_b64 vcc, exec, s[18:19]
	s_cbranch_vccnz .LBB102_1289
; %bb.1288:
	global_load_ushort v2, v[0:1], off
.LBB102_1289:
	s_mov_b64 s[18:19], 0
.LBB102_1290:
	s_andn2_b64 vcc, exec, s[18:19]
	s_cbranch_vccnz .LBB102_1296
; %bb.1291:
	global_load_ubyte v3, v[0:1], off
	s_movk_i32 s18, 0x7f
	s_mov_b64 s[20:21], 0
	s_waitcnt vmcnt(0)
	v_cmp_lt_i16_e32 vcc, s18, v3
	s_and_saveexec_b64 s[18:19], vcc
	s_xor_b64 s[18:19], exec, s[18:19]
	s_cbranch_execz .LBB102_1308
; %bb.1292:
	s_movk_i32 s20, 0x80
	v_cmp_ne_u16_e32 vcc, s20, v3
	s_and_b64 s[20:21], vcc, exec
	s_andn2_saveexec_b64 s[18:19], s[18:19]
	s_cbranch_execnz .LBB102_1309
.LBB102_1293:
	s_or_b64 exec, exec, s[18:19]
	v_mov_b32_e32 v2, 0
	s_and_saveexec_b64 s[18:19], s[20:21]
	s_cbranch_execz .LBB102_1295
.LBB102_1294:
	v_lshlrev_b32_e32 v2, 24, v3
	v_and_b32_e32 v3, 0xffff, v3
	v_and_b32_e32 v7, 7, v3
	v_ffbh_u32_e32 v10, v7
	v_min_u32_e32 v10, 32, v10
	v_subrev_u32_e32 v11, 28, v10
	v_bfe_u32 v8, v3, 3, 4
	v_lshlrev_b32_e32 v3, v11, v3
	v_sub_u32_e32 v10, 29, v10
	v_and_b32_e32 v3, 7, v3
	v_cmp_eq_u32_e32 vcc, 0, v8
	v_cndmask_b32_e32 v8, v8, v10, vcc
	v_cndmask_b32_e32 v3, v7, v3, vcc
	v_mov_b32_e32 v7, 0x3b800000
	v_lshlrev_b32_e32 v3, 20, v3
	v_and_b32_e32 v2, 0x80000000, v2
	v_lshl_add_u32 v7, v8, 23, v7
	v_or3_b32 v2, v2, v7, v3
	v_cvt_i32_f32_e32 v2, v2
.LBB102_1295:
	s_or_b64 exec, exec, s[18:19]
.LBB102_1296:
	s_mov_b64 s[18:19], -1
.LBB102_1297:
	s_mov_b64 s[20:21], 0
.LBB102_1298:
	s_and_b64 vcc, exec, s[20:21]
	s_cbranch_vccz .LBB102_1329
; %bb.1299:
	s_cmp_gt_i32 s14, 22
	s_cbranch_scc0 .LBB102_1307
; %bb.1300:
	s_cmp_lt_i32 s14, 24
	s_cbranch_scc1 .LBB102_1310
; %bb.1301:
	s_cmp_gt_i32 s14, 24
	s_cbranch_scc0 .LBB102_1311
; %bb.1302:
	global_load_ubyte v3, v[0:1], off
	s_movk_i32 s2, 0x7f
	s_mov_b64 s[18:19], 0
	s_waitcnt vmcnt(0)
	v_cmp_lt_i16_e32 vcc, s2, v3
	s_and_saveexec_b64 s[2:3], vcc
	s_xor_b64 s[2:3], exec, s[2:3]
	s_cbranch_execz .LBB102_1323
; %bb.1303:
	s_movk_i32 s18, 0x80
	v_cmp_ne_u16_e32 vcc, s18, v3
	s_and_b64 s[18:19], vcc, exec
	s_andn2_saveexec_b64 s[2:3], s[2:3]
	s_cbranch_execnz .LBB102_1324
.LBB102_1304:
	s_or_b64 exec, exec, s[2:3]
	v_mov_b32_e32 v2, 0
	s_and_saveexec_b64 s[2:3], s[18:19]
	s_cbranch_execz .LBB102_1306
.LBB102_1305:
	v_lshlrev_b32_e32 v2, 24, v3
	v_and_b32_e32 v3, 0xffff, v3
	v_and_b32_e32 v7, 3, v3
	v_ffbh_u32_e32 v10, v7
	v_min_u32_e32 v10, 32, v10
	v_subrev_u32_e32 v11, 29, v10
	v_bfe_u32 v8, v3, 2, 5
	v_lshlrev_b32_e32 v3, v11, v3
	v_sub_u32_e32 v10, 30, v10
	v_and_b32_e32 v3, 3, v3
	v_cmp_eq_u32_e32 vcc, 0, v8
	v_cndmask_b32_e32 v8, v8, v10, vcc
	v_cndmask_b32_e32 v3, v7, v3, vcc
	v_mov_b32_e32 v7, 0x37800000
	v_lshlrev_b32_e32 v3, 21, v3
	v_and_b32_e32 v2, 0x80000000, v2
	v_lshl_add_u32 v7, v8, 23, v7
	v_or3_b32 v2, v2, v7, v3
	v_cvt_i32_f32_e32 v2, v2
.LBB102_1306:
	s_or_b64 exec, exec, s[2:3]
	s_mov_b64 s[2:3], 0
	s_branch .LBB102_1312
.LBB102_1307:
	s_mov_b64 s[2:3], -1
                                        ; implicit-def: $vgpr2
	s_branch .LBB102_1318
.LBB102_1308:
	s_andn2_saveexec_b64 s[18:19], s[18:19]
	s_cbranch_execz .LBB102_1293
.LBB102_1309:
	v_cmp_ne_u16_e32 vcc, 0, v3
	s_andn2_b64 s[20:21], s[20:21], exec
	s_and_b64 s[22:23], vcc, exec
	s_or_b64 s[20:21], s[20:21], s[22:23]
	s_or_b64 exec, exec, s[18:19]
	v_mov_b32_e32 v2, 0
	s_and_saveexec_b64 s[18:19], s[20:21]
	s_cbranch_execnz .LBB102_1294
	s_branch .LBB102_1295
.LBB102_1310:
	s_mov_b64 s[2:3], -1
                                        ; implicit-def: $vgpr2
	s_branch .LBB102_1315
.LBB102_1311:
	s_mov_b64 s[2:3], -1
                                        ; implicit-def: $vgpr2
.LBB102_1312:
	s_and_b64 vcc, exec, s[2:3]
	s_cbranch_vccz .LBB102_1314
; %bb.1313:
	global_load_ubyte v2, v[0:1], off
	s_mov_b32 s2, 0x7f800000
	s_waitcnt vmcnt(0)
	v_lshlrev_b32_e32 v2, 24, v2
	v_and_b32_e32 v3, 0x7f000000, v2
	v_ffbh_u32_e32 v7, v3
	v_min_u32_e32 v7, 32, v7
	v_sub_u32_e64 v7, v7, 4 clamp
	v_lshlrev_b32_e32 v10, v7, v3
	v_lshlrev_b32_e32 v7, 23, v7
	v_lshrrev_b32_e32 v10, 4, v10
	v_add_u32_e32 v8, 0x1000000, v3
	v_sub_u32_e32 v7, v10, v7
	v_ashrrev_i32_e32 v8, 8, v8
	v_add_u32_e32 v7, 0x3c000000, v7
	v_and_or_b32 v7, v8, s2, v7
	v_cmp_ne_u32_e32 vcc, 0, v3
	v_cndmask_b32_e32 v3, 0, v7, vcc
	s_brev_b32 s2, 1
	v_and_or_b32 v2, v2, s2, v3
	v_cvt_i32_f32_e32 v2, v2
.LBB102_1314:
	s_mov_b64 s[2:3], 0
.LBB102_1315:
	s_andn2_b64 vcc, exec, s[2:3]
	s_cbranch_vccnz .LBB102_1317
; %bb.1316:
	global_load_ubyte v2, v[0:1], off
	s_movk_i32 s2, 0x7f00
	s_brev_b32 s3, 16
	s_waitcnt vmcnt(0)
	v_lshlrev_b16_e32 v3, 8, v2
	v_lshlrev_b32_e32 v2, 25, v2
	v_lshrrev_b32_e32 v7, 4, v2
	v_and_or_b32 v8, v3, s2, 0.5
	v_or_b32_e32 v7, 0x70000000, v7
	v_add_f32_e32 v8, -0.5, v8
	v_mul_f32_e32 v7, 0x7800000, v7
	v_cmp_gt_u32_e32 vcc, s3, v2
	v_bfe_i32 v3, v3, 0, 16
	v_cndmask_b32_e32 v2, v7, v8, vcc
	s_brev_b32 s2, 1
	v_and_or_b32 v2, v3, s2, v2
	v_cvt_i32_f32_e32 v2, v2
.LBB102_1317:
	s_mov_b64 s[2:3], 0
	s_mov_b64 s[18:19], -1
.LBB102_1318:
	s_andn2_b64 vcc, exec, s[2:3]
	s_mov_b64 s[2:3], 0
	s_cbranch_vccnz .LBB102_1329
; %bb.1319:
	s_cmp_gt_i32 s14, 14
	s_cbranch_scc0 .LBB102_1322
; %bb.1320:
	s_cmp_eq_u32 s14, 15
	s_cbranch_scc0 .LBB102_1325
; %bb.1321:
	global_load_ushort v2, v[0:1], off
	s_mov_b64 s[0:1], 0
	s_mov_b64 s[18:19], -1
	s_waitcnt vmcnt(0)
	v_lshlrev_b32_e32 v2, 16, v2
	v_cvt_i32_f32_e32 v2, v2
	s_branch .LBB102_1326
.LBB102_1322:
	s_mov_b64 s[20:21], -1
                                        ; implicit-def: $vgpr2
	s_branch .LBB102_1327
.LBB102_1323:
	s_andn2_saveexec_b64 s[2:3], s[2:3]
	s_cbranch_execz .LBB102_1304
.LBB102_1324:
	v_cmp_ne_u16_e32 vcc, 0, v3
	s_andn2_b64 s[18:19], s[18:19], exec
	s_and_b64 s[20:21], vcc, exec
	s_or_b64 s[18:19], s[18:19], s[20:21]
	s_or_b64 exec, exec, s[2:3]
	v_mov_b32_e32 v2, 0
	s_and_saveexec_b64 s[2:3], s[18:19]
	s_cbranch_execnz .LBB102_1305
	s_branch .LBB102_1306
.LBB102_1325:
	s_mov_b64 s[0:1], -1
                                        ; implicit-def: $vgpr2
.LBB102_1326:
	s_mov_b64 s[20:21], 0
.LBB102_1327:
	s_and_b64 vcc, exec, s[20:21]
	s_cbranch_vccz .LBB102_1329
; %bb.1328:
	s_cmp_lg_u32 s14, 11
	s_mov_b64 s[2:3], -1
	s_cselect_b64 s[0:1], -1, 0
.LBB102_1329:
	s_and_b64 vcc, exec, s[0:1]
	s_cbranch_vccnz .LBB102_1392
; %bb.1330:
	s_andn2_b64 vcc, exec, s[2:3]
	s_cbranch_vccnz .LBB102_1332
.LBB102_1331:
	global_load_ubyte v2, v[0:1], off
	s_mov_b64 s[18:19], -1
	s_waitcnt vmcnt(0)
	v_cmp_ne_u16_e32 vcc, 0, v2
	v_cndmask_b32_e64 v2, 0, 1, vcc
.LBB102_1332:
	s_branch .LBB102_1264
.LBB102_1333:
	s_cmp_lt_i32 s14, 5
	s_cbranch_scc1 .LBB102_1338
; %bb.1334:
	s_cmp_lt_i32 s14, 8
	s_cbranch_scc1 .LBB102_1339
; %bb.1335:
	;; [unrolled: 3-line block ×3, first 2 shown]
	s_cmp_gt_i32 s14, 9
	s_cbranch_scc0 .LBB102_1341
; %bb.1337:
	global_load_dwordx2 v[2:3], v[0:1], off
	s_mov_b64 s[0:1], 0
	s_waitcnt vmcnt(0)
	v_cvt_i32_f64_e32 v2, v[2:3]
	s_branch .LBB102_1342
.LBB102_1338:
	s_mov_b64 s[0:1], -1
                                        ; implicit-def: $vgpr2
	s_branch .LBB102_1360
.LBB102_1339:
	s_mov_b64 s[0:1], -1
                                        ; implicit-def: $vgpr2
	s_branch .LBB102_1348
.LBB102_1340:
	s_mov_b64 s[0:1], -1
                                        ; implicit-def: $vgpr2
	s_branch .LBB102_1345
.LBB102_1341:
	s_mov_b64 s[0:1], -1
                                        ; implicit-def: $vgpr2
.LBB102_1342:
	s_andn2_b64 vcc, exec, s[0:1]
	s_cbranch_vccnz .LBB102_1344
; %bb.1343:
	global_load_dword v2, v[0:1], off
	s_waitcnt vmcnt(0)
	v_cvt_i32_f32_e32 v2, v2
.LBB102_1344:
	s_mov_b64 s[0:1], 0
.LBB102_1345:
	s_andn2_b64 vcc, exec, s[0:1]
	s_cbranch_vccnz .LBB102_1347
; %bb.1346:
	global_load_dword v2, v[0:1], off
	s_waitcnt vmcnt(0)
	v_cvt_i16_f16_e32 v2, v2
.LBB102_1347:
	s_mov_b64 s[0:1], 0
.LBB102_1348:
	s_andn2_b64 vcc, exec, s[0:1]
	s_cbranch_vccnz .LBB102_1359
; %bb.1349:
	s_cmp_lt_i32 s14, 6
	s_cbranch_scc1 .LBB102_1352
; %bb.1350:
	s_cmp_gt_i32 s14, 6
	s_cbranch_scc0 .LBB102_1353
; %bb.1351:
	global_load_dwordx2 v[2:3], v[0:1], off
	s_mov_b64 s[0:1], 0
	s_waitcnt vmcnt(0)
	v_cvt_i32_f64_e32 v2, v[2:3]
	s_branch .LBB102_1354
.LBB102_1352:
	s_mov_b64 s[0:1], -1
                                        ; implicit-def: $vgpr2
	s_branch .LBB102_1357
.LBB102_1353:
	s_mov_b64 s[0:1], -1
                                        ; implicit-def: $vgpr2
.LBB102_1354:
	s_andn2_b64 vcc, exec, s[0:1]
	s_cbranch_vccnz .LBB102_1356
; %bb.1355:
	global_load_dword v2, v[0:1], off
	s_waitcnt vmcnt(0)
	v_cvt_i32_f32_e32 v2, v2
.LBB102_1356:
	s_mov_b64 s[0:1], 0
.LBB102_1357:
	s_andn2_b64 vcc, exec, s[0:1]
	s_cbranch_vccnz .LBB102_1359
; %bb.1358:
	global_load_ushort v2, v[0:1], off
	s_waitcnt vmcnt(0)
	v_cvt_i16_f16_e32 v2, v2
.LBB102_1359:
	s_mov_b64 s[0:1], 0
.LBB102_1360:
	s_andn2_b64 vcc, exec, s[0:1]
	s_cbranch_vccnz .LBB102_1380
; %bb.1361:
	s_cmp_lt_i32 s14, 2
	s_cbranch_scc1 .LBB102_1365
; %bb.1362:
	s_cmp_lt_i32 s14, 3
	s_cbranch_scc1 .LBB102_1366
; %bb.1363:
	s_cmp_gt_i32 s14, 3
	s_cbranch_scc0 .LBB102_1367
; %bb.1364:
	global_load_dwordx2 v[2:3], v[0:1], off
	s_mov_b64 s[0:1], 0
	s_branch .LBB102_1368
.LBB102_1365:
	s_mov_b64 s[0:1], -1
                                        ; implicit-def: $vgpr2
	s_branch .LBB102_1374
.LBB102_1366:
	s_mov_b64 s[0:1], -1
                                        ; implicit-def: $vgpr2
	s_branch .LBB102_1371
.LBB102_1367:
	s_mov_b64 s[0:1], -1
                                        ; implicit-def: $vgpr2
.LBB102_1368:
	s_andn2_b64 vcc, exec, s[0:1]
	s_cbranch_vccnz .LBB102_1370
; %bb.1369:
	global_load_dword v2, v[0:1], off
.LBB102_1370:
	s_mov_b64 s[0:1], 0
.LBB102_1371:
	s_andn2_b64 vcc, exec, s[0:1]
	s_cbranch_vccnz .LBB102_1373
; %bb.1372:
	global_load_ushort v2, v[0:1], off
.LBB102_1373:
	s_mov_b64 s[0:1], 0
.LBB102_1374:
	s_andn2_b64 vcc, exec, s[0:1]
	s_cbranch_vccnz .LBB102_1380
; %bb.1375:
	s_cmp_gt_i32 s14, 0
	s_cbranch_scc0 .LBB102_1377
; %bb.1376:
	global_load_sbyte v2, v[0:1], off
	s_mov_b64 s[0:1], 0
	s_branch .LBB102_1378
.LBB102_1377:
	s_mov_b64 s[0:1], -1
                                        ; implicit-def: $vgpr2
.LBB102_1378:
	s_andn2_b64 vcc, exec, s[0:1]
	s_cbranch_vccnz .LBB102_1380
; %bb.1379:
	global_load_ubyte v2, v[0:1], off
.LBB102_1380:
.LBB102_1381:
	v_add_u32_e32 v0, s13, v5
	v_ashrrev_i32_e32 v1, 31, v0
	s_waitcnt vmcnt(0)
	v_mov_b32_e32 v3, s11
	v_add_co_u32_e32 v7, vcc, s10, v0
	s_cmp_lt_i32 s14, 11
	v_addc_co_u32_e32 v8, vcc, v3, v1, vcc
	s_cbranch_scc1 .LBB102_1388
; %bb.1382:
	s_cmp_gt_i32 s14, 25
	s_mov_b64 s[2:3], 0
	s_cbranch_scc0 .LBB102_1389
; %bb.1383:
	s_cmp_gt_i32 s14, 28
	s_cbranch_scc0 .LBB102_1390
; %bb.1384:
	s_cmp_gt_i32 s14, 43
	;; [unrolled: 3-line block ×3, first 2 shown]
	s_cbranch_scc0 .LBB102_1393
; %bb.1386:
	s_cmp_eq_u32 s14, 46
	s_mov_b64 s[18:19], 0
	s_cbranch_scc0 .LBB102_1394
; %bb.1387:
	global_load_dword v0, v[7:8], off
	s_mov_b64 s[0:1], 0
	s_mov_b64 s[10:11], -1
	s_waitcnt vmcnt(0)
	v_lshlrev_b32_e32 v0, 16, v0
	v_cvt_i32_f32_e32 v0, v0
	s_branch .LBB102_1395
.LBB102_1388:
	s_mov_b64 s[0:1], -1
	s_mov_b64 s[10:11], 0
                                        ; implicit-def: $vgpr0
	s_branch .LBB102_1457
.LBB102_1389:
	s_mov_b64 s[18:19], -1
	s_mov_b64 s[10:11], 0
	s_mov_b64 s[0:1], 0
                                        ; implicit-def: $vgpr0
	s_branch .LBB102_1422
.LBB102_1390:
	s_mov_b64 s[18:19], -1
	s_mov_b64 s[10:11], 0
	s_mov_b64 s[0:1], 0
                                        ; implicit-def: $vgpr0
	s_branch .LBB102_1405
.LBB102_1391:
	s_mov_b64 s[18:19], -1
	s_mov_b64 s[10:11], 0
	s_mov_b64 s[0:1], 0
                                        ; implicit-def: $vgpr0
	s_branch .LBB102_1400
.LBB102_1392:
	s_trap 2
	s_or_b64 s[16:17], s[16:17], exec
	s_cbranch_execz .LBB102_1331
	s_branch .LBB102_1332
.LBB102_1393:
	s_mov_b64 s[18:19], -1
	s_mov_b64 s[10:11], 0
	s_mov_b64 s[0:1], 0
                                        ; implicit-def: $vgpr0
	s_branch .LBB102_1395
.LBB102_1394:
	s_mov_b64 s[0:1], -1
                                        ; implicit-def: $vgpr0
	s_mov_b64 s[10:11], 0
.LBB102_1395:
	s_and_b64 vcc, exec, s[18:19]
	s_cbranch_vccz .LBB102_1399
; %bb.1396:
	s_cmp_eq_u32 s14, 44
	s_cbranch_scc0 .LBB102_1398
; %bb.1397:
	global_load_ubyte v0, v[7:8], off
	s_mov_b64 s[0:1], 0
	s_mov_b64 s[10:11], -1
	s_waitcnt vmcnt(0)
	v_lshlrev_b32_e32 v1, 23, v0
	v_cvt_i32_f32_e32 v1, v1
	v_cmp_ne_u32_e32 vcc, 0, v0
	v_cndmask_b32_e32 v0, 0, v1, vcc
	s_branch .LBB102_1399
.LBB102_1398:
	s_mov_b64 s[0:1], -1
                                        ; implicit-def: $vgpr0
.LBB102_1399:
	s_mov_b64 s[18:19], 0
.LBB102_1400:
	s_and_b64 vcc, exec, s[18:19]
	s_cbranch_vccz .LBB102_1404
; %bb.1401:
	s_cmp_eq_u32 s14, 29
	s_cbranch_scc0 .LBB102_1403
; %bb.1402:
	global_load_dwordx2 v[0:1], v[7:8], off
	s_mov_b64 s[0:1], 0
	s_mov_b64 s[10:11], -1
	s_branch .LBB102_1404
.LBB102_1403:
	s_mov_b64 s[0:1], -1
                                        ; implicit-def: $vgpr0
.LBB102_1404:
	s_mov_b64 s[18:19], 0
.LBB102_1405:
	s_and_b64 vcc, exec, s[18:19]
	s_cbranch_vccz .LBB102_1421
; %bb.1406:
	s_cmp_lt_i32 s14, 27
	s_cbranch_scc1 .LBB102_1409
; %bb.1407:
	s_cmp_gt_i32 s14, 27
	s_cbranch_scc0 .LBB102_1410
; %bb.1408:
	global_load_dword v0, v[7:8], off
	s_mov_b64 s[10:11], 0
	s_branch .LBB102_1411
.LBB102_1409:
	s_mov_b64 s[10:11], -1
                                        ; implicit-def: $vgpr0
	s_branch .LBB102_1414
.LBB102_1410:
	s_mov_b64 s[10:11], -1
                                        ; implicit-def: $vgpr0
.LBB102_1411:
	s_andn2_b64 vcc, exec, s[10:11]
	s_cbranch_vccnz .LBB102_1413
; %bb.1412:
	global_load_ushort v0, v[7:8], off
.LBB102_1413:
	s_mov_b64 s[10:11], 0
.LBB102_1414:
	s_andn2_b64 vcc, exec, s[10:11]
	s_cbranch_vccnz .LBB102_1420
; %bb.1415:
	global_load_ubyte v1, v[7:8], off
	s_movk_i32 s10, 0x7f
	s_mov_b64 s[18:19], 0
	s_waitcnt vmcnt(0)
	v_cmp_lt_i16_e32 vcc, s10, v1
	s_and_saveexec_b64 s[10:11], vcc
	s_xor_b64 s[10:11], exec, s[10:11]
	s_cbranch_execz .LBB102_1432
; %bb.1416:
	s_movk_i32 s13, 0x80
	v_cmp_ne_u16_e32 vcc, s13, v1
	s_and_b64 s[18:19], vcc, exec
	s_andn2_saveexec_b64 s[10:11], s[10:11]
	s_cbranch_execnz .LBB102_1433
.LBB102_1417:
	s_or_b64 exec, exec, s[10:11]
	v_mov_b32_e32 v0, 0
	s_and_saveexec_b64 s[10:11], s[18:19]
	s_cbranch_execz .LBB102_1419
.LBB102_1418:
	v_lshlrev_b32_e32 v0, 24, v1
	v_and_b32_e32 v1, 0xffff, v1
	v_and_b32_e32 v3, 7, v1
	v_ffbh_u32_e32 v10, v3
	v_min_u32_e32 v10, 32, v10
	v_subrev_u32_e32 v11, 28, v10
	v_bfe_u32 v5, v1, 3, 4
	v_lshlrev_b32_e32 v1, v11, v1
	v_sub_u32_e32 v10, 29, v10
	v_and_b32_e32 v1, 7, v1
	v_cmp_eq_u32_e32 vcc, 0, v5
	v_cndmask_b32_e32 v5, v5, v10, vcc
	v_cndmask_b32_e32 v1, v3, v1, vcc
	v_mov_b32_e32 v3, 0x3b800000
	v_lshlrev_b32_e32 v1, 20, v1
	v_and_b32_e32 v0, 0x80000000, v0
	v_lshl_add_u32 v3, v5, 23, v3
	v_or3_b32 v0, v0, v3, v1
	v_cvt_i32_f32_e32 v0, v0
.LBB102_1419:
	s_or_b64 exec, exec, s[10:11]
.LBB102_1420:
	s_mov_b64 s[10:11], -1
.LBB102_1421:
	s_mov_b64 s[18:19], 0
.LBB102_1422:
	s_and_b64 vcc, exec, s[18:19]
	s_cbranch_vccz .LBB102_1453
; %bb.1423:
	s_cmp_gt_i32 s14, 22
	s_cbranch_scc0 .LBB102_1431
; %bb.1424:
	s_cmp_lt_i32 s14, 24
	s_cbranch_scc1 .LBB102_1434
; %bb.1425:
	s_cmp_gt_i32 s14, 24
	s_cbranch_scc0 .LBB102_1435
; %bb.1426:
	global_load_ubyte v1, v[7:8], off
	s_movk_i32 s2, 0x7f
	s_mov_b64 s[10:11], 0
	s_waitcnt vmcnt(0)
	v_cmp_lt_i16_e32 vcc, s2, v1
	s_and_saveexec_b64 s[2:3], vcc
	s_xor_b64 s[2:3], exec, s[2:3]
	s_cbranch_execz .LBB102_1447
; %bb.1427:
	s_movk_i32 s10, 0x80
	v_cmp_ne_u16_e32 vcc, s10, v1
	s_and_b64 s[10:11], vcc, exec
	s_andn2_saveexec_b64 s[2:3], s[2:3]
	s_cbranch_execnz .LBB102_1448
.LBB102_1428:
	s_or_b64 exec, exec, s[2:3]
	v_mov_b32_e32 v0, 0
	s_and_saveexec_b64 s[2:3], s[10:11]
	s_cbranch_execz .LBB102_1430
.LBB102_1429:
	v_lshlrev_b32_e32 v0, 24, v1
	v_and_b32_e32 v1, 0xffff, v1
	v_and_b32_e32 v3, 3, v1
	v_ffbh_u32_e32 v10, v3
	v_min_u32_e32 v10, 32, v10
	v_subrev_u32_e32 v11, 29, v10
	v_bfe_u32 v5, v1, 2, 5
	v_lshlrev_b32_e32 v1, v11, v1
	v_sub_u32_e32 v10, 30, v10
	v_and_b32_e32 v1, 3, v1
	v_cmp_eq_u32_e32 vcc, 0, v5
	v_cndmask_b32_e32 v5, v5, v10, vcc
	v_cndmask_b32_e32 v1, v3, v1, vcc
	v_mov_b32_e32 v3, 0x37800000
	v_lshlrev_b32_e32 v1, 21, v1
	v_and_b32_e32 v0, 0x80000000, v0
	v_lshl_add_u32 v3, v5, 23, v3
	v_or3_b32 v0, v0, v3, v1
	v_cvt_i32_f32_e32 v0, v0
.LBB102_1430:
	s_or_b64 exec, exec, s[2:3]
	s_mov_b64 s[2:3], 0
	s_branch .LBB102_1436
.LBB102_1431:
	s_mov_b64 s[2:3], -1
                                        ; implicit-def: $vgpr0
	s_branch .LBB102_1442
.LBB102_1432:
	s_andn2_saveexec_b64 s[10:11], s[10:11]
	s_cbranch_execz .LBB102_1417
.LBB102_1433:
	v_cmp_ne_u16_e32 vcc, 0, v1
	s_andn2_b64 s[18:19], s[18:19], exec
	s_and_b64 s[20:21], vcc, exec
	s_or_b64 s[18:19], s[18:19], s[20:21]
	s_or_b64 exec, exec, s[10:11]
	v_mov_b32_e32 v0, 0
	s_and_saveexec_b64 s[10:11], s[18:19]
	s_cbranch_execnz .LBB102_1418
	s_branch .LBB102_1419
.LBB102_1434:
	s_mov_b64 s[2:3], -1
                                        ; implicit-def: $vgpr0
	s_branch .LBB102_1439
.LBB102_1435:
	s_mov_b64 s[2:3], -1
                                        ; implicit-def: $vgpr0
.LBB102_1436:
	s_and_b64 vcc, exec, s[2:3]
	s_cbranch_vccz .LBB102_1438
; %bb.1437:
	global_load_ubyte v0, v[7:8], off
	s_mov_b32 s2, 0x7f800000
	s_waitcnt vmcnt(0)
	v_lshlrev_b32_e32 v0, 24, v0
	v_and_b32_e32 v1, 0x7f000000, v0
	v_ffbh_u32_e32 v3, v1
	v_min_u32_e32 v3, 32, v3
	v_sub_u32_e64 v3, v3, 4 clamp
	v_lshlrev_b32_e32 v10, v3, v1
	v_lshlrev_b32_e32 v3, 23, v3
	v_lshrrev_b32_e32 v10, 4, v10
	v_add_u32_e32 v5, 0x1000000, v1
	v_sub_u32_e32 v3, v10, v3
	v_ashrrev_i32_e32 v5, 8, v5
	v_add_u32_e32 v3, 0x3c000000, v3
	v_and_or_b32 v3, v5, s2, v3
	v_cmp_ne_u32_e32 vcc, 0, v1
	v_cndmask_b32_e32 v1, 0, v3, vcc
	s_brev_b32 s2, 1
	v_and_or_b32 v0, v0, s2, v1
	v_cvt_i32_f32_e32 v0, v0
.LBB102_1438:
	s_mov_b64 s[2:3], 0
.LBB102_1439:
	s_andn2_b64 vcc, exec, s[2:3]
	s_cbranch_vccnz .LBB102_1441
; %bb.1440:
	global_load_ubyte v0, v[7:8], off
	s_movk_i32 s2, 0x7f00
	s_brev_b32 s3, 16
	s_waitcnt vmcnt(0)
	v_lshlrev_b16_e32 v1, 8, v0
	v_lshlrev_b32_e32 v0, 25, v0
	v_lshrrev_b32_e32 v3, 4, v0
	v_and_or_b32 v5, v1, s2, 0.5
	v_or_b32_e32 v3, 0x70000000, v3
	v_add_f32_e32 v5, -0.5, v5
	v_mul_f32_e32 v3, 0x7800000, v3
	v_cmp_gt_u32_e32 vcc, s3, v0
	v_bfe_i32 v1, v1, 0, 16
	v_cndmask_b32_e32 v0, v3, v5, vcc
	s_brev_b32 s2, 1
	v_and_or_b32 v0, v1, s2, v0
	v_cvt_i32_f32_e32 v0, v0
.LBB102_1441:
	s_mov_b64 s[2:3], 0
	s_mov_b64 s[10:11], -1
.LBB102_1442:
	s_andn2_b64 vcc, exec, s[2:3]
	s_mov_b64 s[2:3], 0
	s_cbranch_vccnz .LBB102_1453
; %bb.1443:
	s_cmp_gt_i32 s14, 14
	s_cbranch_scc0 .LBB102_1446
; %bb.1444:
	s_cmp_eq_u32 s14, 15
	s_cbranch_scc0 .LBB102_1449
; %bb.1445:
	global_load_ushort v0, v[7:8], off
	s_mov_b64 s[0:1], 0
	s_mov_b64 s[10:11], -1
	s_waitcnt vmcnt(0)
	v_lshlrev_b32_e32 v0, 16, v0
	v_cvt_i32_f32_e32 v0, v0
	s_branch .LBB102_1450
.LBB102_1446:
	s_mov_b64 s[18:19], -1
                                        ; implicit-def: $vgpr0
	s_branch .LBB102_1451
.LBB102_1447:
	s_andn2_saveexec_b64 s[2:3], s[2:3]
	s_cbranch_execz .LBB102_1428
.LBB102_1448:
	v_cmp_ne_u16_e32 vcc, 0, v1
	s_andn2_b64 s[10:11], s[10:11], exec
	s_and_b64 s[18:19], vcc, exec
	s_or_b64 s[10:11], s[10:11], s[18:19]
	s_or_b64 exec, exec, s[2:3]
	v_mov_b32_e32 v0, 0
	s_and_saveexec_b64 s[2:3], s[10:11]
	s_cbranch_execnz .LBB102_1429
	s_branch .LBB102_1430
.LBB102_1449:
	s_mov_b64 s[0:1], -1
                                        ; implicit-def: $vgpr0
.LBB102_1450:
	s_mov_b64 s[18:19], 0
.LBB102_1451:
	s_and_b64 vcc, exec, s[18:19]
	s_cbranch_vccz .LBB102_1453
; %bb.1452:
	s_cmp_lg_u32 s14, 11
	s_mov_b64 s[2:3], -1
	s_cselect_b64 s[0:1], -1, 0
.LBB102_1453:
	s_and_b64 vcc, exec, s[0:1]
	s_cbranch_vccnz .LBB102_1986
; %bb.1454:
	s_andn2_b64 vcc, exec, s[2:3]
	s_cbranch_vccnz .LBB102_1456
.LBB102_1455:
	global_load_ubyte v0, v[7:8], off
	s_mov_b64 s[10:11], -1
	s_waitcnt vmcnt(0)
	v_cmp_ne_u16_e32 vcc, 0, v0
	v_cndmask_b32_e64 v0, 0, 1, vcc
.LBB102_1456:
	s_mov_b64 s[0:1], 0
.LBB102_1457:
	s_and_b64 vcc, exec, s[0:1]
	s_cbranch_vccz .LBB102_1506
; %bb.1458:
	s_cmp_lt_i32 s14, 5
	s_cbranch_scc1 .LBB102_1463
; %bb.1459:
	s_cmp_lt_i32 s14, 8
	s_cbranch_scc1 .LBB102_1464
	;; [unrolled: 3-line block ×3, first 2 shown]
; %bb.1461:
	s_cmp_gt_i32 s14, 9
	s_cbranch_scc0 .LBB102_1466
; %bb.1462:
	global_load_dwordx2 v[0:1], v[7:8], off
	s_mov_b64 s[0:1], 0
	s_waitcnt vmcnt(0)
	v_cvt_i32_f64_e32 v0, v[0:1]
	s_branch .LBB102_1467
.LBB102_1463:
	s_mov_b64 s[0:1], -1
                                        ; implicit-def: $vgpr0
	s_branch .LBB102_1485
.LBB102_1464:
	s_mov_b64 s[0:1], -1
                                        ; implicit-def: $vgpr0
	s_branch .LBB102_1473
.LBB102_1465:
	s_mov_b64 s[0:1], -1
                                        ; implicit-def: $vgpr0
	s_branch .LBB102_1470
.LBB102_1466:
	s_mov_b64 s[0:1], -1
                                        ; implicit-def: $vgpr0
.LBB102_1467:
	s_andn2_b64 vcc, exec, s[0:1]
	s_cbranch_vccnz .LBB102_1469
; %bb.1468:
	global_load_dword v0, v[7:8], off
	s_waitcnt vmcnt(0)
	v_cvt_i32_f32_e32 v0, v0
.LBB102_1469:
	s_mov_b64 s[0:1], 0
.LBB102_1470:
	s_andn2_b64 vcc, exec, s[0:1]
	s_cbranch_vccnz .LBB102_1472
; %bb.1471:
	global_load_dword v0, v[7:8], off
	s_waitcnt vmcnt(0)
	v_cvt_i16_f16_e32 v0, v0
.LBB102_1472:
	s_mov_b64 s[0:1], 0
.LBB102_1473:
	s_andn2_b64 vcc, exec, s[0:1]
	s_cbranch_vccnz .LBB102_1484
; %bb.1474:
	s_cmp_lt_i32 s14, 6
	s_cbranch_scc1 .LBB102_1477
; %bb.1475:
	s_cmp_gt_i32 s14, 6
	s_cbranch_scc0 .LBB102_1478
; %bb.1476:
	global_load_dwordx2 v[0:1], v[7:8], off
	s_mov_b64 s[0:1], 0
	s_waitcnt vmcnt(0)
	v_cvt_i32_f64_e32 v0, v[0:1]
	s_branch .LBB102_1479
.LBB102_1477:
	s_mov_b64 s[0:1], -1
                                        ; implicit-def: $vgpr0
	s_branch .LBB102_1482
.LBB102_1478:
	s_mov_b64 s[0:1], -1
                                        ; implicit-def: $vgpr0
.LBB102_1479:
	s_andn2_b64 vcc, exec, s[0:1]
	s_cbranch_vccnz .LBB102_1481
; %bb.1480:
	global_load_dword v0, v[7:8], off
	s_waitcnt vmcnt(0)
	v_cvt_i32_f32_e32 v0, v0
.LBB102_1481:
	s_mov_b64 s[0:1], 0
.LBB102_1482:
	s_andn2_b64 vcc, exec, s[0:1]
	s_cbranch_vccnz .LBB102_1484
; %bb.1483:
	global_load_ushort v0, v[7:8], off
	s_waitcnt vmcnt(0)
	v_cvt_i16_f16_e32 v0, v0
.LBB102_1484:
	s_mov_b64 s[0:1], 0
.LBB102_1485:
	s_andn2_b64 vcc, exec, s[0:1]
	s_cbranch_vccnz .LBB102_1505
; %bb.1486:
	s_cmp_lt_i32 s14, 2
	s_cbranch_scc1 .LBB102_1490
; %bb.1487:
	s_cmp_lt_i32 s14, 3
	s_cbranch_scc1 .LBB102_1491
; %bb.1488:
	s_cmp_gt_i32 s14, 3
	s_cbranch_scc0 .LBB102_1492
; %bb.1489:
	global_load_dwordx2 v[0:1], v[7:8], off
	s_mov_b64 s[0:1], 0
	s_branch .LBB102_1493
.LBB102_1490:
	s_mov_b64 s[0:1], -1
                                        ; implicit-def: $vgpr0
	s_branch .LBB102_1499
.LBB102_1491:
	s_mov_b64 s[0:1], -1
                                        ; implicit-def: $vgpr0
	s_branch .LBB102_1496
.LBB102_1492:
	s_mov_b64 s[0:1], -1
                                        ; implicit-def: $vgpr0
.LBB102_1493:
	s_andn2_b64 vcc, exec, s[0:1]
	s_cbranch_vccnz .LBB102_1495
; %bb.1494:
	global_load_dword v0, v[7:8], off
.LBB102_1495:
	s_mov_b64 s[0:1], 0
.LBB102_1496:
	s_andn2_b64 vcc, exec, s[0:1]
	s_cbranch_vccnz .LBB102_1498
; %bb.1497:
	global_load_ushort v0, v[7:8], off
.LBB102_1498:
	s_mov_b64 s[0:1], 0
.LBB102_1499:
	s_andn2_b64 vcc, exec, s[0:1]
	s_cbranch_vccnz .LBB102_1505
; %bb.1500:
	s_cmp_gt_i32 s14, 0
	s_cbranch_scc0 .LBB102_1502
; %bb.1501:
	global_load_sbyte v0, v[7:8], off
	s_mov_b64 s[0:1], 0
	s_branch .LBB102_1503
.LBB102_1502:
	s_mov_b64 s[0:1], -1
                                        ; implicit-def: $vgpr0
.LBB102_1503:
	s_andn2_b64 vcc, exec, s[0:1]
	s_cbranch_vccnz .LBB102_1505
; %bb.1504:
	global_load_ubyte v0, v[7:8], off
.LBB102_1505:
	s_mov_b64 s[10:11], -1
.LBB102_1506:
	s_andn2_b64 vcc, exec, s[10:11]
	s_cbranch_vccnz .LBB102_1940
; %bb.1507:
	s_waitcnt vmcnt(0)
	v_mul_lo_u32 v1, s12, v9
	v_lshlrev_b32_sdwa v3, v6, s33 dst_sel:DWORD dst_unused:UNUSED_PAD src0_sel:WORD_0 src1_sel:DWORD
	v_cmp_gt_u16_e32 vcc, 16, v6
	v_cndmask_b32_e32 v3, 0, v3, vcc
	v_ashrrev_i32_e32 v6, 31, v1
	v_mov_b32_e32 v7, s9
	s_and_b32 s20, s15, 0xff
	v_add_co_u32_e32 v5, vcc, s8, v1
	s_cmp_lt_i32 s20, 11
	v_addc_co_u32_e32 v6, vcc, v7, v6, vcc
	s_cbranch_scc1 .LBB102_1585
; %bb.1508:
	s_and_b32 s13, 0xffff, s20
	s_mov_b64 s[14:15], -1
	s_mov_b64 s[2:3], 0
	s_cmp_gt_i32 s13, 25
	s_mov_b64 s[10:11], 0
	s_mov_b64 s[0:1], 0
	s_cbranch_scc0 .LBB102_1541
; %bb.1509:
	s_cmp_gt_i32 s13, 28
	s_cbranch_scc0 .LBB102_1524
; %bb.1510:
	s_cmp_gt_i32 s13, 43
	;; [unrolled: 3-line block ×3, first 2 shown]
	s_cbranch_scc0 .LBB102_1514
; %bb.1512:
	s_mov_b64 s[0:1], -1
	s_mov_b64 s[14:15], 0
	s_cmp_eq_u32 s13, 46
	s_cbranch_scc0 .LBB102_1514
; %bb.1513:
	v_cvt_f32_i32_sdwa v7, sext(v3) dst_sel:DWORD dst_unused:UNUSED_PAD src0_sel:WORD_0
	s_movk_i32 s10, 0x7fff
	s_mov_b64 s[0:1], 0
	v_bfe_u32 v8, v7, 16, 1
	v_add3_u32 v7, v7, v8, s10
	v_lshrrev_b32_e32 v7, 16, v7
	global_store_dword v[5:6], v7, off
	s_mov_b64 s[10:11], -1
.LBB102_1514:
	s_and_b64 vcc, exec, s[14:15]
	s_cbranch_vccz .LBB102_1519
; %bb.1515:
	s_cmp_eq_u32 s13, 44
	s_mov_b64 s[0:1], -1
	s_cbranch_scc0 .LBB102_1519
; %bb.1516:
	v_cvt_f32_i32_sdwa v7, sext(v3) dst_sel:DWORD dst_unused:UNUSED_PAD src0_sel:WORD_0
	s_movk_i32 s0, 0xff
	v_mov_b32_e32 v9, 0xff
	v_bfe_u32 v8, v7, 23, 8
	v_cmp_ne_u32_e32 vcc, s0, v8
	s_and_saveexec_b64 s[10:11], vcc
; %bb.1517:
	s_mov_b32 s0, 0x3fffff
	v_lshrrev_b32_e32 v9, 23, v7
	v_and_b32_e32 v10, 0x400000, v7
	v_and_or_b32 v7, v7, s0, v8
	v_cmp_ne_u32_e32 vcc, 0, v10
	v_cmp_ne_u32_e64 s[0:1], 0, v7
	s_and_b64 s[0:1], vcc, s[0:1]
	v_cndmask_b32_e64 v7, 0, 1, s[0:1]
	v_add_u32_e32 v9, v9, v7
; %bb.1518:
	s_or_b64 exec, exec, s[10:11]
	s_mov_b64 s[0:1], 0
	s_mov_b64 s[10:11], -1
	global_store_byte v[5:6], v9, off
.LBB102_1519:
	s_mov_b64 s[14:15], 0
.LBB102_1520:
	s_and_b64 vcc, exec, s[14:15]
	s_cbranch_vccz .LBB102_1523
; %bb.1521:
	s_cmp_eq_u32 s13, 29
	s_mov_b64 s[0:1], -1
	s_cbranch_scc0 .LBB102_1523
; %bb.1522:
	v_bfe_i32 v7, v3, 0, 16
	v_ashrrev_i32_e32 v8, 31, v7
	global_store_dwordx2 v[5:6], v[7:8], off
	s_mov_b64 s[0:1], 0
	s_mov_b64 s[10:11], -1
.LBB102_1523:
	s_mov_b64 s[14:15], 0
.LBB102_1524:
	s_and_b64 vcc, exec, s[14:15]
	s_cbranch_vccz .LBB102_1540
; %bb.1525:
	s_cmp_lt_i32 s13, 27
	s_mov_b64 s[10:11], -1
	s_cbranch_scc1 .LBB102_1531
; %bb.1526:
	s_cmp_gt_i32 s13, 27
	s_cbranch_scc0 .LBB102_1528
; %bb.1527:
	v_bfe_i32 v7, v3, 0, 16
	s_mov_b64 s[10:11], 0
	global_store_dword v[5:6], v7, off
.LBB102_1528:
	s_andn2_b64 vcc, exec, s[10:11]
	s_cbranch_vccnz .LBB102_1530
; %bb.1529:
	global_store_short v[5:6], v3, off
.LBB102_1530:
	s_mov_b64 s[10:11], 0
.LBB102_1531:
	s_andn2_b64 vcc, exec, s[10:11]
	s_cbranch_vccnz .LBB102_1539
; %bb.1532:
	v_cvt_f32_i32_sdwa v7, sext(v3) dst_sel:DWORD dst_unused:UNUSED_PAD src0_sel:WORD_0
	s_mov_b32 s10, 0x43800000
	v_mov_b32_e32 v9, 0x80
	v_and_b32_e32 v8, 0x7fffffff, v7
	v_cmp_gt_u32_e32 vcc, s10, v8
	s_and_saveexec_b64 s[10:11], vcc
	s_cbranch_execz .LBB102_1538
; %bb.1533:
	s_mov_b32 s14, 0x3bffffff
	v_cmp_lt_u32_e32 vcc, s14, v8
	s_mov_b64 s[14:15], 0
                                        ; implicit-def: $vgpr8
	s_and_saveexec_b64 s[18:19], vcc
	s_xor_b64 s[18:19], exec, s[18:19]
	s_cbranch_execz .LBB102_1987
; %bb.1534:
	v_bfe_u32 v8, v7, 20, 1
	s_mov_b32 s21, 0x487ffff
	v_add3_u32 v8, v7, v8, s21
	s_mov_b64 s[14:15], exec
	v_lshrrev_b32_e32 v8, 20, v8
	s_andn2_saveexec_b64 s[18:19], s[18:19]
	s_cbranch_execnz .LBB102_1988
.LBB102_1535:
	s_or_b64 exec, exec, s[18:19]
	v_mov_b32_e32 v9, 0
	s_and_saveexec_b64 s[18:19], s[14:15]
.LBB102_1536:
	v_lshrrev_b32_e32 v7, 24, v7
	s_movk_i32 s14, 0x80
	v_and_or_b32 v9, v7, s14, v8
.LBB102_1537:
	s_or_b64 exec, exec, s[18:19]
.LBB102_1538:
	s_or_b64 exec, exec, s[10:11]
	global_store_byte v[5:6], v9, off
.LBB102_1539:
	s_mov_b64 s[10:11], -1
.LBB102_1540:
	s_mov_b64 s[14:15], 0
.LBB102_1541:
	s_and_b64 vcc, exec, s[14:15]
	s_cbranch_vccz .LBB102_1581
; %bb.1542:
	s_cmp_gt_i32 s13, 22
	s_mov_b64 s[2:3], -1
	s_cbranch_scc0 .LBB102_1574
; %bb.1543:
	s_cmp_lt_i32 s13, 24
	s_cbranch_scc1 .LBB102_1563
; %bb.1544:
	s_cmp_gt_i32 s13, 24
	s_cbranch_scc0 .LBB102_1552
; %bb.1545:
	v_cvt_f32_i32_sdwa v7, sext(v3) dst_sel:DWORD dst_unused:UNUSED_PAD src0_sel:WORD_0
	s_mov_b32 s2, 0x47800000
	v_mov_b32_e32 v9, 0x80
	v_and_b32_e32 v8, 0x7fffffff, v7
	v_cmp_gt_u32_e32 vcc, s2, v8
	s_and_saveexec_b64 s[2:3], vcc
	s_cbranch_execz .LBB102_1551
; %bb.1546:
	s_mov_b32 s10, 0x37ffffff
	v_cmp_lt_u32_e32 vcc, s10, v8
	s_mov_b64 s[10:11], 0
                                        ; implicit-def: $vgpr8
	s_and_saveexec_b64 s[14:15], vcc
	s_xor_b64 s[14:15], exec, s[14:15]
	s_cbranch_execz .LBB102_1990
; %bb.1547:
	v_bfe_u32 v8, v7, 21, 1
	s_mov_b32 s18, 0x88fffff
	v_add3_u32 v8, v7, v8, s18
	s_mov_b64 s[10:11], exec
	v_lshrrev_b32_e32 v8, 21, v8
	s_andn2_saveexec_b64 s[14:15], s[14:15]
	s_cbranch_execnz .LBB102_1991
.LBB102_1548:
	s_or_b64 exec, exec, s[14:15]
	v_mov_b32_e32 v9, 0
	s_and_saveexec_b64 s[14:15], s[10:11]
.LBB102_1549:
	v_lshrrev_b32_e32 v7, 24, v7
	s_movk_i32 s10, 0x80
	v_and_or_b32 v9, v7, s10, v8
.LBB102_1550:
	s_or_b64 exec, exec, s[14:15]
.LBB102_1551:
	s_or_b64 exec, exec, s[2:3]
	s_mov_b64 s[2:3], 0
	global_store_byte v[5:6], v9, off
.LBB102_1552:
	s_and_b64 vcc, exec, s[2:3]
	s_cbranch_vccz .LBB102_1562
; %bb.1553:
	v_cvt_f32_i32_sdwa v7, sext(v3) dst_sel:DWORD dst_unused:UNUSED_PAD src0_sel:WORD_0
	s_mov_b32 s2, 0x43f00000
                                        ; implicit-def: $vgpr8
	v_and_b32_e32 v9, 0x7fffffff, v7
	v_cmp_gt_u32_e32 vcc, s2, v9
	s_and_saveexec_b64 s[2:3], vcc
	s_xor_b64 s[2:3], exec, s[2:3]
	s_cbranch_execz .LBB102_1559
; %bb.1554:
	s_mov_b32 s10, 0x3c7fffff
	v_cmp_lt_u32_e32 vcc, s10, v9
                                        ; implicit-def: $vgpr8
	s_and_saveexec_b64 s[10:11], vcc
	s_xor_b64 s[10:11], exec, s[10:11]
; %bb.1555:
	v_bfe_u32 v8, v7, 20, 1
	s_mov_b32 s14, 0x407ffff
	v_add3_u32 v8, v7, v8, s14
	v_lshrrev_b32_e32 v9, 20, v8
	v_and_b32_e32 v8, 0xff00000, v8
	s_mov_b32 s14, 0x7f00000
	v_mov_b32_e32 v10, 0x7e
	v_cmp_ne_u32_e32 vcc, s14, v8
	v_cndmask_b32_e32 v8, v10, v9, vcc
; %bb.1556:
	s_andn2_saveexec_b64 s[10:11], s[10:11]
; %bb.1557:
	s_mov_b32 s14, 0x46800000
	v_add_f32_e64 v8, |v7|, s14
; %bb.1558:
	s_or_b64 exec, exec, s[10:11]
                                        ; implicit-def: $vgpr9
.LBB102_1559:
	s_andn2_saveexec_b64 s[2:3], s[2:3]
; %bb.1560:
	s_mov_b32 s10, 0x7f800000
	v_mov_b32_e32 v8, 0x7e
	v_mov_b32_e32 v10, 0x7f
	v_cmp_lt_u32_e32 vcc, s10, v9
	v_cndmask_b32_e32 v8, v8, v10, vcc
; %bb.1561:
	s_or_b64 exec, exec, s[2:3]
	v_lshrrev_b32_e32 v7, 24, v7
	s_movk_i32 s2, 0x80
	v_and_or_b32 v7, v7, s2, v8
	global_store_byte v[5:6], v7, off
.LBB102_1562:
	s_mov_b64 s[2:3], 0
.LBB102_1563:
	s_andn2_b64 vcc, exec, s[2:3]
	s_cbranch_vccnz .LBB102_1573
; %bb.1564:
	v_cvt_f32_i32_sdwa v7, sext(v3) dst_sel:DWORD dst_unused:UNUSED_PAD src0_sel:WORD_0
	s_mov_b32 s2, 0x47800000
                                        ; implicit-def: $vgpr8
	v_and_b32_e32 v9, 0x7fffffff, v7
	v_cmp_gt_u32_e32 vcc, s2, v9
	s_and_saveexec_b64 s[2:3], vcc
	s_xor_b64 s[2:3], exec, s[2:3]
	s_cbranch_execz .LBB102_1570
; %bb.1565:
	s_mov_b32 s10, 0x387fffff
	v_cmp_lt_u32_e32 vcc, s10, v9
                                        ; implicit-def: $vgpr8
	s_and_saveexec_b64 s[10:11], vcc
	s_xor_b64 s[10:11], exec, s[10:11]
; %bb.1566:
	v_bfe_u32 v8, v7, 21, 1
	s_mov_b32 s14, 0x80fffff
	v_add3_u32 v8, v7, v8, s14
	v_lshrrev_b32_e32 v8, 21, v8
; %bb.1567:
	s_andn2_saveexec_b64 s[10:11], s[10:11]
; %bb.1568:
	s_mov_b32 s14, 0x43000000
	v_add_f32_e64 v8, |v7|, s14
; %bb.1569:
	s_or_b64 exec, exec, s[10:11]
                                        ; implicit-def: $vgpr9
.LBB102_1570:
	s_andn2_saveexec_b64 s[2:3], s[2:3]
; %bb.1571:
	s_mov_b32 s10, 0x7f800000
	v_mov_b32_e32 v8, 0x7c
	v_mov_b32_e32 v10, 0x7f
	v_cmp_lt_u32_e32 vcc, s10, v9
	v_cndmask_b32_e32 v8, v8, v10, vcc
; %bb.1572:
	s_or_b64 exec, exec, s[2:3]
	v_lshrrev_b32_e32 v7, 24, v7
	s_movk_i32 s2, 0x80
	v_and_or_b32 v7, v7, s2, v8
	global_store_byte v[5:6], v7, off
.LBB102_1573:
	s_mov_b64 s[2:3], 0
	s_mov_b64 s[10:11], -1
.LBB102_1574:
	s_andn2_b64 vcc, exec, s[2:3]
	s_mov_b64 s[2:3], 0
	s_cbranch_vccnz .LBB102_1581
; %bb.1575:
	s_cmp_gt_i32 s13, 14
	s_mov_b64 s[14:15], -1
	s_cbranch_scc0 .LBB102_1579
; %bb.1576:
	s_cmp_eq_u32 s13, 15
	s_mov_b64 s[0:1], -1
	s_cbranch_scc0 .LBB102_1578
; %bb.1577:
	v_cvt_f32_i32_sdwa v7, sext(v3) dst_sel:DWORD dst_unused:UNUSED_PAD src0_sel:WORD_0
	s_movk_i32 s2, 0x7fff
	s_mov_b64 s[0:1], 0
	s_mov_b64 s[10:11], -1
	v_bfe_u32 v8, v7, 16, 1
	v_add3_u32 v7, v7, v8, s2
	global_store_short_d16_hi v[5:6], v7, off
.LBB102_1578:
	s_mov_b64 s[14:15], 0
.LBB102_1579:
	s_mov_b64 s[2:3], 0
	s_and_b64 vcc, exec, s[14:15]
	s_cbranch_vccz .LBB102_1581
; %bb.1580:
	s_cmp_lg_u32 s13, 11
	s_mov_b64 s[2:3], -1
	s_cselect_b64 s[0:1], -1, 0
.LBB102_1581:
	s_and_b64 vcc, exec, s[0:1]
	s_cbranch_vccnz .LBB102_1989
; %bb.1582:
	s_andn2_b64 vcc, exec, s[2:3]
	s_cbranch_vccnz .LBB102_1584
.LBB102_1583:
	v_cmp_ne_u16_e32 vcc, 0, v3
	v_cndmask_b32_e64 v7, 0, 1, vcc
	s_mov_b64 s[10:11], -1
	global_store_byte v[5:6], v7, off
.LBB102_1584:
	s_mov_b64 s[0:1], 0
	s_branch .LBB102_1586
.LBB102_1585:
	s_mov_b64 s[0:1], -1
	s_mov_b64 s[10:11], 0
.LBB102_1586:
	s_and_b64 vcc, exec, s[0:1]
	s_cbranch_vccz .LBB102_1625
; %bb.1587:
	s_and_b32 s2, 0xffff, s20
	s_cmp_lt_i32 s2, 5
	s_mov_b64 s[0:1], -1
	s_cbranch_scc1 .LBB102_1608
; %bb.1588:
	s_cmp_lt_i32 s2, 8
	s_cbranch_scc1 .LBB102_1598
; %bb.1589:
	s_cmp_lt_i32 s2, 9
	s_cbranch_scc1 .LBB102_1595
; %bb.1590:
	s_cmp_gt_i32 s2, 9
	s_cbranch_scc0 .LBB102_1592
; %bb.1591:
	v_bfe_i32 v7, v3, 0, 16
	v_cvt_f64_i32_e32 v[7:8], v7
	v_mov_b32_e32 v9, 0
	v_mov_b32_e32 v10, v9
	s_mov_b64 s[0:1], 0
	global_store_dwordx4 v[5:6], v[7:10], off
.LBB102_1592:
	s_andn2_b64 vcc, exec, s[0:1]
	s_cbranch_vccnz .LBB102_1594
; %bb.1593:
	v_cvt_f32_i32_sdwa v7, sext(v3) dst_sel:DWORD dst_unused:UNUSED_PAD src0_sel:WORD_0
	v_mov_b32_e32 v8, 0
	global_store_dwordx2 v[5:6], v[7:8], off
.LBB102_1594:
	s_mov_b64 s[0:1], 0
.LBB102_1595:
	s_andn2_b64 vcc, exec, s[0:1]
	s_cbranch_vccnz .LBB102_1597
; %bb.1596:
	v_cvt_f16_i16_e32 v7, v3
	global_store_dword v[5:6], v7, off
.LBB102_1597:
	s_mov_b64 s[0:1], 0
.LBB102_1598:
	s_andn2_b64 vcc, exec, s[0:1]
	s_cbranch_vccnz .LBB102_1607
; %bb.1599:
	s_cmp_lt_i32 s2, 6
	s_mov_b64 s[0:1], -1
	s_cbranch_scc1 .LBB102_1605
; %bb.1600:
	s_cmp_gt_i32 s2, 6
	s_cbranch_scc0 .LBB102_1602
; %bb.1601:
	v_bfe_i32 v7, v3, 0, 16
	v_cvt_f64_i32_e32 v[7:8], v7
	s_mov_b64 s[0:1], 0
	global_store_dwordx2 v[5:6], v[7:8], off
.LBB102_1602:
	s_andn2_b64 vcc, exec, s[0:1]
	s_cbranch_vccnz .LBB102_1604
; %bb.1603:
	v_cvt_f32_i32_sdwa v7, sext(v3) dst_sel:DWORD dst_unused:UNUSED_PAD src0_sel:WORD_0
	global_store_dword v[5:6], v7, off
.LBB102_1604:
	s_mov_b64 s[0:1], 0
.LBB102_1605:
	s_andn2_b64 vcc, exec, s[0:1]
	s_cbranch_vccnz .LBB102_1607
; %bb.1606:
	v_cvt_f16_i16_e32 v7, v3
	global_store_short v[5:6], v7, off
.LBB102_1607:
	s_mov_b64 s[0:1], 0
.LBB102_1608:
	s_andn2_b64 vcc, exec, s[0:1]
	s_cbranch_vccnz .LBB102_1624
; %bb.1609:
	s_cmp_lt_i32 s2, 2
	s_mov_b64 s[0:1], -1
	s_cbranch_scc1 .LBB102_1619
; %bb.1610:
	s_cmp_lt_i32 s2, 3
	s_cbranch_scc1 .LBB102_1616
; %bb.1611:
	s_cmp_gt_i32 s2, 3
	v_bfe_i32 v7, v3, 0, 16
	s_cbranch_scc0 .LBB102_1613
; %bb.1612:
	v_ashrrev_i32_e32 v8, 31, v7
	global_store_dwordx2 v[5:6], v[7:8], off
	s_mov_b64 s[0:1], 0
.LBB102_1613:
	s_andn2_b64 vcc, exec, s[0:1]
	s_cbranch_vccnz .LBB102_1615
; %bb.1614:
	global_store_dword v[5:6], v7, off
.LBB102_1615:
	s_mov_b64 s[0:1], 0
.LBB102_1616:
	s_andn2_b64 vcc, exec, s[0:1]
	s_cbranch_vccnz .LBB102_1618
; %bb.1617:
	global_store_short v[5:6], v3, off
.LBB102_1618:
	s_mov_b64 s[0:1], 0
.LBB102_1619:
	s_andn2_b64 vcc, exec, s[0:1]
	s_cbranch_vccnz .LBB102_1624
; %bb.1620:
	s_cmp_gt_i32 s2, 0
	s_mov_b64 s[0:1], -1
	s_cbranch_scc0 .LBB102_1622
; %bb.1621:
	global_store_byte v[5:6], v3, off
	s_mov_b64 s[0:1], 0
.LBB102_1622:
	s_andn2_b64 vcc, exec, s[0:1]
	s_cbranch_vccnz .LBB102_1624
; %bb.1623:
	global_store_byte v[5:6], v3, off
.LBB102_1624:
	s_mov_b64 s[10:11], -1
.LBB102_1625:
	s_andn2_b64 vcc, exec, s[10:11]
	s_cbranch_vccnz .LBB102_1940
; %bb.1626:
	s_lshl_b32 s18, s12, 7
	v_lshlrev_b32_sdwa v3, v4, s33 dst_sel:DWORD dst_unused:UNUSED_PAD src0_sel:WORD_0 src1_sel:DWORD
	v_cmp_gt_u16_e32 vcc, 16, v4
	v_add_u32_e32 v1, s18, v1
	v_cndmask_b32_e32 v7, 0, v3, vcc
	v_ashrrev_i32_e32 v4, 31, v1
	v_mov_b32_e32 v5, s9
	v_add_co_u32_e32 v3, vcc, s8, v1
	s_cmp_lt_i32 s20, 11
	v_addc_co_u32_e32 v4, vcc, v5, v4, vcc
	s_cbranch_scc1 .LBB102_1704
; %bb.1627:
	s_and_b32 s19, 0xffff, s20
	s_mov_b64 s[12:13], -1
	s_mov_b64 s[2:3], 0
	s_cmp_gt_i32 s19, 25
	s_mov_b64 s[10:11], 0
	s_mov_b64 s[0:1], 0
	s_cbranch_scc0 .LBB102_1660
; %bb.1628:
	s_cmp_gt_i32 s19, 28
	s_cbranch_scc0 .LBB102_1643
; %bb.1629:
	s_cmp_gt_i32 s19, 43
	s_cbranch_scc0 .LBB102_1639
; %bb.1630:
	s_cmp_gt_i32 s19, 45
	s_cbranch_scc0 .LBB102_1633
; %bb.1631:
	s_mov_b64 s[0:1], -1
	s_mov_b64 s[12:13], 0
	s_cmp_eq_u32 s19, 46
	s_cbranch_scc0 .LBB102_1633
; %bb.1632:
	v_cvt_f32_i32_sdwa v5, sext(v7) dst_sel:DWORD dst_unused:UNUSED_PAD src0_sel:WORD_0
	s_movk_i32 s10, 0x7fff
	s_mov_b64 s[0:1], 0
	v_bfe_u32 v6, v5, 16, 1
	v_add3_u32 v5, v5, v6, s10
	v_lshrrev_b32_e32 v5, 16, v5
	global_store_dword v[3:4], v5, off
	s_mov_b64 s[10:11], -1
.LBB102_1633:
	s_and_b64 vcc, exec, s[12:13]
	s_cbranch_vccz .LBB102_1638
; %bb.1634:
	s_cmp_eq_u32 s19, 44
	s_mov_b64 s[0:1], -1
	s_cbranch_scc0 .LBB102_1638
; %bb.1635:
	v_cvt_f32_i32_sdwa v5, sext(v7) dst_sel:DWORD dst_unused:UNUSED_PAD src0_sel:WORD_0
	s_movk_i32 s0, 0xff
	v_mov_b32_e32 v8, 0xff
	v_bfe_u32 v6, v5, 23, 8
	v_cmp_ne_u32_e32 vcc, s0, v6
	s_and_saveexec_b64 s[10:11], vcc
; %bb.1636:
	s_mov_b32 s0, 0x3fffff
	v_lshrrev_b32_e32 v8, 23, v5
	v_and_b32_e32 v9, 0x400000, v5
	v_and_or_b32 v5, v5, s0, v6
	v_cmp_ne_u32_e32 vcc, 0, v9
	v_cmp_ne_u32_e64 s[0:1], 0, v5
	s_and_b64 s[0:1], vcc, s[0:1]
	v_cndmask_b32_e64 v5, 0, 1, s[0:1]
	v_add_u32_e32 v8, v8, v5
; %bb.1637:
	s_or_b64 exec, exec, s[10:11]
	s_mov_b64 s[0:1], 0
	s_mov_b64 s[10:11], -1
	global_store_byte v[3:4], v8, off
.LBB102_1638:
	s_mov_b64 s[12:13], 0
.LBB102_1639:
	s_and_b64 vcc, exec, s[12:13]
	s_cbranch_vccz .LBB102_1642
; %bb.1640:
	s_cmp_eq_u32 s19, 29
	s_mov_b64 s[0:1], -1
	s_cbranch_scc0 .LBB102_1642
; %bb.1641:
	v_bfe_i32 v5, v7, 0, 16
	v_ashrrev_i32_e32 v6, 31, v5
	global_store_dwordx2 v[3:4], v[5:6], off
	s_mov_b64 s[0:1], 0
	s_mov_b64 s[10:11], -1
.LBB102_1642:
	s_mov_b64 s[12:13], 0
.LBB102_1643:
	s_and_b64 vcc, exec, s[12:13]
	s_cbranch_vccz .LBB102_1659
; %bb.1644:
	s_cmp_lt_i32 s19, 27
	s_mov_b64 s[10:11], -1
	s_cbranch_scc1 .LBB102_1650
; %bb.1645:
	s_cmp_gt_i32 s19, 27
	s_cbranch_scc0 .LBB102_1647
; %bb.1646:
	v_bfe_i32 v5, v7, 0, 16
	s_mov_b64 s[10:11], 0
	global_store_dword v[3:4], v5, off
.LBB102_1647:
	s_andn2_b64 vcc, exec, s[10:11]
	s_cbranch_vccnz .LBB102_1649
; %bb.1648:
	global_store_short v[3:4], v7, off
.LBB102_1649:
	s_mov_b64 s[10:11], 0
.LBB102_1650:
	s_andn2_b64 vcc, exec, s[10:11]
	s_cbranch_vccnz .LBB102_1658
; %bb.1651:
	v_cvt_f32_i32_sdwa v5, sext(v7) dst_sel:DWORD dst_unused:UNUSED_PAD src0_sel:WORD_0
	s_mov_b32 s10, 0x43800000
	v_mov_b32_e32 v8, 0x80
	v_and_b32_e32 v6, 0x7fffffff, v5
	v_cmp_gt_u32_e32 vcc, s10, v6
	s_and_saveexec_b64 s[10:11], vcc
	s_cbranch_execz .LBB102_1657
; %bb.1652:
	s_mov_b32 s12, 0x3bffffff
	v_cmp_lt_u32_e32 vcc, s12, v6
	s_mov_b64 s[12:13], 0
                                        ; implicit-def: $vgpr6
	s_and_saveexec_b64 s[14:15], vcc
	s_xor_b64 s[14:15], exec, s[14:15]
	s_cbranch_execz .LBB102_1992
; %bb.1653:
	v_bfe_u32 v6, v5, 20, 1
	s_mov_b32 s21, 0x487ffff
	v_add3_u32 v6, v5, v6, s21
	s_mov_b64 s[12:13], exec
	v_lshrrev_b32_e32 v6, 20, v6
	s_andn2_saveexec_b64 s[14:15], s[14:15]
	s_cbranch_execnz .LBB102_1993
.LBB102_1654:
	s_or_b64 exec, exec, s[14:15]
	v_mov_b32_e32 v8, 0
	s_and_saveexec_b64 s[14:15], s[12:13]
.LBB102_1655:
	v_lshrrev_b32_e32 v5, 24, v5
	s_movk_i32 s12, 0x80
	v_and_or_b32 v8, v5, s12, v6
.LBB102_1656:
	s_or_b64 exec, exec, s[14:15]
.LBB102_1657:
	s_or_b64 exec, exec, s[10:11]
	global_store_byte v[3:4], v8, off
.LBB102_1658:
	s_mov_b64 s[10:11], -1
.LBB102_1659:
	s_mov_b64 s[12:13], 0
.LBB102_1660:
	s_and_b64 vcc, exec, s[12:13]
	s_cbranch_vccz .LBB102_1700
; %bb.1661:
	s_cmp_gt_i32 s19, 22
	s_mov_b64 s[2:3], -1
	s_cbranch_scc0 .LBB102_1693
; %bb.1662:
	s_cmp_lt_i32 s19, 24
	s_cbranch_scc1 .LBB102_1682
; %bb.1663:
	s_cmp_gt_i32 s19, 24
	s_cbranch_scc0 .LBB102_1671
; %bb.1664:
	v_cvt_f32_i32_sdwa v5, sext(v7) dst_sel:DWORD dst_unused:UNUSED_PAD src0_sel:WORD_0
	s_mov_b32 s2, 0x47800000
	v_mov_b32_e32 v8, 0x80
	v_and_b32_e32 v6, 0x7fffffff, v5
	v_cmp_gt_u32_e32 vcc, s2, v6
	s_and_saveexec_b64 s[2:3], vcc
	s_cbranch_execz .LBB102_1670
; %bb.1665:
	s_mov_b32 s10, 0x37ffffff
	v_cmp_lt_u32_e32 vcc, s10, v6
	s_mov_b64 s[10:11], 0
                                        ; implicit-def: $vgpr6
	s_and_saveexec_b64 s[12:13], vcc
	s_xor_b64 s[12:13], exec, s[12:13]
	s_cbranch_execz .LBB102_1995
; %bb.1666:
	v_bfe_u32 v6, v5, 21, 1
	s_mov_b32 s14, 0x88fffff
	v_add3_u32 v6, v5, v6, s14
	s_mov_b64 s[10:11], exec
	v_lshrrev_b32_e32 v6, 21, v6
	s_andn2_saveexec_b64 s[12:13], s[12:13]
	s_cbranch_execnz .LBB102_1996
.LBB102_1667:
	s_or_b64 exec, exec, s[12:13]
	v_mov_b32_e32 v8, 0
	s_and_saveexec_b64 s[12:13], s[10:11]
.LBB102_1668:
	v_lshrrev_b32_e32 v5, 24, v5
	s_movk_i32 s10, 0x80
	v_and_or_b32 v8, v5, s10, v6
.LBB102_1669:
	s_or_b64 exec, exec, s[12:13]
.LBB102_1670:
	s_or_b64 exec, exec, s[2:3]
	s_mov_b64 s[2:3], 0
	global_store_byte v[3:4], v8, off
.LBB102_1671:
	s_and_b64 vcc, exec, s[2:3]
	s_cbranch_vccz .LBB102_1681
; %bb.1672:
	v_cvt_f32_i32_sdwa v5, sext(v7) dst_sel:DWORD dst_unused:UNUSED_PAD src0_sel:WORD_0
	s_mov_b32 s2, 0x43f00000
                                        ; implicit-def: $vgpr6
	v_and_b32_e32 v8, 0x7fffffff, v5
	v_cmp_gt_u32_e32 vcc, s2, v8
	s_and_saveexec_b64 s[2:3], vcc
	s_xor_b64 s[2:3], exec, s[2:3]
	s_cbranch_execz .LBB102_1678
; %bb.1673:
	s_mov_b32 s10, 0x3c7fffff
	v_cmp_lt_u32_e32 vcc, s10, v8
                                        ; implicit-def: $vgpr6
	s_and_saveexec_b64 s[10:11], vcc
	s_xor_b64 s[10:11], exec, s[10:11]
; %bb.1674:
	v_bfe_u32 v6, v5, 20, 1
	s_mov_b32 s12, 0x407ffff
	v_add3_u32 v6, v5, v6, s12
	v_lshrrev_b32_e32 v8, 20, v6
	v_and_b32_e32 v6, 0xff00000, v6
	s_mov_b32 s12, 0x7f00000
	v_mov_b32_e32 v9, 0x7e
	v_cmp_ne_u32_e32 vcc, s12, v6
	v_cndmask_b32_e32 v6, v9, v8, vcc
; %bb.1675:
	s_andn2_saveexec_b64 s[10:11], s[10:11]
; %bb.1676:
	s_mov_b32 s12, 0x46800000
	v_add_f32_e64 v6, |v5|, s12
; %bb.1677:
	s_or_b64 exec, exec, s[10:11]
                                        ; implicit-def: $vgpr8
.LBB102_1678:
	s_andn2_saveexec_b64 s[2:3], s[2:3]
; %bb.1679:
	s_mov_b32 s10, 0x7f800000
	v_mov_b32_e32 v6, 0x7e
	v_mov_b32_e32 v9, 0x7f
	v_cmp_lt_u32_e32 vcc, s10, v8
	v_cndmask_b32_e32 v6, v6, v9, vcc
; %bb.1680:
	s_or_b64 exec, exec, s[2:3]
	v_lshrrev_b32_e32 v5, 24, v5
	s_movk_i32 s2, 0x80
	v_and_or_b32 v5, v5, s2, v6
	global_store_byte v[3:4], v5, off
.LBB102_1681:
	s_mov_b64 s[2:3], 0
.LBB102_1682:
	s_andn2_b64 vcc, exec, s[2:3]
	s_cbranch_vccnz .LBB102_1692
; %bb.1683:
	v_cvt_f32_i32_sdwa v5, sext(v7) dst_sel:DWORD dst_unused:UNUSED_PAD src0_sel:WORD_0
	s_mov_b32 s2, 0x47800000
                                        ; implicit-def: $vgpr6
	v_and_b32_e32 v8, 0x7fffffff, v5
	v_cmp_gt_u32_e32 vcc, s2, v8
	s_and_saveexec_b64 s[2:3], vcc
	s_xor_b64 s[2:3], exec, s[2:3]
	s_cbranch_execz .LBB102_1689
; %bb.1684:
	s_mov_b32 s10, 0x387fffff
	v_cmp_lt_u32_e32 vcc, s10, v8
                                        ; implicit-def: $vgpr6
	s_and_saveexec_b64 s[10:11], vcc
	s_xor_b64 s[10:11], exec, s[10:11]
; %bb.1685:
	v_bfe_u32 v6, v5, 21, 1
	s_mov_b32 s12, 0x80fffff
	v_add3_u32 v6, v5, v6, s12
	v_lshrrev_b32_e32 v6, 21, v6
; %bb.1686:
	s_andn2_saveexec_b64 s[10:11], s[10:11]
; %bb.1687:
	s_mov_b32 s12, 0x43000000
	v_add_f32_e64 v6, |v5|, s12
; %bb.1688:
	s_or_b64 exec, exec, s[10:11]
                                        ; implicit-def: $vgpr8
.LBB102_1689:
	s_andn2_saveexec_b64 s[2:3], s[2:3]
; %bb.1690:
	s_mov_b32 s10, 0x7f800000
	v_mov_b32_e32 v6, 0x7c
	v_mov_b32_e32 v9, 0x7f
	v_cmp_lt_u32_e32 vcc, s10, v8
	v_cndmask_b32_e32 v6, v6, v9, vcc
; %bb.1691:
	s_or_b64 exec, exec, s[2:3]
	v_lshrrev_b32_e32 v5, 24, v5
	s_movk_i32 s2, 0x80
	v_and_or_b32 v5, v5, s2, v6
	global_store_byte v[3:4], v5, off
.LBB102_1692:
	s_mov_b64 s[2:3], 0
	s_mov_b64 s[10:11], -1
.LBB102_1693:
	s_andn2_b64 vcc, exec, s[2:3]
	s_mov_b64 s[2:3], 0
	s_cbranch_vccnz .LBB102_1700
; %bb.1694:
	s_cmp_gt_i32 s19, 14
	s_mov_b64 s[12:13], -1
	s_cbranch_scc0 .LBB102_1698
; %bb.1695:
	s_cmp_eq_u32 s19, 15
	s_mov_b64 s[0:1], -1
	s_cbranch_scc0 .LBB102_1697
; %bb.1696:
	v_cvt_f32_i32_sdwa v5, sext(v7) dst_sel:DWORD dst_unused:UNUSED_PAD src0_sel:WORD_0
	s_movk_i32 s2, 0x7fff
	s_mov_b64 s[0:1], 0
	s_mov_b64 s[10:11], -1
	v_bfe_u32 v6, v5, 16, 1
	v_add3_u32 v5, v5, v6, s2
	global_store_short_d16_hi v[3:4], v5, off
.LBB102_1697:
	s_mov_b64 s[12:13], 0
.LBB102_1698:
	s_mov_b64 s[2:3], 0
	s_and_b64 vcc, exec, s[12:13]
	s_cbranch_vccz .LBB102_1700
; %bb.1699:
	s_cmp_lg_u32 s19, 11
	s_mov_b64 s[2:3], -1
	s_cselect_b64 s[0:1], -1, 0
.LBB102_1700:
	s_and_b64 vcc, exec, s[0:1]
	s_cbranch_vccnz .LBB102_1994
; %bb.1701:
	s_andn2_b64 vcc, exec, s[2:3]
	s_cbranch_vccnz .LBB102_1703
.LBB102_1702:
	v_cmp_ne_u16_e32 vcc, 0, v7
	v_cndmask_b32_e64 v5, 0, 1, vcc
	s_mov_b64 s[10:11], -1
	global_store_byte v[3:4], v5, off
.LBB102_1703:
	s_mov_b64 s[0:1], 0
	s_branch .LBB102_1705
.LBB102_1704:
	s_mov_b64 s[0:1], -1
	s_mov_b64 s[10:11], 0
.LBB102_1705:
	s_and_b64 vcc, exec, s[0:1]
	s_cbranch_vccz .LBB102_1744
; %bb.1706:
	s_and_b32 s2, 0xffff, s20
	s_cmp_lt_i32 s2, 5
	s_mov_b64 s[0:1], -1
	s_cbranch_scc1 .LBB102_1727
; %bb.1707:
	s_cmp_lt_i32 s2, 8
	s_cbranch_scc1 .LBB102_1717
; %bb.1708:
	s_cmp_lt_i32 s2, 9
	s_cbranch_scc1 .LBB102_1714
; %bb.1709:
	s_cmp_gt_i32 s2, 9
	s_cbranch_scc0 .LBB102_1711
; %bb.1710:
	v_bfe_i32 v5, v7, 0, 16
	v_cvt_f64_i32_e32 v[8:9], v5
	v_mov_b32_e32 v10, 0
	v_mov_b32_e32 v11, v10
	s_mov_b64 s[0:1], 0
	global_store_dwordx4 v[3:4], v[8:11], off
.LBB102_1711:
	s_andn2_b64 vcc, exec, s[0:1]
	s_cbranch_vccnz .LBB102_1713
; %bb.1712:
	v_cvt_f32_i32_sdwa v5, sext(v7) dst_sel:DWORD dst_unused:UNUSED_PAD src0_sel:WORD_0
	v_mov_b32_e32 v6, 0
	global_store_dwordx2 v[3:4], v[5:6], off
.LBB102_1713:
	s_mov_b64 s[0:1], 0
.LBB102_1714:
	s_andn2_b64 vcc, exec, s[0:1]
	s_cbranch_vccnz .LBB102_1716
; %bb.1715:
	v_cvt_f16_i16_e32 v5, v7
	global_store_dword v[3:4], v5, off
.LBB102_1716:
	s_mov_b64 s[0:1], 0
.LBB102_1717:
	s_andn2_b64 vcc, exec, s[0:1]
	s_cbranch_vccnz .LBB102_1726
; %bb.1718:
	s_cmp_lt_i32 s2, 6
	s_mov_b64 s[0:1], -1
	s_cbranch_scc1 .LBB102_1724
; %bb.1719:
	s_cmp_gt_i32 s2, 6
	s_cbranch_scc0 .LBB102_1721
; %bb.1720:
	v_bfe_i32 v5, v7, 0, 16
	v_cvt_f64_i32_e32 v[5:6], v5
	s_mov_b64 s[0:1], 0
	global_store_dwordx2 v[3:4], v[5:6], off
.LBB102_1721:
	s_andn2_b64 vcc, exec, s[0:1]
	s_cbranch_vccnz .LBB102_1723
; %bb.1722:
	v_cvt_f32_i32_sdwa v5, sext(v7) dst_sel:DWORD dst_unused:UNUSED_PAD src0_sel:WORD_0
	global_store_dword v[3:4], v5, off
.LBB102_1723:
	s_mov_b64 s[0:1], 0
.LBB102_1724:
	s_andn2_b64 vcc, exec, s[0:1]
	s_cbranch_vccnz .LBB102_1726
; %bb.1725:
	v_cvt_f16_i16_e32 v5, v7
	global_store_short v[3:4], v5, off
.LBB102_1726:
	s_mov_b64 s[0:1], 0
.LBB102_1727:
	s_andn2_b64 vcc, exec, s[0:1]
	s_cbranch_vccnz .LBB102_1743
; %bb.1728:
	s_cmp_lt_i32 s2, 2
	s_mov_b64 s[0:1], -1
	s_cbranch_scc1 .LBB102_1738
; %bb.1729:
	s_cmp_lt_i32 s2, 3
	s_cbranch_scc1 .LBB102_1735
; %bb.1730:
	s_cmp_gt_i32 s2, 3
	v_bfe_i32 v5, v7, 0, 16
	s_cbranch_scc0 .LBB102_1732
; %bb.1731:
	v_ashrrev_i32_e32 v6, 31, v5
	global_store_dwordx2 v[3:4], v[5:6], off
	s_mov_b64 s[0:1], 0
.LBB102_1732:
	s_andn2_b64 vcc, exec, s[0:1]
	s_cbranch_vccnz .LBB102_1734
; %bb.1733:
	global_store_dword v[3:4], v5, off
.LBB102_1734:
	s_mov_b64 s[0:1], 0
.LBB102_1735:
	s_andn2_b64 vcc, exec, s[0:1]
	s_cbranch_vccnz .LBB102_1737
; %bb.1736:
	global_store_short v[3:4], v7, off
.LBB102_1737:
	s_mov_b64 s[0:1], 0
.LBB102_1738:
	s_andn2_b64 vcc, exec, s[0:1]
	s_cbranch_vccnz .LBB102_1743
; %bb.1739:
	s_cmp_gt_i32 s2, 0
	s_mov_b64 s[0:1], -1
	s_cbranch_scc0 .LBB102_1741
; %bb.1740:
	global_store_byte v[3:4], v7, off
	s_mov_b64 s[0:1], 0
.LBB102_1741:
	s_andn2_b64 vcc, exec, s[0:1]
	s_cbranch_vccnz .LBB102_1743
; %bb.1742:
	global_store_byte v[3:4], v7, off
.LBB102_1743:
	s_mov_b64 s[10:11], -1
.LBB102_1744:
	s_andn2_b64 vcc, exec, s[10:11]
	s_cbranch_vccnz .LBB102_1940
; %bb.1745:
	v_lshlrev_b32_sdwa v3, v2, s33 dst_sel:DWORD dst_unused:UNUSED_PAD src0_sel:WORD_0 src1_sel:DWORD
	v_cmp_gt_u16_e32 vcc, 16, v2
	v_add_u32_e32 v5, s18, v1
	v_cndmask_b32_e32 v6, 0, v3, vcc
	v_ashrrev_i32_e32 v2, 31, v5
	v_mov_b32_e32 v3, s9
	v_add_co_u32_e32 v1, vcc, s8, v5
	s_cmp_lt_i32 s20, 11
	v_addc_co_u32_e32 v2, vcc, v3, v2, vcc
	s_cbranch_scc1 .LBB102_1823
; %bb.1746:
	s_and_b32 s19, 0xffff, s20
	s_mov_b64 s[12:13], -1
	s_mov_b64 s[2:3], 0
	s_cmp_gt_i32 s19, 25
	s_mov_b64 s[10:11], 0
	s_mov_b64 s[0:1], 0
	s_cbranch_scc0 .LBB102_1779
; %bb.1747:
	s_cmp_gt_i32 s19, 28
	s_cbranch_scc0 .LBB102_1762
; %bb.1748:
	s_cmp_gt_i32 s19, 43
	;; [unrolled: 3-line block ×3, first 2 shown]
	s_cbranch_scc0 .LBB102_1752
; %bb.1750:
	s_mov_b64 s[0:1], -1
	s_mov_b64 s[12:13], 0
	s_cmp_eq_u32 s19, 46
	s_cbranch_scc0 .LBB102_1752
; %bb.1751:
	v_cvt_f32_i32_sdwa v3, sext(v6) dst_sel:DWORD dst_unused:UNUSED_PAD src0_sel:WORD_0
	s_movk_i32 s10, 0x7fff
	s_mov_b64 s[0:1], 0
	v_bfe_u32 v4, v3, 16, 1
	v_add3_u32 v3, v3, v4, s10
	v_lshrrev_b32_e32 v3, 16, v3
	global_store_dword v[1:2], v3, off
	s_mov_b64 s[10:11], -1
.LBB102_1752:
	s_and_b64 vcc, exec, s[12:13]
	s_cbranch_vccz .LBB102_1757
; %bb.1753:
	s_cmp_eq_u32 s19, 44
	s_mov_b64 s[0:1], -1
	s_cbranch_scc0 .LBB102_1757
; %bb.1754:
	v_cvt_f32_i32_sdwa v3, sext(v6) dst_sel:DWORD dst_unused:UNUSED_PAD src0_sel:WORD_0
	s_movk_i32 s0, 0xff
	v_mov_b32_e32 v7, 0xff
	v_bfe_u32 v4, v3, 23, 8
	v_cmp_ne_u32_e32 vcc, s0, v4
	s_and_saveexec_b64 s[10:11], vcc
; %bb.1755:
	s_mov_b32 s0, 0x3fffff
	v_lshrrev_b32_e32 v7, 23, v3
	v_and_b32_e32 v8, 0x400000, v3
	v_and_or_b32 v3, v3, s0, v4
	v_cmp_ne_u32_e32 vcc, 0, v8
	v_cmp_ne_u32_e64 s[0:1], 0, v3
	s_and_b64 s[0:1], vcc, s[0:1]
	v_cndmask_b32_e64 v3, 0, 1, s[0:1]
	v_add_u32_e32 v7, v7, v3
; %bb.1756:
	s_or_b64 exec, exec, s[10:11]
	s_mov_b64 s[0:1], 0
	s_mov_b64 s[10:11], -1
	global_store_byte v[1:2], v7, off
.LBB102_1757:
	s_mov_b64 s[12:13], 0
.LBB102_1758:
	s_and_b64 vcc, exec, s[12:13]
	s_cbranch_vccz .LBB102_1761
; %bb.1759:
	s_cmp_eq_u32 s19, 29
	s_mov_b64 s[0:1], -1
	s_cbranch_scc0 .LBB102_1761
; %bb.1760:
	v_bfe_i32 v3, v6, 0, 16
	v_ashrrev_i32_e32 v4, 31, v3
	global_store_dwordx2 v[1:2], v[3:4], off
	s_mov_b64 s[0:1], 0
	s_mov_b64 s[10:11], -1
.LBB102_1761:
	s_mov_b64 s[12:13], 0
.LBB102_1762:
	s_and_b64 vcc, exec, s[12:13]
	s_cbranch_vccz .LBB102_1778
; %bb.1763:
	s_cmp_lt_i32 s19, 27
	s_mov_b64 s[10:11], -1
	s_cbranch_scc1 .LBB102_1769
; %bb.1764:
	s_cmp_gt_i32 s19, 27
	s_cbranch_scc0 .LBB102_1766
; %bb.1765:
	v_bfe_i32 v3, v6, 0, 16
	s_mov_b64 s[10:11], 0
	global_store_dword v[1:2], v3, off
.LBB102_1766:
	s_andn2_b64 vcc, exec, s[10:11]
	s_cbranch_vccnz .LBB102_1768
; %bb.1767:
	global_store_short v[1:2], v6, off
.LBB102_1768:
	s_mov_b64 s[10:11], 0
.LBB102_1769:
	s_andn2_b64 vcc, exec, s[10:11]
	s_cbranch_vccnz .LBB102_1777
; %bb.1770:
	v_cvt_f32_i32_sdwa v3, sext(v6) dst_sel:DWORD dst_unused:UNUSED_PAD src0_sel:WORD_0
	s_mov_b32 s10, 0x43800000
	v_mov_b32_e32 v7, 0x80
	v_and_b32_e32 v4, 0x7fffffff, v3
	v_cmp_gt_u32_e32 vcc, s10, v4
	s_and_saveexec_b64 s[10:11], vcc
	s_cbranch_execz .LBB102_1776
; %bb.1771:
	s_mov_b32 s12, 0x3bffffff
	v_cmp_lt_u32_e32 vcc, s12, v4
	s_mov_b64 s[12:13], 0
                                        ; implicit-def: $vgpr4
	s_and_saveexec_b64 s[14:15], vcc
	s_xor_b64 s[14:15], exec, s[14:15]
	s_cbranch_execz .LBB102_1997
; %bb.1772:
	v_bfe_u32 v4, v3, 20, 1
	s_mov_b32 s21, 0x487ffff
	v_add3_u32 v4, v3, v4, s21
	s_mov_b64 s[12:13], exec
	v_lshrrev_b32_e32 v4, 20, v4
	s_andn2_saveexec_b64 s[14:15], s[14:15]
	s_cbranch_execnz .LBB102_1998
.LBB102_1773:
	s_or_b64 exec, exec, s[14:15]
	v_mov_b32_e32 v7, 0
	s_and_saveexec_b64 s[14:15], s[12:13]
.LBB102_1774:
	v_lshrrev_b32_e32 v3, 24, v3
	s_movk_i32 s12, 0x80
	v_and_or_b32 v7, v3, s12, v4
.LBB102_1775:
	s_or_b64 exec, exec, s[14:15]
.LBB102_1776:
	s_or_b64 exec, exec, s[10:11]
	global_store_byte v[1:2], v7, off
.LBB102_1777:
	s_mov_b64 s[10:11], -1
.LBB102_1778:
	s_mov_b64 s[12:13], 0
.LBB102_1779:
	s_and_b64 vcc, exec, s[12:13]
	s_cbranch_vccz .LBB102_1819
; %bb.1780:
	s_cmp_gt_i32 s19, 22
	s_mov_b64 s[2:3], -1
	s_cbranch_scc0 .LBB102_1812
; %bb.1781:
	s_cmp_lt_i32 s19, 24
	s_cbranch_scc1 .LBB102_1801
; %bb.1782:
	s_cmp_gt_i32 s19, 24
	s_cbranch_scc0 .LBB102_1790
; %bb.1783:
	v_cvt_f32_i32_sdwa v3, sext(v6) dst_sel:DWORD dst_unused:UNUSED_PAD src0_sel:WORD_0
	s_mov_b32 s2, 0x47800000
	v_mov_b32_e32 v7, 0x80
	v_and_b32_e32 v4, 0x7fffffff, v3
	v_cmp_gt_u32_e32 vcc, s2, v4
	s_and_saveexec_b64 s[2:3], vcc
	s_cbranch_execz .LBB102_1789
; %bb.1784:
	s_mov_b32 s10, 0x37ffffff
	v_cmp_lt_u32_e32 vcc, s10, v4
	s_mov_b64 s[10:11], 0
                                        ; implicit-def: $vgpr4
	s_and_saveexec_b64 s[12:13], vcc
	s_xor_b64 s[12:13], exec, s[12:13]
	s_cbranch_execz .LBB102_2000
; %bb.1785:
	v_bfe_u32 v4, v3, 21, 1
	s_mov_b32 s14, 0x88fffff
	v_add3_u32 v4, v3, v4, s14
	s_mov_b64 s[10:11], exec
	v_lshrrev_b32_e32 v4, 21, v4
	s_andn2_saveexec_b64 s[12:13], s[12:13]
	s_cbranch_execnz .LBB102_2001
.LBB102_1786:
	s_or_b64 exec, exec, s[12:13]
	v_mov_b32_e32 v7, 0
	s_and_saveexec_b64 s[12:13], s[10:11]
.LBB102_1787:
	v_lshrrev_b32_e32 v3, 24, v3
	s_movk_i32 s10, 0x80
	v_and_or_b32 v7, v3, s10, v4
.LBB102_1788:
	s_or_b64 exec, exec, s[12:13]
.LBB102_1789:
	s_or_b64 exec, exec, s[2:3]
	s_mov_b64 s[2:3], 0
	global_store_byte v[1:2], v7, off
.LBB102_1790:
	s_and_b64 vcc, exec, s[2:3]
	s_cbranch_vccz .LBB102_1800
; %bb.1791:
	v_cvt_f32_i32_sdwa v3, sext(v6) dst_sel:DWORD dst_unused:UNUSED_PAD src0_sel:WORD_0
	s_mov_b32 s2, 0x43f00000
                                        ; implicit-def: $vgpr4
	v_and_b32_e32 v7, 0x7fffffff, v3
	v_cmp_gt_u32_e32 vcc, s2, v7
	s_and_saveexec_b64 s[2:3], vcc
	s_xor_b64 s[2:3], exec, s[2:3]
	s_cbranch_execz .LBB102_1797
; %bb.1792:
	s_mov_b32 s10, 0x3c7fffff
	v_cmp_lt_u32_e32 vcc, s10, v7
                                        ; implicit-def: $vgpr4
	s_and_saveexec_b64 s[10:11], vcc
	s_xor_b64 s[10:11], exec, s[10:11]
; %bb.1793:
	v_bfe_u32 v4, v3, 20, 1
	s_mov_b32 s12, 0x407ffff
	v_add3_u32 v4, v3, v4, s12
	v_lshrrev_b32_e32 v7, 20, v4
	v_and_b32_e32 v4, 0xff00000, v4
	s_mov_b32 s12, 0x7f00000
	v_mov_b32_e32 v8, 0x7e
	v_cmp_ne_u32_e32 vcc, s12, v4
	v_cndmask_b32_e32 v4, v8, v7, vcc
; %bb.1794:
	s_andn2_saveexec_b64 s[10:11], s[10:11]
; %bb.1795:
	s_mov_b32 s12, 0x46800000
	v_add_f32_e64 v4, |v3|, s12
; %bb.1796:
	s_or_b64 exec, exec, s[10:11]
                                        ; implicit-def: $vgpr7
.LBB102_1797:
	s_andn2_saveexec_b64 s[2:3], s[2:3]
; %bb.1798:
	s_mov_b32 s10, 0x7f800000
	v_mov_b32_e32 v4, 0x7e
	v_mov_b32_e32 v8, 0x7f
	v_cmp_lt_u32_e32 vcc, s10, v7
	v_cndmask_b32_e32 v4, v4, v8, vcc
; %bb.1799:
	s_or_b64 exec, exec, s[2:3]
	v_lshrrev_b32_e32 v3, 24, v3
	s_movk_i32 s2, 0x80
	v_and_or_b32 v3, v3, s2, v4
	global_store_byte v[1:2], v3, off
.LBB102_1800:
	s_mov_b64 s[2:3], 0
.LBB102_1801:
	s_andn2_b64 vcc, exec, s[2:3]
	s_cbranch_vccnz .LBB102_1811
; %bb.1802:
	v_cvt_f32_i32_sdwa v3, sext(v6) dst_sel:DWORD dst_unused:UNUSED_PAD src0_sel:WORD_0
	s_mov_b32 s2, 0x47800000
                                        ; implicit-def: $vgpr4
	v_and_b32_e32 v7, 0x7fffffff, v3
	v_cmp_gt_u32_e32 vcc, s2, v7
	s_and_saveexec_b64 s[2:3], vcc
	s_xor_b64 s[2:3], exec, s[2:3]
	s_cbranch_execz .LBB102_1808
; %bb.1803:
	s_mov_b32 s10, 0x387fffff
	v_cmp_lt_u32_e32 vcc, s10, v7
                                        ; implicit-def: $vgpr4
	s_and_saveexec_b64 s[10:11], vcc
	s_xor_b64 s[10:11], exec, s[10:11]
; %bb.1804:
	v_bfe_u32 v4, v3, 21, 1
	s_mov_b32 s12, 0x80fffff
	v_add3_u32 v4, v3, v4, s12
	v_lshrrev_b32_e32 v4, 21, v4
; %bb.1805:
	s_andn2_saveexec_b64 s[10:11], s[10:11]
; %bb.1806:
	s_mov_b32 s12, 0x43000000
	v_add_f32_e64 v4, |v3|, s12
; %bb.1807:
	s_or_b64 exec, exec, s[10:11]
                                        ; implicit-def: $vgpr7
.LBB102_1808:
	s_andn2_saveexec_b64 s[2:3], s[2:3]
; %bb.1809:
	s_mov_b32 s10, 0x7f800000
	v_mov_b32_e32 v4, 0x7c
	v_mov_b32_e32 v8, 0x7f
	v_cmp_lt_u32_e32 vcc, s10, v7
	v_cndmask_b32_e32 v4, v4, v8, vcc
; %bb.1810:
	s_or_b64 exec, exec, s[2:3]
	v_lshrrev_b32_e32 v3, 24, v3
	s_movk_i32 s2, 0x80
	v_and_or_b32 v3, v3, s2, v4
	global_store_byte v[1:2], v3, off
.LBB102_1811:
	s_mov_b64 s[2:3], 0
	s_mov_b64 s[10:11], -1
.LBB102_1812:
	s_andn2_b64 vcc, exec, s[2:3]
	s_mov_b64 s[2:3], 0
	s_cbranch_vccnz .LBB102_1819
; %bb.1813:
	s_cmp_gt_i32 s19, 14
	s_mov_b64 s[12:13], -1
	s_cbranch_scc0 .LBB102_1817
; %bb.1814:
	s_cmp_eq_u32 s19, 15
	s_mov_b64 s[0:1], -1
	s_cbranch_scc0 .LBB102_1816
; %bb.1815:
	v_cvt_f32_i32_sdwa v3, sext(v6) dst_sel:DWORD dst_unused:UNUSED_PAD src0_sel:WORD_0
	s_movk_i32 s2, 0x7fff
	s_mov_b64 s[0:1], 0
	s_mov_b64 s[10:11], -1
	v_bfe_u32 v4, v3, 16, 1
	v_add3_u32 v3, v3, v4, s2
	global_store_short_d16_hi v[1:2], v3, off
.LBB102_1816:
	s_mov_b64 s[12:13], 0
.LBB102_1817:
	s_mov_b64 s[2:3], 0
	s_and_b64 vcc, exec, s[12:13]
	s_cbranch_vccz .LBB102_1819
; %bb.1818:
	s_cmp_lg_u32 s19, 11
	s_mov_b64 s[2:3], -1
	s_cselect_b64 s[0:1], -1, 0
.LBB102_1819:
	s_and_b64 vcc, exec, s[0:1]
	s_cbranch_vccnz .LBB102_1999
; %bb.1820:
	s_andn2_b64 vcc, exec, s[2:3]
	s_cbranch_vccnz .LBB102_1822
.LBB102_1821:
	v_cmp_ne_u16_e32 vcc, 0, v6
	v_cndmask_b32_e64 v3, 0, 1, vcc
	s_mov_b64 s[10:11], -1
	global_store_byte v[1:2], v3, off
.LBB102_1822:
	s_mov_b64 s[0:1], 0
	s_branch .LBB102_1824
.LBB102_1823:
	s_mov_b64 s[0:1], -1
	s_mov_b64 s[10:11], 0
.LBB102_1824:
	s_and_b64 vcc, exec, s[0:1]
	s_cbranch_vccz .LBB102_1863
; %bb.1825:
	s_and_b32 s2, 0xffff, s20
	s_cmp_lt_i32 s2, 5
	s_mov_b64 s[0:1], -1
	s_cbranch_scc1 .LBB102_1846
; %bb.1826:
	s_cmp_lt_i32 s2, 8
	s_cbranch_scc1 .LBB102_1836
; %bb.1827:
	s_cmp_lt_i32 s2, 9
	s_cbranch_scc1 .LBB102_1833
; %bb.1828:
	s_cmp_gt_i32 s2, 9
	s_cbranch_scc0 .LBB102_1830
; %bb.1829:
	v_bfe_i32 v3, v6, 0, 16
	v_cvt_f64_i32_e32 v[7:8], v3
	v_mov_b32_e32 v9, 0
	v_mov_b32_e32 v10, v9
	s_mov_b64 s[0:1], 0
	global_store_dwordx4 v[1:2], v[7:10], off
.LBB102_1830:
	s_andn2_b64 vcc, exec, s[0:1]
	s_cbranch_vccnz .LBB102_1832
; %bb.1831:
	v_cvt_f32_i32_sdwa v3, sext(v6) dst_sel:DWORD dst_unused:UNUSED_PAD src0_sel:WORD_0
	v_mov_b32_e32 v4, 0
	global_store_dwordx2 v[1:2], v[3:4], off
.LBB102_1832:
	s_mov_b64 s[0:1], 0
.LBB102_1833:
	s_andn2_b64 vcc, exec, s[0:1]
	s_cbranch_vccnz .LBB102_1835
; %bb.1834:
	v_cvt_f16_i16_e32 v3, v6
	global_store_dword v[1:2], v3, off
.LBB102_1835:
	s_mov_b64 s[0:1], 0
.LBB102_1836:
	s_andn2_b64 vcc, exec, s[0:1]
	s_cbranch_vccnz .LBB102_1845
; %bb.1837:
	s_cmp_lt_i32 s2, 6
	s_mov_b64 s[0:1], -1
	s_cbranch_scc1 .LBB102_1843
; %bb.1838:
	s_cmp_gt_i32 s2, 6
	s_cbranch_scc0 .LBB102_1840
; %bb.1839:
	v_bfe_i32 v3, v6, 0, 16
	v_cvt_f64_i32_e32 v[3:4], v3
	s_mov_b64 s[0:1], 0
	global_store_dwordx2 v[1:2], v[3:4], off
.LBB102_1840:
	s_andn2_b64 vcc, exec, s[0:1]
	s_cbranch_vccnz .LBB102_1842
; %bb.1841:
	v_cvt_f32_i32_sdwa v3, sext(v6) dst_sel:DWORD dst_unused:UNUSED_PAD src0_sel:WORD_0
	global_store_dword v[1:2], v3, off
.LBB102_1842:
	s_mov_b64 s[0:1], 0
.LBB102_1843:
	s_andn2_b64 vcc, exec, s[0:1]
	s_cbranch_vccnz .LBB102_1845
; %bb.1844:
	v_cvt_f16_i16_e32 v3, v6
	global_store_short v[1:2], v3, off
.LBB102_1845:
	s_mov_b64 s[0:1], 0
.LBB102_1846:
	s_andn2_b64 vcc, exec, s[0:1]
	s_cbranch_vccnz .LBB102_1862
; %bb.1847:
	s_cmp_lt_i32 s2, 2
	s_mov_b64 s[0:1], -1
	s_cbranch_scc1 .LBB102_1857
; %bb.1848:
	s_cmp_lt_i32 s2, 3
	s_cbranch_scc1 .LBB102_1854
; %bb.1849:
	s_cmp_gt_i32 s2, 3
	v_bfe_i32 v3, v6, 0, 16
	s_cbranch_scc0 .LBB102_1851
; %bb.1850:
	v_ashrrev_i32_e32 v4, 31, v3
	global_store_dwordx2 v[1:2], v[3:4], off
	s_mov_b64 s[0:1], 0
.LBB102_1851:
	s_andn2_b64 vcc, exec, s[0:1]
	s_cbranch_vccnz .LBB102_1853
; %bb.1852:
	global_store_dword v[1:2], v3, off
.LBB102_1853:
	s_mov_b64 s[0:1], 0
.LBB102_1854:
	s_andn2_b64 vcc, exec, s[0:1]
	s_cbranch_vccnz .LBB102_1856
; %bb.1855:
	global_store_short v[1:2], v6, off
.LBB102_1856:
	s_mov_b64 s[0:1], 0
.LBB102_1857:
	s_andn2_b64 vcc, exec, s[0:1]
	s_cbranch_vccnz .LBB102_1862
; %bb.1858:
	s_cmp_gt_i32 s2, 0
	s_mov_b64 s[0:1], -1
	s_cbranch_scc0 .LBB102_1860
; %bb.1859:
	global_store_byte v[1:2], v6, off
	s_mov_b64 s[0:1], 0
.LBB102_1860:
	s_andn2_b64 vcc, exec, s[0:1]
	s_cbranch_vccnz .LBB102_1862
; %bb.1861:
	global_store_byte v[1:2], v6, off
.LBB102_1862:
	s_mov_b64 s[10:11], -1
.LBB102_1863:
	s_andn2_b64 vcc, exec, s[10:11]
	s_cbranch_vccnz .LBB102_1940
; %bb.1864:
	v_lshlrev_b32_sdwa v1, v0, s33 dst_sel:DWORD dst_unused:UNUSED_PAD src0_sel:WORD_0 src1_sel:DWORD
	v_cmp_gt_u16_e32 vcc, 16, v0
	v_add_u32_e32 v0, s18, v5
	v_cndmask_b32_e32 v4, 0, v1, vcc
	v_ashrrev_i32_e32 v1, 31, v0
	v_mov_b32_e32 v2, s9
	v_add_co_u32_e32 v0, vcc, s8, v0
	s_cmp_lt_i32 s20, 11
	v_addc_co_u32_e32 v1, vcc, v2, v1, vcc
	s_cbranch_scc1 .LBB102_1985
; %bb.1865:
	s_and_b32 s14, 0xffff, s20
	s_mov_b64 s[8:9], -1
	s_mov_b64 s[2:3], 0
	s_cmp_gt_i32 s14, 25
	s_mov_b64 s[0:1], 0
	s_cbranch_scc0 .LBB102_1898
; %bb.1866:
	s_cmp_gt_i32 s14, 28
	s_cbranch_scc0 .LBB102_1882
; %bb.1867:
	s_cmp_gt_i32 s14, 43
	;; [unrolled: 3-line block ×3, first 2 shown]
	s_cbranch_scc0 .LBB102_1872
; %bb.1869:
	s_cmp_eq_u32 s14, 46
	s_mov_b64 s[0:1], -1
	s_cbranch_scc0 .LBB102_1871
; %bb.1870:
	v_cvt_f32_i32_sdwa v2, sext(v4) dst_sel:DWORD dst_unused:UNUSED_PAD src0_sel:WORD_0
	s_movk_i32 s0, 0x7fff
	v_bfe_u32 v3, v2, 16, 1
	v_add3_u32 v2, v2, v3, s0
	v_lshrrev_b32_e32 v2, 16, v2
	global_store_dword v[0:1], v2, off
	s_mov_b64 s[0:1], 0
.LBB102_1871:
	s_mov_b64 s[8:9], 0
.LBB102_1872:
	s_and_b64 vcc, exec, s[8:9]
	s_cbranch_vccz .LBB102_1877
; %bb.1873:
	s_cmp_eq_u32 s14, 44
	s_mov_b64 s[0:1], -1
	s_cbranch_scc0 .LBB102_1877
; %bb.1874:
	v_cvt_f32_i32_sdwa v2, sext(v4) dst_sel:DWORD dst_unused:UNUSED_PAD src0_sel:WORD_0
	s_movk_i32 s0, 0xff
	v_mov_b32_e32 v5, 0xff
	v_bfe_u32 v3, v2, 23, 8
	v_cmp_ne_u32_e32 vcc, s0, v3
	s_and_saveexec_b64 s[8:9], vcc
; %bb.1875:
	s_mov_b32 s0, 0x3fffff
	v_lshrrev_b32_e32 v5, 23, v2
	v_and_b32_e32 v6, 0x400000, v2
	v_and_or_b32 v2, v2, s0, v3
	v_cmp_ne_u32_e32 vcc, 0, v6
	v_cmp_ne_u32_e64 s[0:1], 0, v2
	s_and_b64 s[0:1], vcc, s[0:1]
	v_cndmask_b32_e64 v2, 0, 1, s[0:1]
	v_add_u32_e32 v5, v5, v2
; %bb.1876:
	s_or_b64 exec, exec, s[8:9]
	s_mov_b64 s[0:1], 0
	global_store_byte v[0:1], v5, off
.LBB102_1877:
	s_mov_b64 s[8:9], 0
.LBB102_1878:
	s_and_b64 vcc, exec, s[8:9]
	s_cbranch_vccz .LBB102_1881
; %bb.1879:
	s_cmp_eq_u32 s14, 29
	s_mov_b64 s[0:1], -1
	s_cbranch_scc0 .LBB102_1881
; %bb.1880:
	v_bfe_i32 v2, v4, 0, 16
	v_ashrrev_i32_e32 v3, 31, v2
	global_store_dwordx2 v[0:1], v[2:3], off
	s_mov_b64 s[0:1], 0
.LBB102_1881:
	s_mov_b64 s[8:9], 0
.LBB102_1882:
	s_and_b64 vcc, exec, s[8:9]
	s_cbranch_vccz .LBB102_1897
; %bb.1883:
	s_cmp_lt_i32 s14, 27
	s_mov_b64 s[8:9], -1
	s_cbranch_scc1 .LBB102_1889
; %bb.1884:
	s_cmp_gt_i32 s14, 27
	s_cbranch_scc0 .LBB102_1886
; %bb.1885:
	v_bfe_i32 v2, v4, 0, 16
	global_store_dword v[0:1], v2, off
	s_mov_b64 s[8:9], 0
.LBB102_1886:
	s_andn2_b64 vcc, exec, s[8:9]
	s_cbranch_vccnz .LBB102_1888
; %bb.1887:
	global_store_short v[0:1], v4, off
.LBB102_1888:
	s_mov_b64 s[8:9], 0
.LBB102_1889:
	s_andn2_b64 vcc, exec, s[8:9]
	s_cbranch_vccnz .LBB102_1897
; %bb.1890:
	v_cvt_f32_i32_sdwa v2, sext(v4) dst_sel:DWORD dst_unused:UNUSED_PAD src0_sel:WORD_0
	s_mov_b32 s8, 0x43800000
	v_mov_b32_e32 v5, 0x80
	v_and_b32_e32 v3, 0x7fffffff, v2
	v_cmp_gt_u32_e32 vcc, s8, v3
	s_and_saveexec_b64 s[8:9], vcc
	s_cbranch_execz .LBB102_1896
; %bb.1891:
	s_mov_b32 s10, 0x3bffffff
	v_cmp_lt_u32_e32 vcc, s10, v3
	s_mov_b64 s[10:11], 0
                                        ; implicit-def: $vgpr3
	s_and_saveexec_b64 s[12:13], vcc
	s_xor_b64 s[12:13], exec, s[12:13]
	s_cbranch_execz .LBB102_2002
; %bb.1892:
	v_bfe_u32 v3, v2, 20, 1
	s_mov_b32 s15, 0x487ffff
	v_add3_u32 v3, v2, v3, s15
	s_mov_b64 s[10:11], exec
	v_lshrrev_b32_e32 v3, 20, v3
	s_andn2_saveexec_b64 s[12:13], s[12:13]
	s_cbranch_execnz .LBB102_2003
.LBB102_1893:
	s_or_b64 exec, exec, s[12:13]
	v_mov_b32_e32 v5, 0
	s_and_saveexec_b64 s[12:13], s[10:11]
.LBB102_1894:
	v_lshrrev_b32_e32 v2, 24, v2
	s_movk_i32 s10, 0x80
	v_and_or_b32 v5, v2, s10, v3
.LBB102_1895:
	s_or_b64 exec, exec, s[12:13]
.LBB102_1896:
	s_or_b64 exec, exec, s[8:9]
	global_store_byte v[0:1], v5, off
.LBB102_1897:
	s_mov_b64 s[8:9], 0
.LBB102_1898:
	s_and_b64 vcc, exec, s[8:9]
	s_cbranch_vccz .LBB102_1938
; %bb.1899:
	s_cmp_gt_i32 s14, 22
	s_mov_b64 s[2:3], -1
	s_cbranch_scc0 .LBB102_1931
; %bb.1900:
	s_cmp_lt_i32 s14, 24
	s_cbranch_scc1 .LBB102_1920
; %bb.1901:
	s_cmp_gt_i32 s14, 24
	s_cbranch_scc0 .LBB102_1909
; %bb.1902:
	v_cvt_f32_i32_sdwa v2, sext(v4) dst_sel:DWORD dst_unused:UNUSED_PAD src0_sel:WORD_0
	s_mov_b32 s2, 0x47800000
	v_mov_b32_e32 v5, 0x80
	v_and_b32_e32 v3, 0x7fffffff, v2
	v_cmp_gt_u32_e32 vcc, s2, v3
	s_and_saveexec_b64 s[2:3], vcc
	s_cbranch_execz .LBB102_1908
; %bb.1903:
	s_mov_b32 s8, 0x37ffffff
	v_cmp_lt_u32_e32 vcc, s8, v3
	s_mov_b64 s[8:9], 0
                                        ; implicit-def: $vgpr3
	s_and_saveexec_b64 s[10:11], vcc
	s_xor_b64 s[10:11], exec, s[10:11]
	s_cbranch_execz .LBB102_2005
; %bb.1904:
	v_bfe_u32 v3, v2, 21, 1
	s_mov_b32 s12, 0x88fffff
	v_add3_u32 v3, v2, v3, s12
	s_mov_b64 s[8:9], exec
	v_lshrrev_b32_e32 v3, 21, v3
	s_andn2_saveexec_b64 s[10:11], s[10:11]
	s_cbranch_execnz .LBB102_2006
.LBB102_1905:
	s_or_b64 exec, exec, s[10:11]
	v_mov_b32_e32 v5, 0
	s_and_saveexec_b64 s[10:11], s[8:9]
.LBB102_1906:
	v_lshrrev_b32_e32 v2, 24, v2
	s_movk_i32 s8, 0x80
	v_and_or_b32 v5, v2, s8, v3
.LBB102_1907:
	s_or_b64 exec, exec, s[10:11]
.LBB102_1908:
	s_or_b64 exec, exec, s[2:3]
	s_mov_b64 s[2:3], 0
	global_store_byte v[0:1], v5, off
.LBB102_1909:
	s_and_b64 vcc, exec, s[2:3]
	s_cbranch_vccz .LBB102_1919
; %bb.1910:
	v_cvt_f32_i32_sdwa v2, sext(v4) dst_sel:DWORD dst_unused:UNUSED_PAD src0_sel:WORD_0
	s_mov_b32 s2, 0x43f00000
                                        ; implicit-def: $vgpr3
	v_and_b32_e32 v5, 0x7fffffff, v2
	v_cmp_gt_u32_e32 vcc, s2, v5
	s_and_saveexec_b64 s[2:3], vcc
	s_xor_b64 s[2:3], exec, s[2:3]
	s_cbranch_execz .LBB102_1916
; %bb.1911:
	s_mov_b32 s8, 0x3c7fffff
	v_cmp_lt_u32_e32 vcc, s8, v5
                                        ; implicit-def: $vgpr3
	s_and_saveexec_b64 s[8:9], vcc
	s_xor_b64 s[8:9], exec, s[8:9]
; %bb.1912:
	v_bfe_u32 v3, v2, 20, 1
	s_mov_b32 s10, 0x407ffff
	v_add3_u32 v3, v2, v3, s10
	v_lshrrev_b32_e32 v5, 20, v3
	v_and_b32_e32 v3, 0xff00000, v3
	s_mov_b32 s10, 0x7f00000
	v_mov_b32_e32 v6, 0x7e
	v_cmp_ne_u32_e32 vcc, s10, v3
	v_cndmask_b32_e32 v3, v6, v5, vcc
; %bb.1913:
	s_andn2_saveexec_b64 s[8:9], s[8:9]
; %bb.1914:
	s_mov_b32 s10, 0x46800000
	v_add_f32_e64 v3, |v2|, s10
; %bb.1915:
	s_or_b64 exec, exec, s[8:9]
                                        ; implicit-def: $vgpr5
.LBB102_1916:
	s_andn2_saveexec_b64 s[2:3], s[2:3]
; %bb.1917:
	s_mov_b32 s8, 0x7f800000
	v_mov_b32_e32 v3, 0x7e
	v_mov_b32_e32 v6, 0x7f
	v_cmp_lt_u32_e32 vcc, s8, v5
	v_cndmask_b32_e32 v3, v3, v6, vcc
; %bb.1918:
	s_or_b64 exec, exec, s[2:3]
	v_lshrrev_b32_e32 v2, 24, v2
	s_movk_i32 s2, 0x80
	v_and_or_b32 v2, v2, s2, v3
	global_store_byte v[0:1], v2, off
.LBB102_1919:
	s_mov_b64 s[2:3], 0
.LBB102_1920:
	s_andn2_b64 vcc, exec, s[2:3]
	s_cbranch_vccnz .LBB102_1930
; %bb.1921:
	v_cvt_f32_i32_sdwa v2, sext(v4) dst_sel:DWORD dst_unused:UNUSED_PAD src0_sel:WORD_0
	s_mov_b32 s2, 0x47800000
                                        ; implicit-def: $vgpr3
	v_and_b32_e32 v5, 0x7fffffff, v2
	v_cmp_gt_u32_e32 vcc, s2, v5
	s_and_saveexec_b64 s[2:3], vcc
	s_xor_b64 s[2:3], exec, s[2:3]
	s_cbranch_execz .LBB102_1927
; %bb.1922:
	s_mov_b32 s8, 0x387fffff
	v_cmp_lt_u32_e32 vcc, s8, v5
                                        ; implicit-def: $vgpr3
	s_and_saveexec_b64 s[8:9], vcc
	s_xor_b64 s[8:9], exec, s[8:9]
; %bb.1923:
	v_bfe_u32 v3, v2, 21, 1
	s_mov_b32 s10, 0x80fffff
	v_add3_u32 v3, v2, v3, s10
	v_lshrrev_b32_e32 v3, 21, v3
; %bb.1924:
	s_andn2_saveexec_b64 s[8:9], s[8:9]
; %bb.1925:
	s_mov_b32 s10, 0x43000000
	v_add_f32_e64 v3, |v2|, s10
; %bb.1926:
	s_or_b64 exec, exec, s[8:9]
                                        ; implicit-def: $vgpr5
.LBB102_1927:
	s_andn2_saveexec_b64 s[2:3], s[2:3]
; %bb.1928:
	s_mov_b32 s8, 0x7f800000
	v_mov_b32_e32 v3, 0x7c
	v_mov_b32_e32 v6, 0x7f
	v_cmp_lt_u32_e32 vcc, s8, v5
	v_cndmask_b32_e32 v3, v3, v6, vcc
; %bb.1929:
	s_or_b64 exec, exec, s[2:3]
	v_lshrrev_b32_e32 v2, 24, v2
	s_movk_i32 s2, 0x80
	v_and_or_b32 v2, v2, s2, v3
	global_store_byte v[0:1], v2, off
.LBB102_1930:
	s_mov_b64 s[2:3], 0
.LBB102_1931:
	s_andn2_b64 vcc, exec, s[2:3]
	s_mov_b64 s[2:3], 0
	s_cbranch_vccnz .LBB102_1938
; %bb.1932:
	s_cmp_gt_i32 s14, 14
	s_mov_b64 s[8:9], -1
	s_cbranch_scc0 .LBB102_1936
; %bb.1933:
	s_cmp_eq_u32 s14, 15
	s_mov_b64 s[0:1], -1
	s_cbranch_scc0 .LBB102_1935
; %bb.1934:
	v_cvt_f32_i32_sdwa v2, sext(v4) dst_sel:DWORD dst_unused:UNUSED_PAD src0_sel:WORD_0
	s_movk_i32 s0, 0x7fff
	v_bfe_u32 v3, v2, 16, 1
	v_add3_u32 v2, v2, v3, s0
	global_store_short_d16_hi v[0:1], v2, off
	s_mov_b64 s[0:1], 0
.LBB102_1935:
	s_mov_b64 s[8:9], 0
.LBB102_1936:
	s_and_b64 vcc, exec, s[8:9]
	s_cbranch_vccz .LBB102_1938
; %bb.1937:
	s_cmp_lg_u32 s14, 11
	s_mov_b64 s[2:3], -1
	s_cselect_b64 s[0:1], -1, 0
.LBB102_1938:
	s_and_b64 vcc, exec, s[0:1]
	s_cbranch_vccnz .LBB102_2004
.LBB102_1939:
	s_mov_b64 s[0:1], 0
	s_branch .LBB102_1941
.LBB102_1940:
	s_mov_b64 s[0:1], 0
	s_mov_b64 s[2:3], 0
                                        ; implicit-def: $sgpr20
                                        ; implicit-def: $vgpr0_vgpr1
                                        ; implicit-def: $vgpr4
.LBB102_1941:
	s_andn2_b64 s[6:7], s[6:7], exec
	s_and_b64 s[8:9], s[16:17], exec
	s_and_b64 s[0:1], s[0:1], exec
	;; [unrolled: 1-line block ×3, first 2 shown]
	s_or_b64 s[6:7], s[6:7], s[8:9]
.LBB102_1942:
	s_or_b64 exec, exec, s[4:5]
	s_and_saveexec_b64 s[4:5], s[6:7]
	s_cbranch_execz .LBB102_1945
; %bb.1943:
	; divergent unreachable
	s_or_b64 exec, exec, s[4:5]
	s_and_saveexec_b64 s[4:5], s[2:3]
	s_xor_b64 s[2:3], exec, s[4:5]
	s_cbranch_execnz .LBB102_1946
.LBB102_1944:
	s_or_b64 exec, exec, s[2:3]
	s_and_saveexec_b64 s[2:3], s[0:1]
	s_cbranch_execnz .LBB102_1947
	s_branch .LBB102_1984
.LBB102_1945:
	s_or_b64 exec, exec, s[4:5]
	s_and_saveexec_b64 s[4:5], s[2:3]
	s_xor_b64 s[2:3], exec, s[4:5]
	s_cbranch_execz .LBB102_1944
.LBB102_1946:
	s_waitcnt vmcnt(0)
	v_cmp_ne_u16_e32 vcc, 0, v4
	v_cndmask_b32_e64 v2, 0, 1, vcc
	global_store_byte v[0:1], v2, off
	s_or_b64 exec, exec, s[2:3]
	s_and_saveexec_b64 s[2:3], s[0:1]
	s_cbranch_execz .LBB102_1984
.LBB102_1947:
	s_sext_i32_i16 s2, s20
	s_cmp_lt_i32 s2, 5
	s_mov_b64 s[0:1], -1
	s_cbranch_scc1 .LBB102_1968
; %bb.1948:
	s_cmp_lt_i32 s2, 8
	s_cbranch_scc1 .LBB102_1958
; %bb.1949:
	s_cmp_lt_i32 s2, 9
	s_cbranch_scc1 .LBB102_1955
; %bb.1950:
	s_cmp_gt_i32 s2, 9
	s_cbranch_scc0 .LBB102_1952
; %bb.1951:
	s_waitcnt vmcnt(0)
	v_bfe_i32 v2, v4, 0, 16
	v_cvt_f64_i32_e32 v[5:6], v2
	v_mov_b32_e32 v7, 0
	v_mov_b32_e32 v8, v7
	s_mov_b64 s[0:1], 0
	global_store_dwordx4 v[0:1], v[5:8], off
.LBB102_1952:
	s_andn2_b64 vcc, exec, s[0:1]
	s_cbranch_vccnz .LBB102_1954
; %bb.1953:
	s_waitcnt vmcnt(0)
	v_cvt_f32_i32_sdwa v2, sext(v4) dst_sel:DWORD dst_unused:UNUSED_PAD src0_sel:WORD_0
	v_mov_b32_e32 v3, 0
	global_store_dwordx2 v[0:1], v[2:3], off
.LBB102_1954:
	s_mov_b64 s[0:1], 0
.LBB102_1955:
	s_andn2_b64 vcc, exec, s[0:1]
	s_cbranch_vccnz .LBB102_1957
; %bb.1956:
	s_waitcnt vmcnt(0)
	v_cvt_f16_i16_e32 v2, v4
	global_store_dword v[0:1], v2, off
.LBB102_1957:
	s_mov_b64 s[0:1], 0
.LBB102_1958:
	s_andn2_b64 vcc, exec, s[0:1]
	s_cbranch_vccnz .LBB102_1967
; %bb.1959:
	s_sext_i32_i16 s2, s20
	s_cmp_lt_i32 s2, 6
	s_mov_b64 s[0:1], -1
	s_cbranch_scc1 .LBB102_1965
; %bb.1960:
	s_cmp_gt_i32 s2, 6
	s_cbranch_scc0 .LBB102_1962
; %bb.1961:
	s_waitcnt vmcnt(0)
	v_bfe_i32 v2, v4, 0, 16
	v_cvt_f64_i32_e32 v[2:3], v2
	s_mov_b64 s[0:1], 0
	global_store_dwordx2 v[0:1], v[2:3], off
.LBB102_1962:
	s_andn2_b64 vcc, exec, s[0:1]
	s_cbranch_vccnz .LBB102_1964
; %bb.1963:
	s_waitcnt vmcnt(0)
	v_cvt_f32_i32_sdwa v2, sext(v4) dst_sel:DWORD dst_unused:UNUSED_PAD src0_sel:WORD_0
	global_store_dword v[0:1], v2, off
.LBB102_1964:
	s_mov_b64 s[0:1], 0
.LBB102_1965:
	s_andn2_b64 vcc, exec, s[0:1]
	s_cbranch_vccnz .LBB102_1967
; %bb.1966:
	s_waitcnt vmcnt(0)
	v_cvt_f16_i16_e32 v2, v4
	global_store_short v[0:1], v2, off
.LBB102_1967:
	s_mov_b64 s[0:1], 0
.LBB102_1968:
	s_andn2_b64 vcc, exec, s[0:1]
	s_cbranch_vccnz .LBB102_1984
; %bb.1969:
	s_sext_i32_i16 s2, s20
	s_cmp_lt_i32 s2, 2
	s_mov_b64 s[0:1], -1
	s_cbranch_scc1 .LBB102_1979
; %bb.1970:
	s_cmp_lt_i32 s2, 3
	s_cbranch_scc1 .LBB102_1976
; %bb.1971:
	s_cmp_gt_i32 s2, 3
	s_waitcnt vmcnt(0)
	v_bfe_i32 v2, v4, 0, 16
	s_cbranch_scc0 .LBB102_1973
; %bb.1972:
	v_ashrrev_i32_e32 v3, 31, v2
	global_store_dwordx2 v[0:1], v[2:3], off
	s_mov_b64 s[0:1], 0
.LBB102_1973:
	s_andn2_b64 vcc, exec, s[0:1]
	s_cbranch_vccnz .LBB102_1975
; %bb.1974:
	global_store_dword v[0:1], v2, off
.LBB102_1975:
	s_mov_b64 s[0:1], 0
.LBB102_1976:
	s_andn2_b64 vcc, exec, s[0:1]
	s_cbranch_vccnz .LBB102_1978
; %bb.1977:
	s_waitcnt vmcnt(0)
	global_store_short v[0:1], v4, off
.LBB102_1978:
	s_mov_b64 s[0:1], 0
.LBB102_1979:
	s_andn2_b64 vcc, exec, s[0:1]
	s_cbranch_vccnz .LBB102_1984
; %bb.1980:
	s_sext_i32_i16 s0, s20
	s_cmp_gt_i32 s0, 0
	s_mov_b64 s[0:1], -1
	s_cbranch_scc0 .LBB102_1982
; %bb.1981:
	s_waitcnt vmcnt(0)
	global_store_byte v[0:1], v4, off
	s_mov_b64 s[0:1], 0
.LBB102_1982:
	s_andn2_b64 vcc, exec, s[0:1]
	s_cbranch_vccnz .LBB102_1984
; %bb.1983:
	s_waitcnt vmcnt(0)
	global_store_byte v[0:1], v4, off
	s_endpgm
.LBB102_1984:
	s_endpgm
.LBB102_1985:
	s_mov_b64 s[2:3], 0
	s_mov_b64 s[0:1], -1
	s_branch .LBB102_1941
.LBB102_1986:
	s_trap 2
	s_or_b64 s[16:17], s[16:17], exec
	s_cbranch_execz .LBB102_1455
	s_branch .LBB102_1456
.LBB102_1987:
	s_andn2_saveexec_b64 s[18:19], s[18:19]
	s_cbranch_execz .LBB102_1535
.LBB102_1988:
	s_mov_b32 s21, 0x46000000
	v_add_f32_e64 v8, |v7|, s21
	v_and_b32_e32 v8, 0xff, v8
	v_cmp_ne_u32_e32 vcc, 0, v8
	s_andn2_b64 s[14:15], s[14:15], exec
	s_and_b64 s[22:23], vcc, exec
	s_or_b64 s[14:15], s[14:15], s[22:23]
	s_or_b64 exec, exec, s[18:19]
	v_mov_b32_e32 v9, 0
	s_and_saveexec_b64 s[18:19], s[14:15]
	s_cbranch_execnz .LBB102_1536
	s_branch .LBB102_1537
.LBB102_1989:
	s_trap 2
	s_or_b64 s[16:17], s[16:17], exec
	s_cbranch_execz .LBB102_1583
	s_branch .LBB102_1584
.LBB102_1990:
	s_andn2_saveexec_b64 s[14:15], s[14:15]
	s_cbranch_execz .LBB102_1548
.LBB102_1991:
	s_mov_b32 s18, 0x42800000
	v_add_f32_e64 v8, |v7|, s18
	v_and_b32_e32 v8, 0xff, v8
	v_cmp_ne_u32_e32 vcc, 0, v8
	s_andn2_b64 s[10:11], s[10:11], exec
	s_and_b64 s[18:19], vcc, exec
	s_or_b64 s[10:11], s[10:11], s[18:19]
	s_or_b64 exec, exec, s[14:15]
	v_mov_b32_e32 v9, 0
	s_and_saveexec_b64 s[14:15], s[10:11]
	s_cbranch_execnz .LBB102_1549
	s_branch .LBB102_1550
.LBB102_1992:
	s_andn2_saveexec_b64 s[14:15], s[14:15]
	s_cbranch_execz .LBB102_1654
.LBB102_1993:
	s_mov_b32 s21, 0x46000000
	v_add_f32_e64 v6, |v5|, s21
	v_and_b32_e32 v6, 0xff, v6
	v_cmp_ne_u32_e32 vcc, 0, v6
	s_andn2_b64 s[12:13], s[12:13], exec
	s_and_b64 s[22:23], vcc, exec
	s_or_b64 s[12:13], s[12:13], s[22:23]
	s_or_b64 exec, exec, s[14:15]
	v_mov_b32_e32 v8, 0
	s_and_saveexec_b64 s[14:15], s[12:13]
	s_cbranch_execnz .LBB102_1655
	s_branch .LBB102_1656
.LBB102_1994:
	s_trap 2
	s_or_b64 s[16:17], s[16:17], exec
	s_cbranch_execz .LBB102_1702
	s_branch .LBB102_1703
.LBB102_1995:
	s_andn2_saveexec_b64 s[12:13], s[12:13]
	s_cbranch_execz .LBB102_1667
.LBB102_1996:
	s_mov_b32 s14, 0x42800000
	v_add_f32_e64 v6, |v5|, s14
	v_and_b32_e32 v6, 0xff, v6
	v_cmp_ne_u32_e32 vcc, 0, v6
	s_andn2_b64 s[10:11], s[10:11], exec
	s_and_b64 s[14:15], vcc, exec
	s_or_b64 s[10:11], s[10:11], s[14:15]
	s_or_b64 exec, exec, s[12:13]
	v_mov_b32_e32 v8, 0
	s_and_saveexec_b64 s[12:13], s[10:11]
	s_cbranch_execnz .LBB102_1668
	s_branch .LBB102_1669
.LBB102_1997:
	s_andn2_saveexec_b64 s[14:15], s[14:15]
	s_cbranch_execz .LBB102_1773
.LBB102_1998:
	s_mov_b32 s21, 0x46000000
	v_add_f32_e64 v4, |v3|, s21
	v_and_b32_e32 v4, 0xff, v4
	v_cmp_ne_u32_e32 vcc, 0, v4
	s_andn2_b64 s[12:13], s[12:13], exec
	s_and_b64 s[22:23], vcc, exec
	s_or_b64 s[12:13], s[12:13], s[22:23]
	s_or_b64 exec, exec, s[14:15]
	v_mov_b32_e32 v7, 0
	s_and_saveexec_b64 s[14:15], s[12:13]
	s_cbranch_execnz .LBB102_1774
	s_branch .LBB102_1775
.LBB102_1999:
	s_trap 2
	s_or_b64 s[16:17], s[16:17], exec
	s_cbranch_execz .LBB102_1821
	s_branch .LBB102_1822
.LBB102_2000:
	s_andn2_saveexec_b64 s[12:13], s[12:13]
	s_cbranch_execz .LBB102_1786
.LBB102_2001:
	s_mov_b32 s14, 0x42800000
	v_add_f32_e64 v4, |v3|, s14
	v_and_b32_e32 v4, 0xff, v4
	v_cmp_ne_u32_e32 vcc, 0, v4
	s_andn2_b64 s[10:11], s[10:11], exec
	s_and_b64 s[14:15], vcc, exec
	s_or_b64 s[10:11], s[10:11], s[14:15]
	s_or_b64 exec, exec, s[12:13]
	v_mov_b32_e32 v7, 0
	s_and_saveexec_b64 s[12:13], s[10:11]
	s_cbranch_execnz .LBB102_1787
	s_branch .LBB102_1788
.LBB102_2002:
	s_andn2_saveexec_b64 s[12:13], s[12:13]
	s_cbranch_execz .LBB102_1893
.LBB102_2003:
	s_mov_b32 s15, 0x46000000
	v_add_f32_e64 v3, |v2|, s15
	v_and_b32_e32 v3, 0xff, v3
	v_cmp_ne_u32_e32 vcc, 0, v3
	s_andn2_b64 s[10:11], s[10:11], exec
	s_and_b64 s[18:19], vcc, exec
	s_or_b64 s[10:11], s[10:11], s[18:19]
	s_or_b64 exec, exec, s[12:13]
	v_mov_b32_e32 v5, 0
	s_and_saveexec_b64 s[12:13], s[10:11]
	s_cbranch_execnz .LBB102_1894
	s_branch .LBB102_1895
.LBB102_2004:
	s_mov_b64 s[2:3], 0
	s_or_b64 s[16:17], s[16:17], exec
	s_trap 2
	s_branch .LBB102_1939
.LBB102_2005:
	s_andn2_saveexec_b64 s[10:11], s[10:11]
	s_cbranch_execz .LBB102_1905
.LBB102_2006:
	s_mov_b32 s12, 0x42800000
	v_add_f32_e64 v3, |v2|, s12
	v_and_b32_e32 v3, 0xff, v3
	v_cmp_ne_u32_e32 vcc, 0, v3
	s_andn2_b64 s[8:9], s[8:9], exec
	s_and_b64 s[12:13], vcc, exec
	s_or_b64 s[8:9], s[8:9], s[12:13]
	s_or_b64 exec, exec, s[10:11]
	v_mov_b32_e32 v5, 0
	s_and_saveexec_b64 s[10:11], s[8:9]
	s_cbranch_execnz .LBB102_1906
	s_branch .LBB102_1907
	.section	.rodata,"a",@progbits
	.p2align	6, 0x0
	.amdhsa_kernel _ZN2at6native32elementwise_kernel_manual_unrollILi128ELi4EZNS0_15gpu_kernel_implINS0_13AUnaryFunctorIsssZZZNS0_18lshift_kernel_cudaERNS_18TensorIteratorBaseEENKUlvE_clEvENKUlvE3_clEvEUlssE_EEEEvS5_RKT_EUlibE_EEviT1_
		.amdhsa_group_segment_fixed_size 0
		.amdhsa_private_segment_fixed_size 0
		.amdhsa_kernarg_size 40
		.amdhsa_user_sgpr_count 6
		.amdhsa_user_sgpr_private_segment_buffer 1
		.amdhsa_user_sgpr_dispatch_ptr 0
		.amdhsa_user_sgpr_queue_ptr 0
		.amdhsa_user_sgpr_kernarg_segment_ptr 1
		.amdhsa_user_sgpr_dispatch_id 0
		.amdhsa_user_sgpr_flat_scratch_init 0
		.amdhsa_user_sgpr_private_segment_size 0
		.amdhsa_uses_dynamic_stack 0
		.amdhsa_system_sgpr_private_segment_wavefront_offset 0
		.amdhsa_system_sgpr_workgroup_id_x 1
		.amdhsa_system_sgpr_workgroup_id_y 0
		.amdhsa_system_sgpr_workgroup_id_z 0
		.amdhsa_system_sgpr_workgroup_info 0
		.amdhsa_system_vgpr_workitem_id 0
		.amdhsa_next_free_vgpr 12
		.amdhsa_next_free_sgpr 46
		.amdhsa_reserve_vcc 1
		.amdhsa_reserve_flat_scratch 0
		.amdhsa_float_round_mode_32 0
		.amdhsa_float_round_mode_16_64 0
		.amdhsa_float_denorm_mode_32 3
		.amdhsa_float_denorm_mode_16_64 3
		.amdhsa_dx10_clamp 1
		.amdhsa_ieee_mode 1
		.amdhsa_fp16_overflow 0
		.amdhsa_exception_fp_ieee_invalid_op 0
		.amdhsa_exception_fp_denorm_src 0
		.amdhsa_exception_fp_ieee_div_zero 0
		.amdhsa_exception_fp_ieee_overflow 0
		.amdhsa_exception_fp_ieee_underflow 0
		.amdhsa_exception_fp_ieee_inexact 0
		.amdhsa_exception_int_div_zero 0
	.end_amdhsa_kernel
	.section	.text._ZN2at6native32elementwise_kernel_manual_unrollILi128ELi4EZNS0_15gpu_kernel_implINS0_13AUnaryFunctorIsssZZZNS0_18lshift_kernel_cudaERNS_18TensorIteratorBaseEENKUlvE_clEvENKUlvE3_clEvEUlssE_EEEEvS5_RKT_EUlibE_EEviT1_,"axG",@progbits,_ZN2at6native32elementwise_kernel_manual_unrollILi128ELi4EZNS0_15gpu_kernel_implINS0_13AUnaryFunctorIsssZZZNS0_18lshift_kernel_cudaERNS_18TensorIteratorBaseEENKUlvE_clEvENKUlvE3_clEvEUlssE_EEEEvS5_RKT_EUlibE_EEviT1_,comdat
.Lfunc_end102:
	.size	_ZN2at6native32elementwise_kernel_manual_unrollILi128ELi4EZNS0_15gpu_kernel_implINS0_13AUnaryFunctorIsssZZZNS0_18lshift_kernel_cudaERNS_18TensorIteratorBaseEENKUlvE_clEvENKUlvE3_clEvEUlssE_EEEEvS5_RKT_EUlibE_EEviT1_, .Lfunc_end102-_ZN2at6native32elementwise_kernel_manual_unrollILi128ELi4EZNS0_15gpu_kernel_implINS0_13AUnaryFunctorIsssZZZNS0_18lshift_kernel_cudaERNS_18TensorIteratorBaseEENKUlvE_clEvENKUlvE3_clEvEUlssE_EEEEvS5_RKT_EUlibE_EEviT1_
                                        ; -- End function
	.set _ZN2at6native32elementwise_kernel_manual_unrollILi128ELi4EZNS0_15gpu_kernel_implINS0_13AUnaryFunctorIsssZZZNS0_18lshift_kernel_cudaERNS_18TensorIteratorBaseEENKUlvE_clEvENKUlvE3_clEvEUlssE_EEEEvS5_RKT_EUlibE_EEviT1_.num_vgpr, 12
	.set _ZN2at6native32elementwise_kernel_manual_unrollILi128ELi4EZNS0_15gpu_kernel_implINS0_13AUnaryFunctorIsssZZZNS0_18lshift_kernel_cudaERNS_18TensorIteratorBaseEENKUlvE_clEvENKUlvE3_clEvEUlssE_EEEEvS5_RKT_EUlibE_EEviT1_.num_agpr, 0
	.set _ZN2at6native32elementwise_kernel_manual_unrollILi128ELi4EZNS0_15gpu_kernel_implINS0_13AUnaryFunctorIsssZZZNS0_18lshift_kernel_cudaERNS_18TensorIteratorBaseEENKUlvE_clEvENKUlvE3_clEvEUlssE_EEEEvS5_RKT_EUlibE_EEviT1_.numbered_sgpr, 46
	.set _ZN2at6native32elementwise_kernel_manual_unrollILi128ELi4EZNS0_15gpu_kernel_implINS0_13AUnaryFunctorIsssZZZNS0_18lshift_kernel_cudaERNS_18TensorIteratorBaseEENKUlvE_clEvENKUlvE3_clEvEUlssE_EEEEvS5_RKT_EUlibE_EEviT1_.num_named_barrier, 0
	.set _ZN2at6native32elementwise_kernel_manual_unrollILi128ELi4EZNS0_15gpu_kernel_implINS0_13AUnaryFunctorIsssZZZNS0_18lshift_kernel_cudaERNS_18TensorIteratorBaseEENKUlvE_clEvENKUlvE3_clEvEUlssE_EEEEvS5_RKT_EUlibE_EEviT1_.private_seg_size, 0
	.set _ZN2at6native32elementwise_kernel_manual_unrollILi128ELi4EZNS0_15gpu_kernel_implINS0_13AUnaryFunctorIsssZZZNS0_18lshift_kernel_cudaERNS_18TensorIteratorBaseEENKUlvE_clEvENKUlvE3_clEvEUlssE_EEEEvS5_RKT_EUlibE_EEviT1_.uses_vcc, 1
	.set _ZN2at6native32elementwise_kernel_manual_unrollILi128ELi4EZNS0_15gpu_kernel_implINS0_13AUnaryFunctorIsssZZZNS0_18lshift_kernel_cudaERNS_18TensorIteratorBaseEENKUlvE_clEvENKUlvE3_clEvEUlssE_EEEEvS5_RKT_EUlibE_EEviT1_.uses_flat_scratch, 0
	.set _ZN2at6native32elementwise_kernel_manual_unrollILi128ELi4EZNS0_15gpu_kernel_implINS0_13AUnaryFunctorIsssZZZNS0_18lshift_kernel_cudaERNS_18TensorIteratorBaseEENKUlvE_clEvENKUlvE3_clEvEUlssE_EEEEvS5_RKT_EUlibE_EEviT1_.has_dyn_sized_stack, 0
	.set _ZN2at6native32elementwise_kernel_manual_unrollILi128ELi4EZNS0_15gpu_kernel_implINS0_13AUnaryFunctorIsssZZZNS0_18lshift_kernel_cudaERNS_18TensorIteratorBaseEENKUlvE_clEvENKUlvE3_clEvEUlssE_EEEEvS5_RKT_EUlibE_EEviT1_.has_recursion, 0
	.set _ZN2at6native32elementwise_kernel_manual_unrollILi128ELi4EZNS0_15gpu_kernel_implINS0_13AUnaryFunctorIsssZZZNS0_18lshift_kernel_cudaERNS_18TensorIteratorBaseEENKUlvE_clEvENKUlvE3_clEvEUlssE_EEEEvS5_RKT_EUlibE_EEviT1_.has_indirect_call, 0
	.section	.AMDGPU.csdata,"",@progbits
; Kernel info:
; codeLenInByte = 29856
; TotalNumSgprs: 50
; NumVgprs: 12
; ScratchSize: 0
; MemoryBound: 1
; FloatMode: 240
; IeeeMode: 1
; LDSByteSize: 0 bytes/workgroup (compile time only)
; SGPRBlocks: 6
; VGPRBlocks: 2
; NumSGPRsForWavesPerEU: 50
; NumVGPRsForWavesPerEU: 12
; Occupancy: 10
; WaveLimiterHint : 0
; COMPUTE_PGM_RSRC2:SCRATCH_EN: 0
; COMPUTE_PGM_RSRC2:USER_SGPR: 6
; COMPUTE_PGM_RSRC2:TRAP_HANDLER: 0
; COMPUTE_PGM_RSRC2:TGID_X_EN: 1
; COMPUTE_PGM_RSRC2:TGID_Y_EN: 0
; COMPUTE_PGM_RSRC2:TGID_Z_EN: 0
; COMPUTE_PGM_RSRC2:TIDIG_COMP_CNT: 0
	.section	.text._ZN2at6native32elementwise_kernel_manual_unrollILi128ELi4EZNS0_15gpu_kernel_implINS0_13AUnaryFunctorIsssZZZNS0_18lshift_kernel_cudaERNS_18TensorIteratorBaseEENKUlvE_clEvENKUlvE3_clEvEUlssE_EEEEvS5_RKT_EUlibE0_EEviT1_,"axG",@progbits,_ZN2at6native32elementwise_kernel_manual_unrollILi128ELi4EZNS0_15gpu_kernel_implINS0_13AUnaryFunctorIsssZZZNS0_18lshift_kernel_cudaERNS_18TensorIteratorBaseEENKUlvE_clEvENKUlvE3_clEvEUlssE_EEEEvS5_RKT_EUlibE0_EEviT1_,comdat
	.globl	_ZN2at6native32elementwise_kernel_manual_unrollILi128ELi4EZNS0_15gpu_kernel_implINS0_13AUnaryFunctorIsssZZZNS0_18lshift_kernel_cudaERNS_18TensorIteratorBaseEENKUlvE_clEvENKUlvE3_clEvEUlssE_EEEEvS5_RKT_EUlibE0_EEviT1_ ; -- Begin function _ZN2at6native32elementwise_kernel_manual_unrollILi128ELi4EZNS0_15gpu_kernel_implINS0_13AUnaryFunctorIsssZZZNS0_18lshift_kernel_cudaERNS_18TensorIteratorBaseEENKUlvE_clEvENKUlvE3_clEvEUlssE_EEEEvS5_RKT_EUlibE0_EEviT1_
	.p2align	8
	.type	_ZN2at6native32elementwise_kernel_manual_unrollILi128ELi4EZNS0_15gpu_kernel_implINS0_13AUnaryFunctorIsssZZZNS0_18lshift_kernel_cudaERNS_18TensorIteratorBaseEENKUlvE_clEvENKUlvE3_clEvEUlssE_EEEEvS5_RKT_EUlibE0_EEviT1_,@function
_ZN2at6native32elementwise_kernel_manual_unrollILi128ELi4EZNS0_15gpu_kernel_implINS0_13AUnaryFunctorIsssZZZNS0_18lshift_kernel_cudaERNS_18TensorIteratorBaseEENKUlvE_clEvENKUlvE3_clEvEUlssE_EEEEvS5_RKT_EUlibE0_EEviT1_: ; @_ZN2at6native32elementwise_kernel_manual_unrollILi128ELi4EZNS0_15gpu_kernel_implINS0_13AUnaryFunctorIsssZZZNS0_18lshift_kernel_cudaERNS_18TensorIteratorBaseEENKUlvE_clEvENKUlvE3_clEvEUlssE_EEEEvS5_RKT_EUlibE0_EEviT1_
; %bb.0:
	s_load_dword s70, s[4:5], 0x0
	s_load_dword s33, s[4:5], 0x8
	s_add_u32 s34, s4, 8
	s_addc_u32 s35, s5, 0
	v_lshl_or_b32 v8, s6, 9, v0
	v_or_b32_e32 v15, 0x180, v8
	s_waitcnt lgkmcnt(0)
	s_add_i32 s72, s33, -1
	s_cmp_gt_u32 s72, 1
	v_cmp_le_i32_e32 vcc, s70, v15
	s_cselect_b64 s[40:41], -1, 0
	s_mov_b64 s[6:7], 0
	s_mov_b64 s[28:29], 0
	s_and_saveexec_b64 s[0:1], vcc
	s_xor_b64 s[42:43], exec, s[0:1]
	s_cbranch_execz .LBB103_1070
; %bb.1:
	s_load_dwordx4 s[28:31], s[34:35], 0x4
	s_load_dwordx2 s[44:45], s[34:35], 0x14
	s_load_dword s0, s[4:5], 0x160
	s_load_dword s73, s[34:35], 0x15c
	s_cmp_lg_u32 s33, 0
	s_load_dwordx4 s[36:39], s[34:35], 0xc4
	s_load_dwordx4 s[24:27], s[34:35], 0x148
	s_cselect_b64 s[50:51], -1, 0
	s_add_u32 s48, s34, 0xc4
	s_addc_u32 s49, s35, 0
	s_min_u32 s76, s72, 15
	s_cmp_gt_u32 s33, 1
	s_cselect_b64 s[46:47], -1, 0
	s_waitcnt lgkmcnt(0)
	s_lshr_b32 s74, s0, 16
	s_bfe_u32 s75, s73, 0x80008
	v_cmp_gt_i32_e32 vcc, s70, v8
	s_mov_b64 s[2:3], -1
	s_mov_b64 s[60:61], 0
	s_mov_b64 s[54:55], 0
	;; [unrolled: 1-line block ×3, first 2 shown]
	s_and_saveexec_b64 s[56:57], vcc
	s_cbranch_execz .LBB103_262
; %bb.2:
	s_andn2_b64 vcc, exec, s[40:41]
	s_cbranch_vccnz .LBB103_7
; %bb.3:
	s_andn2_b64 vcc, exec, s[50:51]
	s_cbranch_vccnz .LBB103_8
; %bb.4:
	s_add_i32 s59, s76, 1
	s_cmp_eq_u32 s72, 2
	s_cbranch_scc1 .LBB103_9
; %bb.5:
	s_and_b32 s58, s59, 28
	v_mov_b32_e32 v2, 0
	s_mov_b32 s62, 0
	s_mov_b64 s[52:53], s[34:35]
	s_mov_b64 s[54:55], s[48:49]
	v_mov_b32_e32 v0, 0
	v_mov_b32_e32 v1, v8
.LBB103_6:                              ; =>This Inner Loop Header: Depth=1
	s_load_dwordx8 s[16:23], s[52:53], 0x4
	s_load_dwordx4 s[0:3], s[52:53], 0x24
	s_load_dwordx8 s[8:15], s[54:55], 0x0
	s_add_u32 s52, s52, 48
	s_addc_u32 s53, s53, 0
	s_waitcnt lgkmcnt(0)
	v_mul_hi_u32 v3, s17, v1
	s_add_i32 s62, s62, 4
	s_add_u32 s54, s54, 32
	s_addc_u32 s55, s55, 0
	v_add_u32_e32 v3, v1, v3
	v_lshrrev_b32_e32 v3, s18, v3
	v_mul_lo_u32 v4, v3, s16
	v_mul_hi_u32 v5, s20, v3
	s_cmp_lg_u32 s58, s62
	v_sub_u32_e32 v1, v1, v4
	v_add_u32_e32 v4, v3, v5
	v_mul_lo_u32 v5, v1, s8
	v_mul_lo_u32 v6, v1, s9
	v_lshrrev_b32_e32 v1, s21, v4
	v_mul_lo_u32 v4, v1, s19
	v_mul_hi_u32 v7, s23, v1
	v_sub_u32_e32 v3, v3, v4
	v_add_u32_e32 v4, v1, v7
	v_lshrrev_b32_e32 v4, s0, v4
	v_mul_hi_u32 v9, s2, v4
	v_mul_lo_u32 v10, v4, s22
	v_mul_lo_u32 v7, v3, s10
	v_mul_lo_u32 v3, v3, s11
	v_sub_u32_e32 v10, v1, v10
	v_add_u32_e32 v1, v4, v9
	v_lshrrev_b32_e32 v1, s3, v1
	v_mul_lo_u32 v9, v1, s1
	v_mul_lo_u32 v11, v10, s12
	;; [unrolled: 1-line block ×3, first 2 shown]
	v_add3_u32 v0, v5, v0, v7
	v_sub_u32_e32 v4, v4, v9
	v_mul_lo_u32 v9, v4, s14
	v_mul_lo_u32 v4, v4, s15
	v_add3_u32 v2, v6, v2, v3
	v_add3_u32 v0, v11, v0, v9
	v_add3_u32 v2, v10, v2, v4
	s_cbranch_scc1 .LBB103_6
	s_branch .LBB103_10
.LBB103_7:
                                        ; implicit-def: $vgpr0
                                        ; implicit-def: $vgpr2
	s_branch .LBB103_14
.LBB103_8:
	v_mov_b32_e32 v0, 0
	v_mov_b32_e32 v2, 0
	s_branch .LBB103_13
.LBB103_9:
	s_mov_b32 s58, 0
	v_mov_b32_e32 v0, 0
	v_mov_b32_e32 v2, 0
	;; [unrolled: 1-line block ×3, first 2 shown]
.LBB103_10:
	s_and_b32 s8, s59, 3
	s_cmp_eq_u32 s8, 0
	s_cbranch_scc1 .LBB103_13
; %bb.11:
	s_lshl_b32 s0, s58, 3
	s_add_u32 s0, s34, s0
	s_addc_u32 s1, s35, 0
	s_add_u32 s0, s0, 0xc4
	s_addc_u32 s1, s1, 0
	s_mul_i32 s2, s58, 12
	s_add_u32 s2, s34, s2
	s_addc_u32 s3, s35, 0
.LBB103_12:                             ; =>This Inner Loop Header: Depth=1
	s_load_dwordx2 s[10:11], s[2:3], 0x4
	s_load_dword s9, s[2:3], 0xc
	s_load_dwordx2 s[12:13], s[0:1], 0x0
	s_add_u32 s2, s2, 12
	s_addc_u32 s3, s3, 0
	s_waitcnt lgkmcnt(0)
	v_mul_hi_u32 v3, s11, v1
	s_add_u32 s0, s0, 8
	s_addc_u32 s1, s1, 0
	s_add_i32 s8, s8, -1
	v_add_u32_e32 v3, v1, v3
	v_lshrrev_b32_e32 v4, s9, v3
	v_mul_lo_u32 v3, v4, s10
	s_cmp_lg_u32 s8, 0
	v_sub_u32_e32 v3, v1, v3
	v_mad_u64_u32 v[0:1], s[10:11], v3, s12, v[0:1]
	v_mad_u64_u32 v[2:3], s[10:11], v3, s13, v[2:3]
	v_mov_b32_e32 v1, v4
	s_cbranch_scc1 .LBB103_12
.LBB103_13:
	s_cbranch_execnz .LBB103_16
.LBB103_14:
	v_mul_hi_u32 v0, s29, v8
	s_andn2_b64 vcc, exec, s[46:47]
	v_add_u32_e32 v0, v8, v0
	v_lshrrev_b32_e32 v1, s30, v0
	v_mul_lo_u32 v0, v1, s28
	v_sub_u32_e32 v2, v8, v0
	v_mul_lo_u32 v0, v2, s36
	v_mul_lo_u32 v2, v2, s37
	s_cbranch_vccnz .LBB103_16
; %bb.15:
	v_mul_hi_u32 v3, s44, v1
	v_add_u32_e32 v3, v1, v3
	v_lshrrev_b32_e32 v3, s45, v3
	v_mul_lo_u32 v3, v3, s31
	v_sub_u32_e32 v3, v1, v3
	v_mad_u64_u32 v[0:1], s[0:1], v3, s38, v[0:1]
	v_mad_u64_u32 v[2:3], s[0:1], v3, s39, v[2:3]
.LBB103_16:
	v_mov_b32_e32 v3, s27
	s_and_b32 s10, 0xffff, s75
	v_add_co_u32_e32 v1, vcc, s26, v2
	s_cmp_lt_i32 s10, 11
	v_addc_co_u32_e32 v2, vcc, 0, v3, vcc
	s_cbranch_scc1 .LBB103_23
; %bb.17:
	s_cmp_gt_i32 s10, 25
	s_cbranch_scc0 .LBB103_32
; %bb.18:
	s_cmp_gt_i32 s10, 28
	s_cbranch_scc0 .LBB103_35
; %bb.19:
	s_cmp_gt_i32 s10, 43
	s_cbranch_scc0 .LBB103_37
; %bb.20:
	s_cmp_gt_i32 s10, 45
	s_cbranch_scc0 .LBB103_39
; %bb.21:
	s_cmp_eq_u32 s10, 46
	s_mov_b64 s[8:9], 0
	s_cbranch_scc0 .LBB103_41
; %bb.22:
	global_load_dword v3, v[1:2], off
	s_mov_b64 s[0:1], -1
	s_mov_b64 s[2:3], 0
	s_waitcnt vmcnt(0)
	v_lshlrev_b32_e32 v3, 16, v3
	v_cvt_i32_f32_e32 v3, v3
	s_branch .LBB103_43
.LBB103_23:
	s_mov_b64 s[2:3], 0
                                        ; implicit-def: $vgpr3
	s_mov_b64 s[0:1], 0
	s_cbranch_execnz .LBB103_212
.LBB103_24:
	s_andn2_b64 vcc, exec, s[0:1]
	s_cbranch_vccnz .LBB103_259
.LBB103_25:
	s_waitcnt vmcnt(0)
	v_lshlrev_b32_sdwa v1, v3, s74 dst_sel:DWORD dst_unused:UNUSED_PAD src0_sel:WORD_0 src1_sel:DWORD
	v_cmp_gt_u16_e32 vcc, 16, v3
	v_cndmask_b32_e32 v4, 0, v1, vcc
	v_mov_b32_e32 v1, s25
	s_and_b32 s14, s73, 0xff
	v_add_co_u32_e32 v0, vcc, s24, v0
	s_cmp_lt_i32 s14, 11
	v_addc_co_u32_e32 v1, vcc, 0, v1, vcc
	s_cbranch_scc1 .LBB103_33
; %bb.26:
	s_and_b32 s15, 0xffff, s14
	s_cmp_gt_i32 s15, 25
	s_cbranch_scc0 .LBB103_36
; %bb.27:
	s_cmp_gt_i32 s15, 28
	s_cbranch_scc0 .LBB103_38
; %bb.28:
	;; [unrolled: 3-line block ×4, first 2 shown]
	s_mov_b64 s[10:11], 0
	s_mov_b64 s[0:1], -1
	s_cmp_eq_u32 s15, 46
	s_mov_b64 s[8:9], 0
	s_cbranch_scc0 .LBB103_47
; %bb.31:
	v_cvt_f32_i32_sdwa v2, sext(v4) dst_sel:DWORD dst_unused:UNUSED_PAD src0_sel:WORD_0
	s_movk_i32 s0, 0x7fff
	s_mov_b64 s[8:9], -1
	v_bfe_u32 v3, v2, 16, 1
	v_add3_u32 v2, v2, v3, s0
	v_lshrrev_b32_e32 v2, 16, v2
	global_store_dword v[0:1], v2, off
	s_mov_b64 s[0:1], 0
	s_branch .LBB103_47
.LBB103_32:
	s_mov_b64 s[2:3], 0
	s_mov_b64 s[0:1], 0
                                        ; implicit-def: $vgpr3
	s_cbranch_execnz .LBB103_179
	s_branch .LBB103_211
.LBB103_33:
	s_mov_b64 s[0:1], 0
	s_mov_b64 s[8:9], 0
	s_cbranch_execnz .LBB103_116
.LBB103_34:
	s_andn2_b64 vcc, exec, s[8:9]
	s_cbranch_vccnz .LBB103_260
	s_branch .LBB103_154
.LBB103_35:
	s_mov_b64 s[8:9], -1
	s_mov_b64 s[2:3], 0
	s_mov_b64 s[0:1], 0
                                        ; implicit-def: $vgpr3
	s_branch .LBB103_162
.LBB103_36:
	s_mov_b64 s[10:11], -1
	s_mov_b64 s[0:1], 0
	s_mov_b64 s[8:9], 0
	s_branch .LBB103_74
.LBB103_37:
	s_mov_b64 s[8:9], -1
	s_mov_b64 s[2:3], 0
	s_mov_b64 s[0:1], 0
                                        ; implicit-def: $vgpr3
	s_branch .LBB103_157
.LBB103_38:
	s_mov_b64 s[10:11], -1
	s_mov_b64 s[0:1], 0
	s_mov_b64 s[8:9], 0
	s_branch .LBB103_57
.LBB103_39:
	s_mov_b64 s[8:9], -1
	s_mov_b64 s[2:3], 0
	s_branch .LBB103_42
.LBB103_40:
	s_mov_b64 s[10:11], -1
	s_mov_b64 s[0:1], 0
	s_mov_b64 s[8:9], 0
	s_branch .LBB103_53
.LBB103_41:
	s_mov_b64 s[2:3], -1
.LBB103_42:
	s_mov_b64 s[0:1], 0
                                        ; implicit-def: $vgpr3
.LBB103_43:
	s_and_b64 vcc, exec, s[8:9]
	s_cbranch_vccz .LBB103_156
; %bb.44:
	s_cmp_eq_u32 s10, 44
	s_cbranch_scc0 .LBB103_155
; %bb.45:
	global_load_ubyte v3, v[1:2], off
	s_mov_b64 s[0:1], -1
	s_mov_b64 s[2:3], 0
	s_waitcnt vmcnt(0)
	v_lshlrev_b32_e32 v4, 23, v3
	v_cvt_i32_f32_e32 v4, v4
	v_cmp_ne_u32_e32 vcc, 0, v3
	v_cndmask_b32_e32 v3, 0, v4, vcc
	s_branch .LBB103_156
.LBB103_46:
	s_mov_b64 s[10:11], -1
	s_mov_b64 s[0:1], 0
	s_mov_b64 s[8:9], 0
.LBB103_47:
	s_and_b64 vcc, exec, s[10:11]
	s_cbranch_vccz .LBB103_52
; %bb.48:
	s_cmp_eq_u32 s15, 44
	s_mov_b64 s[0:1], -1
	s_cbranch_scc0 .LBB103_52
; %bb.49:
	v_cvt_f32_i32_sdwa v2, sext(v4) dst_sel:DWORD dst_unused:UNUSED_PAD src0_sel:WORD_0
	s_movk_i32 s0, 0xff
	v_mov_b32_e32 v5, 0xff
	v_bfe_u32 v3, v2, 23, 8
	v_cmp_ne_u32_e32 vcc, s0, v3
	s_and_saveexec_b64 s[8:9], vcc
; %bb.50:
	s_mov_b32 s0, 0x3fffff
	v_lshrrev_b32_e32 v5, 23, v2
	v_and_b32_e32 v6, 0x400000, v2
	v_and_or_b32 v2, v2, s0, v3
	v_cmp_ne_u32_e32 vcc, 0, v6
	v_cmp_ne_u32_e64 s[0:1], 0, v2
	s_and_b64 s[0:1], vcc, s[0:1]
	v_cndmask_b32_e64 v2, 0, 1, s[0:1]
	v_add_u32_e32 v5, v5, v2
; %bb.51:
	s_or_b64 exec, exec, s[8:9]
	s_mov_b64 s[8:9], -1
	s_mov_b64 s[0:1], 0
	global_store_byte v[0:1], v5, off
.LBB103_52:
	s_mov_b64 s[10:11], 0
.LBB103_53:
	s_and_b64 vcc, exec, s[10:11]
	s_cbranch_vccz .LBB103_56
; %bb.54:
	s_cmp_eq_u32 s15, 29
	s_mov_b64 s[0:1], -1
	s_cbranch_scc0 .LBB103_56
; %bb.55:
	v_bfe_i32 v2, v4, 0, 16
	v_ashrrev_i32_e32 v3, 31, v2
	global_store_dwordx2 v[0:1], v[2:3], off
	s_mov_b64 s[8:9], -1
	s_mov_b64 s[0:1], 0
.LBB103_56:
	s_mov_b64 s[10:11], 0
.LBB103_57:
	s_and_b64 vcc, exec, s[10:11]
	s_cbranch_vccz .LBB103_73
; %bb.58:
	s_cmp_lt_i32 s15, 27
	s_mov_b64 s[8:9], -1
	s_cbranch_scc1 .LBB103_64
; %bb.59:
	s_cmp_gt_i32 s15, 27
	s_cbranch_scc0 .LBB103_61
; %bb.60:
	v_bfe_i32 v2, v4, 0, 16
	s_mov_b64 s[8:9], 0
	global_store_dword v[0:1], v2, off
.LBB103_61:
	s_andn2_b64 vcc, exec, s[8:9]
	s_cbranch_vccnz .LBB103_63
; %bb.62:
	global_store_short v[0:1], v4, off
.LBB103_63:
	s_mov_b64 s[8:9], 0
.LBB103_64:
	s_andn2_b64 vcc, exec, s[8:9]
	s_cbranch_vccnz .LBB103_72
; %bb.65:
	v_cvt_f32_i32_sdwa v2, sext(v4) dst_sel:DWORD dst_unused:UNUSED_PAD src0_sel:WORD_0
	s_mov_b32 s8, 0x43800000
	v_mov_b32_e32 v5, 0x80
	v_and_b32_e32 v3, 0x7fffffff, v2
	v_cmp_gt_u32_e32 vcc, s8, v3
	s_and_saveexec_b64 s[8:9], vcc
	s_cbranch_execz .LBB103_71
; %bb.66:
	s_mov_b32 s10, 0x3bffffff
	v_cmp_lt_u32_e32 vcc, s10, v3
	s_mov_b64 s[10:11], 0
                                        ; implicit-def: $vgpr3
	s_and_saveexec_b64 s[12:13], vcc
	s_xor_b64 s[12:13], exec, s[12:13]
	s_cbranch_execz .LBB103_303
; %bb.67:
	v_bfe_u32 v3, v2, 20, 1
	s_mov_b32 s16, 0x487ffff
	v_add3_u32 v3, v2, v3, s16
	s_mov_b64 s[10:11], exec
	v_lshrrev_b32_e32 v3, 20, v3
	s_andn2_saveexec_b64 s[12:13], s[12:13]
	s_cbranch_execnz .LBB103_304
.LBB103_68:
	s_or_b64 exec, exec, s[12:13]
	v_mov_b32_e32 v5, 0
	s_and_saveexec_b64 s[12:13], s[10:11]
.LBB103_69:
	v_lshrrev_b32_e32 v2, 24, v2
	s_movk_i32 s10, 0x80
	v_and_or_b32 v5, v2, s10, v3
.LBB103_70:
	s_or_b64 exec, exec, s[12:13]
.LBB103_71:
	s_or_b64 exec, exec, s[8:9]
	global_store_byte v[0:1], v5, off
.LBB103_72:
	s_mov_b64 s[8:9], -1
.LBB103_73:
	s_mov_b64 s[10:11], 0
.LBB103_74:
	s_and_b64 vcc, exec, s[10:11]
	s_cbranch_vccz .LBB103_115
; %bb.75:
	s_cmp_gt_i32 s15, 22
	s_mov_b64 s[10:11], -1
	s_cbranch_scc0 .LBB103_107
; %bb.76:
	s_cmp_lt_i32 s15, 24
	s_mov_b64 s[8:9], -1
	s_cbranch_scc1 .LBB103_96
; %bb.77:
	s_cmp_gt_i32 s15, 24
	s_cbranch_scc0 .LBB103_85
; %bb.78:
	v_cvt_f32_i32_sdwa v2, sext(v4) dst_sel:DWORD dst_unused:UNUSED_PAD src0_sel:WORD_0
	s_mov_b32 s8, 0x47800000
	v_mov_b32_e32 v5, 0x80
	v_and_b32_e32 v3, 0x7fffffff, v2
	v_cmp_gt_u32_e32 vcc, s8, v3
	s_and_saveexec_b64 s[8:9], vcc
	s_cbranch_execz .LBB103_84
; %bb.79:
	s_mov_b32 s10, 0x37ffffff
	v_cmp_lt_u32_e32 vcc, s10, v3
	s_mov_b64 s[10:11], 0
                                        ; implicit-def: $vgpr3
	s_and_saveexec_b64 s[12:13], vcc
	s_xor_b64 s[12:13], exec, s[12:13]
	s_cbranch_execz .LBB103_307
; %bb.80:
	v_bfe_u32 v3, v2, 21, 1
	s_mov_b32 s16, 0x88fffff
	v_add3_u32 v3, v2, v3, s16
	s_mov_b64 s[10:11], exec
	v_lshrrev_b32_e32 v3, 21, v3
	s_andn2_saveexec_b64 s[12:13], s[12:13]
	s_cbranch_execnz .LBB103_308
.LBB103_81:
	s_or_b64 exec, exec, s[12:13]
	v_mov_b32_e32 v5, 0
	s_and_saveexec_b64 s[12:13], s[10:11]
.LBB103_82:
	v_lshrrev_b32_e32 v2, 24, v2
	s_movk_i32 s10, 0x80
	v_and_or_b32 v5, v2, s10, v3
.LBB103_83:
	s_or_b64 exec, exec, s[12:13]
.LBB103_84:
	s_or_b64 exec, exec, s[8:9]
	s_mov_b64 s[8:9], 0
	global_store_byte v[0:1], v5, off
.LBB103_85:
	s_and_b64 vcc, exec, s[8:9]
	s_cbranch_vccz .LBB103_95
; %bb.86:
	v_cvt_f32_i32_sdwa v2, sext(v4) dst_sel:DWORD dst_unused:UNUSED_PAD src0_sel:WORD_0
	s_mov_b32 s8, 0x43f00000
                                        ; implicit-def: $vgpr3
	v_and_b32_e32 v5, 0x7fffffff, v2
	v_cmp_gt_u32_e32 vcc, s8, v5
	s_and_saveexec_b64 s[8:9], vcc
	s_xor_b64 s[8:9], exec, s[8:9]
	s_cbranch_execz .LBB103_92
; %bb.87:
	s_mov_b32 s10, 0x3c7fffff
	v_cmp_lt_u32_e32 vcc, s10, v5
                                        ; implicit-def: $vgpr3
	s_and_saveexec_b64 s[10:11], vcc
	s_xor_b64 s[10:11], exec, s[10:11]
; %bb.88:
	v_bfe_u32 v3, v2, 20, 1
	s_mov_b32 s12, 0x407ffff
	v_add3_u32 v3, v2, v3, s12
	v_lshrrev_b32_e32 v5, 20, v3
	v_and_b32_e32 v3, 0xff00000, v3
	s_mov_b32 s12, 0x7f00000
	v_mov_b32_e32 v6, 0x7e
	v_cmp_ne_u32_e32 vcc, s12, v3
	v_cndmask_b32_e32 v3, v6, v5, vcc
; %bb.89:
	s_andn2_saveexec_b64 s[10:11], s[10:11]
; %bb.90:
	s_mov_b32 s12, 0x46800000
	v_add_f32_e64 v3, |v2|, s12
; %bb.91:
	s_or_b64 exec, exec, s[10:11]
                                        ; implicit-def: $vgpr5
.LBB103_92:
	s_andn2_saveexec_b64 s[8:9], s[8:9]
; %bb.93:
	s_mov_b32 s10, 0x7f800000
	v_mov_b32_e32 v3, 0x7e
	v_mov_b32_e32 v6, 0x7f
	v_cmp_lt_u32_e32 vcc, s10, v5
	v_cndmask_b32_e32 v3, v3, v6, vcc
; %bb.94:
	s_or_b64 exec, exec, s[8:9]
	v_lshrrev_b32_e32 v2, 24, v2
	s_movk_i32 s8, 0x80
	v_and_or_b32 v2, v2, s8, v3
	global_store_byte v[0:1], v2, off
.LBB103_95:
	s_mov_b64 s[8:9], 0
.LBB103_96:
	s_andn2_b64 vcc, exec, s[8:9]
	s_cbranch_vccnz .LBB103_106
; %bb.97:
	v_cvt_f32_i32_sdwa v2, sext(v4) dst_sel:DWORD dst_unused:UNUSED_PAD src0_sel:WORD_0
	s_mov_b32 s8, 0x47800000
                                        ; implicit-def: $vgpr3
	v_and_b32_e32 v5, 0x7fffffff, v2
	v_cmp_gt_u32_e32 vcc, s8, v5
	s_and_saveexec_b64 s[8:9], vcc
	s_xor_b64 s[8:9], exec, s[8:9]
	s_cbranch_execz .LBB103_103
; %bb.98:
	s_mov_b32 s10, 0x387fffff
	v_cmp_lt_u32_e32 vcc, s10, v5
                                        ; implicit-def: $vgpr3
	s_and_saveexec_b64 s[10:11], vcc
	s_xor_b64 s[10:11], exec, s[10:11]
; %bb.99:
	v_bfe_u32 v3, v2, 21, 1
	s_mov_b32 s12, 0x80fffff
	v_add3_u32 v3, v2, v3, s12
	v_lshrrev_b32_e32 v3, 21, v3
; %bb.100:
	s_andn2_saveexec_b64 s[10:11], s[10:11]
; %bb.101:
	s_mov_b32 s12, 0x43000000
	v_add_f32_e64 v3, |v2|, s12
; %bb.102:
	s_or_b64 exec, exec, s[10:11]
                                        ; implicit-def: $vgpr5
.LBB103_103:
	s_andn2_saveexec_b64 s[8:9], s[8:9]
; %bb.104:
	s_mov_b32 s10, 0x7f800000
	v_mov_b32_e32 v3, 0x7c
	v_mov_b32_e32 v6, 0x7f
	v_cmp_lt_u32_e32 vcc, s10, v5
	v_cndmask_b32_e32 v3, v3, v6, vcc
; %bb.105:
	s_or_b64 exec, exec, s[8:9]
	v_lshrrev_b32_e32 v2, 24, v2
	s_movk_i32 s8, 0x80
	v_and_or_b32 v2, v2, s8, v3
	global_store_byte v[0:1], v2, off
.LBB103_106:
	s_mov_b64 s[10:11], 0
	s_mov_b64 s[8:9], -1
.LBB103_107:
	s_andn2_b64 vcc, exec, s[10:11]
	s_cbranch_vccnz .LBB103_115
; %bb.108:
	s_cmp_gt_i32 s15, 14
	s_mov_b64 s[10:11], -1
	s_cbranch_scc0 .LBB103_112
; %bb.109:
	s_cmp_eq_u32 s15, 15
	s_mov_b64 s[0:1], -1
	s_cbranch_scc0 .LBB103_111
; %bb.110:
	v_cvt_f32_i32_sdwa v2, sext(v4) dst_sel:DWORD dst_unused:UNUSED_PAD src0_sel:WORD_0
	s_movk_i32 s0, 0x7fff
	s_mov_b64 s[8:9], -1
	v_bfe_u32 v3, v2, 16, 1
	v_add3_u32 v2, v2, v3, s0
	global_store_short_d16_hi v[0:1], v2, off
	s_mov_b64 s[0:1], 0
.LBB103_111:
	s_mov_b64 s[10:11], 0
.LBB103_112:
	s_and_b64 vcc, exec, s[10:11]
	s_cbranch_vccz .LBB103_115
; %bb.113:
	s_cmp_eq_u32 s15, 11
	s_mov_b64 s[0:1], -1
	s_cbranch_scc0 .LBB103_115
; %bb.114:
	v_cmp_ne_u16_e32 vcc, 0, v4
	v_cndmask_b32_e64 v2, 0, 1, vcc
	s_mov_b64 s[8:9], -1
	s_mov_b64 s[0:1], 0
	global_store_byte v[0:1], v2, off
.LBB103_115:
	s_branch .LBB103_34
.LBB103_116:
	s_and_b32 s10, 0xffff, s14
	s_cmp_lt_i32 s10, 5
	s_mov_b64 s[8:9], -1
	s_cbranch_scc1 .LBB103_137
; %bb.117:
	s_cmp_lt_i32 s10, 8
	s_cbranch_scc1 .LBB103_127
; %bb.118:
	s_cmp_lt_i32 s10, 9
	s_cbranch_scc1 .LBB103_124
; %bb.119:
	s_cmp_gt_i32 s10, 9
	s_cbranch_scc0 .LBB103_121
; %bb.120:
	v_bfe_i32 v2, v4, 0, 16
	v_cvt_f64_i32_e32 v[9:10], v2
	v_mov_b32_e32 v11, 0
	v_mov_b32_e32 v12, v11
	s_mov_b64 s[8:9], 0
	global_store_dwordx4 v[0:1], v[9:12], off
.LBB103_121:
	s_andn2_b64 vcc, exec, s[8:9]
	s_cbranch_vccnz .LBB103_123
; %bb.122:
	v_cvt_f32_i32_sdwa v2, sext(v4) dst_sel:DWORD dst_unused:UNUSED_PAD src0_sel:WORD_0
	v_mov_b32_e32 v3, 0
	global_store_dwordx2 v[0:1], v[2:3], off
.LBB103_123:
	s_mov_b64 s[8:9], 0
.LBB103_124:
	s_andn2_b64 vcc, exec, s[8:9]
	s_cbranch_vccnz .LBB103_126
; %bb.125:
	v_cvt_f16_i16_e32 v2, v4
	global_store_dword v[0:1], v2, off
.LBB103_126:
	s_mov_b64 s[8:9], 0
.LBB103_127:
	s_andn2_b64 vcc, exec, s[8:9]
	s_cbranch_vccnz .LBB103_136
; %bb.128:
	s_cmp_lt_i32 s10, 6
	s_mov_b64 s[8:9], -1
	s_cbranch_scc1 .LBB103_134
; %bb.129:
	s_cmp_gt_i32 s10, 6
	s_cbranch_scc0 .LBB103_131
; %bb.130:
	v_bfe_i32 v2, v4, 0, 16
	v_cvt_f64_i32_e32 v[2:3], v2
	s_mov_b64 s[8:9], 0
	global_store_dwordx2 v[0:1], v[2:3], off
.LBB103_131:
	s_andn2_b64 vcc, exec, s[8:9]
	s_cbranch_vccnz .LBB103_133
; %bb.132:
	v_cvt_f32_i32_sdwa v2, sext(v4) dst_sel:DWORD dst_unused:UNUSED_PAD src0_sel:WORD_0
	global_store_dword v[0:1], v2, off
.LBB103_133:
	s_mov_b64 s[8:9], 0
.LBB103_134:
	s_andn2_b64 vcc, exec, s[8:9]
	s_cbranch_vccnz .LBB103_136
; %bb.135:
	v_cvt_f16_i16_e32 v2, v4
	global_store_short v[0:1], v2, off
.LBB103_136:
	s_mov_b64 s[8:9], 0
.LBB103_137:
	s_andn2_b64 vcc, exec, s[8:9]
	s_cbranch_vccnz .LBB103_153
; %bb.138:
	s_cmp_lt_i32 s10, 2
	s_mov_b64 s[8:9], -1
	s_cbranch_scc1 .LBB103_148
; %bb.139:
	s_cmp_lt_i32 s10, 3
	s_cbranch_scc1 .LBB103_145
; %bb.140:
	s_cmp_gt_i32 s10, 3
	v_bfe_i32 v2, v4, 0, 16
	s_cbranch_scc0 .LBB103_142
; %bb.141:
	v_ashrrev_i32_e32 v3, 31, v2
	global_store_dwordx2 v[0:1], v[2:3], off
	s_mov_b64 s[8:9], 0
.LBB103_142:
	s_andn2_b64 vcc, exec, s[8:9]
	s_cbranch_vccnz .LBB103_144
; %bb.143:
	global_store_dword v[0:1], v2, off
.LBB103_144:
	s_mov_b64 s[8:9], 0
.LBB103_145:
	s_andn2_b64 vcc, exec, s[8:9]
	s_cbranch_vccnz .LBB103_147
; %bb.146:
	global_store_short v[0:1], v4, off
.LBB103_147:
	s_mov_b64 s[8:9], 0
.LBB103_148:
	s_andn2_b64 vcc, exec, s[8:9]
	s_cbranch_vccnz .LBB103_153
; %bb.149:
	s_cmp_gt_i32 s10, 0
	s_mov_b64 s[8:9], -1
	s_cbranch_scc0 .LBB103_151
; %bb.150:
	global_store_byte v[0:1], v4, off
	s_mov_b64 s[8:9], 0
.LBB103_151:
	s_andn2_b64 vcc, exec, s[8:9]
	s_cbranch_vccnz .LBB103_153
; %bb.152:
	global_store_byte v[0:1], v4, off
.LBB103_153:
.LBB103_154:
	v_add_u32_e32 v8, 0x80, v8
	s_mov_b64 s[8:9], -1
	s_branch .LBB103_261
.LBB103_155:
	s_mov_b64 s[2:3], -1
                                        ; implicit-def: $vgpr3
.LBB103_156:
	s_mov_b64 s[8:9], 0
.LBB103_157:
	s_and_b64 vcc, exec, s[8:9]
	s_cbranch_vccz .LBB103_161
; %bb.158:
	s_cmp_eq_u32 s10, 29
	s_cbranch_scc0 .LBB103_160
; %bb.159:
	global_load_dwordx2 v[3:4], v[1:2], off
	s_mov_b64 s[0:1], -1
	s_mov_b64 s[2:3], 0
	s_branch .LBB103_161
.LBB103_160:
	s_mov_b64 s[2:3], -1
                                        ; implicit-def: $vgpr3
.LBB103_161:
	s_mov_b64 s[8:9], 0
.LBB103_162:
	s_and_b64 vcc, exec, s[8:9]
	s_cbranch_vccz .LBB103_178
; %bb.163:
	s_cmp_lt_i32 s10, 27
	s_cbranch_scc1 .LBB103_166
; %bb.164:
	s_cmp_gt_i32 s10, 27
	s_cbranch_scc0 .LBB103_167
; %bb.165:
	global_load_dword v3, v[1:2], off
	s_mov_b64 s[0:1], 0
	s_branch .LBB103_168
.LBB103_166:
	s_mov_b64 s[0:1], -1
                                        ; implicit-def: $vgpr3
	s_branch .LBB103_171
.LBB103_167:
	s_mov_b64 s[0:1], -1
                                        ; implicit-def: $vgpr3
.LBB103_168:
	s_andn2_b64 vcc, exec, s[0:1]
	s_cbranch_vccnz .LBB103_170
; %bb.169:
	global_load_ushort v3, v[1:2], off
.LBB103_170:
	s_mov_b64 s[0:1], 0
.LBB103_171:
	s_andn2_b64 vcc, exec, s[0:1]
	s_cbranch_vccnz .LBB103_177
; %bb.172:
	global_load_ubyte v4, v[1:2], off
	s_movk_i32 s0, 0x7f
	s_mov_b64 s[8:9], 0
	s_waitcnt vmcnt(0)
	v_cmp_lt_i16_e32 vcc, s0, v4
	s_and_saveexec_b64 s[0:1], vcc
	s_xor_b64 s[0:1], exec, s[0:1]
	s_cbranch_execz .LBB103_188
; %bb.173:
	s_movk_i32 s8, 0x80
	v_cmp_ne_u16_e32 vcc, s8, v4
	s_and_b64 s[8:9], vcc, exec
	s_andn2_saveexec_b64 s[0:1], s[0:1]
	s_cbranch_execnz .LBB103_189
.LBB103_174:
	s_or_b64 exec, exec, s[0:1]
	v_mov_b32_e32 v3, 0
	s_and_saveexec_b64 s[0:1], s[8:9]
	s_cbranch_execz .LBB103_176
.LBB103_175:
	v_lshlrev_b32_e32 v3, 24, v4
	v_and_b32_e32 v4, 0xffff, v4
	v_and_b32_e32 v5, 7, v4
	v_ffbh_u32_e32 v7, v5
	v_min_u32_e32 v7, 32, v7
	v_subrev_u32_e32 v9, 28, v7
	v_bfe_u32 v6, v4, 3, 4
	v_lshlrev_b32_e32 v4, v9, v4
	v_sub_u32_e32 v7, 29, v7
	v_and_b32_e32 v4, 7, v4
	v_cmp_eq_u32_e32 vcc, 0, v6
	v_cndmask_b32_e32 v6, v6, v7, vcc
	v_cndmask_b32_e32 v4, v5, v4, vcc
	v_mov_b32_e32 v5, 0x3b800000
	v_lshlrev_b32_e32 v4, 20, v4
	v_and_b32_e32 v3, 0x80000000, v3
	v_lshl_add_u32 v5, v6, 23, v5
	v_or3_b32 v3, v3, v5, v4
	v_cvt_i32_f32_e32 v3, v3
.LBB103_176:
	s_or_b64 exec, exec, s[0:1]
.LBB103_177:
	s_mov_b64 s[0:1], -1
.LBB103_178:
	s_branch .LBB103_211
.LBB103_179:
	s_cmp_gt_i32 s10, 22
	s_cbranch_scc0 .LBB103_187
; %bb.180:
	s_cmp_lt_i32 s10, 24
	s_cbranch_scc1 .LBB103_190
; %bb.181:
	s_cmp_gt_i32 s10, 24
	s_cbranch_scc0 .LBB103_191
; %bb.182:
	global_load_ubyte v4, v[1:2], off
	s_movk_i32 s0, 0x7f
	s_mov_b64 s[8:9], 0
	s_waitcnt vmcnt(0)
	v_cmp_lt_i16_e32 vcc, s0, v4
	s_and_saveexec_b64 s[0:1], vcc
	s_xor_b64 s[0:1], exec, s[0:1]
	s_cbranch_execz .LBB103_203
; %bb.183:
	s_movk_i32 s8, 0x80
	v_cmp_ne_u16_e32 vcc, s8, v4
	s_and_b64 s[8:9], vcc, exec
	s_andn2_saveexec_b64 s[0:1], s[0:1]
	s_cbranch_execnz .LBB103_204
.LBB103_184:
	s_or_b64 exec, exec, s[0:1]
	v_mov_b32_e32 v3, 0
	s_and_saveexec_b64 s[0:1], s[8:9]
	s_cbranch_execz .LBB103_186
.LBB103_185:
	v_lshlrev_b32_e32 v3, 24, v4
	v_and_b32_e32 v4, 0xffff, v4
	v_and_b32_e32 v5, 3, v4
	v_ffbh_u32_e32 v7, v5
	v_min_u32_e32 v7, 32, v7
	v_subrev_u32_e32 v9, 29, v7
	v_bfe_u32 v6, v4, 2, 5
	v_lshlrev_b32_e32 v4, v9, v4
	v_sub_u32_e32 v7, 30, v7
	v_and_b32_e32 v4, 3, v4
	v_cmp_eq_u32_e32 vcc, 0, v6
	v_cndmask_b32_e32 v6, v6, v7, vcc
	v_cndmask_b32_e32 v4, v5, v4, vcc
	v_mov_b32_e32 v5, 0x37800000
	v_lshlrev_b32_e32 v4, 21, v4
	v_and_b32_e32 v3, 0x80000000, v3
	v_lshl_add_u32 v5, v6, 23, v5
	v_or3_b32 v3, v3, v5, v4
	v_cvt_i32_f32_e32 v3, v3
.LBB103_186:
	s_or_b64 exec, exec, s[0:1]
	s_mov_b64 s[0:1], 0
	s_branch .LBB103_192
.LBB103_187:
	s_mov_b64 s[8:9], -1
                                        ; implicit-def: $vgpr3
	s_branch .LBB103_198
.LBB103_188:
	s_andn2_saveexec_b64 s[0:1], s[0:1]
	s_cbranch_execz .LBB103_174
.LBB103_189:
	v_cmp_ne_u16_e32 vcc, 0, v4
	s_andn2_b64 s[8:9], s[8:9], exec
	s_and_b64 s[12:13], vcc, exec
	s_or_b64 s[8:9], s[8:9], s[12:13]
	s_or_b64 exec, exec, s[0:1]
	v_mov_b32_e32 v3, 0
	s_and_saveexec_b64 s[0:1], s[8:9]
	s_cbranch_execnz .LBB103_175
	s_branch .LBB103_176
.LBB103_190:
	s_mov_b64 s[0:1], -1
                                        ; implicit-def: $vgpr3
	s_branch .LBB103_195
.LBB103_191:
	s_mov_b64 s[0:1], -1
                                        ; implicit-def: $vgpr3
.LBB103_192:
	s_and_b64 vcc, exec, s[0:1]
	s_cbranch_vccz .LBB103_194
; %bb.193:
	global_load_ubyte v3, v[1:2], off
	s_mov_b32 s0, 0x7f800000
	s_waitcnt vmcnt(0)
	v_lshlrev_b32_e32 v3, 24, v3
	v_and_b32_e32 v4, 0x7f000000, v3
	v_ffbh_u32_e32 v5, v4
	v_min_u32_e32 v5, 32, v5
	v_sub_u32_e64 v5, v5, 4 clamp
	v_lshlrev_b32_e32 v7, v5, v4
	v_lshlrev_b32_e32 v5, 23, v5
	v_lshrrev_b32_e32 v7, 4, v7
	v_add_u32_e32 v6, 0x1000000, v4
	v_sub_u32_e32 v5, v7, v5
	v_ashrrev_i32_e32 v6, 8, v6
	v_add_u32_e32 v5, 0x3c000000, v5
	v_and_or_b32 v5, v6, s0, v5
	v_cmp_ne_u32_e32 vcc, 0, v4
	v_cndmask_b32_e32 v4, 0, v5, vcc
	s_brev_b32 s0, 1
	v_and_or_b32 v3, v3, s0, v4
	v_cvt_i32_f32_e32 v3, v3
.LBB103_194:
	s_mov_b64 s[0:1], 0
.LBB103_195:
	s_andn2_b64 vcc, exec, s[0:1]
	s_cbranch_vccnz .LBB103_197
; %bb.196:
	global_load_ubyte v3, v[1:2], off
	s_movk_i32 s0, 0x7f00
	s_brev_b32 s1, 16
	s_waitcnt vmcnt(0)
	v_lshlrev_b16_e32 v4, 8, v3
	v_lshlrev_b32_e32 v3, 25, v3
	v_lshrrev_b32_e32 v5, 4, v3
	v_and_or_b32 v6, v4, s0, 0.5
	v_or_b32_e32 v5, 0x70000000, v5
	v_add_f32_e32 v6, -0.5, v6
	v_mul_f32_e32 v5, 0x7800000, v5
	v_cmp_gt_u32_e32 vcc, s1, v3
	v_bfe_i32 v4, v4, 0, 16
	v_cndmask_b32_e32 v3, v5, v6, vcc
	s_brev_b32 s0, 1
	v_and_or_b32 v3, v4, s0, v3
	v_cvt_i32_f32_e32 v3, v3
.LBB103_197:
	s_mov_b64 s[8:9], 0
	s_mov_b64 s[0:1], -1
.LBB103_198:
	s_andn2_b64 vcc, exec, s[8:9]
	s_cbranch_vccnz .LBB103_211
; %bb.199:
	s_cmp_gt_i32 s10, 14
	s_cbranch_scc0 .LBB103_202
; %bb.200:
	s_cmp_eq_u32 s10, 15
	s_cbranch_scc0 .LBB103_205
; %bb.201:
	global_load_ushort v3, v[1:2], off
	s_mov_b64 s[0:1], -1
	s_mov_b64 s[2:3], 0
	s_waitcnt vmcnt(0)
	v_lshlrev_b32_e32 v3, 16, v3
	v_cvt_i32_f32_e32 v3, v3
	s_branch .LBB103_206
.LBB103_202:
	s_mov_b64 s[8:9], -1
                                        ; implicit-def: $vgpr3
	s_branch .LBB103_207
.LBB103_203:
	s_andn2_saveexec_b64 s[0:1], s[0:1]
	s_cbranch_execz .LBB103_184
.LBB103_204:
	v_cmp_ne_u16_e32 vcc, 0, v4
	s_andn2_b64 s[8:9], s[8:9], exec
	s_and_b64 s[12:13], vcc, exec
	s_or_b64 s[8:9], s[8:9], s[12:13]
	s_or_b64 exec, exec, s[0:1]
	v_mov_b32_e32 v3, 0
	s_and_saveexec_b64 s[0:1], s[8:9]
	s_cbranch_execnz .LBB103_185
	s_branch .LBB103_186
.LBB103_205:
	s_mov_b64 s[2:3], -1
                                        ; implicit-def: $vgpr3
.LBB103_206:
	s_mov_b64 s[8:9], 0
.LBB103_207:
	s_and_b64 vcc, exec, s[8:9]
	s_cbranch_vccz .LBB103_211
; %bb.208:
	s_cmp_eq_u32 s10, 11
	s_cbranch_scc0 .LBB103_210
; %bb.209:
	global_load_ubyte v3, v[1:2], off
	s_mov_b64 s[0:1], -1
	s_mov_b64 s[2:3], 0
	s_waitcnt vmcnt(0)
	v_cmp_ne_u16_e32 vcc, 0, v3
	v_cndmask_b32_e64 v3, 0, 1, vcc
	s_branch .LBB103_211
.LBB103_210:
	s_mov_b64 s[2:3], -1
                                        ; implicit-def: $vgpr3
.LBB103_211:
	s_branch .LBB103_24
.LBB103_212:
	s_cmp_lt_i32 s10, 5
	s_cbranch_scc1 .LBB103_217
; %bb.213:
	s_cmp_lt_i32 s10, 8
	s_cbranch_scc1 .LBB103_218
; %bb.214:
	;; [unrolled: 3-line block ×3, first 2 shown]
	s_cmp_gt_i32 s10, 9
	s_cbranch_scc0 .LBB103_220
; %bb.216:
	global_load_dwordx2 v[3:4], v[1:2], off
	s_mov_b64 s[0:1], 0
	s_waitcnt vmcnt(0)
	v_cvt_i32_f64_e32 v3, v[3:4]
	s_branch .LBB103_221
.LBB103_217:
                                        ; implicit-def: $vgpr3
	s_branch .LBB103_239
.LBB103_218:
	s_mov_b64 s[0:1], -1
                                        ; implicit-def: $vgpr3
	s_branch .LBB103_227
.LBB103_219:
	s_mov_b64 s[0:1], -1
                                        ; implicit-def: $vgpr3
	s_branch .LBB103_224
.LBB103_220:
	s_mov_b64 s[0:1], -1
                                        ; implicit-def: $vgpr3
.LBB103_221:
	s_andn2_b64 vcc, exec, s[0:1]
	s_cbranch_vccnz .LBB103_223
; %bb.222:
	global_load_dword v3, v[1:2], off
	s_waitcnt vmcnt(0)
	v_cvt_i32_f32_e32 v3, v3
.LBB103_223:
	s_mov_b64 s[0:1], 0
.LBB103_224:
	s_andn2_b64 vcc, exec, s[0:1]
	s_cbranch_vccnz .LBB103_226
; %bb.225:
	global_load_dword v3, v[1:2], off
	s_waitcnt vmcnt(0)
	v_cvt_i16_f16_e32 v3, v3
.LBB103_226:
	s_mov_b64 s[0:1], 0
.LBB103_227:
	s_andn2_b64 vcc, exec, s[0:1]
	s_cbranch_vccnz .LBB103_238
; %bb.228:
	s_cmp_lt_i32 s10, 6
	s_cbranch_scc1 .LBB103_231
; %bb.229:
	s_cmp_gt_i32 s10, 6
	s_cbranch_scc0 .LBB103_232
; %bb.230:
	global_load_dwordx2 v[3:4], v[1:2], off
	s_mov_b64 s[0:1], 0
	s_waitcnt vmcnt(0)
	v_cvt_i32_f64_e32 v3, v[3:4]
	s_branch .LBB103_233
.LBB103_231:
	s_mov_b64 s[0:1], -1
                                        ; implicit-def: $vgpr3
	s_branch .LBB103_236
.LBB103_232:
	s_mov_b64 s[0:1], -1
                                        ; implicit-def: $vgpr3
.LBB103_233:
	s_andn2_b64 vcc, exec, s[0:1]
	s_cbranch_vccnz .LBB103_235
; %bb.234:
	global_load_dword v3, v[1:2], off
	s_waitcnt vmcnt(0)
	v_cvt_i32_f32_e32 v3, v3
.LBB103_235:
	s_mov_b64 s[0:1], 0
.LBB103_236:
	s_andn2_b64 vcc, exec, s[0:1]
	s_cbranch_vccnz .LBB103_238
; %bb.237:
	global_load_ushort v3, v[1:2], off
	s_waitcnt vmcnt(0)
	v_cvt_i16_f16_e32 v3, v3
.LBB103_238:
	s_cbranch_execnz .LBB103_258
.LBB103_239:
	s_cmp_lt_i32 s10, 2
	s_cbranch_scc1 .LBB103_243
; %bb.240:
	s_cmp_lt_i32 s10, 3
	s_cbranch_scc1 .LBB103_244
; %bb.241:
	s_cmp_gt_i32 s10, 3
	s_cbranch_scc0 .LBB103_245
; %bb.242:
	global_load_dwordx2 v[3:4], v[1:2], off
	s_mov_b64 s[0:1], 0
	s_branch .LBB103_246
.LBB103_243:
	s_mov_b64 s[0:1], -1
                                        ; implicit-def: $vgpr3
	s_branch .LBB103_252
.LBB103_244:
	s_mov_b64 s[0:1], -1
                                        ; implicit-def: $vgpr3
	s_branch .LBB103_249
.LBB103_245:
	s_mov_b64 s[0:1], -1
                                        ; implicit-def: $vgpr3
.LBB103_246:
	s_andn2_b64 vcc, exec, s[0:1]
	s_cbranch_vccnz .LBB103_248
; %bb.247:
	global_load_dword v3, v[1:2], off
.LBB103_248:
	s_mov_b64 s[0:1], 0
.LBB103_249:
	s_andn2_b64 vcc, exec, s[0:1]
	s_cbranch_vccnz .LBB103_251
; %bb.250:
	global_load_ushort v3, v[1:2], off
.LBB103_251:
	s_mov_b64 s[0:1], 0
.LBB103_252:
	s_andn2_b64 vcc, exec, s[0:1]
	s_cbranch_vccnz .LBB103_258
; %bb.253:
	s_cmp_gt_i32 s10, 0
	s_cbranch_scc0 .LBB103_255
; %bb.254:
	global_load_sbyte v3, v[1:2], off
	s_mov_b64 s[0:1], 0
	s_branch .LBB103_256
.LBB103_255:
	s_mov_b64 s[0:1], -1
                                        ; implicit-def: $vgpr3
.LBB103_256:
	s_andn2_b64 vcc, exec, s[0:1]
	s_cbranch_vccnz .LBB103_258
; %bb.257:
	global_load_ubyte v3, v[1:2], off
.LBB103_258:
	s_branch .LBB103_25
.LBB103_259:
	s_mov_b64 s[0:1], 0
.LBB103_260:
	s_mov_b64 s[8:9], 0
                                        ; implicit-def: $vgpr8
.LBB103_261:
	s_and_b64 s[52:53], s[0:1], exec
	s_and_b64 s[54:55], s[2:3], exec
	s_orn2_b64 s[2:3], s[8:9], exec
.LBB103_262:
	s_or_b64 exec, exec, s[56:57]
	s_mov_b64 s[10:11], 0
	s_mov_b64 s[0:1], 0
                                        ; implicit-def: $vgpr1_vgpr2
                                        ; implicit-def: $vgpr0
                                        ; implicit-def: $vgpr3
	s_and_saveexec_b64 s[56:57], s[2:3]
	s_cbranch_execz .LBB103_269
; %bb.263:
	v_cmp_gt_i32_e32 vcc, s70, v8
	s_mov_b64 s[0:1], -1
	s_mov_b64 s[58:59], s[54:55]
	s_mov_b64 s[60:61], s[52:53]
	s_and_saveexec_b64 s[62:63], vcc
	s_cbranch_execz .LBB103_534
; %bb.264:
	s_andn2_b64 vcc, exec, s[40:41]
	s_cbranch_vccnz .LBB103_272
; %bb.265:
	s_andn2_b64 vcc, exec, s[50:51]
	s_cbranch_vccnz .LBB103_273
; %bb.266:
	s_add_i32 s65, s76, 1
	s_cmp_eq_u32 s72, 2
	s_cbranch_scc1 .LBB103_274
; %bb.267:
	s_and_b32 s64, s65, 28
	v_mov_b32_e32 v2, 0
	s_mov_b32 s66, 0
	s_mov_b64 s[58:59], s[34:35]
	s_mov_b64 s[60:61], s[48:49]
	v_mov_b32_e32 v0, 0
	v_mov_b32_e32 v1, v8
.LBB103_268:                            ; =>This Inner Loop Header: Depth=1
	s_load_dwordx8 s[16:23], s[58:59], 0x4
	s_load_dwordx4 s[0:3], s[58:59], 0x24
	s_load_dwordx8 s[8:15], s[60:61], 0x0
	s_add_u32 s58, s58, 48
	s_addc_u32 s59, s59, 0
	s_waitcnt vmcnt(0) lgkmcnt(0)
	v_mul_hi_u32 v3, s17, v1
	s_add_i32 s66, s66, 4
	s_add_u32 s60, s60, 32
	s_addc_u32 s61, s61, 0
	v_add_u32_e32 v3, v1, v3
	v_lshrrev_b32_e32 v3, s18, v3
	v_mul_lo_u32 v4, v3, s16
	v_mul_hi_u32 v5, s20, v3
	s_cmp_eq_u32 s64, s66
	v_sub_u32_e32 v1, v1, v4
	v_add_u32_e32 v4, v3, v5
	v_mul_lo_u32 v5, v1, s8
	v_mul_lo_u32 v6, v1, s9
	v_lshrrev_b32_e32 v1, s21, v4
	v_mul_lo_u32 v4, v1, s19
	v_mul_hi_u32 v7, s23, v1
	v_sub_u32_e32 v3, v3, v4
	v_add_u32_e32 v4, v1, v7
	v_lshrrev_b32_e32 v4, s0, v4
	v_mul_hi_u32 v9, s2, v4
	v_mul_lo_u32 v10, v4, s22
	v_mul_lo_u32 v7, v3, s10
	;; [unrolled: 1-line block ×3, first 2 shown]
	v_sub_u32_e32 v10, v1, v10
	v_add_u32_e32 v1, v4, v9
	v_lshrrev_b32_e32 v1, s3, v1
	v_mul_lo_u32 v9, v1, s1
	v_mul_lo_u32 v11, v10, s12
	;; [unrolled: 1-line block ×3, first 2 shown]
	v_add3_u32 v0, v5, v0, v7
	v_sub_u32_e32 v4, v4, v9
	v_mul_lo_u32 v9, v4, s14
	v_mul_lo_u32 v4, v4, s15
	v_add3_u32 v2, v6, v2, v3
	v_add3_u32 v0, v11, v0, v9
	;; [unrolled: 1-line block ×3, first 2 shown]
	s_cbranch_scc0 .LBB103_268
	s_branch .LBB103_275
.LBB103_269:
	s_or_b64 exec, exec, s[56:57]
	s_mov_b64 s[2:3], 0
	s_and_saveexec_b64 s[8:9], s[54:55]
	s_cbranch_execnz .LBB103_902
.LBB103_270:
	s_or_b64 exec, exec, s[8:9]
	s_and_saveexec_b64 s[8:9], s[60:61]
	s_xor_b64 s[8:9], exec, s[8:9]
	s_cbranch_execz .LBB103_903
.LBB103_271:
	global_load_ubyte v3, v[1:2], off
	s_or_b64 s[0:1], s[0:1], exec
	s_waitcnt vmcnt(0)
	v_cmp_ne_u16_e32 vcc, 0, v3
	v_cndmask_b32_e64 v3, 0, 1, vcc
	s_or_b64 exec, exec, s[8:9]
	s_and_saveexec_b64 s[8:9], s[10:11]
	s_cbranch_execz .LBB103_949
	s_branch .LBB103_904
.LBB103_272:
                                        ; implicit-def: $vgpr0
                                        ; implicit-def: $vgpr2
	s_andn2_b64 vcc, exec, s[0:1]
	s_cbranch_vccz .LBB103_279
	s_branch .LBB103_281
.LBB103_273:
	v_mov_b32_e32 v0, 0
	v_mov_b32_e32 v2, 0
	s_branch .LBB103_278
.LBB103_274:
	s_mov_b32 s64, 0
	v_mov_b32_e32 v0, 0
	v_mov_b32_e32 v2, 0
	;; [unrolled: 1-line block ×3, first 2 shown]
.LBB103_275:
	s_and_b32 s8, s65, 3
	s_cmp_eq_u32 s8, 0
	s_cbranch_scc1 .LBB103_278
; %bb.276:
	s_lshl_b32 s0, s64, 3
	s_add_u32 s0, s34, s0
	s_addc_u32 s1, s35, 0
	s_add_u32 s0, s0, 0xc4
	s_addc_u32 s1, s1, 0
	s_mul_i32 s2, s64, 12
	s_add_u32 s2, s34, s2
	s_addc_u32 s3, s35, 0
.LBB103_277:                            ; =>This Inner Loop Header: Depth=1
	s_load_dwordx2 s[10:11], s[2:3], 0x4
	s_load_dword s9, s[2:3], 0xc
	s_load_dwordx2 s[12:13], s[0:1], 0x0
	s_add_u32 s2, s2, 12
	s_addc_u32 s3, s3, 0
	s_waitcnt vmcnt(0) lgkmcnt(0)
	v_mul_hi_u32 v3, s11, v1
	s_add_u32 s0, s0, 8
	s_addc_u32 s1, s1, 0
	s_add_i32 s8, s8, -1
	v_add_u32_e32 v3, v1, v3
	v_lshrrev_b32_e32 v4, s9, v3
	v_mul_lo_u32 v3, v4, s10
	s_cmp_lg_u32 s8, 0
	v_sub_u32_e32 v3, v1, v3
	v_mad_u64_u32 v[0:1], s[10:11], v3, s12, v[0:1]
	v_mad_u64_u32 v[2:3], s[10:11], v3, s13, v[2:3]
	v_mov_b32_e32 v1, v4
	s_cbranch_scc1 .LBB103_277
.LBB103_278:
	s_cbranch_execnz .LBB103_281
.LBB103_279:
	v_mul_hi_u32 v0, s29, v8
	s_andn2_b64 vcc, exec, s[46:47]
	v_add_u32_e32 v0, v8, v0
	v_lshrrev_b32_e32 v1, s30, v0
	v_mul_lo_u32 v0, v1, s28
	v_sub_u32_e32 v2, v8, v0
	v_mul_lo_u32 v0, v2, s36
	v_mul_lo_u32 v2, v2, s37
	s_cbranch_vccnz .LBB103_281
; %bb.280:
	s_waitcnt vmcnt(0)
	v_mul_hi_u32 v3, s44, v1
	v_add_u32_e32 v3, v1, v3
	v_lshrrev_b32_e32 v3, s45, v3
	v_mul_lo_u32 v3, v3, s31
	v_sub_u32_e32 v3, v1, v3
	v_mad_u64_u32 v[0:1], s[0:1], v3, s38, v[0:1]
	v_mad_u64_u32 v[2:3], s[0:1], v3, s39, v[2:3]
.LBB103_281:
	s_waitcnt vmcnt(0)
	v_mov_b32_e32 v3, s27
	s_and_b32 s10, 0xffff, s75
	v_add_co_u32_e32 v1, vcc, s26, v2
	s_cmp_lt_i32 s10, 11
	v_addc_co_u32_e32 v2, vcc, 0, v3, vcc
	s_cbranch_scc1 .LBB103_288
; %bb.282:
	s_cmp_gt_i32 s10, 25
	s_cbranch_scc0 .LBB103_297
; %bb.283:
	s_cmp_gt_i32 s10, 28
	s_cbranch_scc0 .LBB103_299
	;; [unrolled: 3-line block ×4, first 2 shown]
; %bb.286:
	s_cmp_eq_u32 s10, 46
	s_mov_b64 s[8:9], 0
	s_cbranch_scc0 .LBB103_309
; %bb.287:
	global_load_dword v3, v[1:2], off
	s_mov_b64 s[0:1], -1
	s_mov_b64 s[2:3], 0
	s_waitcnt vmcnt(0)
	v_lshlrev_b32_e32 v3, 16, v3
	v_cvt_i32_f32_e32 v3, v3
	s_branch .LBB103_310
.LBB103_288:
	s_mov_b64 s[0:1], 0
                                        ; implicit-def: $vgpr3
	s_mov_b64 s[2:3], s[54:55]
	s_cbranch_execnz .LBB103_483
.LBB103_289:
	s_andn2_b64 vcc, exec, s[0:1]
	s_cbranch_vccnz .LBB103_531
.LBB103_290:
	s_waitcnt vmcnt(0)
	v_lshlrev_b32_sdwa v1, v3, s74 dst_sel:DWORD dst_unused:UNUSED_PAD src0_sel:WORD_0 src1_sel:DWORD
	v_cmp_gt_u16_e32 vcc, 16, v3
	v_cndmask_b32_e32 v4, 0, v1, vcc
	v_mov_b32_e32 v1, s25
	s_and_b32 s14, s73, 0xff
	v_add_co_u32_e32 v0, vcc, s24, v0
	s_cmp_lt_i32 s14, 11
	v_addc_co_u32_e32 v1, vcc, 0, v1, vcc
	s_cbranch_scc1 .LBB103_298
; %bb.291:
	s_and_b32 s15, 0xffff, s14
	s_cmp_gt_i32 s15, 25
	s_cbranch_scc0 .LBB103_300
; %bb.292:
	s_cmp_gt_i32 s15, 28
	s_cbranch_scc0 .LBB103_302
; %bb.293:
	;; [unrolled: 3-line block ×4, first 2 shown]
	s_mov_b64 s[10:11], 0
	s_mov_b64 s[0:1], -1
	s_cmp_eq_u32 s15, 46
	s_mov_b64 s[8:9], 0
	s_cbranch_scc0 .LBB103_314
; %bb.296:
	v_cvt_f32_i32_sdwa v2, sext(v4) dst_sel:DWORD dst_unused:UNUSED_PAD src0_sel:WORD_0
	s_movk_i32 s0, 0x7fff
	s_mov_b64 s[8:9], -1
	v_bfe_u32 v3, v2, 16, 1
	v_add3_u32 v2, v2, v3, s0
	v_lshrrev_b32_e32 v2, 16, v2
	global_store_dword v[0:1], v2, off
	s_mov_b64 s[0:1], 0
	s_branch .LBB103_314
.LBB103_297:
	s_mov_b64 s[8:9], -1
	s_mov_b64 s[0:1], 0
	s_mov_b64 s[2:3], s[54:55]
                                        ; implicit-def: $vgpr3
	s_branch .LBB103_449
.LBB103_298:
	s_mov_b64 s[10:11], -1
	s_mov_b64 s[8:9], 0
	s_mov_b64 s[0:1], s[52:53]
	s_branch .LBB103_383
.LBB103_299:
	s_mov_b64 s[8:9], -1
	s_mov_b64 s[0:1], 0
	s_mov_b64 s[2:3], s[54:55]
                                        ; implicit-def: $vgpr3
	s_branch .LBB103_432
.LBB103_300:
	s_mov_b64 s[10:11], -1
	s_mov_b64 s[8:9], 0
	s_mov_b64 s[0:1], s[52:53]
	s_branch .LBB103_341
.LBB103_301:
	s_mov_b64 s[8:9], -1
	s_mov_b64 s[0:1], 0
	s_mov_b64 s[2:3], s[54:55]
                                        ; implicit-def: $vgpr3
	s_branch .LBB103_427
.LBB103_302:
	s_mov_b64 s[10:11], -1
	s_mov_b64 s[8:9], 0
	s_mov_b64 s[0:1], s[52:53]
	s_branch .LBB103_324
.LBB103_303:
	s_andn2_saveexec_b64 s[12:13], s[12:13]
	s_cbranch_execz .LBB103_68
.LBB103_304:
	s_mov_b32 s16, 0x46000000
	v_add_f32_e64 v3, |v2|, s16
	v_and_b32_e32 v3, 0xff, v3
	v_cmp_ne_u32_e32 vcc, 0, v3
	s_andn2_b64 s[10:11], s[10:11], exec
	s_and_b64 s[16:17], vcc, exec
	s_or_b64 s[10:11], s[10:11], s[16:17]
	s_or_b64 exec, exec, s[12:13]
	v_mov_b32_e32 v5, 0
	s_and_saveexec_b64 s[12:13], s[10:11]
	s_cbranch_execnz .LBB103_69
	s_branch .LBB103_70
.LBB103_305:
	s_mov_b64 s[8:9], -1
	s_mov_b64 s[0:1], 0
	s_mov_b64 s[2:3], s[54:55]
                                        ; implicit-def: $vgpr3
	s_branch .LBB103_310
.LBB103_306:
	s_mov_b64 s[10:11], -1
	s_mov_b64 s[8:9], 0
	s_mov_b64 s[0:1], s[52:53]
	s_branch .LBB103_320
.LBB103_307:
	s_andn2_saveexec_b64 s[12:13], s[12:13]
	s_cbranch_execz .LBB103_81
.LBB103_308:
	s_mov_b32 s16, 0x42800000
	v_add_f32_e64 v3, |v2|, s16
	v_and_b32_e32 v3, 0xff, v3
	v_cmp_ne_u32_e32 vcc, 0, v3
	s_andn2_b64 s[10:11], s[10:11], exec
	s_and_b64 s[16:17], vcc, exec
	s_or_b64 s[10:11], s[10:11], s[16:17]
	s_or_b64 exec, exec, s[12:13]
	v_mov_b32_e32 v5, 0
	s_and_saveexec_b64 s[12:13], s[10:11]
	s_cbranch_execnz .LBB103_82
	s_branch .LBB103_83
.LBB103_309:
	s_mov_b64 s[2:3], -1
                                        ; implicit-def: $vgpr3
	s_mov_b64 s[0:1], 0
.LBB103_310:
	s_and_b64 vcc, exec, s[8:9]
	s_cbranch_vccz .LBB103_426
; %bb.311:
	s_cmp_eq_u32 s10, 44
	s_cbranch_scc0 .LBB103_425
; %bb.312:
	global_load_ubyte v3, v[1:2], off
	s_mov_b64 s[0:1], -1
	s_mov_b64 s[2:3], 0
	s_waitcnt vmcnt(0)
	v_lshlrev_b32_e32 v4, 23, v3
	v_cvt_i32_f32_e32 v4, v4
	v_cmp_ne_u32_e32 vcc, 0, v3
	v_cndmask_b32_e32 v3, 0, v4, vcc
	s_branch .LBB103_426
.LBB103_313:
	s_mov_b64 s[10:11], -1
	s_mov_b64 s[8:9], 0
	s_mov_b64 s[0:1], s[52:53]
.LBB103_314:
	s_and_b64 vcc, exec, s[10:11]
	s_cbranch_vccz .LBB103_319
; %bb.315:
	s_cmp_eq_u32 s15, 44
	s_mov_b64 s[0:1], -1
	s_cbranch_scc0 .LBB103_319
; %bb.316:
	v_cvt_f32_i32_sdwa v2, sext(v4) dst_sel:DWORD dst_unused:UNUSED_PAD src0_sel:WORD_0
	s_movk_i32 s0, 0xff
	v_mov_b32_e32 v5, 0xff
	v_bfe_u32 v3, v2, 23, 8
	v_cmp_ne_u32_e32 vcc, s0, v3
	s_and_saveexec_b64 s[8:9], vcc
; %bb.317:
	s_mov_b32 s0, 0x3fffff
	v_lshrrev_b32_e32 v5, 23, v2
	v_and_b32_e32 v6, 0x400000, v2
	v_and_or_b32 v2, v2, s0, v3
	v_cmp_ne_u32_e32 vcc, 0, v6
	v_cmp_ne_u32_e64 s[0:1], 0, v2
	s_and_b64 s[0:1], vcc, s[0:1]
	v_cndmask_b32_e64 v2, 0, 1, s[0:1]
	v_add_u32_e32 v5, v5, v2
; %bb.318:
	s_or_b64 exec, exec, s[8:9]
	s_mov_b64 s[8:9], -1
	s_mov_b64 s[0:1], 0
	global_store_byte v[0:1], v5, off
.LBB103_319:
	s_mov_b64 s[10:11], 0
.LBB103_320:
	s_and_b64 vcc, exec, s[10:11]
	s_cbranch_vccz .LBB103_323
; %bb.321:
	s_cmp_eq_u32 s15, 29
	s_mov_b64 s[0:1], -1
	s_cbranch_scc0 .LBB103_323
; %bb.322:
	v_bfe_i32 v2, v4, 0, 16
	v_ashrrev_i32_e32 v3, 31, v2
	global_store_dwordx2 v[0:1], v[2:3], off
	s_mov_b64 s[8:9], -1
	s_mov_b64 s[0:1], 0
.LBB103_323:
	s_mov_b64 s[10:11], 0
.LBB103_324:
	s_and_b64 vcc, exec, s[10:11]
	s_cbranch_vccz .LBB103_340
; %bb.325:
	s_cmp_lt_i32 s15, 27
	s_mov_b64 s[8:9], -1
	s_cbranch_scc1 .LBB103_331
; %bb.326:
	s_cmp_gt_i32 s15, 27
	s_cbranch_scc0 .LBB103_328
; %bb.327:
	v_bfe_i32 v2, v4, 0, 16
	s_mov_b64 s[8:9], 0
	global_store_dword v[0:1], v2, off
.LBB103_328:
	s_andn2_b64 vcc, exec, s[8:9]
	s_cbranch_vccnz .LBB103_330
; %bb.329:
	global_store_short v[0:1], v4, off
.LBB103_330:
	s_mov_b64 s[8:9], 0
.LBB103_331:
	s_andn2_b64 vcc, exec, s[8:9]
	s_cbranch_vccnz .LBB103_339
; %bb.332:
	v_cvt_f32_i32_sdwa v2, sext(v4) dst_sel:DWORD dst_unused:UNUSED_PAD src0_sel:WORD_0
	s_mov_b32 s8, 0x43800000
	v_mov_b32_e32 v5, 0x80
	v_and_b32_e32 v3, 0x7fffffff, v2
	v_cmp_gt_u32_e32 vcc, s8, v3
	s_and_saveexec_b64 s[8:9], vcc
	s_cbranch_execz .LBB103_338
; %bb.333:
	s_mov_b32 s10, 0x3bffffff
	v_cmp_lt_u32_e32 vcc, s10, v3
	s_mov_b64 s[10:11], 0
                                        ; implicit-def: $vgpr3
	s_and_saveexec_b64 s[12:13], vcc
	s_xor_b64 s[12:13], exec, s[12:13]
	s_cbranch_execz .LBB103_562
; %bb.334:
	v_bfe_u32 v3, v2, 20, 1
	s_mov_b32 s16, 0x487ffff
	v_add3_u32 v3, v2, v3, s16
	s_mov_b64 s[10:11], exec
	v_lshrrev_b32_e32 v3, 20, v3
	s_andn2_saveexec_b64 s[12:13], s[12:13]
	s_cbranch_execnz .LBB103_563
.LBB103_335:
	s_or_b64 exec, exec, s[12:13]
	v_mov_b32_e32 v5, 0
	s_and_saveexec_b64 s[12:13], s[10:11]
.LBB103_336:
	v_lshrrev_b32_e32 v2, 24, v2
	s_movk_i32 s10, 0x80
	v_and_or_b32 v5, v2, s10, v3
.LBB103_337:
	s_or_b64 exec, exec, s[12:13]
.LBB103_338:
	s_or_b64 exec, exec, s[8:9]
	global_store_byte v[0:1], v5, off
.LBB103_339:
	s_mov_b64 s[8:9], -1
.LBB103_340:
	s_mov_b64 s[10:11], 0
.LBB103_341:
	s_and_b64 vcc, exec, s[10:11]
	s_cbranch_vccz .LBB103_382
; %bb.342:
	s_cmp_gt_i32 s15, 22
	s_mov_b64 s[10:11], -1
	s_cbranch_scc0 .LBB103_374
; %bb.343:
	s_cmp_lt_i32 s15, 24
	s_mov_b64 s[8:9], -1
	s_cbranch_scc1 .LBB103_363
; %bb.344:
	s_cmp_gt_i32 s15, 24
	s_cbranch_scc0 .LBB103_352
; %bb.345:
	v_cvt_f32_i32_sdwa v2, sext(v4) dst_sel:DWORD dst_unused:UNUSED_PAD src0_sel:WORD_0
	s_mov_b32 s8, 0x47800000
	v_mov_b32_e32 v5, 0x80
	v_and_b32_e32 v3, 0x7fffffff, v2
	v_cmp_gt_u32_e32 vcc, s8, v3
	s_and_saveexec_b64 s[8:9], vcc
	s_cbranch_execz .LBB103_351
; %bb.346:
	s_mov_b32 s10, 0x37ffffff
	v_cmp_lt_u32_e32 vcc, s10, v3
	s_mov_b64 s[10:11], 0
                                        ; implicit-def: $vgpr3
	s_and_saveexec_b64 s[12:13], vcc
	s_xor_b64 s[12:13], exec, s[12:13]
	s_cbranch_execz .LBB103_565
; %bb.347:
	v_bfe_u32 v3, v2, 21, 1
	s_mov_b32 s16, 0x88fffff
	v_add3_u32 v3, v2, v3, s16
	s_mov_b64 s[10:11], exec
	v_lshrrev_b32_e32 v3, 21, v3
	s_andn2_saveexec_b64 s[12:13], s[12:13]
	s_cbranch_execnz .LBB103_566
.LBB103_348:
	s_or_b64 exec, exec, s[12:13]
	v_mov_b32_e32 v5, 0
	s_and_saveexec_b64 s[12:13], s[10:11]
.LBB103_349:
	v_lshrrev_b32_e32 v2, 24, v2
	s_movk_i32 s10, 0x80
	v_and_or_b32 v5, v2, s10, v3
.LBB103_350:
	s_or_b64 exec, exec, s[12:13]
.LBB103_351:
	s_or_b64 exec, exec, s[8:9]
	s_mov_b64 s[8:9], 0
	global_store_byte v[0:1], v5, off
.LBB103_352:
	s_and_b64 vcc, exec, s[8:9]
	s_cbranch_vccz .LBB103_362
; %bb.353:
	v_cvt_f32_i32_sdwa v2, sext(v4) dst_sel:DWORD dst_unused:UNUSED_PAD src0_sel:WORD_0
	s_mov_b32 s8, 0x43f00000
                                        ; implicit-def: $vgpr3
	v_and_b32_e32 v5, 0x7fffffff, v2
	v_cmp_gt_u32_e32 vcc, s8, v5
	s_and_saveexec_b64 s[8:9], vcc
	s_xor_b64 s[8:9], exec, s[8:9]
	s_cbranch_execz .LBB103_359
; %bb.354:
	s_mov_b32 s10, 0x3c7fffff
	v_cmp_lt_u32_e32 vcc, s10, v5
                                        ; implicit-def: $vgpr3
	s_and_saveexec_b64 s[10:11], vcc
	s_xor_b64 s[10:11], exec, s[10:11]
; %bb.355:
	v_bfe_u32 v3, v2, 20, 1
	s_mov_b32 s12, 0x407ffff
	v_add3_u32 v3, v2, v3, s12
	v_lshrrev_b32_e32 v5, 20, v3
	v_and_b32_e32 v3, 0xff00000, v3
	s_mov_b32 s12, 0x7f00000
	v_mov_b32_e32 v6, 0x7e
	v_cmp_ne_u32_e32 vcc, s12, v3
	v_cndmask_b32_e32 v3, v6, v5, vcc
; %bb.356:
	s_andn2_saveexec_b64 s[10:11], s[10:11]
; %bb.357:
	s_mov_b32 s12, 0x46800000
	v_add_f32_e64 v3, |v2|, s12
; %bb.358:
	s_or_b64 exec, exec, s[10:11]
                                        ; implicit-def: $vgpr5
.LBB103_359:
	s_andn2_saveexec_b64 s[8:9], s[8:9]
; %bb.360:
	s_mov_b32 s10, 0x7f800000
	v_mov_b32_e32 v3, 0x7e
	v_mov_b32_e32 v6, 0x7f
	v_cmp_lt_u32_e32 vcc, s10, v5
	v_cndmask_b32_e32 v3, v3, v6, vcc
; %bb.361:
	s_or_b64 exec, exec, s[8:9]
	v_lshrrev_b32_e32 v2, 24, v2
	s_movk_i32 s8, 0x80
	v_and_or_b32 v2, v2, s8, v3
	global_store_byte v[0:1], v2, off
.LBB103_362:
	s_mov_b64 s[8:9], 0
.LBB103_363:
	s_andn2_b64 vcc, exec, s[8:9]
	s_cbranch_vccnz .LBB103_373
; %bb.364:
	v_cvt_f32_i32_sdwa v2, sext(v4) dst_sel:DWORD dst_unused:UNUSED_PAD src0_sel:WORD_0
	s_mov_b32 s8, 0x47800000
                                        ; implicit-def: $vgpr3
	v_and_b32_e32 v5, 0x7fffffff, v2
	v_cmp_gt_u32_e32 vcc, s8, v5
	s_and_saveexec_b64 s[8:9], vcc
	s_xor_b64 s[8:9], exec, s[8:9]
	s_cbranch_execz .LBB103_370
; %bb.365:
	s_mov_b32 s10, 0x387fffff
	v_cmp_lt_u32_e32 vcc, s10, v5
                                        ; implicit-def: $vgpr3
	s_and_saveexec_b64 s[10:11], vcc
	s_xor_b64 s[10:11], exec, s[10:11]
; %bb.366:
	v_bfe_u32 v3, v2, 21, 1
	s_mov_b32 s12, 0x80fffff
	v_add3_u32 v3, v2, v3, s12
	v_lshrrev_b32_e32 v3, 21, v3
; %bb.367:
	s_andn2_saveexec_b64 s[10:11], s[10:11]
; %bb.368:
	s_mov_b32 s12, 0x43000000
	v_add_f32_e64 v3, |v2|, s12
; %bb.369:
	s_or_b64 exec, exec, s[10:11]
                                        ; implicit-def: $vgpr5
.LBB103_370:
	s_andn2_saveexec_b64 s[8:9], s[8:9]
; %bb.371:
	s_mov_b32 s10, 0x7f800000
	v_mov_b32_e32 v3, 0x7c
	v_mov_b32_e32 v6, 0x7f
	v_cmp_lt_u32_e32 vcc, s10, v5
	v_cndmask_b32_e32 v3, v3, v6, vcc
; %bb.372:
	s_or_b64 exec, exec, s[8:9]
	v_lshrrev_b32_e32 v2, 24, v2
	s_movk_i32 s8, 0x80
	v_and_or_b32 v2, v2, s8, v3
	global_store_byte v[0:1], v2, off
.LBB103_373:
	s_mov_b64 s[10:11], 0
	s_mov_b64 s[8:9], -1
.LBB103_374:
	s_andn2_b64 vcc, exec, s[10:11]
	s_cbranch_vccnz .LBB103_382
; %bb.375:
	s_cmp_gt_i32 s15, 14
	s_mov_b64 s[10:11], -1
	s_cbranch_scc0 .LBB103_379
; %bb.376:
	s_cmp_eq_u32 s15, 15
	s_mov_b64 s[0:1], -1
	s_cbranch_scc0 .LBB103_378
; %bb.377:
	v_cvt_f32_i32_sdwa v2, sext(v4) dst_sel:DWORD dst_unused:UNUSED_PAD src0_sel:WORD_0
	s_movk_i32 s0, 0x7fff
	s_mov_b64 s[8:9], -1
	v_bfe_u32 v3, v2, 16, 1
	v_add3_u32 v2, v2, v3, s0
	global_store_short_d16_hi v[0:1], v2, off
	s_mov_b64 s[0:1], 0
.LBB103_378:
	s_mov_b64 s[10:11], 0
.LBB103_379:
	s_and_b64 vcc, exec, s[10:11]
	s_cbranch_vccz .LBB103_382
; %bb.380:
	s_cmp_eq_u32 s15, 11
	s_mov_b64 s[0:1], -1
	s_cbranch_scc0 .LBB103_382
; %bb.381:
	v_cmp_ne_u16_e32 vcc, 0, v4
	v_cndmask_b32_e64 v2, 0, 1, vcc
	s_mov_b64 s[8:9], -1
	s_mov_b64 s[0:1], 0
	global_store_byte v[0:1], v2, off
.LBB103_382:
	s_mov_b64 s[10:11], 0
.LBB103_383:
	s_and_b64 vcc, exec, s[10:11]
	s_cbranch_vccz .LBB103_422
; %bb.384:
	s_and_b32 s10, 0xffff, s14
	s_cmp_lt_i32 s10, 5
	s_mov_b64 s[8:9], -1
	s_cbranch_scc1 .LBB103_405
; %bb.385:
	s_cmp_lt_i32 s10, 8
	s_cbranch_scc1 .LBB103_395
; %bb.386:
	s_cmp_lt_i32 s10, 9
	s_cbranch_scc1 .LBB103_392
; %bb.387:
	s_cmp_gt_i32 s10, 9
	s_cbranch_scc0 .LBB103_389
; %bb.388:
	v_bfe_i32 v2, v4, 0, 16
	v_cvt_f64_i32_e32 v[9:10], v2
	v_mov_b32_e32 v11, 0
	v_mov_b32_e32 v12, v11
	s_mov_b64 s[8:9], 0
	global_store_dwordx4 v[0:1], v[9:12], off
.LBB103_389:
	s_andn2_b64 vcc, exec, s[8:9]
	s_cbranch_vccnz .LBB103_391
; %bb.390:
	v_cvt_f32_i32_sdwa v2, sext(v4) dst_sel:DWORD dst_unused:UNUSED_PAD src0_sel:WORD_0
	v_mov_b32_e32 v3, 0
	global_store_dwordx2 v[0:1], v[2:3], off
.LBB103_391:
	s_mov_b64 s[8:9], 0
.LBB103_392:
	s_andn2_b64 vcc, exec, s[8:9]
	s_cbranch_vccnz .LBB103_394
; %bb.393:
	v_cvt_f16_i16_e32 v2, v4
	global_store_dword v[0:1], v2, off
.LBB103_394:
	s_mov_b64 s[8:9], 0
.LBB103_395:
	s_andn2_b64 vcc, exec, s[8:9]
	s_cbranch_vccnz .LBB103_404
; %bb.396:
	s_cmp_lt_i32 s10, 6
	s_mov_b64 s[8:9], -1
	s_cbranch_scc1 .LBB103_402
; %bb.397:
	s_cmp_gt_i32 s10, 6
	s_cbranch_scc0 .LBB103_399
; %bb.398:
	v_bfe_i32 v2, v4, 0, 16
	v_cvt_f64_i32_e32 v[2:3], v2
	s_mov_b64 s[8:9], 0
	global_store_dwordx2 v[0:1], v[2:3], off
.LBB103_399:
	s_andn2_b64 vcc, exec, s[8:9]
	s_cbranch_vccnz .LBB103_401
; %bb.400:
	v_cvt_f32_i32_sdwa v2, sext(v4) dst_sel:DWORD dst_unused:UNUSED_PAD src0_sel:WORD_0
	global_store_dword v[0:1], v2, off
.LBB103_401:
	s_mov_b64 s[8:9], 0
.LBB103_402:
	s_andn2_b64 vcc, exec, s[8:9]
	s_cbranch_vccnz .LBB103_404
; %bb.403:
	v_cvt_f16_i16_e32 v2, v4
	global_store_short v[0:1], v2, off
.LBB103_404:
	s_mov_b64 s[8:9], 0
.LBB103_405:
	s_andn2_b64 vcc, exec, s[8:9]
	s_cbranch_vccnz .LBB103_421
; %bb.406:
	s_cmp_lt_i32 s10, 2
	s_mov_b64 s[8:9], -1
	s_cbranch_scc1 .LBB103_416
; %bb.407:
	s_cmp_lt_i32 s10, 3
	s_cbranch_scc1 .LBB103_413
; %bb.408:
	s_cmp_gt_i32 s10, 3
	v_bfe_i32 v2, v4, 0, 16
	s_cbranch_scc0 .LBB103_410
; %bb.409:
	v_ashrrev_i32_e32 v3, 31, v2
	s_mov_b64 s[8:9], 0
	global_store_dwordx2 v[0:1], v[2:3], off
.LBB103_410:
	s_andn2_b64 vcc, exec, s[8:9]
	s_cbranch_vccnz .LBB103_412
; %bb.411:
	global_store_dword v[0:1], v2, off
.LBB103_412:
	s_mov_b64 s[8:9], 0
.LBB103_413:
	s_andn2_b64 vcc, exec, s[8:9]
	s_cbranch_vccnz .LBB103_415
; %bb.414:
	global_store_short v[0:1], v4, off
.LBB103_415:
	s_mov_b64 s[8:9], 0
.LBB103_416:
	s_andn2_b64 vcc, exec, s[8:9]
	s_cbranch_vccnz .LBB103_421
; %bb.417:
	s_cmp_gt_i32 s10, 0
	s_mov_b64 s[8:9], -1
	s_cbranch_scc0 .LBB103_419
; %bb.418:
	s_mov_b64 s[8:9], 0
	global_store_byte v[0:1], v4, off
.LBB103_419:
	s_andn2_b64 vcc, exec, s[8:9]
	s_cbranch_vccnz .LBB103_421
; %bb.420:
	global_store_byte v[0:1], v4, off
.LBB103_421:
	s_mov_b64 s[8:9], -1
.LBB103_422:
	s_andn2_b64 vcc, exec, s[8:9]
	s_cbranch_vccnz .LBB103_424
; %bb.423:
	v_add_u32_e32 v8, 0x80, v8
	s_mov_b64 s[8:9], -1
	s_branch .LBB103_533
.LBB103_424:
	s_mov_b64 s[8:9], 0
	s_branch .LBB103_532
.LBB103_425:
	s_mov_b64 s[2:3], -1
                                        ; implicit-def: $vgpr3
.LBB103_426:
	s_mov_b64 s[8:9], 0
.LBB103_427:
	s_and_b64 vcc, exec, s[8:9]
	s_cbranch_vccz .LBB103_431
; %bb.428:
	s_cmp_eq_u32 s10, 29
	s_cbranch_scc0 .LBB103_430
; %bb.429:
	global_load_dwordx2 v[3:4], v[1:2], off
	s_mov_b64 s[0:1], -1
	s_mov_b64 s[2:3], 0
	s_branch .LBB103_431
.LBB103_430:
	s_mov_b64 s[2:3], -1
                                        ; implicit-def: $vgpr3
.LBB103_431:
	s_mov_b64 s[8:9], 0
.LBB103_432:
	s_and_b64 vcc, exec, s[8:9]
	s_cbranch_vccz .LBB103_448
; %bb.433:
	s_cmp_lt_i32 s10, 27
	s_cbranch_scc1 .LBB103_436
; %bb.434:
	s_cmp_gt_i32 s10, 27
	s_cbranch_scc0 .LBB103_437
; %bb.435:
	global_load_dword v3, v[1:2], off
	s_mov_b64 s[0:1], 0
	s_branch .LBB103_438
.LBB103_436:
	s_mov_b64 s[0:1], -1
                                        ; implicit-def: $vgpr3
	s_branch .LBB103_441
.LBB103_437:
	s_mov_b64 s[0:1], -1
                                        ; implicit-def: $vgpr3
.LBB103_438:
	s_andn2_b64 vcc, exec, s[0:1]
	s_cbranch_vccnz .LBB103_440
; %bb.439:
	global_load_ushort v3, v[1:2], off
.LBB103_440:
	s_mov_b64 s[0:1], 0
.LBB103_441:
	s_andn2_b64 vcc, exec, s[0:1]
	s_cbranch_vccnz .LBB103_447
; %bb.442:
	global_load_ubyte v4, v[1:2], off
	s_movk_i32 s0, 0x7f
	s_mov_b64 s[8:9], 0
	s_waitcnt vmcnt(0)
	v_cmp_lt_i16_e32 vcc, s0, v4
	s_and_saveexec_b64 s[0:1], vcc
	s_xor_b64 s[0:1], exec, s[0:1]
	s_cbranch_execz .LBB103_459
; %bb.443:
	s_movk_i32 s8, 0x80
	v_cmp_ne_u16_e32 vcc, s8, v4
	s_and_b64 s[8:9], vcc, exec
	s_andn2_saveexec_b64 s[0:1], s[0:1]
	s_cbranch_execnz .LBB103_460
.LBB103_444:
	s_or_b64 exec, exec, s[0:1]
	v_mov_b32_e32 v3, 0
	s_and_saveexec_b64 s[0:1], s[8:9]
	s_cbranch_execz .LBB103_446
.LBB103_445:
	v_lshlrev_b32_e32 v3, 24, v4
	v_and_b32_e32 v4, 0xffff, v4
	v_and_b32_e32 v5, 7, v4
	v_ffbh_u32_e32 v7, v5
	v_min_u32_e32 v7, 32, v7
	v_subrev_u32_e32 v9, 28, v7
	v_bfe_u32 v6, v4, 3, 4
	v_lshlrev_b32_e32 v4, v9, v4
	v_sub_u32_e32 v7, 29, v7
	v_and_b32_e32 v4, 7, v4
	v_cmp_eq_u32_e32 vcc, 0, v6
	v_cndmask_b32_e32 v6, v6, v7, vcc
	v_cndmask_b32_e32 v4, v5, v4, vcc
	v_mov_b32_e32 v5, 0x3b800000
	v_lshlrev_b32_e32 v4, 20, v4
	v_and_b32_e32 v3, 0x80000000, v3
	v_lshl_add_u32 v5, v6, 23, v5
	v_or3_b32 v3, v3, v5, v4
	v_cvt_i32_f32_e32 v3, v3
.LBB103_446:
	s_or_b64 exec, exec, s[0:1]
.LBB103_447:
	s_mov_b64 s[0:1], -1
.LBB103_448:
	s_mov_b64 s[8:9], 0
.LBB103_449:
	s_and_b64 vcc, exec, s[8:9]
	s_cbranch_vccz .LBB103_482
; %bb.450:
	s_cmp_gt_i32 s10, 22
	s_cbranch_scc0 .LBB103_458
; %bb.451:
	s_cmp_lt_i32 s10, 24
	s_cbranch_scc1 .LBB103_461
; %bb.452:
	s_cmp_gt_i32 s10, 24
	s_cbranch_scc0 .LBB103_462
; %bb.453:
	global_load_ubyte v4, v[1:2], off
	s_movk_i32 s0, 0x7f
	s_mov_b64 s[8:9], 0
	s_waitcnt vmcnt(0)
	v_cmp_lt_i16_e32 vcc, s0, v4
	s_and_saveexec_b64 s[0:1], vcc
	s_xor_b64 s[0:1], exec, s[0:1]
	s_cbranch_execz .LBB103_474
; %bb.454:
	s_movk_i32 s8, 0x80
	v_cmp_ne_u16_e32 vcc, s8, v4
	s_and_b64 s[8:9], vcc, exec
	s_andn2_saveexec_b64 s[0:1], s[0:1]
	s_cbranch_execnz .LBB103_475
.LBB103_455:
	s_or_b64 exec, exec, s[0:1]
	v_mov_b32_e32 v3, 0
	s_and_saveexec_b64 s[0:1], s[8:9]
	s_cbranch_execz .LBB103_457
.LBB103_456:
	v_lshlrev_b32_e32 v3, 24, v4
	v_and_b32_e32 v4, 0xffff, v4
	v_and_b32_e32 v5, 3, v4
	v_ffbh_u32_e32 v7, v5
	v_min_u32_e32 v7, 32, v7
	v_subrev_u32_e32 v9, 29, v7
	v_bfe_u32 v6, v4, 2, 5
	v_lshlrev_b32_e32 v4, v9, v4
	v_sub_u32_e32 v7, 30, v7
	v_and_b32_e32 v4, 3, v4
	v_cmp_eq_u32_e32 vcc, 0, v6
	v_cndmask_b32_e32 v6, v6, v7, vcc
	v_cndmask_b32_e32 v4, v5, v4, vcc
	v_mov_b32_e32 v5, 0x37800000
	v_lshlrev_b32_e32 v4, 21, v4
	v_and_b32_e32 v3, 0x80000000, v3
	v_lshl_add_u32 v5, v6, 23, v5
	v_or3_b32 v3, v3, v5, v4
	v_cvt_i32_f32_e32 v3, v3
.LBB103_457:
	s_or_b64 exec, exec, s[0:1]
	s_mov_b64 s[0:1], 0
	s_branch .LBB103_463
.LBB103_458:
	s_mov_b64 s[8:9], -1
                                        ; implicit-def: $vgpr3
	s_branch .LBB103_469
.LBB103_459:
	s_andn2_saveexec_b64 s[0:1], s[0:1]
	s_cbranch_execz .LBB103_444
.LBB103_460:
	v_cmp_ne_u16_e32 vcc, 0, v4
	s_andn2_b64 s[8:9], s[8:9], exec
	s_and_b64 s[12:13], vcc, exec
	s_or_b64 s[8:9], s[8:9], s[12:13]
	s_or_b64 exec, exec, s[0:1]
	v_mov_b32_e32 v3, 0
	s_and_saveexec_b64 s[0:1], s[8:9]
	s_cbranch_execnz .LBB103_445
	s_branch .LBB103_446
.LBB103_461:
	s_mov_b64 s[0:1], -1
                                        ; implicit-def: $vgpr3
	s_branch .LBB103_466
.LBB103_462:
	s_mov_b64 s[0:1], -1
                                        ; implicit-def: $vgpr3
.LBB103_463:
	s_and_b64 vcc, exec, s[0:1]
	s_cbranch_vccz .LBB103_465
; %bb.464:
	global_load_ubyte v3, v[1:2], off
	s_mov_b32 s0, 0x7f800000
	s_waitcnt vmcnt(0)
	v_lshlrev_b32_e32 v3, 24, v3
	v_and_b32_e32 v4, 0x7f000000, v3
	v_ffbh_u32_e32 v5, v4
	v_min_u32_e32 v5, 32, v5
	v_sub_u32_e64 v5, v5, 4 clamp
	v_lshlrev_b32_e32 v7, v5, v4
	v_lshlrev_b32_e32 v5, 23, v5
	v_lshrrev_b32_e32 v7, 4, v7
	v_add_u32_e32 v6, 0x1000000, v4
	v_sub_u32_e32 v5, v7, v5
	v_ashrrev_i32_e32 v6, 8, v6
	v_add_u32_e32 v5, 0x3c000000, v5
	v_and_or_b32 v5, v6, s0, v5
	v_cmp_ne_u32_e32 vcc, 0, v4
	v_cndmask_b32_e32 v4, 0, v5, vcc
	s_brev_b32 s0, 1
	v_and_or_b32 v3, v3, s0, v4
	v_cvt_i32_f32_e32 v3, v3
.LBB103_465:
	s_mov_b64 s[0:1], 0
.LBB103_466:
	s_andn2_b64 vcc, exec, s[0:1]
	s_cbranch_vccnz .LBB103_468
; %bb.467:
	global_load_ubyte v3, v[1:2], off
	s_movk_i32 s0, 0x7f00
	s_brev_b32 s1, 16
	s_waitcnt vmcnt(0)
	v_lshlrev_b16_e32 v4, 8, v3
	v_lshlrev_b32_e32 v3, 25, v3
	v_lshrrev_b32_e32 v5, 4, v3
	v_and_or_b32 v6, v4, s0, 0.5
	v_or_b32_e32 v5, 0x70000000, v5
	v_add_f32_e32 v6, -0.5, v6
	v_mul_f32_e32 v5, 0x7800000, v5
	v_cmp_gt_u32_e32 vcc, s1, v3
	v_bfe_i32 v4, v4, 0, 16
	v_cndmask_b32_e32 v3, v5, v6, vcc
	s_brev_b32 s0, 1
	v_and_or_b32 v3, v4, s0, v3
	v_cvt_i32_f32_e32 v3, v3
.LBB103_468:
	s_mov_b64 s[8:9], 0
	s_mov_b64 s[0:1], -1
.LBB103_469:
	s_andn2_b64 vcc, exec, s[8:9]
	s_cbranch_vccnz .LBB103_482
; %bb.470:
	s_cmp_gt_i32 s10, 14
	s_cbranch_scc0 .LBB103_473
; %bb.471:
	s_cmp_eq_u32 s10, 15
	s_cbranch_scc0 .LBB103_476
; %bb.472:
	global_load_ushort v3, v[1:2], off
	s_mov_b64 s[0:1], -1
	s_mov_b64 s[2:3], 0
	s_waitcnt vmcnt(0)
	v_lshlrev_b32_e32 v3, 16, v3
	v_cvt_i32_f32_e32 v3, v3
	s_branch .LBB103_477
.LBB103_473:
	s_mov_b64 s[8:9], -1
                                        ; implicit-def: $vgpr3
	s_branch .LBB103_478
.LBB103_474:
	s_andn2_saveexec_b64 s[0:1], s[0:1]
	s_cbranch_execz .LBB103_455
.LBB103_475:
	v_cmp_ne_u16_e32 vcc, 0, v4
	s_andn2_b64 s[8:9], s[8:9], exec
	s_and_b64 s[12:13], vcc, exec
	s_or_b64 s[8:9], s[8:9], s[12:13]
	s_or_b64 exec, exec, s[0:1]
	v_mov_b32_e32 v3, 0
	s_and_saveexec_b64 s[0:1], s[8:9]
	s_cbranch_execnz .LBB103_456
	s_branch .LBB103_457
.LBB103_476:
	s_mov_b64 s[2:3], -1
                                        ; implicit-def: $vgpr3
.LBB103_477:
	s_mov_b64 s[8:9], 0
.LBB103_478:
	s_and_b64 vcc, exec, s[8:9]
	s_cbranch_vccz .LBB103_482
; %bb.479:
	s_cmp_eq_u32 s10, 11
	s_cbranch_scc0 .LBB103_481
; %bb.480:
	global_load_ubyte v3, v[1:2], off
	s_mov_b64 s[0:1], -1
	s_mov_b64 s[2:3], 0
	s_waitcnt vmcnt(0)
	v_cmp_ne_u16_e32 vcc, 0, v3
	v_cndmask_b32_e64 v3, 0, 1, vcc
	s_branch .LBB103_482
.LBB103_481:
	s_mov_b64 s[2:3], -1
                                        ; implicit-def: $vgpr3
.LBB103_482:
	s_branch .LBB103_289
.LBB103_483:
	s_cmp_lt_i32 s10, 5
	s_cbranch_scc1 .LBB103_488
; %bb.484:
	s_cmp_lt_i32 s10, 8
	s_cbranch_scc1 .LBB103_489
; %bb.485:
	;; [unrolled: 3-line block ×3, first 2 shown]
	s_cmp_gt_i32 s10, 9
	s_cbranch_scc0 .LBB103_491
; %bb.487:
	global_load_dwordx2 v[3:4], v[1:2], off
	s_mov_b64 s[0:1], 0
	s_waitcnt vmcnt(0)
	v_cvt_i32_f64_e32 v3, v[3:4]
	s_branch .LBB103_492
.LBB103_488:
	s_mov_b64 s[0:1], -1
                                        ; implicit-def: $vgpr3
	s_branch .LBB103_510
.LBB103_489:
	s_mov_b64 s[0:1], -1
                                        ; implicit-def: $vgpr3
	s_branch .LBB103_498
.LBB103_490:
	s_mov_b64 s[0:1], -1
                                        ; implicit-def: $vgpr3
	s_branch .LBB103_495
.LBB103_491:
	s_mov_b64 s[0:1], -1
                                        ; implicit-def: $vgpr3
.LBB103_492:
	s_andn2_b64 vcc, exec, s[0:1]
	s_cbranch_vccnz .LBB103_494
; %bb.493:
	global_load_dword v3, v[1:2], off
	s_waitcnt vmcnt(0)
	v_cvt_i32_f32_e32 v3, v3
.LBB103_494:
	s_mov_b64 s[0:1], 0
.LBB103_495:
	s_andn2_b64 vcc, exec, s[0:1]
	s_cbranch_vccnz .LBB103_497
; %bb.496:
	global_load_dword v3, v[1:2], off
	s_waitcnt vmcnt(0)
	v_cvt_i16_f16_e32 v3, v3
.LBB103_497:
	s_mov_b64 s[0:1], 0
.LBB103_498:
	s_andn2_b64 vcc, exec, s[0:1]
	s_cbranch_vccnz .LBB103_509
; %bb.499:
	s_cmp_lt_i32 s10, 6
	s_cbranch_scc1 .LBB103_502
; %bb.500:
	s_cmp_gt_i32 s10, 6
	s_cbranch_scc0 .LBB103_503
; %bb.501:
	global_load_dwordx2 v[3:4], v[1:2], off
	s_mov_b64 s[0:1], 0
	s_waitcnt vmcnt(0)
	v_cvt_i32_f64_e32 v3, v[3:4]
	s_branch .LBB103_504
.LBB103_502:
	s_mov_b64 s[0:1], -1
                                        ; implicit-def: $vgpr3
	s_branch .LBB103_507
.LBB103_503:
	s_mov_b64 s[0:1], -1
                                        ; implicit-def: $vgpr3
.LBB103_504:
	s_andn2_b64 vcc, exec, s[0:1]
	s_cbranch_vccnz .LBB103_506
; %bb.505:
	global_load_dword v3, v[1:2], off
	s_waitcnt vmcnt(0)
	v_cvt_i32_f32_e32 v3, v3
.LBB103_506:
	s_mov_b64 s[0:1], 0
.LBB103_507:
	s_andn2_b64 vcc, exec, s[0:1]
	s_cbranch_vccnz .LBB103_509
; %bb.508:
	global_load_ushort v3, v[1:2], off
	s_waitcnt vmcnt(0)
	v_cvt_i16_f16_e32 v3, v3
.LBB103_509:
	s_mov_b64 s[0:1], 0
.LBB103_510:
	s_andn2_b64 vcc, exec, s[0:1]
	s_cbranch_vccnz .LBB103_530
; %bb.511:
	s_cmp_lt_i32 s10, 2
	s_cbranch_scc1 .LBB103_515
; %bb.512:
	s_cmp_lt_i32 s10, 3
	s_cbranch_scc1 .LBB103_516
; %bb.513:
	s_cmp_gt_i32 s10, 3
	s_cbranch_scc0 .LBB103_517
; %bb.514:
	global_load_dwordx2 v[3:4], v[1:2], off
	s_mov_b64 s[0:1], 0
	s_branch .LBB103_518
.LBB103_515:
	s_mov_b64 s[0:1], -1
                                        ; implicit-def: $vgpr3
	s_branch .LBB103_524
.LBB103_516:
	s_mov_b64 s[0:1], -1
                                        ; implicit-def: $vgpr3
	s_branch .LBB103_521
.LBB103_517:
	s_mov_b64 s[0:1], -1
                                        ; implicit-def: $vgpr3
.LBB103_518:
	s_andn2_b64 vcc, exec, s[0:1]
	s_cbranch_vccnz .LBB103_520
; %bb.519:
	global_load_dword v3, v[1:2], off
.LBB103_520:
	s_mov_b64 s[0:1], 0
.LBB103_521:
	s_andn2_b64 vcc, exec, s[0:1]
	s_cbranch_vccnz .LBB103_523
; %bb.522:
	global_load_ushort v3, v[1:2], off
.LBB103_523:
	s_mov_b64 s[0:1], 0
.LBB103_524:
	s_andn2_b64 vcc, exec, s[0:1]
	s_cbranch_vccnz .LBB103_530
; %bb.525:
	s_cmp_gt_i32 s10, 0
	s_cbranch_scc0 .LBB103_527
; %bb.526:
	global_load_sbyte v3, v[1:2], off
	s_mov_b64 s[0:1], 0
	s_branch .LBB103_528
.LBB103_527:
	s_mov_b64 s[0:1], -1
                                        ; implicit-def: $vgpr3
.LBB103_528:
	s_andn2_b64 vcc, exec, s[0:1]
	s_cbranch_vccnz .LBB103_530
; %bb.529:
	global_load_ubyte v3, v[1:2], off
.LBB103_530:
	s_branch .LBB103_290
.LBB103_531:
	s_mov_b64 s[8:9], 0
	s_mov_b64 s[0:1], s[52:53]
.LBB103_532:
                                        ; implicit-def: $vgpr8
.LBB103_533:
	s_andn2_b64 s[10:11], s[52:53], exec
	s_and_b64 s[0:1], s[0:1], exec
	s_or_b64 s[60:61], s[10:11], s[0:1]
	s_andn2_b64 s[0:1], s[54:55], exec
	s_and_b64 s[2:3], s[2:3], exec
	s_or_b64 s[58:59], s[0:1], s[2:3]
	s_orn2_b64 s[0:1], s[8:9], exec
.LBB103_534:
	s_or_b64 exec, exec, s[62:63]
	s_mov_b64 s[2:3], 0
	s_mov_b64 s[8:9], 0
	;; [unrolled: 1-line block ×3, first 2 shown]
                                        ; implicit-def: $vgpr1_vgpr2
                                        ; implicit-def: $vgpr0
                                        ; implicit-def: $vgpr3
	s_and_saveexec_b64 s[62:63], s[0:1]
	s_cbranch_execz .LBB103_901
; %bb.535:
	v_cmp_gt_i32_e32 vcc, s70, v8
	s_mov_b64 s[2:3], -1
	s_mov_b64 s[66:67], s[58:59]
	s_mov_b64 s[68:69], s[60:61]
	s_and_saveexec_b64 s[64:65], vcc
	s_cbranch_execz .LBB103_805
; %bb.536:
	s_andn2_b64 vcc, exec, s[40:41]
	s_cbranch_vccnz .LBB103_541
; %bb.537:
	s_andn2_b64 vcc, exec, s[50:51]
	s_cbranch_vccnz .LBB103_542
; %bb.538:
	s_add_i32 s77, s76, 1
	s_cmp_eq_u32 s72, 2
	s_cbranch_scc1 .LBB103_543
; %bb.539:
	s_and_b32 s71, s77, 28
	v_mov_b32_e32 v2, 0
	s_mov_b32 s78, 0
	s_mov_b64 s[66:67], s[34:35]
	s_mov_b64 s[68:69], s[48:49]
	v_mov_b32_e32 v0, 0
	v_mov_b32_e32 v1, v8
.LBB103_540:                            ; =>This Inner Loop Header: Depth=1
	s_load_dwordx8 s[16:23], s[66:67], 0x4
	s_load_dwordx4 s[0:3], s[66:67], 0x24
	s_load_dwordx8 s[8:15], s[68:69], 0x0
	s_add_u32 s66, s66, 48
	s_addc_u32 s67, s67, 0
	s_waitcnt vmcnt(0) lgkmcnt(0)
	v_mul_hi_u32 v3, s17, v1
	s_add_i32 s78, s78, 4
	s_add_u32 s68, s68, 32
	s_addc_u32 s69, s69, 0
	v_add_u32_e32 v3, v1, v3
	v_lshrrev_b32_e32 v3, s18, v3
	v_mul_lo_u32 v4, v3, s16
	v_mul_hi_u32 v5, s20, v3
	s_cmp_eq_u32 s71, s78
	v_sub_u32_e32 v1, v1, v4
	v_add_u32_e32 v4, v3, v5
	v_mul_lo_u32 v5, v1, s8
	v_mul_lo_u32 v6, v1, s9
	v_lshrrev_b32_e32 v1, s21, v4
	v_mul_lo_u32 v4, v1, s19
	v_mul_hi_u32 v7, s23, v1
	v_sub_u32_e32 v3, v3, v4
	v_add_u32_e32 v4, v1, v7
	v_lshrrev_b32_e32 v4, s0, v4
	v_mul_hi_u32 v9, s2, v4
	v_mul_lo_u32 v10, v4, s22
	v_mul_lo_u32 v7, v3, s10
	;; [unrolled: 1-line block ×3, first 2 shown]
	v_sub_u32_e32 v10, v1, v10
	v_add_u32_e32 v1, v4, v9
	v_lshrrev_b32_e32 v1, s3, v1
	v_mul_lo_u32 v9, v1, s1
	v_mul_lo_u32 v11, v10, s12
	v_mul_lo_u32 v10, v10, s13
	v_add3_u32 v0, v5, v0, v7
	v_sub_u32_e32 v4, v4, v9
	v_mul_lo_u32 v9, v4, s14
	v_mul_lo_u32 v4, v4, s15
	v_add3_u32 v2, v6, v2, v3
	v_add3_u32 v0, v11, v0, v9
	;; [unrolled: 1-line block ×3, first 2 shown]
	s_cbranch_scc0 .LBB103_540
	s_branch .LBB103_544
.LBB103_541:
	s_mov_b64 s[0:1], -1
                                        ; implicit-def: $vgpr0
                                        ; implicit-def: $vgpr2
	s_branch .LBB103_548
.LBB103_542:
	v_mov_b32_e32 v0, 0
	v_mov_b32_e32 v2, 0
	s_branch .LBB103_547
.LBB103_543:
	s_mov_b32 s71, 0
	v_mov_b32_e32 v0, 0
	v_mov_b32_e32 v2, 0
	;; [unrolled: 1-line block ×3, first 2 shown]
.LBB103_544:
	s_and_b32 s8, s77, 3
	s_cmp_eq_u32 s8, 0
	s_cbranch_scc1 .LBB103_547
; %bb.545:
	s_lshl_b32 s0, s71, 3
	s_add_u32 s0, s34, s0
	s_addc_u32 s1, s35, 0
	s_add_u32 s0, s0, 0xc4
	s_addc_u32 s1, s1, 0
	s_mul_i32 s2, s71, 12
	s_add_u32 s2, s34, s2
	s_addc_u32 s3, s35, 0
.LBB103_546:                            ; =>This Inner Loop Header: Depth=1
	s_load_dwordx2 s[10:11], s[2:3], 0x4
	s_load_dword s9, s[2:3], 0xc
	s_load_dwordx2 s[12:13], s[0:1], 0x0
	s_add_u32 s2, s2, 12
	s_addc_u32 s3, s3, 0
	s_waitcnt vmcnt(0) lgkmcnt(0)
	v_mul_hi_u32 v3, s11, v1
	s_add_u32 s0, s0, 8
	s_addc_u32 s1, s1, 0
	s_add_i32 s8, s8, -1
	v_add_u32_e32 v3, v1, v3
	v_lshrrev_b32_e32 v4, s9, v3
	v_mul_lo_u32 v3, v4, s10
	s_cmp_lg_u32 s8, 0
	v_sub_u32_e32 v3, v1, v3
	v_mad_u64_u32 v[0:1], s[10:11], v3, s12, v[0:1]
	v_mad_u64_u32 v[2:3], s[10:11], v3, s13, v[2:3]
	v_mov_b32_e32 v1, v4
	s_cbranch_scc1 .LBB103_546
.LBB103_547:
	s_mov_b64 s[0:1], 0
.LBB103_548:
	s_andn2_b64 vcc, exec, s[0:1]
	s_cbranch_vccnz .LBB103_551
; %bb.549:
	v_mul_hi_u32 v0, s29, v8
	s_andn2_b64 vcc, exec, s[46:47]
	v_add_u32_e32 v0, v8, v0
	v_lshrrev_b32_e32 v1, s30, v0
	v_mul_lo_u32 v0, v1, s28
	v_sub_u32_e32 v2, v8, v0
	v_mul_lo_u32 v0, v2, s36
	v_mul_lo_u32 v2, v2, s37
	s_cbranch_vccnz .LBB103_551
; %bb.550:
	s_waitcnt vmcnt(0)
	v_mul_hi_u32 v3, s44, v1
	v_add_u32_e32 v3, v1, v3
	v_lshrrev_b32_e32 v3, s45, v3
	v_mul_lo_u32 v3, v3, s31
	v_sub_u32_e32 v3, v1, v3
	v_mad_u64_u32 v[0:1], s[0:1], v3, s38, v[0:1]
	v_mad_u64_u32 v[2:3], s[0:1], v3, s39, v[2:3]
.LBB103_551:
	s_waitcnt vmcnt(0)
	v_mov_b32_e32 v3, s27
	s_and_b32 s10, 0xffff, s75
	v_add_co_u32_e32 v1, vcc, s26, v2
	s_cmp_lt_i32 s10, 11
	v_addc_co_u32_e32 v2, vcc, 0, v3, vcc
	s_cbranch_scc1 .LBB103_558
; %bb.552:
	s_cmp_gt_i32 s10, 25
	s_cbranch_scc0 .LBB103_559
; %bb.553:
	s_cmp_gt_i32 s10, 28
	s_cbranch_scc0 .LBB103_560
	;; [unrolled: 3-line block ×4, first 2 shown]
; %bb.556:
	s_cmp_eq_u32 s10, 46
	s_mov_b64 s[8:9], 0
	s_cbranch_scc0 .LBB103_567
; %bb.557:
	global_load_dword v3, v[1:2], off
	s_mov_b64 s[0:1], -1
	s_mov_b64 s[2:3], 0
	s_waitcnt vmcnt(0)
	v_lshlrev_b32_e32 v3, 16, v3
	v_cvt_i32_f32_e32 v3, v3
	s_branch .LBB103_568
.LBB103_558:
	s_mov_b64 s[8:9], -1
	s_mov_b64 s[0:1], 0
                                        ; implicit-def: $vgpr3
	s_mov_b64 s[2:3], s[58:59]
	s_branch .LBB103_629
.LBB103_559:
	s_mov_b64 s[8:9], -1
	s_mov_b64 s[0:1], 0
	s_mov_b64 s[2:3], s[58:59]
                                        ; implicit-def: $vgpr3
	s_branch .LBB103_595
.LBB103_560:
	s_mov_b64 s[8:9], -1
	s_mov_b64 s[0:1], 0
	s_mov_b64 s[2:3], s[58:59]
                                        ; implicit-def: $vgpr3
	s_branch .LBB103_578
.LBB103_561:
	s_mov_b64 s[8:9], -1
	s_mov_b64 s[0:1], 0
	s_mov_b64 s[2:3], s[58:59]
                                        ; implicit-def: $vgpr3
	s_branch .LBB103_573
.LBB103_562:
	s_andn2_saveexec_b64 s[12:13], s[12:13]
	s_cbranch_execz .LBB103_335
.LBB103_563:
	s_mov_b32 s16, 0x46000000
	v_add_f32_e64 v3, |v2|, s16
	v_and_b32_e32 v3, 0xff, v3
	v_cmp_ne_u32_e32 vcc, 0, v3
	s_andn2_b64 s[10:11], s[10:11], exec
	s_and_b64 s[16:17], vcc, exec
	s_or_b64 s[10:11], s[10:11], s[16:17]
	s_or_b64 exec, exec, s[12:13]
	v_mov_b32_e32 v5, 0
	s_and_saveexec_b64 s[12:13], s[10:11]
	s_cbranch_execnz .LBB103_336
	s_branch .LBB103_337
.LBB103_564:
	s_mov_b64 s[8:9], -1
	s_mov_b64 s[0:1], 0
	s_mov_b64 s[2:3], s[58:59]
                                        ; implicit-def: $vgpr3
	s_branch .LBB103_568
.LBB103_565:
	s_andn2_saveexec_b64 s[12:13], s[12:13]
	s_cbranch_execz .LBB103_348
.LBB103_566:
	s_mov_b32 s16, 0x42800000
	v_add_f32_e64 v3, |v2|, s16
	v_and_b32_e32 v3, 0xff, v3
	v_cmp_ne_u32_e32 vcc, 0, v3
	s_andn2_b64 s[10:11], s[10:11], exec
	s_and_b64 s[16:17], vcc, exec
	s_or_b64 s[10:11], s[10:11], s[16:17]
	s_or_b64 exec, exec, s[12:13]
	v_mov_b32_e32 v5, 0
	s_and_saveexec_b64 s[12:13], s[10:11]
	s_cbranch_execnz .LBB103_349
	s_branch .LBB103_350
.LBB103_567:
	s_mov_b64 s[2:3], -1
                                        ; implicit-def: $vgpr3
	s_mov_b64 s[0:1], 0
.LBB103_568:
	s_and_b64 vcc, exec, s[8:9]
	s_cbranch_vccz .LBB103_572
; %bb.569:
	s_cmp_eq_u32 s10, 44
	s_cbranch_scc0 .LBB103_571
; %bb.570:
	global_load_ubyte v3, v[1:2], off
	s_mov_b64 s[0:1], -1
	s_mov_b64 s[2:3], 0
	s_waitcnt vmcnt(0)
	v_lshlrev_b32_e32 v4, 23, v3
	v_cvt_i32_f32_e32 v4, v4
	v_cmp_ne_u32_e32 vcc, 0, v3
	v_cndmask_b32_e32 v3, 0, v4, vcc
	s_branch .LBB103_572
.LBB103_571:
	s_mov_b64 s[2:3], -1
                                        ; implicit-def: $vgpr3
.LBB103_572:
	s_mov_b64 s[8:9], 0
.LBB103_573:
	s_and_b64 vcc, exec, s[8:9]
	s_cbranch_vccz .LBB103_577
; %bb.574:
	s_cmp_eq_u32 s10, 29
	s_cbranch_scc0 .LBB103_576
; %bb.575:
	global_load_dwordx2 v[3:4], v[1:2], off
	s_mov_b64 s[0:1], -1
	s_mov_b64 s[2:3], 0
	s_branch .LBB103_577
.LBB103_576:
	s_mov_b64 s[2:3], -1
                                        ; implicit-def: $vgpr3
.LBB103_577:
	s_mov_b64 s[8:9], 0
.LBB103_578:
	s_and_b64 vcc, exec, s[8:9]
	s_cbranch_vccz .LBB103_594
; %bb.579:
	s_cmp_lt_i32 s10, 27
	s_cbranch_scc1 .LBB103_582
; %bb.580:
	s_cmp_gt_i32 s10, 27
	s_cbranch_scc0 .LBB103_583
; %bb.581:
	global_load_dword v3, v[1:2], off
	s_mov_b64 s[0:1], 0
	s_branch .LBB103_584
.LBB103_582:
	s_mov_b64 s[0:1], -1
                                        ; implicit-def: $vgpr3
	s_branch .LBB103_587
.LBB103_583:
	s_mov_b64 s[0:1], -1
                                        ; implicit-def: $vgpr3
.LBB103_584:
	s_andn2_b64 vcc, exec, s[0:1]
	s_cbranch_vccnz .LBB103_586
; %bb.585:
	global_load_ushort v3, v[1:2], off
.LBB103_586:
	s_mov_b64 s[0:1], 0
.LBB103_587:
	s_andn2_b64 vcc, exec, s[0:1]
	s_cbranch_vccnz .LBB103_593
; %bb.588:
	global_load_ubyte v4, v[1:2], off
	s_movk_i32 s0, 0x7f
	s_mov_b64 s[8:9], 0
	s_waitcnt vmcnt(0)
	v_cmp_lt_i16_e32 vcc, s0, v4
	s_and_saveexec_b64 s[0:1], vcc
	s_xor_b64 s[0:1], exec, s[0:1]
	s_cbranch_execz .LBB103_605
; %bb.589:
	s_movk_i32 s8, 0x80
	v_cmp_ne_u16_e32 vcc, s8, v4
	s_and_b64 s[8:9], vcc, exec
	s_andn2_saveexec_b64 s[0:1], s[0:1]
	s_cbranch_execnz .LBB103_606
.LBB103_590:
	s_or_b64 exec, exec, s[0:1]
	v_mov_b32_e32 v3, 0
	s_and_saveexec_b64 s[0:1], s[8:9]
	s_cbranch_execz .LBB103_592
.LBB103_591:
	v_lshlrev_b32_e32 v3, 24, v4
	v_and_b32_e32 v4, 0xffff, v4
	v_and_b32_e32 v5, 7, v4
	v_ffbh_u32_e32 v7, v5
	v_min_u32_e32 v7, 32, v7
	v_subrev_u32_e32 v9, 28, v7
	v_bfe_u32 v6, v4, 3, 4
	v_lshlrev_b32_e32 v4, v9, v4
	v_sub_u32_e32 v7, 29, v7
	v_and_b32_e32 v4, 7, v4
	v_cmp_eq_u32_e32 vcc, 0, v6
	v_cndmask_b32_e32 v6, v6, v7, vcc
	v_cndmask_b32_e32 v4, v5, v4, vcc
	v_mov_b32_e32 v5, 0x3b800000
	v_lshlrev_b32_e32 v4, 20, v4
	v_and_b32_e32 v3, 0x80000000, v3
	v_lshl_add_u32 v5, v6, 23, v5
	v_or3_b32 v3, v3, v5, v4
	v_cvt_i32_f32_e32 v3, v3
.LBB103_592:
	s_or_b64 exec, exec, s[0:1]
.LBB103_593:
	s_mov_b64 s[0:1], -1
.LBB103_594:
	s_mov_b64 s[8:9], 0
.LBB103_595:
	s_and_b64 vcc, exec, s[8:9]
	s_cbranch_vccz .LBB103_628
; %bb.596:
	s_cmp_gt_i32 s10, 22
	s_cbranch_scc0 .LBB103_604
; %bb.597:
	s_cmp_lt_i32 s10, 24
	s_cbranch_scc1 .LBB103_607
; %bb.598:
	s_cmp_gt_i32 s10, 24
	s_cbranch_scc0 .LBB103_608
; %bb.599:
	global_load_ubyte v4, v[1:2], off
	s_movk_i32 s0, 0x7f
	s_mov_b64 s[8:9], 0
	s_waitcnt vmcnt(0)
	v_cmp_lt_i16_e32 vcc, s0, v4
	s_and_saveexec_b64 s[0:1], vcc
	s_xor_b64 s[0:1], exec, s[0:1]
	s_cbranch_execz .LBB103_620
; %bb.600:
	s_movk_i32 s8, 0x80
	v_cmp_ne_u16_e32 vcc, s8, v4
	s_and_b64 s[8:9], vcc, exec
	s_andn2_saveexec_b64 s[0:1], s[0:1]
	s_cbranch_execnz .LBB103_621
.LBB103_601:
	s_or_b64 exec, exec, s[0:1]
	v_mov_b32_e32 v3, 0
	s_and_saveexec_b64 s[0:1], s[8:9]
	s_cbranch_execz .LBB103_603
.LBB103_602:
	v_lshlrev_b32_e32 v3, 24, v4
	v_and_b32_e32 v4, 0xffff, v4
	v_and_b32_e32 v5, 3, v4
	v_ffbh_u32_e32 v7, v5
	v_min_u32_e32 v7, 32, v7
	v_subrev_u32_e32 v9, 29, v7
	v_bfe_u32 v6, v4, 2, 5
	v_lshlrev_b32_e32 v4, v9, v4
	v_sub_u32_e32 v7, 30, v7
	v_and_b32_e32 v4, 3, v4
	v_cmp_eq_u32_e32 vcc, 0, v6
	v_cndmask_b32_e32 v6, v6, v7, vcc
	v_cndmask_b32_e32 v4, v5, v4, vcc
	v_mov_b32_e32 v5, 0x37800000
	v_lshlrev_b32_e32 v4, 21, v4
	v_and_b32_e32 v3, 0x80000000, v3
	v_lshl_add_u32 v5, v6, 23, v5
	v_or3_b32 v3, v3, v5, v4
	v_cvt_i32_f32_e32 v3, v3
.LBB103_603:
	s_or_b64 exec, exec, s[0:1]
	s_mov_b64 s[0:1], 0
	s_branch .LBB103_609
.LBB103_604:
	s_mov_b64 s[8:9], -1
                                        ; implicit-def: $vgpr3
	s_branch .LBB103_615
.LBB103_605:
	s_andn2_saveexec_b64 s[0:1], s[0:1]
	s_cbranch_execz .LBB103_590
.LBB103_606:
	v_cmp_ne_u16_e32 vcc, 0, v4
	s_andn2_b64 s[8:9], s[8:9], exec
	s_and_b64 s[12:13], vcc, exec
	s_or_b64 s[8:9], s[8:9], s[12:13]
	s_or_b64 exec, exec, s[0:1]
	v_mov_b32_e32 v3, 0
	s_and_saveexec_b64 s[0:1], s[8:9]
	s_cbranch_execnz .LBB103_591
	s_branch .LBB103_592
.LBB103_607:
	s_mov_b64 s[0:1], -1
                                        ; implicit-def: $vgpr3
	s_branch .LBB103_612
.LBB103_608:
	s_mov_b64 s[0:1], -1
                                        ; implicit-def: $vgpr3
.LBB103_609:
	s_and_b64 vcc, exec, s[0:1]
	s_cbranch_vccz .LBB103_611
; %bb.610:
	global_load_ubyte v3, v[1:2], off
	s_mov_b32 s0, 0x7f800000
	s_waitcnt vmcnt(0)
	v_lshlrev_b32_e32 v3, 24, v3
	v_and_b32_e32 v4, 0x7f000000, v3
	v_ffbh_u32_e32 v5, v4
	v_min_u32_e32 v5, 32, v5
	v_sub_u32_e64 v5, v5, 4 clamp
	v_lshlrev_b32_e32 v7, v5, v4
	v_lshlrev_b32_e32 v5, 23, v5
	v_lshrrev_b32_e32 v7, 4, v7
	v_add_u32_e32 v6, 0x1000000, v4
	v_sub_u32_e32 v5, v7, v5
	v_ashrrev_i32_e32 v6, 8, v6
	v_add_u32_e32 v5, 0x3c000000, v5
	v_and_or_b32 v5, v6, s0, v5
	v_cmp_ne_u32_e32 vcc, 0, v4
	v_cndmask_b32_e32 v4, 0, v5, vcc
	s_brev_b32 s0, 1
	v_and_or_b32 v3, v3, s0, v4
	v_cvt_i32_f32_e32 v3, v3
.LBB103_611:
	s_mov_b64 s[0:1], 0
.LBB103_612:
	s_andn2_b64 vcc, exec, s[0:1]
	s_cbranch_vccnz .LBB103_614
; %bb.613:
	global_load_ubyte v3, v[1:2], off
	s_movk_i32 s0, 0x7f00
	s_brev_b32 s1, 16
	s_waitcnt vmcnt(0)
	v_lshlrev_b16_e32 v4, 8, v3
	v_lshlrev_b32_e32 v3, 25, v3
	v_lshrrev_b32_e32 v5, 4, v3
	v_and_or_b32 v6, v4, s0, 0.5
	v_or_b32_e32 v5, 0x70000000, v5
	v_add_f32_e32 v6, -0.5, v6
	v_mul_f32_e32 v5, 0x7800000, v5
	v_cmp_gt_u32_e32 vcc, s1, v3
	v_bfe_i32 v4, v4, 0, 16
	v_cndmask_b32_e32 v3, v5, v6, vcc
	s_brev_b32 s0, 1
	v_and_or_b32 v3, v4, s0, v3
	v_cvt_i32_f32_e32 v3, v3
.LBB103_614:
	s_mov_b64 s[8:9], 0
	s_mov_b64 s[0:1], -1
.LBB103_615:
	s_andn2_b64 vcc, exec, s[8:9]
	s_cbranch_vccnz .LBB103_628
; %bb.616:
	s_cmp_gt_i32 s10, 14
	s_cbranch_scc0 .LBB103_619
; %bb.617:
	s_cmp_eq_u32 s10, 15
	s_cbranch_scc0 .LBB103_622
; %bb.618:
	global_load_ushort v3, v[1:2], off
	s_mov_b64 s[0:1], -1
	s_mov_b64 s[2:3], 0
	s_waitcnt vmcnt(0)
	v_lshlrev_b32_e32 v3, 16, v3
	v_cvt_i32_f32_e32 v3, v3
	s_branch .LBB103_623
.LBB103_619:
	s_mov_b64 s[8:9], -1
                                        ; implicit-def: $vgpr3
	s_branch .LBB103_624
.LBB103_620:
	s_andn2_saveexec_b64 s[0:1], s[0:1]
	s_cbranch_execz .LBB103_601
.LBB103_621:
	v_cmp_ne_u16_e32 vcc, 0, v4
	s_andn2_b64 s[8:9], s[8:9], exec
	s_and_b64 s[12:13], vcc, exec
	s_or_b64 s[8:9], s[8:9], s[12:13]
	s_or_b64 exec, exec, s[0:1]
	v_mov_b32_e32 v3, 0
	s_and_saveexec_b64 s[0:1], s[8:9]
	s_cbranch_execnz .LBB103_602
	s_branch .LBB103_603
.LBB103_622:
	s_mov_b64 s[2:3], -1
                                        ; implicit-def: $vgpr3
.LBB103_623:
	s_mov_b64 s[8:9], 0
.LBB103_624:
	s_and_b64 vcc, exec, s[8:9]
	s_cbranch_vccz .LBB103_628
; %bb.625:
	s_cmp_eq_u32 s10, 11
	s_cbranch_scc0 .LBB103_627
; %bb.626:
	global_load_ubyte v3, v[1:2], off
	s_mov_b64 s[0:1], -1
	s_mov_b64 s[2:3], 0
	s_waitcnt vmcnt(0)
	v_cmp_ne_u16_e32 vcc, 0, v3
	v_cndmask_b32_e64 v3, 0, 1, vcc
	s_branch .LBB103_628
.LBB103_627:
	s_mov_b64 s[2:3], -1
                                        ; implicit-def: $vgpr3
.LBB103_628:
	s_mov_b64 s[8:9], 0
.LBB103_629:
	s_and_b64 vcc, exec, s[8:9]
	s_cbranch_vccz .LBB103_678
; %bb.630:
	s_cmp_lt_i32 s10, 5
	s_cbranch_scc1 .LBB103_635
; %bb.631:
	s_cmp_lt_i32 s10, 8
	s_cbranch_scc1 .LBB103_636
	;; [unrolled: 3-line block ×3, first 2 shown]
; %bb.633:
	s_cmp_gt_i32 s10, 9
	s_cbranch_scc0 .LBB103_638
; %bb.634:
	global_load_dwordx2 v[3:4], v[1:2], off
	s_mov_b64 s[0:1], 0
	s_waitcnt vmcnt(0)
	v_cvt_i32_f64_e32 v3, v[3:4]
	s_branch .LBB103_639
.LBB103_635:
	s_mov_b64 s[0:1], -1
                                        ; implicit-def: $vgpr3
	s_branch .LBB103_657
.LBB103_636:
	s_mov_b64 s[0:1], -1
                                        ; implicit-def: $vgpr3
	s_branch .LBB103_645
.LBB103_637:
	s_mov_b64 s[0:1], -1
                                        ; implicit-def: $vgpr3
	s_branch .LBB103_642
.LBB103_638:
	s_mov_b64 s[0:1], -1
                                        ; implicit-def: $vgpr3
.LBB103_639:
	s_andn2_b64 vcc, exec, s[0:1]
	s_cbranch_vccnz .LBB103_641
; %bb.640:
	global_load_dword v3, v[1:2], off
	s_waitcnt vmcnt(0)
	v_cvt_i32_f32_e32 v3, v3
.LBB103_641:
	s_mov_b64 s[0:1], 0
.LBB103_642:
	s_andn2_b64 vcc, exec, s[0:1]
	s_cbranch_vccnz .LBB103_644
; %bb.643:
	global_load_dword v3, v[1:2], off
	s_waitcnt vmcnt(0)
	v_cvt_i16_f16_e32 v3, v3
.LBB103_644:
	s_mov_b64 s[0:1], 0
.LBB103_645:
	s_andn2_b64 vcc, exec, s[0:1]
	s_cbranch_vccnz .LBB103_656
; %bb.646:
	s_cmp_lt_i32 s10, 6
	s_cbranch_scc1 .LBB103_649
; %bb.647:
	s_cmp_gt_i32 s10, 6
	s_cbranch_scc0 .LBB103_650
; %bb.648:
	global_load_dwordx2 v[3:4], v[1:2], off
	s_mov_b64 s[0:1], 0
	s_waitcnt vmcnt(0)
	v_cvt_i32_f64_e32 v3, v[3:4]
	s_branch .LBB103_651
.LBB103_649:
	s_mov_b64 s[0:1], -1
                                        ; implicit-def: $vgpr3
	s_branch .LBB103_654
.LBB103_650:
	s_mov_b64 s[0:1], -1
                                        ; implicit-def: $vgpr3
.LBB103_651:
	s_andn2_b64 vcc, exec, s[0:1]
	s_cbranch_vccnz .LBB103_653
; %bb.652:
	global_load_dword v3, v[1:2], off
	s_waitcnt vmcnt(0)
	v_cvt_i32_f32_e32 v3, v3
.LBB103_653:
	s_mov_b64 s[0:1], 0
.LBB103_654:
	s_andn2_b64 vcc, exec, s[0:1]
	s_cbranch_vccnz .LBB103_656
; %bb.655:
	global_load_ushort v3, v[1:2], off
	s_waitcnt vmcnt(0)
	v_cvt_i16_f16_e32 v3, v3
.LBB103_656:
	s_mov_b64 s[0:1], 0
.LBB103_657:
	s_andn2_b64 vcc, exec, s[0:1]
	s_cbranch_vccnz .LBB103_677
; %bb.658:
	s_cmp_lt_i32 s10, 2
	s_cbranch_scc1 .LBB103_662
; %bb.659:
	s_cmp_lt_i32 s10, 3
	s_cbranch_scc1 .LBB103_663
; %bb.660:
	s_cmp_gt_i32 s10, 3
	s_cbranch_scc0 .LBB103_664
; %bb.661:
	global_load_dwordx2 v[3:4], v[1:2], off
	s_mov_b64 s[0:1], 0
	s_branch .LBB103_665
.LBB103_662:
	s_mov_b64 s[0:1], -1
                                        ; implicit-def: $vgpr3
	s_branch .LBB103_671
.LBB103_663:
	s_mov_b64 s[0:1], -1
                                        ; implicit-def: $vgpr3
	s_branch .LBB103_668
.LBB103_664:
	s_mov_b64 s[0:1], -1
                                        ; implicit-def: $vgpr3
.LBB103_665:
	s_andn2_b64 vcc, exec, s[0:1]
	s_cbranch_vccnz .LBB103_667
; %bb.666:
	global_load_dword v3, v[1:2], off
.LBB103_667:
	s_mov_b64 s[0:1], 0
.LBB103_668:
	s_andn2_b64 vcc, exec, s[0:1]
	s_cbranch_vccnz .LBB103_670
; %bb.669:
	global_load_ushort v3, v[1:2], off
.LBB103_670:
	s_mov_b64 s[0:1], 0
.LBB103_671:
	s_andn2_b64 vcc, exec, s[0:1]
	s_cbranch_vccnz .LBB103_677
; %bb.672:
	s_cmp_gt_i32 s10, 0
	s_cbranch_scc0 .LBB103_674
; %bb.673:
	global_load_sbyte v3, v[1:2], off
	s_mov_b64 s[0:1], 0
	s_branch .LBB103_675
.LBB103_674:
	s_mov_b64 s[0:1], -1
                                        ; implicit-def: $vgpr3
.LBB103_675:
	s_andn2_b64 vcc, exec, s[0:1]
	s_cbranch_vccnz .LBB103_677
; %bb.676:
	global_load_ubyte v3, v[1:2], off
.LBB103_677:
	s_mov_b64 s[0:1], -1
.LBB103_678:
	s_andn2_b64 vcc, exec, s[0:1]
	s_cbranch_vccnz .LBB103_686
; %bb.679:
	s_waitcnt vmcnt(0)
	v_lshlrev_b32_sdwa v1, v3, s74 dst_sel:DWORD dst_unused:UNUSED_PAD src0_sel:WORD_0 src1_sel:DWORD
	v_cmp_gt_u16_e32 vcc, 16, v3
	v_cndmask_b32_e32 v4, 0, v1, vcc
	v_mov_b32_e32 v1, s25
	s_and_b32 s14, s73, 0xff
	v_add_co_u32_e32 v0, vcc, s24, v0
	s_cmp_lt_i32 s14, 11
	v_addc_co_u32_e32 v1, vcc, 0, v1, vcc
	s_cbranch_scc1 .LBB103_687
; %bb.680:
	s_and_b32 s15, 0xffff, s14
	s_cmp_gt_i32 s15, 25
	s_cbranch_scc0 .LBB103_688
; %bb.681:
	s_cmp_gt_i32 s15, 28
	s_cbranch_scc0 .LBB103_689
; %bb.682:
	;; [unrolled: 3-line block ×4, first 2 shown]
	s_mov_b64 s[10:11], 0
	s_mov_b64 s[0:1], -1
	s_cmp_eq_u32 s15, 46
	s_mov_b64 s[8:9], 0
	s_cbranch_scc0 .LBB103_692
; %bb.685:
	v_cvt_f32_i32_sdwa v2, sext(v4) dst_sel:DWORD dst_unused:UNUSED_PAD src0_sel:WORD_0
	s_movk_i32 s0, 0x7fff
	s_mov_b64 s[8:9], -1
	v_bfe_u32 v3, v2, 16, 1
	v_add3_u32 v2, v2, v3, s0
	v_lshrrev_b32_e32 v2, 16, v2
	global_store_dword v[0:1], v2, off
	s_mov_b64 s[0:1], 0
	s_branch .LBB103_692
.LBB103_686:
	s_mov_b64 s[8:9], 0
	s_mov_b64 s[0:1], s[60:61]
	s_branch .LBB103_803
.LBB103_687:
	s_mov_b64 s[10:11], -1
	s_mov_b64 s[8:9], 0
	s_mov_b64 s[0:1], s[60:61]
	s_branch .LBB103_761
.LBB103_688:
	s_mov_b64 s[10:11], -1
	s_mov_b64 s[8:9], 0
	s_mov_b64 s[0:1], s[60:61]
	s_branch .LBB103_719
.LBB103_689:
	s_mov_b64 s[10:11], -1
	s_mov_b64 s[8:9], 0
	s_mov_b64 s[0:1], s[60:61]
	s_branch .LBB103_702
.LBB103_690:
	s_mov_b64 s[10:11], -1
	s_mov_b64 s[8:9], 0
	s_mov_b64 s[0:1], s[60:61]
	s_branch .LBB103_698
.LBB103_691:
	s_mov_b64 s[10:11], -1
	s_mov_b64 s[8:9], 0
	s_mov_b64 s[0:1], s[60:61]
.LBB103_692:
	s_and_b64 vcc, exec, s[10:11]
	s_cbranch_vccz .LBB103_697
; %bb.693:
	s_cmp_eq_u32 s15, 44
	s_mov_b64 s[0:1], -1
	s_cbranch_scc0 .LBB103_697
; %bb.694:
	v_cvt_f32_i32_sdwa v2, sext(v4) dst_sel:DWORD dst_unused:UNUSED_PAD src0_sel:WORD_0
	s_movk_i32 s0, 0xff
	v_mov_b32_e32 v5, 0xff
	v_bfe_u32 v3, v2, 23, 8
	v_cmp_ne_u32_e32 vcc, s0, v3
	s_and_saveexec_b64 s[8:9], vcc
; %bb.695:
	s_mov_b32 s0, 0x3fffff
	v_lshrrev_b32_e32 v5, 23, v2
	v_and_b32_e32 v6, 0x400000, v2
	v_and_or_b32 v2, v2, s0, v3
	v_cmp_ne_u32_e32 vcc, 0, v6
	v_cmp_ne_u32_e64 s[0:1], 0, v2
	s_and_b64 s[0:1], vcc, s[0:1]
	v_cndmask_b32_e64 v2, 0, 1, s[0:1]
	v_add_u32_e32 v5, v5, v2
; %bb.696:
	s_or_b64 exec, exec, s[8:9]
	s_mov_b64 s[8:9], -1
	s_mov_b64 s[0:1], 0
	global_store_byte v[0:1], v5, off
.LBB103_697:
	s_mov_b64 s[10:11], 0
.LBB103_698:
	s_and_b64 vcc, exec, s[10:11]
	s_cbranch_vccz .LBB103_701
; %bb.699:
	s_cmp_eq_u32 s15, 29
	s_mov_b64 s[0:1], -1
	s_cbranch_scc0 .LBB103_701
; %bb.700:
	v_bfe_i32 v2, v4, 0, 16
	v_ashrrev_i32_e32 v3, 31, v2
	global_store_dwordx2 v[0:1], v[2:3], off
	s_mov_b64 s[8:9], -1
	s_mov_b64 s[0:1], 0
.LBB103_701:
	s_mov_b64 s[10:11], 0
.LBB103_702:
	s_and_b64 vcc, exec, s[10:11]
	s_cbranch_vccz .LBB103_718
; %bb.703:
	s_cmp_lt_i32 s15, 27
	s_mov_b64 s[8:9], -1
	s_cbranch_scc1 .LBB103_709
; %bb.704:
	s_cmp_gt_i32 s15, 27
	s_cbranch_scc0 .LBB103_706
; %bb.705:
	v_bfe_i32 v2, v4, 0, 16
	s_mov_b64 s[8:9], 0
	global_store_dword v[0:1], v2, off
.LBB103_706:
	s_andn2_b64 vcc, exec, s[8:9]
	s_cbranch_vccnz .LBB103_708
; %bb.707:
	global_store_short v[0:1], v4, off
.LBB103_708:
	s_mov_b64 s[8:9], 0
.LBB103_709:
	s_andn2_b64 vcc, exec, s[8:9]
	s_cbranch_vccnz .LBB103_717
; %bb.710:
	v_cvt_f32_i32_sdwa v2, sext(v4) dst_sel:DWORD dst_unused:UNUSED_PAD src0_sel:WORD_0
	s_mov_b32 s8, 0x43800000
	v_mov_b32_e32 v5, 0x80
	v_and_b32_e32 v3, 0x7fffffff, v2
	v_cmp_gt_u32_e32 vcc, s8, v3
	s_and_saveexec_b64 s[8:9], vcc
	s_cbranch_execz .LBB103_716
; %bb.711:
	s_mov_b32 s10, 0x3bffffff
	v_cmp_lt_u32_e32 vcc, s10, v3
	s_mov_b64 s[10:11], 0
                                        ; implicit-def: $vgpr3
	s_and_saveexec_b64 s[12:13], vcc
	s_xor_b64 s[12:13], exec, s[12:13]
	s_cbranch_execz .LBB103_833
; %bb.712:
	v_bfe_u32 v3, v2, 20, 1
	s_mov_b32 s16, 0x487ffff
	v_add3_u32 v3, v2, v3, s16
	s_mov_b64 s[10:11], exec
	v_lshrrev_b32_e32 v3, 20, v3
	s_andn2_saveexec_b64 s[12:13], s[12:13]
	s_cbranch_execnz .LBB103_834
.LBB103_713:
	s_or_b64 exec, exec, s[12:13]
	v_mov_b32_e32 v5, 0
	s_and_saveexec_b64 s[12:13], s[10:11]
.LBB103_714:
	v_lshrrev_b32_e32 v2, 24, v2
	s_movk_i32 s10, 0x80
	v_and_or_b32 v5, v2, s10, v3
.LBB103_715:
	s_or_b64 exec, exec, s[12:13]
.LBB103_716:
	s_or_b64 exec, exec, s[8:9]
	global_store_byte v[0:1], v5, off
.LBB103_717:
	s_mov_b64 s[8:9], -1
.LBB103_718:
	s_mov_b64 s[10:11], 0
.LBB103_719:
	s_and_b64 vcc, exec, s[10:11]
	s_cbranch_vccz .LBB103_760
; %bb.720:
	s_cmp_gt_i32 s15, 22
	s_mov_b64 s[10:11], -1
	s_cbranch_scc0 .LBB103_752
; %bb.721:
	s_cmp_lt_i32 s15, 24
	s_mov_b64 s[8:9], -1
	s_cbranch_scc1 .LBB103_741
; %bb.722:
	s_cmp_gt_i32 s15, 24
	s_cbranch_scc0 .LBB103_730
; %bb.723:
	v_cvt_f32_i32_sdwa v2, sext(v4) dst_sel:DWORD dst_unused:UNUSED_PAD src0_sel:WORD_0
	s_mov_b32 s8, 0x47800000
	v_mov_b32_e32 v5, 0x80
	v_and_b32_e32 v3, 0x7fffffff, v2
	v_cmp_gt_u32_e32 vcc, s8, v3
	s_and_saveexec_b64 s[8:9], vcc
	s_cbranch_execz .LBB103_729
; %bb.724:
	s_mov_b32 s10, 0x37ffffff
	v_cmp_lt_u32_e32 vcc, s10, v3
	s_mov_b64 s[10:11], 0
                                        ; implicit-def: $vgpr3
	s_and_saveexec_b64 s[12:13], vcc
	s_xor_b64 s[12:13], exec, s[12:13]
	s_cbranch_execz .LBB103_836
; %bb.725:
	v_bfe_u32 v3, v2, 21, 1
	s_mov_b32 s16, 0x88fffff
	v_add3_u32 v3, v2, v3, s16
	s_mov_b64 s[10:11], exec
	v_lshrrev_b32_e32 v3, 21, v3
	s_andn2_saveexec_b64 s[12:13], s[12:13]
	s_cbranch_execnz .LBB103_837
.LBB103_726:
	s_or_b64 exec, exec, s[12:13]
	v_mov_b32_e32 v5, 0
	s_and_saveexec_b64 s[12:13], s[10:11]
.LBB103_727:
	v_lshrrev_b32_e32 v2, 24, v2
	s_movk_i32 s10, 0x80
	v_and_or_b32 v5, v2, s10, v3
.LBB103_728:
	s_or_b64 exec, exec, s[12:13]
.LBB103_729:
	s_or_b64 exec, exec, s[8:9]
	s_mov_b64 s[8:9], 0
	global_store_byte v[0:1], v5, off
.LBB103_730:
	s_and_b64 vcc, exec, s[8:9]
	s_cbranch_vccz .LBB103_740
; %bb.731:
	v_cvt_f32_i32_sdwa v2, sext(v4) dst_sel:DWORD dst_unused:UNUSED_PAD src0_sel:WORD_0
	s_mov_b32 s8, 0x43f00000
                                        ; implicit-def: $vgpr3
	v_and_b32_e32 v5, 0x7fffffff, v2
	v_cmp_gt_u32_e32 vcc, s8, v5
	s_and_saveexec_b64 s[8:9], vcc
	s_xor_b64 s[8:9], exec, s[8:9]
	s_cbranch_execz .LBB103_737
; %bb.732:
	s_mov_b32 s10, 0x3c7fffff
	v_cmp_lt_u32_e32 vcc, s10, v5
                                        ; implicit-def: $vgpr3
	s_and_saveexec_b64 s[10:11], vcc
	s_xor_b64 s[10:11], exec, s[10:11]
; %bb.733:
	v_bfe_u32 v3, v2, 20, 1
	s_mov_b32 s12, 0x407ffff
	v_add3_u32 v3, v2, v3, s12
	v_lshrrev_b32_e32 v5, 20, v3
	v_and_b32_e32 v3, 0xff00000, v3
	s_mov_b32 s12, 0x7f00000
	v_mov_b32_e32 v6, 0x7e
	v_cmp_ne_u32_e32 vcc, s12, v3
	v_cndmask_b32_e32 v3, v6, v5, vcc
; %bb.734:
	s_andn2_saveexec_b64 s[10:11], s[10:11]
; %bb.735:
	s_mov_b32 s12, 0x46800000
	v_add_f32_e64 v3, |v2|, s12
; %bb.736:
	s_or_b64 exec, exec, s[10:11]
                                        ; implicit-def: $vgpr5
.LBB103_737:
	s_andn2_saveexec_b64 s[8:9], s[8:9]
; %bb.738:
	s_mov_b32 s10, 0x7f800000
	v_mov_b32_e32 v3, 0x7e
	v_mov_b32_e32 v6, 0x7f
	v_cmp_lt_u32_e32 vcc, s10, v5
	v_cndmask_b32_e32 v3, v3, v6, vcc
; %bb.739:
	s_or_b64 exec, exec, s[8:9]
	v_lshrrev_b32_e32 v2, 24, v2
	s_movk_i32 s8, 0x80
	v_and_or_b32 v2, v2, s8, v3
	global_store_byte v[0:1], v2, off
.LBB103_740:
	s_mov_b64 s[8:9], 0
.LBB103_741:
	s_andn2_b64 vcc, exec, s[8:9]
	s_cbranch_vccnz .LBB103_751
; %bb.742:
	v_cvt_f32_i32_sdwa v2, sext(v4) dst_sel:DWORD dst_unused:UNUSED_PAD src0_sel:WORD_0
	s_mov_b32 s8, 0x47800000
                                        ; implicit-def: $vgpr3
	v_and_b32_e32 v5, 0x7fffffff, v2
	v_cmp_gt_u32_e32 vcc, s8, v5
	s_and_saveexec_b64 s[8:9], vcc
	s_xor_b64 s[8:9], exec, s[8:9]
	s_cbranch_execz .LBB103_748
; %bb.743:
	s_mov_b32 s10, 0x387fffff
	v_cmp_lt_u32_e32 vcc, s10, v5
                                        ; implicit-def: $vgpr3
	s_and_saveexec_b64 s[10:11], vcc
	s_xor_b64 s[10:11], exec, s[10:11]
; %bb.744:
	v_bfe_u32 v3, v2, 21, 1
	s_mov_b32 s12, 0x80fffff
	v_add3_u32 v3, v2, v3, s12
	v_lshrrev_b32_e32 v3, 21, v3
; %bb.745:
	s_andn2_saveexec_b64 s[10:11], s[10:11]
; %bb.746:
	s_mov_b32 s12, 0x43000000
	v_add_f32_e64 v3, |v2|, s12
; %bb.747:
	s_or_b64 exec, exec, s[10:11]
                                        ; implicit-def: $vgpr5
.LBB103_748:
	s_andn2_saveexec_b64 s[8:9], s[8:9]
; %bb.749:
	s_mov_b32 s10, 0x7f800000
	v_mov_b32_e32 v3, 0x7c
	v_mov_b32_e32 v6, 0x7f
	v_cmp_lt_u32_e32 vcc, s10, v5
	v_cndmask_b32_e32 v3, v3, v6, vcc
; %bb.750:
	s_or_b64 exec, exec, s[8:9]
	v_lshrrev_b32_e32 v2, 24, v2
	s_movk_i32 s8, 0x80
	v_and_or_b32 v2, v2, s8, v3
	global_store_byte v[0:1], v2, off
.LBB103_751:
	s_mov_b64 s[10:11], 0
	s_mov_b64 s[8:9], -1
.LBB103_752:
	s_andn2_b64 vcc, exec, s[10:11]
	s_cbranch_vccnz .LBB103_760
; %bb.753:
	s_cmp_gt_i32 s15, 14
	s_mov_b64 s[10:11], -1
	s_cbranch_scc0 .LBB103_757
; %bb.754:
	s_cmp_eq_u32 s15, 15
	s_mov_b64 s[0:1], -1
	s_cbranch_scc0 .LBB103_756
; %bb.755:
	v_cvt_f32_i32_sdwa v2, sext(v4) dst_sel:DWORD dst_unused:UNUSED_PAD src0_sel:WORD_0
	s_movk_i32 s0, 0x7fff
	s_mov_b64 s[8:9], -1
	v_bfe_u32 v3, v2, 16, 1
	v_add3_u32 v2, v2, v3, s0
	global_store_short_d16_hi v[0:1], v2, off
	s_mov_b64 s[0:1], 0
.LBB103_756:
	s_mov_b64 s[10:11], 0
.LBB103_757:
	s_and_b64 vcc, exec, s[10:11]
	s_cbranch_vccz .LBB103_760
; %bb.758:
	s_cmp_eq_u32 s15, 11
	s_mov_b64 s[0:1], -1
	s_cbranch_scc0 .LBB103_760
; %bb.759:
	v_cmp_ne_u16_e32 vcc, 0, v4
	v_cndmask_b32_e64 v2, 0, 1, vcc
	s_mov_b64 s[8:9], -1
	s_mov_b64 s[0:1], 0
	global_store_byte v[0:1], v2, off
.LBB103_760:
	s_mov_b64 s[10:11], 0
.LBB103_761:
	s_and_b64 vcc, exec, s[10:11]
	s_cbranch_vccz .LBB103_800
; %bb.762:
	s_and_b32 s10, 0xffff, s14
	s_cmp_lt_i32 s10, 5
	s_mov_b64 s[8:9], -1
	s_cbranch_scc1 .LBB103_783
; %bb.763:
	s_cmp_lt_i32 s10, 8
	s_cbranch_scc1 .LBB103_773
; %bb.764:
	s_cmp_lt_i32 s10, 9
	s_cbranch_scc1 .LBB103_770
; %bb.765:
	s_cmp_gt_i32 s10, 9
	s_cbranch_scc0 .LBB103_767
; %bb.766:
	v_bfe_i32 v2, v4, 0, 16
	v_cvt_f64_i32_e32 v[9:10], v2
	v_mov_b32_e32 v11, 0
	v_mov_b32_e32 v12, v11
	s_mov_b64 s[8:9], 0
	global_store_dwordx4 v[0:1], v[9:12], off
.LBB103_767:
	s_andn2_b64 vcc, exec, s[8:9]
	s_cbranch_vccnz .LBB103_769
; %bb.768:
	v_cvt_f32_i32_sdwa v2, sext(v4) dst_sel:DWORD dst_unused:UNUSED_PAD src0_sel:WORD_0
	v_mov_b32_e32 v3, 0
	global_store_dwordx2 v[0:1], v[2:3], off
.LBB103_769:
	s_mov_b64 s[8:9], 0
.LBB103_770:
	s_andn2_b64 vcc, exec, s[8:9]
	s_cbranch_vccnz .LBB103_772
; %bb.771:
	v_cvt_f16_i16_e32 v2, v4
	global_store_dword v[0:1], v2, off
.LBB103_772:
	s_mov_b64 s[8:9], 0
.LBB103_773:
	s_andn2_b64 vcc, exec, s[8:9]
	s_cbranch_vccnz .LBB103_782
; %bb.774:
	s_cmp_lt_i32 s10, 6
	s_mov_b64 s[8:9], -1
	s_cbranch_scc1 .LBB103_780
; %bb.775:
	s_cmp_gt_i32 s10, 6
	s_cbranch_scc0 .LBB103_777
; %bb.776:
	v_bfe_i32 v2, v4, 0, 16
	v_cvt_f64_i32_e32 v[2:3], v2
	s_mov_b64 s[8:9], 0
	global_store_dwordx2 v[0:1], v[2:3], off
.LBB103_777:
	s_andn2_b64 vcc, exec, s[8:9]
	s_cbranch_vccnz .LBB103_779
; %bb.778:
	v_cvt_f32_i32_sdwa v2, sext(v4) dst_sel:DWORD dst_unused:UNUSED_PAD src0_sel:WORD_0
	global_store_dword v[0:1], v2, off
.LBB103_779:
	s_mov_b64 s[8:9], 0
.LBB103_780:
	s_andn2_b64 vcc, exec, s[8:9]
	s_cbranch_vccnz .LBB103_782
; %bb.781:
	v_cvt_f16_i16_e32 v2, v4
	global_store_short v[0:1], v2, off
.LBB103_782:
	s_mov_b64 s[8:9], 0
.LBB103_783:
	s_andn2_b64 vcc, exec, s[8:9]
	s_cbranch_vccnz .LBB103_799
; %bb.784:
	s_cmp_lt_i32 s10, 2
	s_mov_b64 s[8:9], -1
	s_cbranch_scc1 .LBB103_794
; %bb.785:
	s_cmp_lt_i32 s10, 3
	s_cbranch_scc1 .LBB103_791
; %bb.786:
	s_cmp_gt_i32 s10, 3
	v_bfe_i32 v2, v4, 0, 16
	s_cbranch_scc0 .LBB103_788
; %bb.787:
	v_ashrrev_i32_e32 v3, 31, v2
	s_mov_b64 s[8:9], 0
	global_store_dwordx2 v[0:1], v[2:3], off
.LBB103_788:
	s_andn2_b64 vcc, exec, s[8:9]
	s_cbranch_vccnz .LBB103_790
; %bb.789:
	global_store_dword v[0:1], v2, off
.LBB103_790:
	s_mov_b64 s[8:9], 0
.LBB103_791:
	s_andn2_b64 vcc, exec, s[8:9]
	s_cbranch_vccnz .LBB103_793
; %bb.792:
	global_store_short v[0:1], v4, off
.LBB103_793:
	s_mov_b64 s[8:9], 0
.LBB103_794:
	s_andn2_b64 vcc, exec, s[8:9]
	s_cbranch_vccnz .LBB103_799
; %bb.795:
	s_cmp_gt_i32 s10, 0
	s_mov_b64 s[8:9], -1
	s_cbranch_scc0 .LBB103_797
; %bb.796:
	s_mov_b64 s[8:9], 0
	global_store_byte v[0:1], v4, off
.LBB103_797:
	s_andn2_b64 vcc, exec, s[8:9]
	s_cbranch_vccnz .LBB103_799
; %bb.798:
	global_store_byte v[0:1], v4, off
.LBB103_799:
	s_mov_b64 s[8:9], -1
.LBB103_800:
	s_andn2_b64 vcc, exec, s[8:9]
	s_cbranch_vccnz .LBB103_802
; %bb.801:
	v_add_u32_e32 v8, 0x80, v8
	s_mov_b64 s[8:9], -1
	s_branch .LBB103_804
.LBB103_802:
	s_mov_b64 s[8:9], 0
.LBB103_803:
                                        ; implicit-def: $vgpr8
.LBB103_804:
	s_andn2_b64 s[10:11], s[60:61], exec
	s_and_b64 s[0:1], s[0:1], exec
	s_or_b64 s[68:69], s[10:11], s[0:1]
	s_andn2_b64 s[0:1], s[58:59], exec
	s_and_b64 s[2:3], s[2:3], exec
	s_or_b64 s[66:67], s[0:1], s[2:3]
	s_orn2_b64 s[2:3], s[8:9], exec
.LBB103_805:
	s_or_b64 exec, exec, s[64:65]
	s_mov_b64 s[0:1], 0
	s_mov_b64 s[8:9], 0
	;; [unrolled: 1-line block ×3, first 2 shown]
                                        ; implicit-def: $vgpr1_vgpr2
                                        ; implicit-def: $vgpr0
                                        ; implicit-def: $vgpr3
	s_and_saveexec_b64 s[64:65], s[2:3]
	s_cbranch_execz .LBB103_900
; %bb.806:
	v_cmp_gt_i32_e32 vcc, s70, v8
	s_mov_b64 s[2:3], 0
	s_mov_b64 s[12:13], s[66:67]
                                        ; implicit-def: $vgpr1_vgpr2
                                        ; implicit-def: $vgpr0
                                        ; implicit-def: $vgpr3
	s_and_saveexec_b64 s[70:71], vcc
	s_cbranch_execz .LBB103_899
; %bb.807:
	s_andn2_b64 vcc, exec, s[40:41]
	s_cbranch_vccnz .LBB103_812
; %bb.808:
	s_andn2_b64 vcc, exec, s[50:51]
	s_cbranch_vccnz .LBB103_813
; %bb.809:
	s_add_i32 s77, s76, 1
	s_cmp_eq_u32 s72, 2
	s_cbranch_scc1 .LBB103_814
; %bb.810:
	s_and_b32 s76, s77, 28
	v_mov_b32_e32 v2, 0
	s_mov_b32 s78, 0
	s_mov_b64 s[50:51], s[34:35]
	v_mov_b32_e32 v0, 0
	v_mov_b32_e32 v1, v8
.LBB103_811:                            ; =>This Inner Loop Header: Depth=1
	s_load_dwordx8 s[16:23], s[50:51], 0x4
	s_load_dwordx4 s[0:3], s[50:51], 0x24
	s_load_dwordx8 s[8:15], s[48:49], 0x0
	s_add_u32 s50, s50, 48
	s_addc_u32 s51, s51, 0
	s_waitcnt vmcnt(0) lgkmcnt(0)
	v_mul_hi_u32 v3, s17, v1
	s_add_i32 s78, s78, 4
	s_add_u32 s48, s48, 32
	s_addc_u32 s49, s49, 0
	v_add_u32_e32 v3, v1, v3
	v_lshrrev_b32_e32 v3, s18, v3
	v_mul_lo_u32 v4, v3, s16
	v_mul_hi_u32 v5, s20, v3
	s_cmp_eq_u32 s76, s78
	v_sub_u32_e32 v1, v1, v4
	v_add_u32_e32 v4, v3, v5
	v_mul_lo_u32 v5, v1, s8
	v_mul_lo_u32 v6, v1, s9
	v_lshrrev_b32_e32 v1, s21, v4
	v_mul_lo_u32 v4, v1, s19
	v_mul_hi_u32 v7, s23, v1
	v_sub_u32_e32 v3, v3, v4
	v_add_u32_e32 v4, v1, v7
	v_lshrrev_b32_e32 v4, s0, v4
	v_mul_hi_u32 v9, s2, v4
	v_mul_lo_u32 v10, v4, s22
	v_mul_lo_u32 v7, v3, s10
	v_mul_lo_u32 v3, v3, s11
	v_sub_u32_e32 v10, v1, v10
	v_add_u32_e32 v1, v4, v9
	v_lshrrev_b32_e32 v1, s3, v1
	v_mul_lo_u32 v9, v1, s1
	v_mul_lo_u32 v11, v10, s12
	;; [unrolled: 1-line block ×3, first 2 shown]
	v_add3_u32 v0, v5, v0, v7
	v_sub_u32_e32 v4, v4, v9
	v_mul_lo_u32 v9, v4, s14
	v_mul_lo_u32 v4, v4, s15
	v_add3_u32 v2, v6, v2, v3
	v_add3_u32 v0, v11, v0, v9
	;; [unrolled: 1-line block ×3, first 2 shown]
	s_cbranch_scc0 .LBB103_811
	s_branch .LBB103_815
.LBB103_812:
	s_mov_b64 s[0:1], -1
                                        ; implicit-def: $vgpr0
                                        ; implicit-def: $vgpr2
	s_branch .LBB103_819
.LBB103_813:
	v_mov_b32_e32 v0, 0
	v_mov_b32_e32 v2, 0
	s_branch .LBB103_818
.LBB103_814:
	s_mov_b32 s76, 0
	v_mov_b32_e32 v0, 0
	v_mov_b32_e32 v2, 0
	;; [unrolled: 1-line block ×3, first 2 shown]
.LBB103_815:
	s_and_b32 s8, s77, 3
	s_cmp_eq_u32 s8, 0
	s_cbranch_scc1 .LBB103_818
; %bb.816:
	s_lshl_b32 s0, s76, 3
	s_add_u32 s0, s34, s0
	s_addc_u32 s1, s35, 0
	s_add_u32 s0, s0, 0xc4
	s_addc_u32 s1, s1, 0
	s_mul_i32 s2, s76, 12
	s_add_u32 s2, s34, s2
	s_addc_u32 s3, s35, 0
.LBB103_817:                            ; =>This Inner Loop Header: Depth=1
	s_load_dwordx2 s[10:11], s[2:3], 0x4
	s_load_dword s9, s[2:3], 0xc
	s_load_dwordx2 s[12:13], s[0:1], 0x0
	s_add_u32 s2, s2, 12
	s_addc_u32 s3, s3, 0
	s_waitcnt vmcnt(0) lgkmcnt(0)
	v_mul_hi_u32 v3, s11, v1
	s_add_u32 s0, s0, 8
	s_addc_u32 s1, s1, 0
	s_add_i32 s8, s8, -1
	v_add_u32_e32 v3, v1, v3
	v_lshrrev_b32_e32 v4, s9, v3
	v_mul_lo_u32 v3, v4, s10
	s_cmp_lg_u32 s8, 0
	v_sub_u32_e32 v3, v1, v3
	v_mad_u64_u32 v[0:1], s[10:11], v3, s12, v[0:1]
	v_mad_u64_u32 v[2:3], s[10:11], v3, s13, v[2:3]
	v_mov_b32_e32 v1, v4
	s_cbranch_scc1 .LBB103_817
.LBB103_818:
	s_mov_b64 s[0:1], 0
.LBB103_819:
	s_andn2_b64 vcc, exec, s[0:1]
	s_cbranch_vccnz .LBB103_822
; %bb.820:
	v_mul_hi_u32 v0, s29, v8
	s_andn2_b64 vcc, exec, s[46:47]
	v_add_u32_e32 v0, v8, v0
	v_lshrrev_b32_e32 v1, s30, v0
	v_mul_lo_u32 v0, v1, s28
	v_sub_u32_e32 v2, v8, v0
	v_mul_lo_u32 v0, v2, s36
	v_mul_lo_u32 v2, v2, s37
	s_cbranch_vccnz .LBB103_822
; %bb.821:
	s_waitcnt vmcnt(0)
	v_mul_hi_u32 v3, s44, v1
	v_add_u32_e32 v3, v1, v3
	v_lshrrev_b32_e32 v3, s45, v3
	v_mul_lo_u32 v3, v3, s31
	v_sub_u32_e32 v3, v1, v3
	v_mad_u64_u32 v[0:1], s[0:1], v3, s38, v[0:1]
	v_mad_u64_u32 v[2:3], s[0:1], v3, s39, v[2:3]
.LBB103_822:
	s_waitcnt vmcnt(0)
	v_mov_b32_e32 v3, s27
	s_and_b32 s12, 0xffff, s75
	v_add_co_u32_e32 v1, vcc, s26, v2
	s_cmp_lt_i32 s12, 11
	v_addc_co_u32_e32 v2, vcc, 0, v3, vcc
	s_cbranch_scc1 .LBB103_829
; %bb.823:
	s_cmp_gt_i32 s12, 25
	s_mov_b64 s[2:3], 0
	s_cbranch_scc0 .LBB103_830
; %bb.824:
	s_cmp_gt_i32 s12, 28
	s_cbranch_scc0 .LBB103_831
; %bb.825:
	s_cmp_gt_i32 s12, 43
	;; [unrolled: 3-line block ×3, first 2 shown]
	s_cbranch_scc0 .LBB103_835
; %bb.827:
	s_cmp_eq_u32 s12, 46
	s_mov_b64 s[10:11], 0
	s_cbranch_scc0 .LBB103_838
; %bb.828:
	global_load_dword v3, v[1:2], off
	s_mov_b64 s[0:1], 0
	s_mov_b64 s[8:9], -1
	s_waitcnt vmcnt(0)
	v_lshlrev_b32_e32 v3, 16, v3
	v_cvt_i32_f32_e32 v3, v3
	s_branch .LBB103_839
.LBB103_829:
	s_mov_b64 s[12:13], -1
	s_mov_b64 s[8:9], 0
	s_mov_b64 s[2:3], 0
	;; [unrolled: 1-line block ×3, first 2 shown]
                                        ; implicit-def: $vgpr3
	s_branch .LBB103_898
.LBB103_830:
	s_mov_b64 s[10:11], -1
	s_mov_b64 s[8:9], 0
	s_mov_b64 s[0:1], s[66:67]
                                        ; implicit-def: $vgpr3
	s_branch .LBB103_866
.LBB103_831:
	s_mov_b64 s[10:11], -1
	s_mov_b64 s[8:9], 0
	s_mov_b64 s[0:1], s[66:67]
                                        ; implicit-def: $vgpr3
	s_branch .LBB103_849
.LBB103_832:
	s_mov_b64 s[10:11], -1
	s_mov_b64 s[8:9], 0
	s_mov_b64 s[0:1], s[66:67]
                                        ; implicit-def: $vgpr3
	s_branch .LBB103_844
.LBB103_833:
	s_andn2_saveexec_b64 s[12:13], s[12:13]
	s_cbranch_execz .LBB103_713
.LBB103_834:
	s_mov_b32 s16, 0x46000000
	v_add_f32_e64 v3, |v2|, s16
	v_and_b32_e32 v3, 0xff, v3
	v_cmp_ne_u32_e32 vcc, 0, v3
	s_andn2_b64 s[10:11], s[10:11], exec
	s_and_b64 s[16:17], vcc, exec
	s_or_b64 s[10:11], s[10:11], s[16:17]
	s_or_b64 exec, exec, s[12:13]
	v_mov_b32_e32 v5, 0
	s_and_saveexec_b64 s[12:13], s[10:11]
	s_cbranch_execnz .LBB103_714
	s_branch .LBB103_715
.LBB103_835:
	s_mov_b64 s[10:11], -1
	s_mov_b64 s[8:9], 0
	s_mov_b64 s[0:1], s[66:67]
                                        ; implicit-def: $vgpr3
	s_branch .LBB103_839
.LBB103_836:
	s_andn2_saveexec_b64 s[12:13], s[12:13]
	s_cbranch_execz .LBB103_726
.LBB103_837:
	s_mov_b32 s16, 0x42800000
	v_add_f32_e64 v3, |v2|, s16
	v_and_b32_e32 v3, 0xff, v3
	v_cmp_ne_u32_e32 vcc, 0, v3
	s_andn2_b64 s[10:11], s[10:11], exec
	s_and_b64 s[16:17], vcc, exec
	s_or_b64 s[10:11], s[10:11], s[16:17]
	s_or_b64 exec, exec, s[12:13]
	v_mov_b32_e32 v5, 0
	s_and_saveexec_b64 s[12:13], s[10:11]
	s_cbranch_execnz .LBB103_727
	s_branch .LBB103_728
.LBB103_838:
	s_mov_b64 s[0:1], -1
                                        ; implicit-def: $vgpr3
	s_mov_b64 s[8:9], 0
.LBB103_839:
	s_and_b64 vcc, exec, s[10:11]
	s_cbranch_vccz .LBB103_843
; %bb.840:
	s_cmp_eq_u32 s12, 44
	s_cbranch_scc0 .LBB103_842
; %bb.841:
	global_load_ubyte v3, v[1:2], off
	s_mov_b64 s[0:1], 0
	s_mov_b64 s[8:9], -1
	s_waitcnt vmcnt(0)
	v_lshlrev_b32_e32 v4, 23, v3
	v_cvt_i32_f32_e32 v4, v4
	v_cmp_ne_u32_e32 vcc, 0, v3
	v_cndmask_b32_e32 v3, 0, v4, vcc
	s_branch .LBB103_843
.LBB103_842:
	s_mov_b64 s[0:1], -1
                                        ; implicit-def: $vgpr3
.LBB103_843:
	s_mov_b64 s[10:11], 0
.LBB103_844:
	s_and_b64 vcc, exec, s[10:11]
	s_cbranch_vccz .LBB103_848
; %bb.845:
	s_cmp_eq_u32 s12, 29
	s_cbranch_scc0 .LBB103_847
; %bb.846:
	global_load_dwordx2 v[3:4], v[1:2], off
	s_mov_b64 s[0:1], 0
	s_mov_b64 s[8:9], -1
	s_branch .LBB103_848
.LBB103_847:
	s_mov_b64 s[0:1], -1
                                        ; implicit-def: $vgpr3
.LBB103_848:
	s_mov_b64 s[10:11], 0
.LBB103_849:
	s_and_b64 vcc, exec, s[10:11]
	s_cbranch_vccz .LBB103_865
; %bb.850:
	s_cmp_lt_i32 s12, 27
	s_cbranch_scc1 .LBB103_853
; %bb.851:
	s_cmp_gt_i32 s12, 27
	s_cbranch_scc0 .LBB103_854
; %bb.852:
	global_load_dword v3, v[1:2], off
	s_mov_b64 s[8:9], 0
	s_branch .LBB103_855
.LBB103_853:
	s_mov_b64 s[8:9], -1
                                        ; implicit-def: $vgpr3
	s_branch .LBB103_858
.LBB103_854:
	s_mov_b64 s[8:9], -1
                                        ; implicit-def: $vgpr3
.LBB103_855:
	s_andn2_b64 vcc, exec, s[8:9]
	s_cbranch_vccnz .LBB103_857
; %bb.856:
	global_load_ushort v3, v[1:2], off
.LBB103_857:
	s_mov_b64 s[8:9], 0
.LBB103_858:
	s_andn2_b64 vcc, exec, s[8:9]
	s_cbranch_vccnz .LBB103_864
; %bb.859:
	global_load_ubyte v4, v[1:2], off
	s_movk_i32 s8, 0x7f
	s_mov_b64 s[10:11], 0
	s_waitcnt vmcnt(0)
	v_cmp_lt_i16_e32 vcc, s8, v4
	s_and_saveexec_b64 s[8:9], vcc
	s_xor_b64 s[8:9], exec, s[8:9]
	s_cbranch_execz .LBB103_876
; %bb.860:
	s_movk_i32 s10, 0x80
	v_cmp_ne_u16_e32 vcc, s10, v4
	s_and_b64 s[10:11], vcc, exec
	s_andn2_saveexec_b64 s[8:9], s[8:9]
	s_cbranch_execnz .LBB103_877
.LBB103_861:
	s_or_b64 exec, exec, s[8:9]
	v_mov_b32_e32 v3, 0
	s_and_saveexec_b64 s[8:9], s[10:11]
	s_cbranch_execz .LBB103_863
.LBB103_862:
	v_lshlrev_b32_e32 v3, 24, v4
	v_and_b32_e32 v4, 0xffff, v4
	v_and_b32_e32 v5, 7, v4
	v_ffbh_u32_e32 v7, v5
	v_min_u32_e32 v7, 32, v7
	v_subrev_u32_e32 v8, 28, v7
	v_bfe_u32 v6, v4, 3, 4
	v_lshlrev_b32_e32 v4, v8, v4
	v_sub_u32_e32 v7, 29, v7
	v_and_b32_e32 v4, 7, v4
	v_cmp_eq_u32_e32 vcc, 0, v6
	v_cndmask_b32_e32 v6, v6, v7, vcc
	v_cndmask_b32_e32 v4, v5, v4, vcc
	v_mov_b32_e32 v5, 0x3b800000
	v_lshlrev_b32_e32 v4, 20, v4
	v_and_b32_e32 v3, 0x80000000, v3
	v_lshl_add_u32 v5, v6, 23, v5
	v_or3_b32 v3, v3, v5, v4
	v_cvt_i32_f32_e32 v3, v3
.LBB103_863:
	s_or_b64 exec, exec, s[8:9]
.LBB103_864:
	s_mov_b64 s[8:9], -1
.LBB103_865:
	s_mov_b64 s[10:11], 0
.LBB103_866:
	s_and_b64 vcc, exec, s[10:11]
	s_cbranch_vccz .LBB103_897
; %bb.867:
	s_cmp_gt_i32 s12, 22
	s_cbranch_scc0 .LBB103_875
; %bb.868:
	s_cmp_lt_i32 s12, 24
	s_cbranch_scc1 .LBB103_878
; %bb.869:
	s_cmp_gt_i32 s12, 24
	s_cbranch_scc0 .LBB103_879
; %bb.870:
	global_load_ubyte v4, v[1:2], off
	s_movk_i32 s2, 0x7f
	s_mov_b64 s[8:9], 0
	s_waitcnt vmcnt(0)
	v_cmp_lt_i16_e32 vcc, s2, v4
	s_and_saveexec_b64 s[2:3], vcc
	s_xor_b64 s[2:3], exec, s[2:3]
	s_cbranch_execz .LBB103_891
; %bb.871:
	s_movk_i32 s8, 0x80
	v_cmp_ne_u16_e32 vcc, s8, v4
	s_and_b64 s[8:9], vcc, exec
	s_andn2_saveexec_b64 s[2:3], s[2:3]
	s_cbranch_execnz .LBB103_892
.LBB103_872:
	s_or_b64 exec, exec, s[2:3]
	v_mov_b32_e32 v3, 0
	s_and_saveexec_b64 s[2:3], s[8:9]
	s_cbranch_execz .LBB103_874
.LBB103_873:
	v_lshlrev_b32_e32 v3, 24, v4
	v_and_b32_e32 v4, 0xffff, v4
	v_and_b32_e32 v5, 3, v4
	v_ffbh_u32_e32 v7, v5
	v_min_u32_e32 v7, 32, v7
	v_subrev_u32_e32 v8, 29, v7
	v_bfe_u32 v6, v4, 2, 5
	v_lshlrev_b32_e32 v4, v8, v4
	v_sub_u32_e32 v7, 30, v7
	v_and_b32_e32 v4, 3, v4
	v_cmp_eq_u32_e32 vcc, 0, v6
	v_cndmask_b32_e32 v6, v6, v7, vcc
	v_cndmask_b32_e32 v4, v5, v4, vcc
	v_mov_b32_e32 v5, 0x37800000
	v_lshlrev_b32_e32 v4, 21, v4
	v_and_b32_e32 v3, 0x80000000, v3
	v_lshl_add_u32 v5, v6, 23, v5
	v_or3_b32 v3, v3, v5, v4
	v_cvt_i32_f32_e32 v3, v3
.LBB103_874:
	s_or_b64 exec, exec, s[2:3]
	s_mov_b64 s[2:3], 0
	s_branch .LBB103_880
.LBB103_875:
	s_mov_b64 s[2:3], -1
                                        ; implicit-def: $vgpr3
	s_branch .LBB103_886
.LBB103_876:
	s_andn2_saveexec_b64 s[8:9], s[8:9]
	s_cbranch_execz .LBB103_861
.LBB103_877:
	v_cmp_ne_u16_e32 vcc, 0, v4
	s_andn2_b64 s[10:11], s[10:11], exec
	s_and_b64 s[14:15], vcc, exec
	s_or_b64 s[10:11], s[10:11], s[14:15]
	s_or_b64 exec, exec, s[8:9]
	v_mov_b32_e32 v3, 0
	s_and_saveexec_b64 s[8:9], s[10:11]
	s_cbranch_execnz .LBB103_862
	s_branch .LBB103_863
.LBB103_878:
	s_mov_b64 s[2:3], -1
                                        ; implicit-def: $vgpr3
	s_branch .LBB103_883
.LBB103_879:
	s_mov_b64 s[2:3], -1
                                        ; implicit-def: $vgpr3
.LBB103_880:
	s_and_b64 vcc, exec, s[2:3]
	s_cbranch_vccz .LBB103_882
; %bb.881:
	global_load_ubyte v3, v[1:2], off
	s_mov_b32 s2, 0x7f800000
	s_waitcnt vmcnt(0)
	v_lshlrev_b32_e32 v3, 24, v3
	v_and_b32_e32 v4, 0x7f000000, v3
	v_ffbh_u32_e32 v5, v4
	v_min_u32_e32 v5, 32, v5
	v_sub_u32_e64 v5, v5, 4 clamp
	v_lshlrev_b32_e32 v7, v5, v4
	v_lshlrev_b32_e32 v5, 23, v5
	v_lshrrev_b32_e32 v7, 4, v7
	v_add_u32_e32 v6, 0x1000000, v4
	v_sub_u32_e32 v5, v7, v5
	v_ashrrev_i32_e32 v6, 8, v6
	v_add_u32_e32 v5, 0x3c000000, v5
	v_and_or_b32 v5, v6, s2, v5
	v_cmp_ne_u32_e32 vcc, 0, v4
	v_cndmask_b32_e32 v4, 0, v5, vcc
	s_brev_b32 s2, 1
	v_and_or_b32 v3, v3, s2, v4
	v_cvt_i32_f32_e32 v3, v3
.LBB103_882:
	s_mov_b64 s[2:3], 0
.LBB103_883:
	s_andn2_b64 vcc, exec, s[2:3]
	s_cbranch_vccnz .LBB103_885
; %bb.884:
	global_load_ubyte v3, v[1:2], off
	s_movk_i32 s2, 0x7f00
	s_brev_b32 s3, 16
	s_waitcnt vmcnt(0)
	v_lshlrev_b16_e32 v4, 8, v3
	v_lshlrev_b32_e32 v3, 25, v3
	v_lshrrev_b32_e32 v5, 4, v3
	v_and_or_b32 v6, v4, s2, 0.5
	v_or_b32_e32 v5, 0x70000000, v5
	v_add_f32_e32 v6, -0.5, v6
	v_mul_f32_e32 v5, 0x7800000, v5
	v_cmp_gt_u32_e32 vcc, s3, v3
	v_bfe_i32 v4, v4, 0, 16
	v_cndmask_b32_e32 v3, v5, v6, vcc
	s_brev_b32 s2, 1
	v_and_or_b32 v3, v4, s2, v3
	v_cvt_i32_f32_e32 v3, v3
.LBB103_885:
	s_mov_b64 s[2:3], 0
	s_mov_b64 s[8:9], -1
.LBB103_886:
	s_andn2_b64 vcc, exec, s[2:3]
	s_mov_b64 s[2:3], 0
	s_cbranch_vccnz .LBB103_897
; %bb.887:
	s_cmp_gt_i32 s12, 14
	s_cbranch_scc0 .LBB103_890
; %bb.888:
	s_cmp_eq_u32 s12, 15
	s_cbranch_scc0 .LBB103_893
; %bb.889:
	global_load_ushort v3, v[1:2], off
	s_mov_b64 s[0:1], 0
	s_mov_b64 s[8:9], -1
	s_waitcnt vmcnt(0)
	v_lshlrev_b32_e32 v3, 16, v3
	v_cvt_i32_f32_e32 v3, v3
	s_branch .LBB103_894
.LBB103_890:
	s_mov_b64 s[10:11], -1
                                        ; implicit-def: $vgpr3
	s_branch .LBB103_895
.LBB103_891:
	s_andn2_saveexec_b64 s[2:3], s[2:3]
	s_cbranch_execz .LBB103_872
.LBB103_892:
	v_cmp_ne_u16_e32 vcc, 0, v4
	s_andn2_b64 s[8:9], s[8:9], exec
	s_and_b64 s[10:11], vcc, exec
	s_or_b64 s[8:9], s[8:9], s[10:11]
	s_or_b64 exec, exec, s[2:3]
	v_mov_b32_e32 v3, 0
	s_and_saveexec_b64 s[2:3], s[8:9]
	s_cbranch_execnz .LBB103_873
	s_branch .LBB103_874
.LBB103_893:
	s_mov_b64 s[0:1], -1
                                        ; implicit-def: $vgpr3
.LBB103_894:
	s_mov_b64 s[10:11], 0
.LBB103_895:
	s_and_b64 vcc, exec, s[10:11]
	s_cbranch_vccz .LBB103_897
; %bb.896:
	s_cmp_lg_u32 s12, 11
	s_cselect_b64 s[10:11], -1, 0
	s_andn2_b64 s[0:1], s[0:1], exec
	s_and_b64 s[10:11], s[10:11], exec
	s_mov_b64 s[2:3], -1
	s_or_b64 s[0:1], s[0:1], s[10:11]
.LBB103_897:
	s_mov_b64 s[12:13], 0
.LBB103_898:
	s_and_b64 s[10:11], s[8:9], exec
	s_and_b64 s[8:9], s[12:13], exec
	s_andn2_b64 s[12:13], s[66:67], exec
	s_and_b64 s[0:1], s[0:1], exec
	s_and_b64 s[2:3], s[2:3], exec
	s_or_b64 s[12:13], s[12:13], s[0:1]
.LBB103_899:
	s_or_b64 exec, exec, s[70:71]
	s_and_b64 s[0:1], s[2:3], exec
	s_andn2_b64 s[2:3], s[66:67], exec
	s_and_b64 s[12:13], s[12:13], exec
	s_and_b64 s[10:11], s[10:11], exec
	;; [unrolled: 1-line block ×3, first 2 shown]
	s_or_b64 s[66:67], s[2:3], s[12:13]
.LBB103_900:
	s_or_b64 exec, exec, s[64:65]
	s_andn2_b64 s[2:3], s[60:61], exec
	s_and_b64 s[12:13], s[68:69], exec
	s_or_b64 s[60:61], s[2:3], s[12:13]
	s_and_b64 s[2:3], s[0:1], exec
	s_andn2_b64 s[0:1], s[58:59], exec
	s_and_b64 s[12:13], s[66:67], exec
	s_and_b64 s[10:11], s[10:11], exec
	s_and_b64 s[8:9], s[8:9], exec
	s_or_b64 s[58:59], s[0:1], s[12:13]
.LBB103_901:
	s_or_b64 exec, exec, s[62:63]
	s_andn2_b64 s[0:1], s[52:53], exec
	s_and_b64 s[12:13], s[60:61], exec
	s_or_b64 s[52:53], s[0:1], s[12:13]
	s_and_b64 s[0:1], s[10:11], exec
	s_and_b64 s[10:11], s[8:9], exec
	;; [unrolled: 1-line block ×3, first 2 shown]
	s_andn2_b64 s[2:3], s[54:55], exec
	s_and_b64 s[8:9], s[58:59], exec
	s_or_b64 s[54:55], s[2:3], s[8:9]
	s_or_b64 exec, exec, s[56:57]
	s_mov_b64 s[2:3], 0
	s_and_saveexec_b64 s[8:9], s[54:55]
	s_cbranch_execz .LBB103_270
.LBB103_902:
	s_mov_b64 s[2:3], exec
	s_andn2_b64 s[60:61], s[60:61], exec
	s_trap 2
	s_or_b64 exec, exec, s[8:9]
	s_and_saveexec_b64 s[8:9], s[60:61]
	s_xor_b64 s[8:9], exec, s[8:9]
	s_cbranch_execnz .LBB103_271
.LBB103_903:
	s_or_b64 exec, exec, s[8:9]
	s_and_saveexec_b64 s[8:9], s[10:11]
	s_cbranch_execz .LBB103_949
.LBB103_904:
	s_sext_i32_i16 s10, s75
	s_cmp_lt_i32 s10, 5
	s_cbranch_scc1 .LBB103_909
; %bb.905:
	s_cmp_lt_i32 s10, 8
	s_cbranch_scc1 .LBB103_910
; %bb.906:
	;; [unrolled: 3-line block ×3, first 2 shown]
	s_cmp_gt_i32 s10, 9
	s_cbranch_scc0 .LBB103_912
; %bb.908:
	global_load_dwordx2 v[3:4], v[1:2], off
	s_mov_b64 s[10:11], 0
	s_waitcnt vmcnt(0)
	v_cvt_i32_f64_e32 v3, v[3:4]
	s_branch .LBB103_913
.LBB103_909:
                                        ; implicit-def: $vgpr3
	s_branch .LBB103_930
.LBB103_910:
                                        ; implicit-def: $vgpr3
	s_branch .LBB103_919
.LBB103_911:
	s_mov_b64 s[10:11], -1
                                        ; implicit-def: $vgpr3
	s_branch .LBB103_916
.LBB103_912:
	s_mov_b64 s[10:11], -1
                                        ; implicit-def: $vgpr3
.LBB103_913:
	s_andn2_b64 vcc, exec, s[10:11]
	s_cbranch_vccnz .LBB103_915
; %bb.914:
	global_load_dword v3, v[1:2], off
	s_waitcnt vmcnt(0)
	v_cvt_i32_f32_e32 v3, v3
.LBB103_915:
	s_mov_b64 s[10:11], 0
.LBB103_916:
	s_andn2_b64 vcc, exec, s[10:11]
	s_cbranch_vccnz .LBB103_918
; %bb.917:
	global_load_dword v3, v[1:2], off
	s_waitcnt vmcnt(0)
	v_cvt_i16_f16_e32 v3, v3
.LBB103_918:
	s_cbranch_execnz .LBB103_929
.LBB103_919:
	s_sext_i32_i16 s10, s75
	s_cmp_lt_i32 s10, 6
	s_cbranch_scc1 .LBB103_922
; %bb.920:
	s_cmp_gt_i32 s10, 6
	s_cbranch_scc0 .LBB103_923
; %bb.921:
	global_load_dwordx2 v[3:4], v[1:2], off
	s_mov_b64 s[10:11], 0
	s_waitcnt vmcnt(0)
	v_cvt_i32_f64_e32 v3, v[3:4]
	s_branch .LBB103_924
.LBB103_922:
	s_mov_b64 s[10:11], -1
                                        ; implicit-def: $vgpr3
	s_branch .LBB103_927
.LBB103_923:
	s_mov_b64 s[10:11], -1
                                        ; implicit-def: $vgpr3
.LBB103_924:
	s_andn2_b64 vcc, exec, s[10:11]
	s_cbranch_vccnz .LBB103_926
; %bb.925:
	global_load_dword v3, v[1:2], off
	s_waitcnt vmcnt(0)
	v_cvt_i32_f32_e32 v3, v3
.LBB103_926:
	s_mov_b64 s[10:11], 0
.LBB103_927:
	s_andn2_b64 vcc, exec, s[10:11]
	s_cbranch_vccnz .LBB103_929
; %bb.928:
	global_load_ushort v3, v[1:2], off
	s_waitcnt vmcnt(0)
	v_cvt_i16_f16_e32 v3, v3
.LBB103_929:
	s_cbranch_execnz .LBB103_948
.LBB103_930:
	s_sext_i32_i16 s10, s75
	s_cmp_lt_i32 s10, 2
	s_cbranch_scc1 .LBB103_934
; %bb.931:
	s_cmp_lt_i32 s10, 3
	s_cbranch_scc1 .LBB103_935
; %bb.932:
	s_cmp_gt_i32 s10, 3
	s_cbranch_scc0 .LBB103_936
; %bb.933:
	global_load_dwordx2 v[3:4], v[1:2], off
	s_mov_b64 s[10:11], 0
	s_branch .LBB103_937
.LBB103_934:
                                        ; implicit-def: $vgpr3
	s_branch .LBB103_943
.LBB103_935:
	s_mov_b64 s[10:11], -1
                                        ; implicit-def: $vgpr3
	s_branch .LBB103_940
.LBB103_936:
	s_mov_b64 s[10:11], -1
                                        ; implicit-def: $vgpr3
.LBB103_937:
	s_andn2_b64 vcc, exec, s[10:11]
	s_cbranch_vccnz .LBB103_939
; %bb.938:
	global_load_dword v3, v[1:2], off
.LBB103_939:
	s_mov_b64 s[10:11], 0
.LBB103_940:
	s_andn2_b64 vcc, exec, s[10:11]
	s_cbranch_vccnz .LBB103_942
; %bb.941:
	global_load_ushort v3, v[1:2], off
.LBB103_942:
	s_cbranch_execnz .LBB103_948
.LBB103_943:
	s_sext_i32_i16 s10, s75
	s_cmp_gt_i32 s10, 0
	s_cbranch_scc0 .LBB103_945
; %bb.944:
	global_load_sbyte v3, v[1:2], off
	s_mov_b64 s[10:11], 0
	s_branch .LBB103_946
.LBB103_945:
	s_mov_b64 s[10:11], -1
                                        ; implicit-def: $vgpr3
.LBB103_946:
	s_andn2_b64 vcc, exec, s[10:11]
	s_cbranch_vccnz .LBB103_948
; %bb.947:
	global_load_ubyte v3, v[1:2], off
.LBB103_948:
	s_or_b64 s[0:1], s[0:1], exec
.LBB103_949:
	s_or_b64 exec, exec, s[8:9]
	s_mov_b64 s[12:13], 0
	s_mov_b64 s[10:11], 0
                                        ; implicit-def: $sgpr18
                                        ; implicit-def: $vgpr1_vgpr2
                                        ; implicit-def: $vgpr4
	s_and_saveexec_b64 s[8:9], s[0:1]
	s_cbranch_execz .LBB103_957
; %bb.950:
	s_waitcnt vmcnt(0)
	v_lshlrev_b32_sdwa v1, v3, s74 dst_sel:DWORD dst_unused:UNUSED_PAD src0_sel:WORD_0 src1_sel:DWORD
	v_cmp_gt_u16_e32 vcc, 16, v3
	v_cndmask_b32_e32 v4, 0, v1, vcc
	v_mov_b32_e32 v2, s25
	s_and_b32 s18, s73, 0xff
	v_add_co_u32_e32 v1, vcc, s24, v0
	s_cmp_lt_i32 s18, 11
	v_addc_co_u32_e32 v2, vcc, 0, v2, vcc
	s_cbranch_scc1 .LBB103_960
; %bb.951:
	s_and_b32 s19, 0xffff, s18
	s_mov_b64 s[12:13], -1
	s_cmp_gt_i32 s19, 25
	s_mov_b64 s[0:1], s[52:53]
	s_cbranch_scc0 .LBB103_988
; %bb.952:
	s_mov_b64 s[10:11], -1
	s_cmp_gt_i32 s19, 28
	s_mov_b64 s[0:1], s[52:53]
	s_cbranch_scc0 .LBB103_972
; %bb.953:
	s_cmp_gt_i32 s19, 43
	s_mov_b64 s[0:1], s[52:53]
	s_cbranch_scc0 .LBB103_968
; %bb.954:
	;; [unrolled: 4-line block ×3, first 2 shown]
	s_cmp_eq_u32 s19, 46
	s_mov_b64 s[0:1], -1
	s_cbranch_scc0 .LBB103_961
; %bb.956:
	v_cvt_f32_i32_sdwa v0, sext(v4) dst_sel:DWORD dst_unused:UNUSED_PAD src0_sel:WORD_0
	s_movk_i32 s0, 0x7fff
	s_mov_b64 s[10:11], 0
	v_bfe_u32 v3, v0, 16, 1
	v_add3_u32 v0, v0, v3, s0
	v_lshrrev_b32_e32 v0, 16, v0
	global_store_dword v[1:2], v0, off
	s_mov_b64 s[0:1], 0
	s_branch .LBB103_962
.LBB103_957:
	s_or_b64 exec, exec, s[8:9]
	s_and_saveexec_b64 s[0:1], s[52:53]
	s_cbranch_execnz .LBB103_1030
.LBB103_958:
	s_or_b64 exec, exec, s[0:1]
	s_and_saveexec_b64 s[0:1], s[12:13]
	s_xor_b64 s[0:1], exec, s[0:1]
	s_cbranch_execz .LBB103_1031
.LBB103_959:
	s_waitcnt vmcnt(0)
	v_cmp_ne_u16_e32 vcc, 0, v4
	v_cndmask_b32_e64 v0, 0, 1, vcc
	global_store_byte v[1:2], v0, off
	s_or_b64 exec, exec, s[0:1]
	s_and_saveexec_b64 s[0:1], s[10:11]
	s_xor_b64 s[0:1], exec, s[0:1]
	s_cbranch_execz .LBB103_1069
	s_branch .LBB103_1032
.LBB103_960:
	s_mov_b64 s[10:11], -1
	s_mov_b64 s[0:1], s[52:53]
	s_branch .LBB103_1029
.LBB103_961:
	s_mov_b64 s[10:11], 0
.LBB103_962:
	s_and_b64 vcc, exec, s[10:11]
	s_cbranch_vccz .LBB103_967
; %bb.963:
	s_cmp_eq_u32 s19, 44
	s_mov_b64 s[0:1], -1
	s_cbranch_scc0 .LBB103_967
; %bb.964:
	v_cvt_f32_i32_sdwa v0, sext(v4) dst_sel:DWORD dst_unused:UNUSED_PAD src0_sel:WORD_0
	s_movk_i32 s0, 0xff
	v_mov_b32_e32 v5, 0xff
	v_bfe_u32 v3, v0, 23, 8
	v_cmp_ne_u32_e32 vcc, s0, v3
	s_and_saveexec_b64 s[10:11], vcc
; %bb.965:
	s_mov_b32 s0, 0x3fffff
	v_lshrrev_b32_e32 v5, 23, v0
	v_and_b32_e32 v6, 0x400000, v0
	v_and_or_b32 v0, v0, s0, v3
	v_cmp_ne_u32_e32 vcc, 0, v6
	v_cmp_ne_u32_e64 s[0:1], 0, v0
	s_and_b64 s[0:1], vcc, s[0:1]
	v_cndmask_b32_e64 v0, 0, 1, s[0:1]
	v_add_u32_e32 v5, v5, v0
; %bb.966:
	s_or_b64 exec, exec, s[10:11]
	s_mov_b64 s[0:1], 0
	global_store_byte v[1:2], v5, off
.LBB103_967:
	s_mov_b64 s[10:11], 0
.LBB103_968:
	s_and_b64 vcc, exec, s[10:11]
	s_cbranch_vccz .LBB103_971
; %bb.969:
	s_cmp_eq_u32 s19, 29
	s_mov_b64 s[0:1], -1
	s_cbranch_scc0 .LBB103_971
; %bb.970:
	v_bfe_i32 v5, v4, 0, 16
	v_ashrrev_i32_e32 v6, 31, v5
	global_store_dwordx2 v[1:2], v[5:6], off
	s_mov_b64 s[0:1], 0
.LBB103_971:
	s_mov_b64 s[10:11], 0
.LBB103_972:
	s_and_b64 vcc, exec, s[10:11]
	s_cbranch_vccz .LBB103_987
; %bb.973:
	s_cmp_lt_i32 s19, 27
	s_mov_b64 s[10:11], -1
	s_cbranch_scc1 .LBB103_979
; %bb.974:
	s_cmp_gt_i32 s19, 27
	s_cbranch_scc0 .LBB103_976
; %bb.975:
	v_bfe_i32 v0, v4, 0, 16
	s_mov_b64 s[10:11], 0
	global_store_dword v[1:2], v0, off
.LBB103_976:
	s_andn2_b64 vcc, exec, s[10:11]
	s_cbranch_vccnz .LBB103_978
; %bb.977:
	global_store_short v[1:2], v4, off
.LBB103_978:
	s_mov_b64 s[10:11], 0
.LBB103_979:
	s_andn2_b64 vcc, exec, s[10:11]
	s_cbranch_vccnz .LBB103_987
; %bb.980:
	v_cvt_f32_i32_sdwa v0, sext(v4) dst_sel:DWORD dst_unused:UNUSED_PAD src0_sel:WORD_0
	s_mov_b32 s10, 0x43800000
	v_mov_b32_e32 v5, 0x80
	v_and_b32_e32 v3, 0x7fffffff, v0
	v_cmp_gt_u32_e32 vcc, s10, v3
	s_and_saveexec_b64 s[10:11], vcc
	s_cbranch_execz .LBB103_986
; %bb.981:
	s_mov_b32 s12, 0x3bffffff
	v_cmp_lt_u32_e32 vcc, s12, v3
	s_mov_b64 s[12:13], 0
                                        ; implicit-def: $vgpr3
	s_and_saveexec_b64 s[14:15], vcc
	s_xor_b64 s[14:15], exec, s[14:15]
	s_cbranch_execz .LBB103_1140
; %bb.982:
	v_bfe_u32 v3, v0, 20, 1
	s_mov_b32 s16, 0x487ffff
	v_add3_u32 v3, v0, v3, s16
	s_mov_b64 s[12:13], exec
	v_lshrrev_b32_e32 v3, 20, v3
	s_andn2_saveexec_b64 s[14:15], s[14:15]
	s_cbranch_execnz .LBB103_1141
.LBB103_983:
	s_or_b64 exec, exec, s[14:15]
	v_mov_b32_e32 v5, 0
	s_and_saveexec_b64 s[14:15], s[12:13]
.LBB103_984:
	v_lshrrev_b32_e32 v0, 24, v0
	s_movk_i32 s12, 0x80
	v_and_or_b32 v5, v0, s12, v3
.LBB103_985:
	s_or_b64 exec, exec, s[14:15]
.LBB103_986:
	s_or_b64 exec, exec, s[10:11]
	global_store_byte v[1:2], v5, off
.LBB103_987:
	s_mov_b64 s[12:13], 0
.LBB103_988:
	s_mov_b64 s[10:11], 0
	s_and_b64 vcc, exec, s[12:13]
	s_cbranch_vccz .LBB103_1028
; %bb.989:
	s_cmp_gt_i32 s19, 22
	s_mov_b64 s[12:13], -1
	s_cbranch_scc0 .LBB103_1021
; %bb.990:
	s_cmp_lt_i32 s19, 24
	s_cbranch_scc1 .LBB103_1010
; %bb.991:
	s_cmp_gt_i32 s19, 24
	s_cbranch_scc0 .LBB103_999
; %bb.992:
	v_cvt_f32_i32_sdwa v0, sext(v4) dst_sel:DWORD dst_unused:UNUSED_PAD src0_sel:WORD_0
	s_mov_b32 s12, 0x47800000
	v_mov_b32_e32 v5, 0x80
	v_and_b32_e32 v3, 0x7fffffff, v0
	v_cmp_gt_u32_e32 vcc, s12, v3
	s_and_saveexec_b64 s[12:13], vcc
	s_cbranch_execz .LBB103_998
; %bb.993:
	s_mov_b32 s14, 0x37ffffff
	v_cmp_lt_u32_e32 vcc, s14, v3
	s_mov_b64 s[14:15], 0
                                        ; implicit-def: $vgpr3
	s_and_saveexec_b64 s[16:17], vcc
	s_xor_b64 s[16:17], exec, s[16:17]
	s_cbranch_execz .LBB103_1260
; %bb.994:
	v_bfe_u32 v3, v0, 21, 1
	s_mov_b32 s20, 0x88fffff
	v_add3_u32 v3, v0, v3, s20
	s_mov_b64 s[14:15], exec
	v_lshrrev_b32_e32 v3, 21, v3
	s_andn2_saveexec_b64 s[16:17], s[16:17]
	s_cbranch_execnz .LBB103_1261
.LBB103_995:
	s_or_b64 exec, exec, s[16:17]
	v_mov_b32_e32 v5, 0
	s_and_saveexec_b64 s[16:17], s[14:15]
.LBB103_996:
	v_lshrrev_b32_e32 v0, 24, v0
	s_movk_i32 s14, 0x80
	v_and_or_b32 v5, v0, s14, v3
.LBB103_997:
	s_or_b64 exec, exec, s[16:17]
.LBB103_998:
	s_or_b64 exec, exec, s[12:13]
	s_mov_b64 s[12:13], 0
	global_store_byte v[1:2], v5, off
.LBB103_999:
	s_and_b64 vcc, exec, s[12:13]
	s_cbranch_vccz .LBB103_1009
; %bb.1000:
	v_cvt_f32_i32_sdwa v0, sext(v4) dst_sel:DWORD dst_unused:UNUSED_PAD src0_sel:WORD_0
	s_mov_b32 s12, 0x43f00000
                                        ; implicit-def: $vgpr3
	v_and_b32_e32 v5, 0x7fffffff, v0
	v_cmp_gt_u32_e32 vcc, s12, v5
	s_and_saveexec_b64 s[12:13], vcc
	s_xor_b64 s[12:13], exec, s[12:13]
	s_cbranch_execz .LBB103_1006
; %bb.1001:
	s_mov_b32 s14, 0x3c7fffff
	v_cmp_lt_u32_e32 vcc, s14, v5
                                        ; implicit-def: $vgpr3
	s_and_saveexec_b64 s[14:15], vcc
	s_xor_b64 s[14:15], exec, s[14:15]
; %bb.1002:
	v_bfe_u32 v3, v0, 20, 1
	s_mov_b32 s16, 0x407ffff
	v_add3_u32 v3, v0, v3, s16
	v_lshrrev_b32_e32 v5, 20, v3
	v_and_b32_e32 v3, 0xff00000, v3
	s_mov_b32 s16, 0x7f00000
	v_mov_b32_e32 v6, 0x7e
	v_cmp_ne_u32_e32 vcc, s16, v3
	v_cndmask_b32_e32 v3, v6, v5, vcc
; %bb.1003:
	s_andn2_saveexec_b64 s[14:15], s[14:15]
; %bb.1004:
	s_mov_b32 s16, 0x46800000
	v_add_f32_e64 v3, |v0|, s16
; %bb.1005:
	s_or_b64 exec, exec, s[14:15]
                                        ; implicit-def: $vgpr5
.LBB103_1006:
	s_andn2_saveexec_b64 s[12:13], s[12:13]
; %bb.1007:
	s_mov_b32 s14, 0x7f800000
	v_mov_b32_e32 v3, 0x7e
	v_mov_b32_e32 v6, 0x7f
	v_cmp_lt_u32_e32 vcc, s14, v5
	v_cndmask_b32_e32 v3, v3, v6, vcc
; %bb.1008:
	s_or_b64 exec, exec, s[12:13]
	v_lshrrev_b32_e32 v0, 24, v0
	s_movk_i32 s12, 0x80
	v_and_or_b32 v0, v0, s12, v3
	global_store_byte v[1:2], v0, off
.LBB103_1009:
	s_mov_b64 s[12:13], 0
.LBB103_1010:
	s_andn2_b64 vcc, exec, s[12:13]
	s_cbranch_vccnz .LBB103_1020
; %bb.1011:
	v_cvt_f32_i32_sdwa v0, sext(v4) dst_sel:DWORD dst_unused:UNUSED_PAD src0_sel:WORD_0
	s_mov_b32 s12, 0x47800000
                                        ; implicit-def: $vgpr3
	v_and_b32_e32 v5, 0x7fffffff, v0
	v_cmp_gt_u32_e32 vcc, s12, v5
	s_and_saveexec_b64 s[12:13], vcc
	s_xor_b64 s[12:13], exec, s[12:13]
	s_cbranch_execz .LBB103_1017
; %bb.1012:
	s_mov_b32 s14, 0x387fffff
	v_cmp_lt_u32_e32 vcc, s14, v5
                                        ; implicit-def: $vgpr3
	s_and_saveexec_b64 s[14:15], vcc
	s_xor_b64 s[14:15], exec, s[14:15]
; %bb.1013:
	v_bfe_u32 v3, v0, 21, 1
	s_mov_b32 s16, 0x80fffff
	v_add3_u32 v3, v0, v3, s16
	v_lshrrev_b32_e32 v3, 21, v3
; %bb.1014:
	s_andn2_saveexec_b64 s[14:15], s[14:15]
; %bb.1015:
	s_mov_b32 s16, 0x43000000
	v_add_f32_e64 v3, |v0|, s16
; %bb.1016:
	s_or_b64 exec, exec, s[14:15]
                                        ; implicit-def: $vgpr5
.LBB103_1017:
	s_andn2_saveexec_b64 s[12:13], s[12:13]
; %bb.1018:
	s_mov_b32 s14, 0x7f800000
	v_mov_b32_e32 v3, 0x7c
	v_mov_b32_e32 v6, 0x7f
	v_cmp_lt_u32_e32 vcc, s14, v5
	v_cndmask_b32_e32 v3, v3, v6, vcc
; %bb.1019:
	s_or_b64 exec, exec, s[12:13]
	v_lshrrev_b32_e32 v0, 24, v0
	s_movk_i32 s12, 0x80
	v_and_or_b32 v0, v0, s12, v3
	global_store_byte v[1:2], v0, off
.LBB103_1020:
	s_mov_b64 s[12:13], 0
.LBB103_1021:
	s_andn2_b64 vcc, exec, s[12:13]
	s_mov_b64 s[12:13], 0
	s_cbranch_vccnz .LBB103_1029
; %bb.1022:
	s_cmp_gt_i32 s19, 14
	s_mov_b64 s[14:15], -1
	s_cbranch_scc0 .LBB103_1026
; %bb.1023:
	s_cmp_eq_u32 s19, 15
	s_mov_b64 s[0:1], -1
	s_cbranch_scc0 .LBB103_1025
; %bb.1024:
	v_cvt_f32_i32_sdwa v0, sext(v4) dst_sel:DWORD dst_unused:UNUSED_PAD src0_sel:WORD_0
	s_movk_i32 s0, 0x7fff
	v_bfe_u32 v3, v0, 16, 1
	v_add3_u32 v0, v0, v3, s0
	global_store_short_d16_hi v[1:2], v0, off
	s_mov_b64 s[0:1], 0
.LBB103_1025:
	s_mov_b64 s[14:15], 0
.LBB103_1026:
	s_and_b64 vcc, exec, s[14:15]
	s_cbranch_vccz .LBB103_1029
; %bb.1027:
	s_cmp_lg_u32 s19, 11
	s_cselect_b64 s[14:15], -1, 0
	s_andn2_b64 s[0:1], s[0:1], exec
	s_and_b64 s[14:15], s[14:15], exec
	s_mov_b64 s[12:13], -1
	s_or_b64 s[0:1], s[0:1], s[14:15]
	s_branch .LBB103_1029
.LBB103_1028:
	s_mov_b64 s[12:13], 0
.LBB103_1029:
	s_andn2_b64 s[14:15], s[52:53], exec
	s_and_b64 s[0:1], s[0:1], exec
	s_and_b64 s[10:11], s[10:11], exec
	;; [unrolled: 1-line block ×3, first 2 shown]
	s_or_b64 s[52:53], s[14:15], s[0:1]
	s_or_b64 exec, exec, s[8:9]
	s_and_saveexec_b64 s[0:1], s[52:53]
	s_cbranch_execz .LBB103_958
.LBB103_1030:
	s_or_b64 s[2:3], s[2:3], exec
	s_andn2_b64 s[12:13], s[12:13], exec
	s_trap 2
	s_or_b64 exec, exec, s[0:1]
	s_and_saveexec_b64 s[0:1], s[12:13]
	s_xor_b64 s[0:1], exec, s[0:1]
	s_cbranch_execnz .LBB103_959
.LBB103_1031:
	s_or_b64 exec, exec, s[0:1]
	s_and_saveexec_b64 s[0:1], s[10:11]
	s_xor_b64 s[0:1], exec, s[0:1]
	s_cbranch_execz .LBB103_1069
.LBB103_1032:
	s_sext_i32_i16 s10, s18
	s_cmp_lt_i32 s10, 5
	s_mov_b64 s[8:9], -1
	s_cbranch_scc1 .LBB103_1053
; %bb.1033:
	s_cmp_lt_i32 s10, 8
	s_cbranch_scc1 .LBB103_1043
; %bb.1034:
	s_cmp_lt_i32 s10, 9
	s_cbranch_scc1 .LBB103_1040
; %bb.1035:
	s_cmp_gt_i32 s10, 9
	s_cbranch_scc0 .LBB103_1037
; %bb.1036:
	s_waitcnt vmcnt(0)
	v_bfe_i32 v0, v4, 0, 16
	v_cvt_f64_i32_e32 v[5:6], v0
	v_mov_b32_e32 v7, 0
	v_mov_b32_e32 v8, v7
	s_mov_b64 s[8:9], 0
	global_store_dwordx4 v[1:2], v[5:8], off
.LBB103_1037:
	s_andn2_b64 vcc, exec, s[8:9]
	s_cbranch_vccnz .LBB103_1039
; %bb.1038:
	s_waitcnt vmcnt(0)
	v_cvt_f32_i32_sdwa v5, sext(v4) dst_sel:DWORD dst_unused:UNUSED_PAD src0_sel:WORD_0
	v_mov_b32_e32 v6, 0
	global_store_dwordx2 v[1:2], v[5:6], off
.LBB103_1039:
	s_mov_b64 s[8:9], 0
.LBB103_1040:
	s_andn2_b64 vcc, exec, s[8:9]
	s_cbranch_vccnz .LBB103_1042
; %bb.1041:
	s_waitcnt vmcnt(0)
	v_cvt_f16_i16_e32 v0, v4
	global_store_dword v[1:2], v0, off
.LBB103_1042:
	s_mov_b64 s[8:9], 0
.LBB103_1043:
	s_andn2_b64 vcc, exec, s[8:9]
	s_cbranch_vccnz .LBB103_1052
; %bb.1044:
	s_sext_i32_i16 s10, s18
	s_cmp_lt_i32 s10, 6
	s_mov_b64 s[8:9], -1
	s_cbranch_scc1 .LBB103_1050
; %bb.1045:
	s_cmp_gt_i32 s10, 6
	s_cbranch_scc0 .LBB103_1047
; %bb.1046:
	s_waitcnt vmcnt(0)
	v_bfe_i32 v0, v4, 0, 16
	v_cvt_f64_i32_e32 v[5:6], v0
	s_mov_b64 s[8:9], 0
	global_store_dwordx2 v[1:2], v[5:6], off
.LBB103_1047:
	s_andn2_b64 vcc, exec, s[8:9]
	s_cbranch_vccnz .LBB103_1049
; %bb.1048:
	s_waitcnt vmcnt(0)
	v_cvt_f32_i32_sdwa v0, sext(v4) dst_sel:DWORD dst_unused:UNUSED_PAD src0_sel:WORD_0
	global_store_dword v[1:2], v0, off
.LBB103_1049:
	s_mov_b64 s[8:9], 0
.LBB103_1050:
	s_andn2_b64 vcc, exec, s[8:9]
	s_cbranch_vccnz .LBB103_1052
; %bb.1051:
	s_waitcnt vmcnt(0)
	v_cvt_f16_i16_e32 v0, v4
	global_store_short v[1:2], v0, off
.LBB103_1052:
	s_mov_b64 s[8:9], 0
.LBB103_1053:
	s_andn2_b64 vcc, exec, s[8:9]
	s_cbranch_vccnz .LBB103_1069
; %bb.1054:
	s_sext_i32_i16 s10, s18
	s_cmp_lt_i32 s10, 2
	s_mov_b64 s[8:9], -1
	s_cbranch_scc1 .LBB103_1064
; %bb.1055:
	s_cmp_lt_i32 s10, 3
	s_cbranch_scc1 .LBB103_1061
; %bb.1056:
	s_cmp_gt_i32 s10, 3
	s_cbranch_scc0 .LBB103_1058
; %bb.1057:
	s_waitcnt vmcnt(0)
	v_bfe_i32 v5, v4, 0, 16
	v_ashrrev_i32_e32 v6, 31, v5
	s_mov_b64 s[8:9], 0
	global_store_dwordx2 v[1:2], v[5:6], off
.LBB103_1058:
	s_andn2_b64 vcc, exec, s[8:9]
	s_cbranch_vccnz .LBB103_1060
; %bb.1059:
	s_waitcnt vmcnt(0)
	v_bfe_i32 v0, v4, 0, 16
	global_store_dword v[1:2], v0, off
.LBB103_1060:
	s_mov_b64 s[8:9], 0
.LBB103_1061:
	s_andn2_b64 vcc, exec, s[8:9]
	s_cbranch_vccnz .LBB103_1063
; %bb.1062:
	s_waitcnt vmcnt(0)
	global_store_short v[1:2], v4, off
.LBB103_1063:
	s_mov_b64 s[8:9], 0
.LBB103_1064:
	s_andn2_b64 vcc, exec, s[8:9]
	s_cbranch_vccnz .LBB103_1069
; %bb.1065:
	s_sext_i32_i16 s8, s18
	s_cmp_gt_i32 s8, 0
	s_mov_b64 s[8:9], -1
	s_cbranch_scc0 .LBB103_1067
; %bb.1066:
	s_mov_b64 s[8:9], 0
	s_waitcnt vmcnt(0)
	global_store_byte v[1:2], v4, off
.LBB103_1067:
	s_andn2_b64 vcc, exec, s[8:9]
	s_cbranch_vccnz .LBB103_1069
; %bb.1068:
	s_waitcnt vmcnt(0)
	global_store_byte v[1:2], v4, off
.LBB103_1069:
	s_or_b64 exec, exec, s[0:1]
	s_and_b64 s[28:29], s[2:3], exec
                                        ; implicit-def: $vgpr15
                                        ; implicit-def: $vgpr8
.LBB103_1070:
	s_or_saveexec_b64 s[30:31], s[42:43]
	s_mov_b64 s[0:1], 0
                                        ; implicit-def: $vgpr0_vgpr1
                                        ; implicit-def: $sgpr14
                                        ; implicit-def: $vgpr2
	s_xor_b64 exec, exec, s[30:31]
	s_cbranch_execz .LBB103_2057
; %bb.1071:
	v_cndmask_b32_e64 v0, 0, 1, s[40:41]
	v_cmp_ne_u32_e64 s[0:1], 1, v0
	s_andn2_b64 vcc, exec, s[40:41]
	s_cbranch_vccnz .LBB103_1077
; %bb.1072:
	s_cmp_lg_u32 s33, 0
	s_mov_b32 s36, 0
	s_cbranch_scc0 .LBB103_1078
; %bb.1073:
	s_min_u32 s37, s72, 15
	s_add_i32 s37, s37, 1
	s_cmp_eq_u32 s72, 2
	s_cbranch_scc1 .LBB103_1079
; %bb.1074:
	s_and_b32 s36, s37, 28
	s_add_u32 s2, s34, 0xc4
	s_addc_u32 s3, s35, 0
	v_mov_b32_e32 v13, 0
	s_mov_b32 s38, 0
	s_mov_b64 s[6:7], s[34:35]
	v_mov_b32_e32 v6, 0
	v_mov_b32_e32 v0, v8
.LBB103_1075:                           ; =>This Inner Loop Header: Depth=1
	s_load_dwordx8 s[16:23], s[6:7], 0x4
	s_load_dwordx4 s[24:27], s[6:7], 0x24
	s_load_dwordx8 s[8:15], s[2:3], 0x0
	s_add_u32 s6, s6, 48
	s_addc_u32 s7, s7, 0
	s_waitcnt lgkmcnt(0)
	v_mul_hi_u32 v1, s17, v0
	s_add_i32 s38, s38, 4
	s_add_u32 s2, s2, 32
	s_addc_u32 s3, s3, 0
	v_add_u32_e32 v1, v0, v1
	v_lshrrev_b32_e32 v1, s18, v1
	v_mul_lo_u32 v2, v1, s16
	s_waitcnt vmcnt(0)
	v_mul_hi_u32 v3, s20, v1
	s_cmp_lg_u32 s36, s38
	v_sub_u32_e32 v0, v0, v2
	v_add_u32_e32 v2, v1, v3
	v_mul_lo_u32 v3, v0, s8
	v_mul_lo_u32 v4, v0, s9
	v_lshrrev_b32_e32 v0, s21, v2
	v_mul_lo_u32 v2, v0, s19
	v_mul_hi_u32 v5, s23, v0
	v_sub_u32_e32 v1, v1, v2
	v_add_u32_e32 v2, v0, v5
	v_lshrrev_b32_e32 v2, s24, v2
	v_mul_hi_u32 v7, s26, v2
	v_mul_lo_u32 v9, v2, s22
	v_mul_lo_u32 v5, v1, s10
	;; [unrolled: 1-line block ×3, first 2 shown]
	v_sub_u32_e32 v9, v0, v9
	v_add_u32_e32 v0, v2, v7
	v_lshrrev_b32_e32 v0, s27, v0
	v_mul_lo_u32 v7, v0, s25
	v_mul_lo_u32 v10, v9, s12
	v_mul_lo_u32 v9, v9, s13
	v_add3_u32 v3, v3, v6, v5
	v_sub_u32_e32 v2, v2, v7
	v_mul_lo_u32 v7, v2, s14
	v_mul_lo_u32 v2, v2, s15
	v_add3_u32 v1, v4, v13, v1
	v_add3_u32 v6, v10, v3, v7
	;; [unrolled: 1-line block ×3, first 2 shown]
	s_cbranch_scc1 .LBB103_1075
; %bb.1076:
	s_and_b32 s8, s37, 3
	s_cmp_eq_u32 s8, 0
	s_cbranch_scc0 .LBB103_1080
	s_branch .LBB103_1082
.LBB103_1077:
                                        ; implicit-def: $vgpr6
                                        ; implicit-def: $vgpr13
	s_branch .LBB103_1083
.LBB103_1078:
	v_mov_b32_e32 v6, 0
	v_mov_b32_e32 v13, 0
	s_branch .LBB103_1082
.LBB103_1079:
	v_mov_b32_e32 v6, 0
	v_mov_b32_e32 v13, 0
	;; [unrolled: 1-line block ×3, first 2 shown]
	s_and_b32 s8, s37, 3
	s_cmp_eq_u32 s8, 0
	s_cbranch_scc1 .LBB103_1082
.LBB103_1080:
	s_lshl_b32 s2, s36, 3
	s_add_u32 s2, s34, s2
	s_addc_u32 s3, s35, 0
	s_add_u32 s2, s2, 0xc4
	s_addc_u32 s3, s3, 0
	s_mul_i32 s6, s36, 12
	s_add_u32 s6, s34, s6
	s_addc_u32 s7, s35, 0
.LBB103_1081:                           ; =>This Inner Loop Header: Depth=1
	s_load_dwordx2 s[10:11], s[6:7], 0x4
	s_load_dword s9, s[6:7], 0xc
	s_load_dwordx2 s[12:13], s[2:3], 0x0
	s_add_u32 s6, s6, 12
	s_addc_u32 s7, s7, 0
	s_waitcnt lgkmcnt(0)
	v_mul_hi_u32 v1, s11, v0
	s_add_u32 s2, s2, 8
	s_addc_u32 s3, s3, 0
	s_add_i32 s8, s8, -1
	v_add_u32_e32 v1, v0, v1
	v_lshrrev_b32_e32 v1, s9, v1
	v_mul_lo_u32 v2, v1, s10
	s_cmp_lg_u32 s8, 0
	v_sub_u32_e32 v0, v0, v2
	v_mad_u64_u32 v[6:7], s[10:11], v0, s12, v[6:7]
	v_mad_u64_u32 v[13:14], s[10:11], v0, s13, v[13:14]
	v_mov_b32_e32 v0, v1
	s_cbranch_scc1 .LBB103_1081
.LBB103_1082:
	s_cbranch_execnz .LBB103_1085
.LBB103_1083:
	s_load_dwordx4 s[8:11], s[34:35], 0x4
	s_load_dwordx2 s[2:3], s[34:35], 0xc4
	s_cmp_lt_u32 s33, 2
	s_waitcnt lgkmcnt(0)
	v_mul_hi_u32 v0, s9, v8
	v_add_u32_e32 v0, v8, v0
	v_lshrrev_b32_e32 v0, s10, v0
	v_mul_lo_u32 v1, v0, s8
	v_sub_u32_e32 v1, v8, v1
	v_mul_lo_u32 v6, v1, s2
	v_mul_lo_u32 v13, v1, s3
	s_cbranch_scc1 .LBB103_1085
; %bb.1084:
	s_load_dwordx4 s[8:11], s[34:35], 0x10
	s_load_dwordx2 s[2:3], s[34:35], 0xcc
	s_waitcnt lgkmcnt(0)
	v_mul_hi_u32 v1, s9, v0
	v_add_u32_e32 v1, v0, v1
	v_lshrrev_b32_e32 v1, s10, v1
	v_mul_lo_u32 v1, v1, s8
	v_sub_u32_e32 v0, v0, v1
	v_mad_u64_u32 v[6:7], s[6:7], v0, s2, v[6:7]
	v_mad_u64_u32 v[13:14], s[2:3], v0, s3, v[13:14]
.LBB103_1085:
	s_and_b64 vcc, exec, s[0:1]
	v_add_u32_e32 v0, 0x80, v8
	s_cbranch_vccnz .LBB103_1091
; %bb.1086:
	s_cmp_lg_u32 s33, 0
	s_mov_b32 s36, 0
	s_cbranch_scc0 .LBB103_1092
; %bb.1087:
	s_min_u32 s37, s72, 15
	s_add_i32 s37, s37, 1
	s_cmp_eq_u32 s72, 2
	s_cbranch_scc1 .LBB103_1093
; %bb.1088:
	s_and_b32 s36, s37, 28
	s_add_u32 s2, s34, 0xc4
	s_addc_u32 s3, s35, 0
	v_mov_b32_e32 v11, 0
	s_mov_b32 s38, 0
	s_mov_b64 s[6:7], s[34:35]
	s_waitcnt vmcnt(0)
	v_mov_b32_e32 v4, 0
	v_mov_b32_e32 v1, v0
.LBB103_1089:                           ; =>This Inner Loop Header: Depth=1
	s_load_dwordx8 s[16:23], s[6:7], 0x4
	s_load_dwordx4 s[24:27], s[6:7], 0x24
	s_load_dwordx8 s[8:15], s[2:3], 0x0
	s_add_u32 s6, s6, 48
	s_addc_u32 s7, s7, 0
	s_waitcnt lgkmcnt(0)
	v_mul_hi_u32 v2, s17, v1
	s_add_i32 s38, s38, 4
	s_add_u32 s2, s2, 32
	s_addc_u32 s3, s3, 0
	v_add_u32_e32 v2, v1, v2
	v_lshrrev_b32_e32 v2, s18, v2
	v_mul_lo_u32 v3, v2, s16
	v_mul_hi_u32 v5, s20, v2
	s_cmp_lg_u32 s36, s38
	v_sub_u32_e32 v1, v1, v3
	v_add_u32_e32 v3, v2, v5
	v_mul_lo_u32 v5, v1, s8
	v_mul_lo_u32 v7, v1, s9
	v_lshrrev_b32_e32 v1, s21, v3
	v_mul_lo_u32 v3, v1, s19
	v_mul_hi_u32 v9, s23, v1
	v_sub_u32_e32 v2, v2, v3
	v_add_u32_e32 v3, v1, v9
	v_lshrrev_b32_e32 v3, s24, v3
	v_mul_hi_u32 v10, s26, v3
	v_mul_lo_u32 v12, v3, s22
	v_mul_lo_u32 v9, v2, s10
	;; [unrolled: 1-line block ×3, first 2 shown]
	v_sub_u32_e32 v12, v1, v12
	v_add_u32_e32 v1, v3, v10
	v_lshrrev_b32_e32 v1, s27, v1
	v_mul_lo_u32 v10, v1, s25
	v_mul_lo_u32 v14, v12, s12
	;; [unrolled: 1-line block ×3, first 2 shown]
	v_add3_u32 v4, v5, v4, v9
	v_sub_u32_e32 v3, v3, v10
	v_mul_lo_u32 v10, v3, s14
	v_mul_lo_u32 v3, v3, s15
	v_add3_u32 v2, v7, v11, v2
	v_add3_u32 v4, v14, v4, v10
	;; [unrolled: 1-line block ×3, first 2 shown]
	s_cbranch_scc1 .LBB103_1089
; %bb.1090:
	s_and_b32 s8, s37, 3
	s_cmp_eq_u32 s8, 0
	s_cbranch_scc0 .LBB103_1094
	s_branch .LBB103_1096
.LBB103_1091:
                                        ; implicit-def: $vgpr4
                                        ; implicit-def: $vgpr11
	s_branch .LBB103_1097
.LBB103_1092:
	s_waitcnt vmcnt(0)
	v_mov_b32_e32 v4, 0
	v_mov_b32_e32 v11, 0
	s_branch .LBB103_1096
.LBB103_1093:
	s_waitcnt vmcnt(0)
	v_mov_b32_e32 v4, 0
	v_mov_b32_e32 v11, 0
	;; [unrolled: 1-line block ×3, first 2 shown]
	s_and_b32 s8, s37, 3
	s_cmp_eq_u32 s8, 0
	s_cbranch_scc1 .LBB103_1096
.LBB103_1094:
	s_lshl_b32 s2, s36, 3
	s_add_u32 s2, s34, s2
	s_addc_u32 s3, s35, 0
	s_add_u32 s2, s2, 0xc4
	s_addc_u32 s3, s3, 0
	s_mul_i32 s6, s36, 12
	s_add_u32 s6, s34, s6
	s_addc_u32 s7, s35, 0
.LBB103_1095:                           ; =>This Inner Loop Header: Depth=1
	s_load_dwordx2 s[10:11], s[6:7], 0x4
	s_load_dword s9, s[6:7], 0xc
	s_load_dwordx2 s[12:13], s[2:3], 0x0
	s_add_u32 s6, s6, 12
	s_addc_u32 s7, s7, 0
	s_waitcnt lgkmcnt(0)
	v_mul_hi_u32 v2, s11, v1
	s_add_u32 s2, s2, 8
	s_addc_u32 s3, s3, 0
	s_add_i32 s8, s8, -1
	v_add_u32_e32 v2, v1, v2
	v_lshrrev_b32_e32 v2, s9, v2
	v_mul_lo_u32 v3, v2, s10
	s_cmp_lg_u32 s8, 0
	v_sub_u32_e32 v1, v1, v3
	v_mad_u64_u32 v[4:5], s[10:11], v1, s12, v[4:5]
	v_mad_u64_u32 v[11:12], s[10:11], v1, s13, v[11:12]
	v_mov_b32_e32 v1, v2
	s_cbranch_scc1 .LBB103_1095
.LBB103_1096:
	s_cbranch_execnz .LBB103_1099
.LBB103_1097:
	s_load_dwordx4 s[8:11], s[34:35], 0x4
	s_load_dwordx2 s[2:3], s[34:35], 0xc4
	s_cmp_lt_u32 s33, 2
	s_waitcnt lgkmcnt(0)
	v_mul_hi_u32 v1, s9, v0
	v_add_u32_e32 v1, v0, v1
	v_lshrrev_b32_e32 v1, s10, v1
	v_mul_lo_u32 v2, v1, s8
	v_sub_u32_e32 v0, v0, v2
	s_waitcnt vmcnt(0)
	v_mul_lo_u32 v4, v0, s2
	v_mul_lo_u32 v11, v0, s3
	s_cbranch_scc1 .LBB103_1099
; %bb.1098:
	s_load_dwordx4 s[8:11], s[34:35], 0x10
	s_load_dwordx2 s[2:3], s[34:35], 0xcc
	s_waitcnt lgkmcnt(0)
	v_mul_hi_u32 v0, s9, v1
	v_add_u32_e32 v0, v1, v0
	v_lshrrev_b32_e32 v0, s10, v0
	v_mul_lo_u32 v0, v0, s8
	v_sub_u32_e32 v0, v1, v0
	v_mad_u64_u32 v[4:5], s[6:7], v0, s2, v[4:5]
	v_mad_u64_u32 v[11:12], s[2:3], v0, s3, v[11:12]
.LBB103_1099:
	s_and_b64 vcc, exec, s[0:1]
	v_add_u32_e32 v0, 0x100, v8
	s_cbranch_vccnz .LBB103_1105
; %bb.1100:
	s_cmp_lg_u32 s33, 0
	s_mov_b32 s36, 0
	s_cbranch_scc0 .LBB103_1106
; %bb.1101:
	s_min_u32 s37, s72, 15
	s_add_i32 s37, s37, 1
	s_cmp_eq_u32 s72, 2
	s_cbranch_scc1 .LBB103_1107
; %bb.1102:
	s_and_b32 s36, s37, 28
	s_add_u32 s2, s34, 0xc4
	s_addc_u32 s3, s35, 0
	v_mov_b32_e32 v9, 0
	s_mov_b32 s38, 0
	s_mov_b64 s[6:7], s[34:35]
	v_mov_b32_e32 v2, 0
	v_mov_b32_e32 v1, v0
.LBB103_1103:                           ; =>This Inner Loop Header: Depth=1
	s_load_dwordx8 s[16:23], s[6:7], 0x4
	s_load_dwordx4 s[24:27], s[6:7], 0x24
	s_load_dwordx8 s[8:15], s[2:3], 0x0
	s_add_u32 s6, s6, 48
	s_addc_u32 s7, s7, 0
	s_waitcnt vmcnt(0) lgkmcnt(0)
	v_mul_hi_u32 v3, s17, v1
	s_add_i32 s38, s38, 4
	s_add_u32 s2, s2, 32
	s_addc_u32 s3, s3, 0
	v_add_u32_e32 v3, v1, v3
	v_lshrrev_b32_e32 v3, s18, v3
	v_mul_lo_u32 v5, v3, s16
	v_mul_hi_u32 v7, s20, v3
	s_cmp_lg_u32 s36, s38
	v_sub_u32_e32 v1, v1, v5
	v_add_u32_e32 v5, v3, v7
	v_mul_lo_u32 v7, v1, s8
	v_mul_lo_u32 v8, v1, s9
	v_lshrrev_b32_e32 v1, s21, v5
	v_mul_lo_u32 v5, v1, s19
	v_mul_hi_u32 v10, s23, v1
	v_sub_u32_e32 v3, v3, v5
	v_add_u32_e32 v5, v1, v10
	v_lshrrev_b32_e32 v5, s24, v5
	v_mul_hi_u32 v12, s26, v5
	v_mul_lo_u32 v14, v5, s22
	v_mul_lo_u32 v10, v3, s10
	;; [unrolled: 1-line block ×3, first 2 shown]
	v_sub_u32_e32 v14, v1, v14
	v_add_u32_e32 v1, v5, v12
	v_lshrrev_b32_e32 v1, s27, v1
	v_mul_lo_u32 v12, v1, s25
	v_mul_lo_u32 v16, v14, s12
	;; [unrolled: 1-line block ×3, first 2 shown]
	v_add3_u32 v2, v7, v2, v10
	v_sub_u32_e32 v5, v5, v12
	v_mul_lo_u32 v12, v5, s14
	v_mul_lo_u32 v5, v5, s15
	v_add3_u32 v3, v8, v9, v3
	v_add3_u32 v2, v16, v2, v12
	;; [unrolled: 1-line block ×3, first 2 shown]
	s_cbranch_scc1 .LBB103_1103
; %bb.1104:
	s_and_b32 s8, s37, 3
	s_cmp_eq_u32 s8, 0
	s_cbranch_scc0 .LBB103_1108
	s_branch .LBB103_1110
.LBB103_1105:
                                        ; implicit-def: $vgpr2
                                        ; implicit-def: $vgpr9
	s_branch .LBB103_1111
.LBB103_1106:
	v_mov_b32_e32 v2, 0
	v_mov_b32_e32 v9, 0
	s_branch .LBB103_1110
.LBB103_1107:
	v_mov_b32_e32 v2, 0
	v_mov_b32_e32 v9, 0
	;; [unrolled: 1-line block ×3, first 2 shown]
	s_and_b32 s8, s37, 3
	s_cmp_eq_u32 s8, 0
	s_cbranch_scc1 .LBB103_1110
.LBB103_1108:
	s_lshl_b32 s2, s36, 3
	s_add_u32 s2, s34, s2
	s_addc_u32 s3, s35, 0
	s_add_u32 s2, s2, 0xc4
	s_addc_u32 s3, s3, 0
	s_mul_i32 s6, s36, 12
	s_add_u32 s6, s34, s6
	s_addc_u32 s7, s35, 0
.LBB103_1109:                           ; =>This Inner Loop Header: Depth=1
	s_load_dwordx2 s[10:11], s[6:7], 0x4
	s_load_dword s9, s[6:7], 0xc
	s_load_dwordx2 s[12:13], s[2:3], 0x0
	s_add_u32 s6, s6, 12
	s_addc_u32 s7, s7, 0
	s_waitcnt vmcnt(0) lgkmcnt(0)
	v_mul_hi_u32 v3, s11, v1
	s_add_u32 s2, s2, 8
	s_addc_u32 s3, s3, 0
	s_add_i32 s8, s8, -1
	v_add_u32_e32 v3, v1, v3
	v_lshrrev_b32_e32 v5, s9, v3
	v_mul_lo_u32 v3, v5, s10
	s_cmp_lg_u32 s8, 0
	v_sub_u32_e32 v1, v1, v3
	v_mad_u64_u32 v[2:3], s[10:11], v1, s12, v[2:3]
	v_mad_u64_u32 v[9:10], s[10:11], v1, s13, v[9:10]
	v_mov_b32_e32 v1, v5
	s_cbranch_scc1 .LBB103_1109
.LBB103_1110:
	s_cbranch_execnz .LBB103_1113
.LBB103_1111:
	s_load_dwordx4 s[8:11], s[34:35], 0x4
	s_load_dwordx2 s[2:3], s[34:35], 0xc4
	s_cmp_lt_u32 s33, 2
	s_waitcnt lgkmcnt(0)
	v_mul_hi_u32 v1, s9, v0
	v_add_u32_e32 v1, v0, v1
	v_lshrrev_b32_e32 v1, s10, v1
	v_mul_lo_u32 v2, v1, s8
	v_sub_u32_e32 v0, v0, v2
	v_mul_lo_u32 v2, v0, s2
	v_mul_lo_u32 v9, v0, s3
	s_cbranch_scc1 .LBB103_1113
; %bb.1112:
	s_load_dwordx4 s[8:11], s[34:35], 0x10
	s_load_dwordx2 s[2:3], s[34:35], 0xcc
	s_waitcnt lgkmcnt(0)
	v_mul_hi_u32 v0, s9, v1
	v_add_u32_e32 v0, v1, v0
	v_lshrrev_b32_e32 v0, s10, v0
	v_mul_lo_u32 v0, v0, s8
	v_sub_u32_e32 v0, v1, v0
	s_waitcnt vmcnt(0)
	v_mad_u64_u32 v[2:3], s[6:7], v0, s2, v[2:3]
	v_mad_u64_u32 v[9:10], s[2:3], v0, s3, v[9:10]
.LBB103_1113:
	s_and_b64 vcc, exec, s[0:1]
	s_cbranch_vccnz .LBB103_1119
; %bb.1114:
	s_cmp_lg_u32 s33, 0
	s_mov_b32 s26, 0
	s_cbranch_scc0 .LBB103_1120
; %bb.1115:
	s_min_u32 s27, s72, 15
	s_add_i32 s27, s27, 1
	s_cmp_eq_u32 s72, 2
	s_cbranch_scc1 .LBB103_1121
; %bb.1116:
	s_and_b32 s26, s27, 28
	s_add_u32 s6, s34, 0xc4
	s_addc_u32 s7, s35, 0
	v_mov_b32_e32 v7, 0
	s_mov_b32 s36, 0
	s_mov_b64 s[24:25], s[34:35]
	v_mov_b32_e32 v0, 0
	v_mov_b32_e32 v1, v15
.LBB103_1117:                           ; =>This Inner Loop Header: Depth=1
	s_load_dwordx8 s[16:23], s[24:25], 0x4
	s_load_dwordx4 s[0:3], s[24:25], 0x24
	s_load_dwordx8 s[8:15], s[6:7], 0x0
	s_add_u32 s24, s24, 48
	s_addc_u32 s25, s25, 0
	s_waitcnt vmcnt(0) lgkmcnt(0)
	v_mul_hi_u32 v3, s17, v1
	s_add_i32 s36, s36, 4
	s_add_u32 s6, s6, 32
	s_addc_u32 s7, s7, 0
	v_add_u32_e32 v3, v1, v3
	v_lshrrev_b32_e32 v3, s18, v3
	v_mul_lo_u32 v5, v3, s16
	v_mul_hi_u32 v8, s20, v3
	s_cmp_lg_u32 s26, s36
	v_sub_u32_e32 v1, v1, v5
	v_add_u32_e32 v5, v3, v8
	v_mul_lo_u32 v8, v1, s8
	v_mul_lo_u32 v10, v1, s9
	v_lshrrev_b32_e32 v1, s21, v5
	v_mul_lo_u32 v5, v1, s19
	v_mul_hi_u32 v12, s23, v1
	v_sub_u32_e32 v3, v3, v5
	v_add_u32_e32 v5, v1, v12
	v_lshrrev_b32_e32 v5, s0, v5
	v_mul_hi_u32 v14, s2, v5
	v_mul_lo_u32 v16, v5, s22
	v_mul_lo_u32 v12, v3, s10
	;; [unrolled: 1-line block ×3, first 2 shown]
	v_sub_u32_e32 v16, v1, v16
	v_add_u32_e32 v1, v5, v14
	v_lshrrev_b32_e32 v1, s3, v1
	v_mul_lo_u32 v14, v1, s1
	v_mul_lo_u32 v17, v16, s12
	;; [unrolled: 1-line block ×3, first 2 shown]
	v_add3_u32 v0, v8, v0, v12
	v_sub_u32_e32 v5, v5, v14
	v_mul_lo_u32 v14, v5, s14
	v_mul_lo_u32 v5, v5, s15
	v_add3_u32 v3, v10, v7, v3
	v_add3_u32 v0, v17, v0, v14
	;; [unrolled: 1-line block ×3, first 2 shown]
	s_cbranch_scc1 .LBB103_1117
; %bb.1118:
	s_and_b32 s6, s27, 3
	s_cmp_eq_u32 s6, 0
	s_cbranch_scc0 .LBB103_1122
	s_branch .LBB103_1124
.LBB103_1119:
                                        ; implicit-def: $vgpr0
                                        ; implicit-def: $vgpr7
	s_branch .LBB103_1125
.LBB103_1120:
	v_mov_b32_e32 v0, 0
	v_mov_b32_e32 v7, 0
	s_branch .LBB103_1124
.LBB103_1121:
	v_mov_b32_e32 v0, 0
	v_mov_b32_e32 v7, 0
	;; [unrolled: 1-line block ×3, first 2 shown]
	s_and_b32 s6, s27, 3
	s_cmp_eq_u32 s6, 0
	s_cbranch_scc1 .LBB103_1124
.LBB103_1122:
	s_lshl_b32 s0, s26, 3
	s_add_u32 s0, s34, s0
	s_addc_u32 s1, s35, 0
	s_add_u32 s0, s0, 0xc4
	s_addc_u32 s1, s1, 0
	s_mul_i32 s2, s26, 12
	s_add_u32 s2, s34, s2
	s_addc_u32 s3, s35, 0
.LBB103_1123:                           ; =>This Inner Loop Header: Depth=1
	s_load_dwordx2 s[8:9], s[2:3], 0x4
	s_load_dword s7, s[2:3], 0xc
	s_load_dwordx2 s[10:11], s[0:1], 0x0
	s_add_u32 s2, s2, 12
	s_addc_u32 s3, s3, 0
	s_waitcnt vmcnt(0) lgkmcnt(0)
	v_mul_hi_u32 v3, s9, v1
	s_add_u32 s0, s0, 8
	s_addc_u32 s1, s1, 0
	s_add_i32 s6, s6, -1
	v_add_u32_e32 v3, v1, v3
	v_lshrrev_b32_e32 v3, s7, v3
	v_mul_lo_u32 v5, v3, s8
	s_cmp_lg_u32 s6, 0
	v_sub_u32_e32 v5, v1, v5
	v_mad_u64_u32 v[0:1], s[8:9], v5, s10, v[0:1]
	v_mad_u64_u32 v[7:8], s[8:9], v5, s11, v[7:8]
	v_mov_b32_e32 v1, v3
	s_cbranch_scc1 .LBB103_1123
.LBB103_1124:
	s_cbranch_execnz .LBB103_1127
.LBB103_1125:
	s_load_dwordx4 s[0:3], s[34:35], 0x4
	s_load_dwordx2 s[6:7], s[34:35], 0xc4
	s_cmp_lt_u32 s33, 2
	s_waitcnt lgkmcnt(0)
	v_mul_hi_u32 v0, s1, v15
	v_add_u32_e32 v0, v15, v0
	v_lshrrev_b32_e32 v1, s2, v0
	v_mul_lo_u32 v0, v1, s0
	s_waitcnt vmcnt(0)
	v_sub_u32_e32 v3, v15, v0
	v_mul_lo_u32 v0, v3, s6
	v_mul_lo_u32 v7, v3, s7
	s_cbranch_scc1 .LBB103_1127
; %bb.1126:
	s_load_dwordx4 s[0:3], s[34:35], 0x10
	s_load_dwordx2 s[6:7], s[34:35], 0xcc
	s_waitcnt lgkmcnt(0)
	v_mul_hi_u32 v3, s1, v1
	v_add_u32_e32 v3, v1, v3
	v_lshrrev_b32_e32 v3, s2, v3
	v_mul_lo_u32 v3, v3, s0
	v_sub_u32_e32 v3, v1, v3
	v_mad_u64_u32 v[0:1], s[0:1], v3, s6, v[0:1]
	v_mad_u64_u32 v[7:8], s[0:1], v3, s7, v[7:8]
.LBB103_1127:
	s_load_dwordx4 s[8:11], s[34:35], 0x148
	s_load_dword s14, s[4:5], 0x164
	s_waitcnt lgkmcnt(0)
	v_mov_b32_e32 v1, s11
	s_bfe_u32 s15, s14, 0x80008
	v_add_co_u32_e32 v15, vcc, s10, v13
	s_cmp_lt_i32 s15, 11
	v_addc_co_u32_e32 v16, vcc, 0, v1, vcc
	s_cbranch_scc1 .LBB103_1134
; %bb.1128:
	s_and_b32 s16, 0xffff, s15
	s_cmp_gt_i32 s16, 25
	s_mov_b64 s[6:7], 0
	s_cbranch_scc0 .LBB103_1136
; %bb.1129:
	s_cmp_gt_i32 s16, 28
	s_cbranch_scc0 .LBB103_1137
; %bb.1130:
	s_cmp_gt_i32 s16, 43
	;; [unrolled: 3-line block ×3, first 2 shown]
	s_cbranch_scc0 .LBB103_1139
; %bb.1132:
	s_cmp_eq_u32 s16, 46
	s_mov_b64 s[2:3], 0
	s_cbranch_scc0 .LBB103_1142
; %bb.1133:
	global_load_dword v1, v[15:16], off
	s_mov_b64 s[0:1], 0
	s_mov_b64 s[12:13], -1
	s_waitcnt vmcnt(0)
	v_lshlrev_b32_e32 v1, 16, v1
	v_cvt_i32_f32_e32 v13, v1
	s_branch .LBB103_1143
.LBB103_1134:
	s_mov_b64 s[12:13], 0
                                        ; implicit-def: $vgpr13
	s_mov_b64 s[2:3], s[28:29]
	s_cbranch_execnz .LBB103_1201
.LBB103_1135:
	s_andn2_b64 vcc, exec, s[12:13]
	s_cbranch_vccz .LBB103_1246
	s_branch .LBB103_2055
.LBB103_1136:
	s_mov_b64 s[12:13], 0
	s_mov_b64 s[0:1], 0
                                        ; implicit-def: $vgpr13
	s_cbranch_execnz .LBB103_1168
	s_branch .LBB103_1197
.LBB103_1137:
	s_mov_b64 s[12:13], 0
	s_mov_b64 s[0:1], 0
                                        ; implicit-def: $vgpr13
	s_cbranch_execz .LBB103_1167
	s_branch .LBB103_1152
.LBB103_1138:
	s_mov_b64 s[12:13], 0
	s_mov_b64 s[0:1], 0
                                        ; implicit-def: $vgpr13
	s_cbranch_execnz .LBB103_1148
	s_branch .LBB103_1151
.LBB103_1139:
	s_mov_b64 s[2:3], -1
	s_mov_b64 s[12:13], 0
	s_mov_b64 s[0:1], 0
                                        ; implicit-def: $vgpr13
	s_branch .LBB103_1143
.LBB103_1140:
	s_andn2_saveexec_b64 s[14:15], s[14:15]
	s_cbranch_execz .LBB103_983
.LBB103_1141:
	s_mov_b32 s16, 0x46000000
	v_add_f32_e64 v3, |v0|, s16
	v_and_b32_e32 v3, 0xff, v3
	v_cmp_ne_u32_e32 vcc, 0, v3
	s_andn2_b64 s[12:13], s[12:13], exec
	s_and_b64 s[16:17], vcc, exec
	s_or_b64 s[12:13], s[12:13], s[16:17]
	s_or_b64 exec, exec, s[14:15]
	v_mov_b32_e32 v5, 0
	s_and_saveexec_b64 s[14:15], s[12:13]
	s_cbranch_execnz .LBB103_984
	s_branch .LBB103_985
.LBB103_1142:
	s_mov_b64 s[0:1], -1
                                        ; implicit-def: $vgpr13
	s_mov_b64 s[12:13], 0
.LBB103_1143:
	s_and_b64 vcc, exec, s[2:3]
	s_cbranch_vccz .LBB103_1146
; %bb.1144:
	s_cmp_eq_u32 s16, 44
	s_cbranch_scc0 .LBB103_1147
; %bb.1145:
	global_load_ubyte v1, v[15:16], off
	s_mov_b64 s[0:1], 0
	s_mov_b64 s[12:13], -1
	s_waitcnt vmcnt(0)
	v_lshlrev_b32_e32 v3, 23, v1
	v_cvt_i32_f32_e32 v3, v3
	v_cmp_ne_u32_e32 vcc, 0, v1
	v_cndmask_b32_e32 v13, 0, v3, vcc
.LBB103_1146:
	s_branch .LBB103_1151
.LBB103_1147:
	s_mov_b64 s[0:1], -1
                                        ; implicit-def: $vgpr13
	s_branch .LBB103_1151
.LBB103_1148:
	s_cmp_eq_u32 s16, 29
	s_cbranch_scc0 .LBB103_1150
; %bb.1149:
	global_load_dwordx2 v[13:14], v[15:16], off
	s_mov_b64 s[0:1], 0
	s_mov_b64 s[12:13], -1
	s_branch .LBB103_1151
.LBB103_1150:
	s_mov_b64 s[0:1], -1
                                        ; implicit-def: $vgpr13
.LBB103_1151:
	s_branch .LBB103_1167
.LBB103_1152:
	s_cmp_lt_i32 s16, 27
	s_cbranch_scc1 .LBB103_1155
; %bb.1153:
	s_cmp_gt_i32 s16, 27
	s_cbranch_scc0 .LBB103_1156
; %bb.1154:
	global_load_dword v13, v[15:16], off
	s_mov_b64 s[2:3], 0
	s_branch .LBB103_1157
.LBB103_1155:
	s_mov_b64 s[2:3], -1
                                        ; implicit-def: $vgpr13
	s_branch .LBB103_1160
.LBB103_1156:
	s_mov_b64 s[2:3], -1
                                        ; implicit-def: $vgpr13
.LBB103_1157:
	s_andn2_b64 vcc, exec, s[2:3]
	s_cbranch_vccnz .LBB103_1159
; %bb.1158:
	global_load_ushort v13, v[15:16], off
.LBB103_1159:
	s_mov_b64 s[2:3], 0
.LBB103_1160:
	s_andn2_b64 vcc, exec, s[2:3]
	s_cbranch_vccnz .LBB103_1166
; %bb.1161:
	global_load_ubyte v1, v[15:16], off
	s_movk_i32 s2, 0x7f
	s_mov_b64 s[12:13], 0
	s_waitcnt vmcnt(0)
	v_cmp_lt_i16_e32 vcc, s2, v1
	s_and_saveexec_b64 s[2:3], vcc
	s_xor_b64 s[2:3], exec, s[2:3]
	s_cbranch_execz .LBB103_1177
; %bb.1162:
	s_movk_i32 s12, 0x80
	v_cmp_ne_u16_e32 vcc, s12, v1
	s_and_b64 s[12:13], vcc, exec
	s_andn2_saveexec_b64 s[2:3], s[2:3]
	s_cbranch_execnz .LBB103_1178
.LBB103_1163:
	s_or_b64 exec, exec, s[2:3]
	v_mov_b32_e32 v13, 0
	s_and_saveexec_b64 s[2:3], s[12:13]
	s_cbranch_execz .LBB103_1165
.LBB103_1164:
	v_lshlrev_b32_e32 v3, 24, v1
	v_and_b32_e32 v1, 0xffff, v1
	v_and_b32_e32 v5, 7, v1
	v_ffbh_u32_e32 v10, v5
	v_min_u32_e32 v10, 32, v10
	v_subrev_u32_e32 v12, 28, v10
	v_bfe_u32 v8, v1, 3, 4
	v_lshlrev_b32_e32 v1, v12, v1
	v_sub_u32_e32 v10, 29, v10
	v_and_b32_e32 v1, 7, v1
	v_cmp_eq_u32_e32 vcc, 0, v8
	v_cndmask_b32_e32 v8, v8, v10, vcc
	v_cndmask_b32_e32 v1, v5, v1, vcc
	v_mov_b32_e32 v5, 0x3b800000
	v_lshlrev_b32_e32 v1, 20, v1
	v_and_b32_e32 v3, 0x80000000, v3
	v_lshl_add_u32 v5, v8, 23, v5
	v_or3_b32 v1, v3, v5, v1
	v_cvt_i32_f32_e32 v13, v1
.LBB103_1165:
	s_or_b64 exec, exec, s[2:3]
.LBB103_1166:
	s_mov_b64 s[12:13], -1
.LBB103_1167:
	s_branch .LBB103_1197
.LBB103_1168:
	s_cmp_gt_i32 s16, 22
	s_cbranch_scc0 .LBB103_1176
; %bb.1169:
	s_cmp_lt_i32 s16, 24
	s_cbranch_scc1 .LBB103_1179
; %bb.1170:
	s_cmp_gt_i32 s16, 24
	s_cbranch_scc0 .LBB103_1180
; %bb.1171:
	global_load_ubyte v1, v[15:16], off
	s_movk_i32 s2, 0x7f
	s_waitcnt vmcnt(0)
	v_cmp_lt_i16_e32 vcc, s2, v1
	s_and_saveexec_b64 s[2:3], vcc
	s_xor_b64 s[2:3], exec, s[2:3]
	s_cbranch_execz .LBB103_1191
; %bb.1172:
	s_movk_i32 s6, 0x80
	v_cmp_ne_u16_e32 vcc, s6, v1
	s_and_b64 s[6:7], vcc, exec
	s_andn2_saveexec_b64 s[2:3], s[2:3]
	s_cbranch_execnz .LBB103_1192
.LBB103_1173:
	s_or_b64 exec, exec, s[2:3]
	v_mov_b32_e32 v13, 0
	s_and_saveexec_b64 s[2:3], s[6:7]
	s_cbranch_execz .LBB103_1175
.LBB103_1174:
	v_lshlrev_b32_e32 v3, 24, v1
	v_and_b32_e32 v1, 0xffff, v1
	v_and_b32_e32 v5, 3, v1
	v_ffbh_u32_e32 v10, v5
	v_min_u32_e32 v10, 32, v10
	v_subrev_u32_e32 v12, 29, v10
	v_bfe_u32 v8, v1, 2, 5
	v_lshlrev_b32_e32 v1, v12, v1
	v_sub_u32_e32 v10, 30, v10
	v_and_b32_e32 v1, 3, v1
	v_cmp_eq_u32_e32 vcc, 0, v8
	v_cndmask_b32_e32 v8, v8, v10, vcc
	v_cndmask_b32_e32 v1, v5, v1, vcc
	v_mov_b32_e32 v5, 0x37800000
	v_lshlrev_b32_e32 v1, 21, v1
	v_and_b32_e32 v3, 0x80000000, v3
	v_lshl_add_u32 v5, v8, 23, v5
	v_or3_b32 v1, v3, v5, v1
	v_cvt_i32_f32_e32 v13, v1
.LBB103_1175:
	s_or_b64 exec, exec, s[2:3]
	s_mov_b64 s[2:3], 0
	s_branch .LBB103_1181
.LBB103_1176:
                                        ; implicit-def: $vgpr13
	s_mov_b64 s[6:7], 0
	s_branch .LBB103_1187
.LBB103_1177:
	s_andn2_saveexec_b64 s[2:3], s[2:3]
	s_cbranch_execz .LBB103_1163
.LBB103_1178:
	v_cmp_ne_u16_e32 vcc, 0, v1
	s_andn2_b64 s[12:13], s[12:13], exec
	s_and_b64 s[18:19], vcc, exec
	s_or_b64 s[12:13], s[12:13], s[18:19]
	s_or_b64 exec, exec, s[2:3]
	v_mov_b32_e32 v13, 0
	s_and_saveexec_b64 s[2:3], s[12:13]
	s_cbranch_execnz .LBB103_1164
	s_branch .LBB103_1165
.LBB103_1179:
	s_mov_b64 s[2:3], -1
                                        ; implicit-def: $vgpr13
	s_branch .LBB103_1184
.LBB103_1180:
	s_mov_b64 s[2:3], -1
                                        ; implicit-def: $vgpr13
.LBB103_1181:
	s_and_b64 vcc, exec, s[2:3]
	s_cbranch_vccz .LBB103_1183
; %bb.1182:
	global_load_ubyte v1, v[15:16], off
	s_mov_b32 s2, 0x7f800000
	s_waitcnt vmcnt(0)
	v_lshlrev_b32_e32 v1, 24, v1
	v_and_b32_e32 v3, 0x7f000000, v1
	v_ffbh_u32_e32 v5, v3
	v_min_u32_e32 v5, 32, v5
	v_sub_u32_e64 v5, v5, 4 clamp
	v_lshlrev_b32_e32 v10, v5, v3
	v_lshlrev_b32_e32 v5, 23, v5
	v_lshrrev_b32_e32 v10, 4, v10
	v_add_u32_e32 v8, 0x1000000, v3
	v_sub_u32_e32 v5, v10, v5
	v_ashrrev_i32_e32 v8, 8, v8
	v_add_u32_e32 v5, 0x3c000000, v5
	v_and_or_b32 v5, v8, s2, v5
	v_cmp_ne_u32_e32 vcc, 0, v3
	v_cndmask_b32_e32 v3, 0, v5, vcc
	s_brev_b32 s2, 1
	v_and_or_b32 v1, v1, s2, v3
	v_cvt_i32_f32_e32 v13, v1
.LBB103_1183:
	s_mov_b64 s[2:3], 0
.LBB103_1184:
	s_andn2_b64 vcc, exec, s[2:3]
	s_cbranch_vccnz .LBB103_1186
; %bb.1185:
	global_load_ubyte v1, v[15:16], off
	s_movk_i32 s2, 0x7f00
	s_brev_b32 s3, 16
	s_waitcnt vmcnt(0)
	v_lshlrev_b16_e32 v3, 8, v1
	v_lshlrev_b32_e32 v1, 25, v1
	v_lshrrev_b32_e32 v5, 4, v1
	v_and_or_b32 v8, v3, s2, 0.5
	v_or_b32_e32 v5, 0x70000000, v5
	v_add_f32_e32 v8, -0.5, v8
	v_mul_f32_e32 v5, 0x7800000, v5
	v_cmp_gt_u32_e32 vcc, s3, v1
	v_bfe_i32 v3, v3, 0, 16
	v_cndmask_b32_e32 v1, v5, v8, vcc
	s_brev_b32 s2, 1
	v_and_or_b32 v1, v3, s2, v1
	v_cvt_i32_f32_e32 v13, v1
.LBB103_1186:
	s_mov_b64 s[12:13], -1
	s_mov_b64 s[6:7], 0
	s_cbranch_execnz .LBB103_1197
.LBB103_1187:
	s_cmp_gt_i32 s16, 14
	s_cbranch_scc0 .LBB103_1190
; %bb.1188:
	s_cmp_eq_u32 s16, 15
	s_cbranch_scc0 .LBB103_1193
; %bb.1189:
	global_load_ushort v1, v[15:16], off
	s_mov_b64 s[0:1], 0
	s_mov_b64 s[12:13], -1
	s_waitcnt vmcnt(0)
	v_lshlrev_b32_e32 v1, 16, v1
	v_cvt_i32_f32_e32 v13, v1
	s_branch .LBB103_1194
.LBB103_1190:
	s_mov_b64 s[2:3], -1
                                        ; implicit-def: $vgpr13
	s_branch .LBB103_1195
.LBB103_1191:
	s_andn2_saveexec_b64 s[2:3], s[2:3]
	s_cbranch_execz .LBB103_1173
.LBB103_1192:
	v_cmp_ne_u16_e32 vcc, 0, v1
	s_andn2_b64 s[6:7], s[6:7], exec
	s_and_b64 s[12:13], vcc, exec
	s_or_b64 s[6:7], s[6:7], s[12:13]
	s_or_b64 exec, exec, s[2:3]
	v_mov_b32_e32 v13, 0
	s_and_saveexec_b64 s[2:3], s[6:7]
	s_cbranch_execnz .LBB103_1174
	s_branch .LBB103_1175
.LBB103_1193:
	s_mov_b64 s[0:1], -1
                                        ; implicit-def: $vgpr13
.LBB103_1194:
	s_mov_b64 s[2:3], 0
.LBB103_1195:
	s_and_b64 vcc, exec, s[2:3]
	s_cbranch_vccz .LBB103_1197
; %bb.1196:
	s_cmp_lg_u32 s16, 11
	s_mov_b64 s[6:7], -1
	s_cselect_b64 s[0:1], -1, 0
.LBB103_1197:
	s_and_b64 vcc, exec, s[0:1]
	s_mov_b64 s[2:3], s[28:29]
	s_cbranch_vccnz .LBB103_1258
; %bb.1198:
	s_andn2_b64 vcc, exec, s[6:7]
	s_cbranch_vccnz .LBB103_1200
.LBB103_1199:
	global_load_ubyte v1, v[15:16], off
	s_mov_b64 s[12:13], -1
	s_waitcnt vmcnt(0)
	v_cmp_ne_u16_e32 vcc, 0, v1
	v_cndmask_b32_e64 v13, 0, 1, vcc
.LBB103_1200:
	s_branch .LBB103_1135
.LBB103_1201:
	s_and_b32 s6, 0xffff, s15
	s_cmp_lt_i32 s6, 5
	s_cbranch_scc1 .LBB103_1206
; %bb.1202:
	s_cmp_lt_i32 s6, 8
	s_cbranch_scc1 .LBB103_1207
; %bb.1203:
	;; [unrolled: 3-line block ×3, first 2 shown]
	s_cmp_gt_i32 s6, 9
	s_cbranch_scc0 .LBB103_1209
; %bb.1205:
	global_load_dwordx2 v[12:13], v[15:16], off
	s_mov_b64 s[0:1], 0
	s_waitcnt vmcnt(0)
	v_cvt_i32_f64_e32 v13, v[12:13]
	s_branch .LBB103_1210
.LBB103_1206:
                                        ; implicit-def: $vgpr13
	s_branch .LBB103_1227
.LBB103_1207:
                                        ; implicit-def: $vgpr13
	s_branch .LBB103_1216
.LBB103_1208:
	s_mov_b64 s[0:1], -1
                                        ; implicit-def: $vgpr13
	s_branch .LBB103_1213
.LBB103_1209:
	s_mov_b64 s[0:1], -1
                                        ; implicit-def: $vgpr13
.LBB103_1210:
	s_andn2_b64 vcc, exec, s[0:1]
	s_cbranch_vccnz .LBB103_1212
; %bb.1211:
	global_load_dword v1, v[15:16], off
	s_waitcnt vmcnt(0)
	v_cvt_i32_f32_e32 v13, v1
.LBB103_1212:
	s_mov_b64 s[0:1], 0
.LBB103_1213:
	s_andn2_b64 vcc, exec, s[0:1]
	s_cbranch_vccnz .LBB103_1215
; %bb.1214:
	global_load_dword v1, v[15:16], off
	s_waitcnt vmcnt(0)
	v_cvt_i16_f16_e32 v13, v1
.LBB103_1215:
	s_cbranch_execnz .LBB103_1226
.LBB103_1216:
	s_cmp_lt_i32 s6, 6
	s_cbranch_scc1 .LBB103_1219
; %bb.1217:
	s_cmp_gt_i32 s6, 6
	s_cbranch_scc0 .LBB103_1220
; %bb.1218:
	global_load_dwordx2 v[12:13], v[15:16], off
	s_mov_b64 s[0:1], 0
	s_waitcnt vmcnt(0)
	v_cvt_i32_f64_e32 v13, v[12:13]
	s_branch .LBB103_1221
.LBB103_1219:
	s_mov_b64 s[0:1], -1
                                        ; implicit-def: $vgpr13
	s_branch .LBB103_1224
.LBB103_1220:
	s_mov_b64 s[0:1], -1
                                        ; implicit-def: $vgpr13
.LBB103_1221:
	s_andn2_b64 vcc, exec, s[0:1]
	s_cbranch_vccnz .LBB103_1223
; %bb.1222:
	global_load_dword v1, v[15:16], off
	s_waitcnt vmcnt(0)
	v_cvt_i32_f32_e32 v13, v1
.LBB103_1223:
	s_mov_b64 s[0:1], 0
.LBB103_1224:
	s_andn2_b64 vcc, exec, s[0:1]
	s_cbranch_vccnz .LBB103_1226
; %bb.1225:
	global_load_ushort v1, v[15:16], off
	s_waitcnt vmcnt(0)
	v_cvt_i16_f16_e32 v13, v1
.LBB103_1226:
	s_cbranch_execnz .LBB103_1245
.LBB103_1227:
	s_cmp_lt_i32 s6, 2
	s_cbranch_scc1 .LBB103_1231
; %bb.1228:
	s_cmp_lt_i32 s6, 3
	s_cbranch_scc1 .LBB103_1232
; %bb.1229:
	s_cmp_gt_i32 s6, 3
	s_cbranch_scc0 .LBB103_1233
; %bb.1230:
	global_load_dwordx2 v[13:14], v[15:16], off
	s_mov_b64 s[0:1], 0
	s_branch .LBB103_1234
.LBB103_1231:
                                        ; implicit-def: $vgpr13
	s_branch .LBB103_1240
.LBB103_1232:
	s_mov_b64 s[0:1], -1
                                        ; implicit-def: $vgpr13
	s_branch .LBB103_1237
.LBB103_1233:
	s_mov_b64 s[0:1], -1
                                        ; implicit-def: $vgpr13
.LBB103_1234:
	s_andn2_b64 vcc, exec, s[0:1]
	s_cbranch_vccnz .LBB103_1236
; %bb.1235:
	global_load_dword v13, v[15:16], off
.LBB103_1236:
	s_mov_b64 s[0:1], 0
.LBB103_1237:
	s_andn2_b64 vcc, exec, s[0:1]
	s_cbranch_vccnz .LBB103_1239
; %bb.1238:
	global_load_ushort v13, v[15:16], off
.LBB103_1239:
	s_cbranch_execnz .LBB103_1245
.LBB103_1240:
	s_cmp_gt_i32 s6, 0
	s_cbranch_scc0 .LBB103_1242
; %bb.1241:
	global_load_sbyte v13, v[15:16], off
	s_mov_b64 s[0:1], 0
	s_branch .LBB103_1243
.LBB103_1242:
	s_mov_b64 s[0:1], -1
                                        ; implicit-def: $vgpr13
.LBB103_1243:
	s_andn2_b64 vcc, exec, s[0:1]
	s_cbranch_vccnz .LBB103_1245
; %bb.1244:
	global_load_ubyte v13, v[15:16], off
.LBB103_1245:
.LBB103_1246:
	s_lshr_b32 s0, s14, 8
	v_mov_b32_e32 v1, s11
	s_and_b32 s16, s0, 0xff
	s_waitcnt vmcnt(0)
	v_add_co_u32_e32 v14, vcc, s10, v11
	s_cmp_lt_i32 s16, 11
	v_addc_co_u32_e32 v15, vcc, 0, v1, vcc
	s_cbranch_scc1 .LBB103_1253
; %bb.1247:
	s_and_b32 s17, 0xffff, s16
	s_cmp_gt_i32 s17, 25
	s_mov_b64 s[6:7], 0
	s_cbranch_scc0 .LBB103_1255
; %bb.1248:
	s_cmp_gt_i32 s17, 28
	s_cbranch_scc0 .LBB103_1256
; %bb.1249:
	s_cmp_gt_i32 s17, 43
	;; [unrolled: 3-line block ×3, first 2 shown]
	s_cbranch_scc0 .LBB103_1259
; %bb.1251:
	s_cmp_eq_u32 s17, 46
	s_mov_b64 s[14:15], 0
	s_cbranch_scc0 .LBB103_1262
; %bb.1252:
	global_load_dword v1, v[14:15], off
	s_mov_b64 s[0:1], 0
	s_mov_b64 s[12:13], -1
	s_waitcnt vmcnt(0)
	v_lshlrev_b32_e32 v1, 16, v1
	v_cvt_i32_f32_e32 v11, v1
	s_branch .LBB103_1263
.LBB103_1253:
	s_mov_b64 s[12:13], 0
                                        ; implicit-def: $vgpr11
	s_cbranch_execnz .LBB103_1324
.LBB103_1254:
	s_andn2_b64 vcc, exec, s[12:13]
	s_cbranch_vccnz .LBB103_2055
	s_branch .LBB103_1371
.LBB103_1255:
	s_mov_b64 s[12:13], 0
	s_mov_b64 s[0:1], 0
                                        ; implicit-def: $vgpr11
	s_cbranch_execnz .LBB103_1290
	s_branch .LBB103_1320
.LBB103_1256:
	s_mov_b64 s[14:15], -1
	s_mov_b64 s[12:13], 0
	s_mov_b64 s[0:1], 0
                                        ; implicit-def: $vgpr11
	s_branch .LBB103_1273
.LBB103_1257:
	s_mov_b64 s[14:15], -1
	s_mov_b64 s[12:13], 0
	s_mov_b64 s[0:1], 0
                                        ; implicit-def: $vgpr11
	s_branch .LBB103_1268
.LBB103_1258:
	s_or_b64 s[2:3], s[28:29], exec
	s_trap 2
	s_cbranch_execz .LBB103_1199
	s_branch .LBB103_1200
.LBB103_1259:
	s_mov_b64 s[14:15], -1
	s_mov_b64 s[12:13], 0
	s_mov_b64 s[0:1], 0
                                        ; implicit-def: $vgpr11
	s_branch .LBB103_1263
.LBB103_1260:
	s_andn2_saveexec_b64 s[16:17], s[16:17]
	s_cbranch_execz .LBB103_995
.LBB103_1261:
	s_mov_b32 s20, 0x42800000
	v_add_f32_e64 v3, |v0|, s20
	v_and_b32_e32 v3, 0xff, v3
	v_cmp_ne_u32_e32 vcc, 0, v3
	s_andn2_b64 s[14:15], s[14:15], exec
	s_and_b64 s[20:21], vcc, exec
	s_or_b64 s[14:15], s[14:15], s[20:21]
	s_or_b64 exec, exec, s[16:17]
	v_mov_b32_e32 v5, 0
	s_and_saveexec_b64 s[16:17], s[14:15]
	s_cbranch_execnz .LBB103_996
	s_branch .LBB103_997
.LBB103_1262:
	s_mov_b64 s[0:1], -1
                                        ; implicit-def: $vgpr11
	s_mov_b64 s[12:13], 0
.LBB103_1263:
	s_and_b64 vcc, exec, s[14:15]
	s_cbranch_vccz .LBB103_1267
; %bb.1264:
	s_cmp_eq_u32 s17, 44
	s_cbranch_scc0 .LBB103_1266
; %bb.1265:
	global_load_ubyte v1, v[14:15], off
	s_mov_b64 s[0:1], 0
	s_mov_b64 s[12:13], -1
	s_waitcnt vmcnt(0)
	v_lshlrev_b32_e32 v3, 23, v1
	v_cvt_i32_f32_e32 v3, v3
	v_cmp_ne_u32_e32 vcc, 0, v1
	v_cndmask_b32_e32 v11, 0, v3, vcc
	s_branch .LBB103_1267
.LBB103_1266:
	s_mov_b64 s[0:1], -1
                                        ; implicit-def: $vgpr11
.LBB103_1267:
	s_mov_b64 s[14:15], 0
.LBB103_1268:
	s_and_b64 vcc, exec, s[14:15]
	s_cbranch_vccz .LBB103_1272
; %bb.1269:
	s_cmp_eq_u32 s17, 29
	s_cbranch_scc0 .LBB103_1271
; %bb.1270:
	global_load_dwordx2 v[11:12], v[14:15], off
	s_mov_b64 s[0:1], 0
	s_mov_b64 s[12:13], -1
	s_branch .LBB103_1272
.LBB103_1271:
	s_mov_b64 s[0:1], -1
                                        ; implicit-def: $vgpr11
.LBB103_1272:
	s_mov_b64 s[14:15], 0
.LBB103_1273:
	s_and_b64 vcc, exec, s[14:15]
	s_cbranch_vccz .LBB103_1289
; %bb.1274:
	s_cmp_lt_i32 s17, 27
	s_cbranch_scc1 .LBB103_1277
; %bb.1275:
	s_cmp_gt_i32 s17, 27
	s_cbranch_scc0 .LBB103_1278
; %bb.1276:
	global_load_dword v11, v[14:15], off
	s_mov_b64 s[12:13], 0
	s_branch .LBB103_1279
.LBB103_1277:
	s_mov_b64 s[12:13], -1
                                        ; implicit-def: $vgpr11
	s_branch .LBB103_1282
.LBB103_1278:
	s_mov_b64 s[12:13], -1
                                        ; implicit-def: $vgpr11
.LBB103_1279:
	s_andn2_b64 vcc, exec, s[12:13]
	s_cbranch_vccnz .LBB103_1281
; %bb.1280:
	global_load_ushort v11, v[14:15], off
.LBB103_1281:
	s_mov_b64 s[12:13], 0
.LBB103_1282:
	s_andn2_b64 vcc, exec, s[12:13]
	s_cbranch_vccnz .LBB103_1288
; %bb.1283:
	global_load_ubyte v1, v[14:15], off
	s_movk_i32 s12, 0x7f
	s_mov_b64 s[14:15], 0
	s_waitcnt vmcnt(0)
	v_cmp_lt_i16_e32 vcc, s12, v1
	s_and_saveexec_b64 s[12:13], vcc
	s_xor_b64 s[12:13], exec, s[12:13]
	s_cbranch_execz .LBB103_1299
; %bb.1284:
	s_movk_i32 s14, 0x80
	v_cmp_ne_u16_e32 vcc, s14, v1
	s_and_b64 s[14:15], vcc, exec
	s_andn2_saveexec_b64 s[12:13], s[12:13]
	s_cbranch_execnz .LBB103_1300
.LBB103_1285:
	s_or_b64 exec, exec, s[12:13]
	v_mov_b32_e32 v11, 0
	s_and_saveexec_b64 s[12:13], s[14:15]
	s_cbranch_execz .LBB103_1287
.LBB103_1286:
	v_lshlrev_b32_e32 v3, 24, v1
	v_and_b32_e32 v1, 0xffff, v1
	v_and_b32_e32 v5, 7, v1
	v_ffbh_u32_e32 v10, v5
	v_min_u32_e32 v10, 32, v10
	v_subrev_u32_e32 v11, 28, v10
	v_bfe_u32 v8, v1, 3, 4
	v_lshlrev_b32_e32 v1, v11, v1
	v_sub_u32_e32 v10, 29, v10
	v_and_b32_e32 v1, 7, v1
	v_cmp_eq_u32_e32 vcc, 0, v8
	v_cndmask_b32_e32 v8, v8, v10, vcc
	v_cndmask_b32_e32 v1, v5, v1, vcc
	v_mov_b32_e32 v5, 0x3b800000
	v_lshlrev_b32_e32 v1, 20, v1
	v_and_b32_e32 v3, 0x80000000, v3
	v_lshl_add_u32 v5, v8, 23, v5
	v_or3_b32 v1, v3, v5, v1
	v_cvt_i32_f32_e32 v11, v1
.LBB103_1287:
	s_or_b64 exec, exec, s[12:13]
.LBB103_1288:
	s_mov_b64 s[12:13], -1
.LBB103_1289:
	s_branch .LBB103_1320
.LBB103_1290:
	s_cmp_gt_i32 s17, 22
	s_cbranch_scc0 .LBB103_1298
; %bb.1291:
	s_cmp_lt_i32 s17, 24
	s_cbranch_scc1 .LBB103_1301
; %bb.1292:
	s_cmp_gt_i32 s17, 24
	s_cbranch_scc0 .LBB103_1302
; %bb.1293:
	global_load_ubyte v1, v[14:15], off
	s_movk_i32 s6, 0x7f
	s_mov_b64 s[12:13], 0
	s_waitcnt vmcnt(0)
	v_cmp_lt_i16_e32 vcc, s6, v1
	s_and_saveexec_b64 s[6:7], vcc
	s_xor_b64 s[6:7], exec, s[6:7]
	s_cbranch_execz .LBB103_1314
; %bb.1294:
	s_movk_i32 s12, 0x80
	v_cmp_ne_u16_e32 vcc, s12, v1
	s_and_b64 s[12:13], vcc, exec
	s_andn2_saveexec_b64 s[6:7], s[6:7]
	s_cbranch_execnz .LBB103_1315
.LBB103_1295:
	s_or_b64 exec, exec, s[6:7]
	v_mov_b32_e32 v11, 0
	s_and_saveexec_b64 s[6:7], s[12:13]
	s_cbranch_execz .LBB103_1297
.LBB103_1296:
	v_lshlrev_b32_e32 v3, 24, v1
	v_and_b32_e32 v1, 0xffff, v1
	v_and_b32_e32 v5, 3, v1
	v_ffbh_u32_e32 v10, v5
	v_min_u32_e32 v10, 32, v10
	v_subrev_u32_e32 v11, 29, v10
	v_bfe_u32 v8, v1, 2, 5
	v_lshlrev_b32_e32 v1, v11, v1
	v_sub_u32_e32 v10, 30, v10
	v_and_b32_e32 v1, 3, v1
	v_cmp_eq_u32_e32 vcc, 0, v8
	v_cndmask_b32_e32 v8, v8, v10, vcc
	v_cndmask_b32_e32 v1, v5, v1, vcc
	v_mov_b32_e32 v5, 0x37800000
	v_lshlrev_b32_e32 v1, 21, v1
	v_and_b32_e32 v3, 0x80000000, v3
	v_lshl_add_u32 v5, v8, 23, v5
	v_or3_b32 v1, v3, v5, v1
	v_cvt_i32_f32_e32 v11, v1
.LBB103_1297:
	s_or_b64 exec, exec, s[6:7]
	s_mov_b64 s[6:7], 0
	s_branch .LBB103_1303
.LBB103_1298:
	s_mov_b64 s[6:7], -1
                                        ; implicit-def: $vgpr11
	s_branch .LBB103_1309
.LBB103_1299:
	s_andn2_saveexec_b64 s[12:13], s[12:13]
	s_cbranch_execz .LBB103_1285
.LBB103_1300:
	v_cmp_ne_u16_e32 vcc, 0, v1
	s_andn2_b64 s[14:15], s[14:15], exec
	s_and_b64 s[18:19], vcc, exec
	s_or_b64 s[14:15], s[14:15], s[18:19]
	s_or_b64 exec, exec, s[12:13]
	v_mov_b32_e32 v11, 0
	s_and_saveexec_b64 s[12:13], s[14:15]
	s_cbranch_execnz .LBB103_1286
	s_branch .LBB103_1287
.LBB103_1301:
	s_mov_b64 s[6:7], -1
                                        ; implicit-def: $vgpr11
	s_branch .LBB103_1306
.LBB103_1302:
	s_mov_b64 s[6:7], -1
                                        ; implicit-def: $vgpr11
.LBB103_1303:
	s_and_b64 vcc, exec, s[6:7]
	s_cbranch_vccz .LBB103_1305
; %bb.1304:
	global_load_ubyte v1, v[14:15], off
	s_mov_b32 s6, 0x7f800000
	s_waitcnt vmcnt(0)
	v_lshlrev_b32_e32 v1, 24, v1
	v_and_b32_e32 v3, 0x7f000000, v1
	v_ffbh_u32_e32 v5, v3
	v_min_u32_e32 v5, 32, v5
	v_sub_u32_e64 v5, v5, 4 clamp
	v_lshlrev_b32_e32 v10, v5, v3
	v_lshlrev_b32_e32 v5, 23, v5
	v_lshrrev_b32_e32 v10, 4, v10
	v_add_u32_e32 v8, 0x1000000, v3
	v_sub_u32_e32 v5, v10, v5
	v_ashrrev_i32_e32 v8, 8, v8
	v_add_u32_e32 v5, 0x3c000000, v5
	v_and_or_b32 v5, v8, s6, v5
	v_cmp_ne_u32_e32 vcc, 0, v3
	v_cndmask_b32_e32 v3, 0, v5, vcc
	s_brev_b32 s6, 1
	v_and_or_b32 v1, v1, s6, v3
	v_cvt_i32_f32_e32 v11, v1
.LBB103_1305:
	s_mov_b64 s[6:7], 0
.LBB103_1306:
	s_andn2_b64 vcc, exec, s[6:7]
	s_cbranch_vccnz .LBB103_1308
; %bb.1307:
	global_load_ubyte v1, v[14:15], off
	s_movk_i32 s6, 0x7f00
	s_brev_b32 s7, 16
	s_waitcnt vmcnt(0)
	v_lshlrev_b16_e32 v3, 8, v1
	v_lshlrev_b32_e32 v1, 25, v1
	v_lshrrev_b32_e32 v5, 4, v1
	v_and_or_b32 v8, v3, s6, 0.5
	v_or_b32_e32 v5, 0x70000000, v5
	v_add_f32_e32 v8, -0.5, v8
	v_mul_f32_e32 v5, 0x7800000, v5
	v_cmp_gt_u32_e32 vcc, s7, v1
	v_bfe_i32 v3, v3, 0, 16
	v_cndmask_b32_e32 v1, v5, v8, vcc
	s_brev_b32 s6, 1
	v_and_or_b32 v1, v3, s6, v1
	v_cvt_i32_f32_e32 v11, v1
.LBB103_1308:
	s_mov_b64 s[6:7], 0
	s_mov_b64 s[12:13], -1
.LBB103_1309:
	s_andn2_b64 vcc, exec, s[6:7]
	s_mov_b64 s[6:7], 0
	s_cbranch_vccnz .LBB103_1320
; %bb.1310:
	s_cmp_gt_i32 s17, 14
	s_cbranch_scc0 .LBB103_1313
; %bb.1311:
	s_cmp_eq_u32 s17, 15
	s_cbranch_scc0 .LBB103_1316
; %bb.1312:
	global_load_ushort v1, v[14:15], off
	s_mov_b64 s[0:1], 0
	s_mov_b64 s[12:13], -1
	s_waitcnt vmcnt(0)
	v_lshlrev_b32_e32 v1, 16, v1
	v_cvt_i32_f32_e32 v11, v1
	s_branch .LBB103_1317
.LBB103_1313:
	s_mov_b64 s[14:15], -1
                                        ; implicit-def: $vgpr11
	s_branch .LBB103_1318
.LBB103_1314:
	s_andn2_saveexec_b64 s[6:7], s[6:7]
	s_cbranch_execz .LBB103_1295
.LBB103_1315:
	v_cmp_ne_u16_e32 vcc, 0, v1
	s_andn2_b64 s[12:13], s[12:13], exec
	s_and_b64 s[14:15], vcc, exec
	s_or_b64 s[12:13], s[12:13], s[14:15]
	s_or_b64 exec, exec, s[6:7]
	v_mov_b32_e32 v11, 0
	s_and_saveexec_b64 s[6:7], s[12:13]
	s_cbranch_execnz .LBB103_1296
	s_branch .LBB103_1297
.LBB103_1316:
	s_mov_b64 s[0:1], -1
                                        ; implicit-def: $vgpr11
.LBB103_1317:
	s_mov_b64 s[14:15], 0
.LBB103_1318:
	s_and_b64 vcc, exec, s[14:15]
	s_cbranch_vccz .LBB103_1320
; %bb.1319:
	s_cmp_lg_u32 s17, 11
	s_mov_b64 s[6:7], -1
	s_cselect_b64 s[0:1], -1, 0
.LBB103_1320:
	s_and_b64 vcc, exec, s[0:1]
	s_cbranch_vccnz .LBB103_1383
; %bb.1321:
	s_andn2_b64 vcc, exec, s[6:7]
	s_cbranch_vccnz .LBB103_1323
.LBB103_1322:
	global_load_ubyte v1, v[14:15], off
	s_mov_b64 s[12:13], -1
	s_waitcnt vmcnt(0)
	v_cmp_ne_u16_e32 vcc, 0, v1
	v_cndmask_b32_e64 v11, 0, 1, vcc
.LBB103_1323:
	s_branch .LBB103_1254
.LBB103_1324:
	s_and_b32 s6, 0xffff, s16
	s_cmp_lt_i32 s6, 5
	s_cbranch_scc1 .LBB103_1329
; %bb.1325:
	s_cmp_lt_i32 s6, 8
	s_cbranch_scc1 .LBB103_1330
; %bb.1326:
	;; [unrolled: 3-line block ×3, first 2 shown]
	s_cmp_gt_i32 s6, 9
	s_cbranch_scc0 .LBB103_1332
; %bb.1328:
	global_load_dwordx2 v[10:11], v[14:15], off
	s_mov_b64 s[0:1], 0
	s_waitcnt vmcnt(0)
	v_cvt_i32_f64_e32 v11, v[10:11]
	s_branch .LBB103_1333
.LBB103_1329:
                                        ; implicit-def: $vgpr11
	s_branch .LBB103_1351
.LBB103_1330:
	s_mov_b64 s[0:1], -1
                                        ; implicit-def: $vgpr11
	s_branch .LBB103_1339
.LBB103_1331:
	s_mov_b64 s[0:1], -1
                                        ; implicit-def: $vgpr11
	s_branch .LBB103_1336
.LBB103_1332:
	s_mov_b64 s[0:1], -1
                                        ; implicit-def: $vgpr11
.LBB103_1333:
	s_andn2_b64 vcc, exec, s[0:1]
	s_cbranch_vccnz .LBB103_1335
; %bb.1334:
	global_load_dword v1, v[14:15], off
	s_waitcnt vmcnt(0)
	v_cvt_i32_f32_e32 v11, v1
.LBB103_1335:
	s_mov_b64 s[0:1], 0
.LBB103_1336:
	s_andn2_b64 vcc, exec, s[0:1]
	s_cbranch_vccnz .LBB103_1338
; %bb.1337:
	global_load_dword v1, v[14:15], off
	s_waitcnt vmcnt(0)
	v_cvt_i16_f16_e32 v11, v1
.LBB103_1338:
	s_mov_b64 s[0:1], 0
.LBB103_1339:
	s_andn2_b64 vcc, exec, s[0:1]
	s_cbranch_vccnz .LBB103_1350
; %bb.1340:
	s_cmp_lt_i32 s6, 6
	s_cbranch_scc1 .LBB103_1343
; %bb.1341:
	s_cmp_gt_i32 s6, 6
	s_cbranch_scc0 .LBB103_1344
; %bb.1342:
	global_load_dwordx2 v[10:11], v[14:15], off
	s_mov_b64 s[0:1], 0
	s_waitcnt vmcnt(0)
	v_cvt_i32_f64_e32 v11, v[10:11]
	s_branch .LBB103_1345
.LBB103_1343:
	s_mov_b64 s[0:1], -1
                                        ; implicit-def: $vgpr11
	s_branch .LBB103_1348
.LBB103_1344:
	s_mov_b64 s[0:1], -1
                                        ; implicit-def: $vgpr11
.LBB103_1345:
	s_andn2_b64 vcc, exec, s[0:1]
	s_cbranch_vccnz .LBB103_1347
; %bb.1346:
	global_load_dword v1, v[14:15], off
	s_waitcnt vmcnt(0)
	v_cvt_i32_f32_e32 v11, v1
.LBB103_1347:
	s_mov_b64 s[0:1], 0
.LBB103_1348:
	s_andn2_b64 vcc, exec, s[0:1]
	s_cbranch_vccnz .LBB103_1350
; %bb.1349:
	global_load_ushort v1, v[14:15], off
	s_waitcnt vmcnt(0)
	v_cvt_i16_f16_e32 v11, v1
.LBB103_1350:
	s_cbranch_execnz .LBB103_1370
.LBB103_1351:
	s_cmp_lt_i32 s6, 2
	s_cbranch_scc1 .LBB103_1355
; %bb.1352:
	s_cmp_lt_i32 s6, 3
	s_cbranch_scc1 .LBB103_1356
; %bb.1353:
	s_cmp_gt_i32 s6, 3
	s_cbranch_scc0 .LBB103_1357
; %bb.1354:
	global_load_dwordx2 v[11:12], v[14:15], off
	s_mov_b64 s[0:1], 0
	s_branch .LBB103_1358
.LBB103_1355:
	s_mov_b64 s[0:1], -1
                                        ; implicit-def: $vgpr11
	s_branch .LBB103_1364
.LBB103_1356:
	s_mov_b64 s[0:1], -1
                                        ; implicit-def: $vgpr11
	s_branch .LBB103_1361
.LBB103_1357:
	s_mov_b64 s[0:1], -1
                                        ; implicit-def: $vgpr11
.LBB103_1358:
	s_andn2_b64 vcc, exec, s[0:1]
	s_cbranch_vccnz .LBB103_1360
; %bb.1359:
	global_load_dword v11, v[14:15], off
.LBB103_1360:
	s_mov_b64 s[0:1], 0
.LBB103_1361:
	s_andn2_b64 vcc, exec, s[0:1]
	s_cbranch_vccnz .LBB103_1363
; %bb.1362:
	global_load_ushort v11, v[14:15], off
.LBB103_1363:
	s_mov_b64 s[0:1], 0
.LBB103_1364:
	s_andn2_b64 vcc, exec, s[0:1]
	s_cbranch_vccnz .LBB103_1370
; %bb.1365:
	s_cmp_gt_i32 s6, 0
	s_cbranch_scc0 .LBB103_1367
; %bb.1366:
	global_load_sbyte v11, v[14:15], off
	s_mov_b64 s[0:1], 0
	s_branch .LBB103_1368
.LBB103_1367:
	s_mov_b64 s[0:1], -1
                                        ; implicit-def: $vgpr11
.LBB103_1368:
	s_andn2_b64 vcc, exec, s[0:1]
	s_cbranch_vccnz .LBB103_1370
; %bb.1369:
	global_load_ubyte v11, v[14:15], off
.LBB103_1370:
.LBB103_1371:
	v_mov_b32_e32 v1, s11
	v_add_co_u32_e32 v14, vcc, s10, v9
	s_cmp_lt_i32 s16, 11
	v_addc_co_u32_e32 v15, vcc, 0, v1, vcc
	s_cbranch_scc1 .LBB103_1378
; %bb.1372:
	s_and_b32 s17, 0xffff, s16
	s_cmp_gt_i32 s17, 25
	s_mov_b64 s[6:7], 0
	s_cbranch_scc0 .LBB103_1380
; %bb.1373:
	s_cmp_gt_i32 s17, 28
	s_cbranch_scc0 .LBB103_1381
; %bb.1374:
	s_cmp_gt_i32 s17, 43
	;; [unrolled: 3-line block ×3, first 2 shown]
	s_cbranch_scc0 .LBB103_1384
; %bb.1376:
	s_cmp_eq_u32 s17, 46
	s_mov_b64 s[14:15], 0
	s_cbranch_scc0 .LBB103_1385
; %bb.1377:
	global_load_dword v1, v[14:15], off
	s_mov_b64 s[0:1], 0
	s_mov_b64 s[12:13], -1
	s_waitcnt vmcnt(0)
	v_lshlrev_b32_e32 v1, 16, v1
	v_cvt_i32_f32_e32 v9, v1
	s_branch .LBB103_1386
.LBB103_1378:
	s_mov_b64 s[12:13], 0
                                        ; implicit-def: $vgpr9
	s_cbranch_execnz .LBB103_1448
.LBB103_1379:
	s_andn2_b64 vcc, exec, s[12:13]
	s_cbranch_vccnz .LBB103_2055
	s_branch .LBB103_1496
.LBB103_1380:
	s_mov_b64 s[14:15], -1
	s_mov_b64 s[12:13], 0
	s_mov_b64 s[0:1], 0
                                        ; implicit-def: $vgpr9
	s_branch .LBB103_1413
.LBB103_1381:
	s_mov_b64 s[14:15], -1
	s_mov_b64 s[12:13], 0
	s_mov_b64 s[0:1], 0
                                        ; implicit-def: $vgpr9
	s_branch .LBB103_1396
.LBB103_1382:
	s_mov_b64 s[14:15], -1
	s_mov_b64 s[12:13], 0
	s_mov_b64 s[0:1], 0
                                        ; implicit-def: $vgpr9
	s_branch .LBB103_1391
.LBB103_1383:
	s_trap 2
	s_or_b64 s[2:3], s[2:3], exec
	s_cbranch_execz .LBB103_1322
	s_branch .LBB103_1323
.LBB103_1384:
	s_mov_b64 s[14:15], -1
	s_mov_b64 s[12:13], 0
	s_mov_b64 s[0:1], 0
                                        ; implicit-def: $vgpr9
	s_branch .LBB103_1386
.LBB103_1385:
	s_mov_b64 s[0:1], -1
                                        ; implicit-def: $vgpr9
	s_mov_b64 s[12:13], 0
.LBB103_1386:
	s_and_b64 vcc, exec, s[14:15]
	s_cbranch_vccz .LBB103_1390
; %bb.1387:
	s_cmp_eq_u32 s17, 44
	s_cbranch_scc0 .LBB103_1389
; %bb.1388:
	global_load_ubyte v1, v[14:15], off
	s_mov_b64 s[0:1], 0
	s_mov_b64 s[12:13], -1
	s_waitcnt vmcnt(0)
	v_lshlrev_b32_e32 v3, 23, v1
	v_cvt_i32_f32_e32 v3, v3
	v_cmp_ne_u32_e32 vcc, 0, v1
	v_cndmask_b32_e32 v9, 0, v3, vcc
	s_branch .LBB103_1390
.LBB103_1389:
	s_mov_b64 s[0:1], -1
                                        ; implicit-def: $vgpr9
.LBB103_1390:
	s_mov_b64 s[14:15], 0
.LBB103_1391:
	s_and_b64 vcc, exec, s[14:15]
	s_cbranch_vccz .LBB103_1395
; %bb.1392:
	s_cmp_eq_u32 s17, 29
	s_cbranch_scc0 .LBB103_1394
; %bb.1393:
	global_load_dwordx2 v[9:10], v[14:15], off
	s_mov_b64 s[0:1], 0
	s_mov_b64 s[12:13], -1
	s_branch .LBB103_1395
.LBB103_1394:
	s_mov_b64 s[0:1], -1
                                        ; implicit-def: $vgpr9
.LBB103_1395:
	s_mov_b64 s[14:15], 0
.LBB103_1396:
	s_and_b64 vcc, exec, s[14:15]
	s_cbranch_vccz .LBB103_1412
; %bb.1397:
	s_cmp_lt_i32 s17, 27
	s_cbranch_scc1 .LBB103_1400
; %bb.1398:
	s_cmp_gt_i32 s17, 27
	s_cbranch_scc0 .LBB103_1401
; %bb.1399:
	global_load_dword v9, v[14:15], off
	s_mov_b64 s[12:13], 0
	s_branch .LBB103_1402
.LBB103_1400:
	s_mov_b64 s[12:13], -1
                                        ; implicit-def: $vgpr9
	s_branch .LBB103_1405
.LBB103_1401:
	s_mov_b64 s[12:13], -1
                                        ; implicit-def: $vgpr9
.LBB103_1402:
	s_andn2_b64 vcc, exec, s[12:13]
	s_cbranch_vccnz .LBB103_1404
; %bb.1403:
	global_load_ushort v9, v[14:15], off
.LBB103_1404:
	s_mov_b64 s[12:13], 0
.LBB103_1405:
	s_andn2_b64 vcc, exec, s[12:13]
	s_cbranch_vccnz .LBB103_1411
; %bb.1406:
	global_load_ubyte v1, v[14:15], off
	s_movk_i32 s12, 0x7f
	s_mov_b64 s[14:15], 0
	s_waitcnt vmcnt(0)
	v_cmp_lt_i16_e32 vcc, s12, v1
	s_and_saveexec_b64 s[12:13], vcc
	s_xor_b64 s[12:13], exec, s[12:13]
	s_cbranch_execz .LBB103_1423
; %bb.1407:
	s_movk_i32 s14, 0x80
	v_cmp_ne_u16_e32 vcc, s14, v1
	s_and_b64 s[14:15], vcc, exec
	s_andn2_saveexec_b64 s[12:13], s[12:13]
	s_cbranch_execnz .LBB103_1424
.LBB103_1408:
	s_or_b64 exec, exec, s[12:13]
	v_mov_b32_e32 v9, 0
	s_and_saveexec_b64 s[12:13], s[14:15]
	s_cbranch_execz .LBB103_1410
.LBB103_1409:
	v_lshlrev_b32_e32 v3, 24, v1
	v_and_b32_e32 v1, 0xffff, v1
	v_and_b32_e32 v5, 7, v1
	v_ffbh_u32_e32 v9, v5
	v_min_u32_e32 v9, 32, v9
	v_subrev_u32_e32 v10, 28, v9
	v_bfe_u32 v8, v1, 3, 4
	v_lshlrev_b32_e32 v1, v10, v1
	v_sub_u32_e32 v9, 29, v9
	v_and_b32_e32 v1, 7, v1
	v_cmp_eq_u32_e32 vcc, 0, v8
	v_cndmask_b32_e32 v8, v8, v9, vcc
	v_cndmask_b32_e32 v1, v5, v1, vcc
	v_mov_b32_e32 v5, 0x3b800000
	v_lshlrev_b32_e32 v1, 20, v1
	v_and_b32_e32 v3, 0x80000000, v3
	v_lshl_add_u32 v5, v8, 23, v5
	v_or3_b32 v1, v3, v5, v1
	v_cvt_i32_f32_e32 v9, v1
.LBB103_1410:
	s_or_b64 exec, exec, s[12:13]
.LBB103_1411:
	s_mov_b64 s[12:13], -1
.LBB103_1412:
	s_mov_b64 s[14:15], 0
.LBB103_1413:
	s_and_b64 vcc, exec, s[14:15]
	s_cbranch_vccz .LBB103_1444
; %bb.1414:
	s_cmp_gt_i32 s17, 22
	s_cbranch_scc0 .LBB103_1422
; %bb.1415:
	s_cmp_lt_i32 s17, 24
	s_cbranch_scc1 .LBB103_1425
; %bb.1416:
	s_cmp_gt_i32 s17, 24
	s_cbranch_scc0 .LBB103_1426
; %bb.1417:
	global_load_ubyte v1, v[14:15], off
	s_movk_i32 s6, 0x7f
	s_mov_b64 s[12:13], 0
	s_waitcnt vmcnt(0)
	v_cmp_lt_i16_e32 vcc, s6, v1
	s_and_saveexec_b64 s[6:7], vcc
	s_xor_b64 s[6:7], exec, s[6:7]
	s_cbranch_execz .LBB103_1438
; %bb.1418:
	s_movk_i32 s12, 0x80
	v_cmp_ne_u16_e32 vcc, s12, v1
	s_and_b64 s[12:13], vcc, exec
	s_andn2_saveexec_b64 s[6:7], s[6:7]
	s_cbranch_execnz .LBB103_1439
.LBB103_1419:
	s_or_b64 exec, exec, s[6:7]
	v_mov_b32_e32 v9, 0
	s_and_saveexec_b64 s[6:7], s[12:13]
	s_cbranch_execz .LBB103_1421
.LBB103_1420:
	v_lshlrev_b32_e32 v3, 24, v1
	v_and_b32_e32 v1, 0xffff, v1
	v_and_b32_e32 v5, 3, v1
	v_ffbh_u32_e32 v9, v5
	v_min_u32_e32 v9, 32, v9
	v_subrev_u32_e32 v10, 29, v9
	v_bfe_u32 v8, v1, 2, 5
	v_lshlrev_b32_e32 v1, v10, v1
	v_sub_u32_e32 v9, 30, v9
	v_and_b32_e32 v1, 3, v1
	v_cmp_eq_u32_e32 vcc, 0, v8
	v_cndmask_b32_e32 v8, v8, v9, vcc
	v_cndmask_b32_e32 v1, v5, v1, vcc
	v_mov_b32_e32 v5, 0x37800000
	v_lshlrev_b32_e32 v1, 21, v1
	v_and_b32_e32 v3, 0x80000000, v3
	v_lshl_add_u32 v5, v8, 23, v5
	v_or3_b32 v1, v3, v5, v1
	v_cvt_i32_f32_e32 v9, v1
.LBB103_1421:
	s_or_b64 exec, exec, s[6:7]
	s_mov_b64 s[6:7], 0
	s_branch .LBB103_1427
.LBB103_1422:
	s_mov_b64 s[6:7], -1
                                        ; implicit-def: $vgpr9
	s_branch .LBB103_1433
.LBB103_1423:
	s_andn2_saveexec_b64 s[12:13], s[12:13]
	s_cbranch_execz .LBB103_1408
.LBB103_1424:
	v_cmp_ne_u16_e32 vcc, 0, v1
	s_andn2_b64 s[14:15], s[14:15], exec
	s_and_b64 s[18:19], vcc, exec
	s_or_b64 s[14:15], s[14:15], s[18:19]
	s_or_b64 exec, exec, s[12:13]
	v_mov_b32_e32 v9, 0
	s_and_saveexec_b64 s[12:13], s[14:15]
	s_cbranch_execnz .LBB103_1409
	s_branch .LBB103_1410
.LBB103_1425:
	s_mov_b64 s[6:7], -1
                                        ; implicit-def: $vgpr9
	s_branch .LBB103_1430
.LBB103_1426:
	s_mov_b64 s[6:7], -1
                                        ; implicit-def: $vgpr9
.LBB103_1427:
	s_and_b64 vcc, exec, s[6:7]
	s_cbranch_vccz .LBB103_1429
; %bb.1428:
	global_load_ubyte v1, v[14:15], off
	s_mov_b32 s6, 0x7f800000
	s_waitcnt vmcnt(0)
	v_lshlrev_b32_e32 v1, 24, v1
	v_and_b32_e32 v3, 0x7f000000, v1
	v_ffbh_u32_e32 v5, v3
	v_min_u32_e32 v5, 32, v5
	v_sub_u32_e64 v5, v5, 4 clamp
	v_lshlrev_b32_e32 v9, v5, v3
	v_lshlrev_b32_e32 v5, 23, v5
	v_lshrrev_b32_e32 v9, 4, v9
	v_add_u32_e32 v8, 0x1000000, v3
	v_sub_u32_e32 v5, v9, v5
	v_ashrrev_i32_e32 v8, 8, v8
	v_add_u32_e32 v5, 0x3c000000, v5
	v_and_or_b32 v5, v8, s6, v5
	v_cmp_ne_u32_e32 vcc, 0, v3
	v_cndmask_b32_e32 v3, 0, v5, vcc
	s_brev_b32 s6, 1
	v_and_or_b32 v1, v1, s6, v3
	v_cvt_i32_f32_e32 v9, v1
.LBB103_1429:
	s_mov_b64 s[6:7], 0
.LBB103_1430:
	s_andn2_b64 vcc, exec, s[6:7]
	s_cbranch_vccnz .LBB103_1432
; %bb.1431:
	global_load_ubyte v1, v[14:15], off
	s_movk_i32 s6, 0x7f00
	s_brev_b32 s7, 16
	s_waitcnt vmcnt(0)
	v_lshlrev_b16_e32 v3, 8, v1
	v_lshlrev_b32_e32 v1, 25, v1
	v_lshrrev_b32_e32 v5, 4, v1
	v_and_or_b32 v8, v3, s6, 0.5
	v_or_b32_e32 v5, 0x70000000, v5
	v_add_f32_e32 v8, -0.5, v8
	v_mul_f32_e32 v5, 0x7800000, v5
	v_cmp_gt_u32_e32 vcc, s7, v1
	v_bfe_i32 v3, v3, 0, 16
	v_cndmask_b32_e32 v1, v5, v8, vcc
	s_brev_b32 s6, 1
	v_and_or_b32 v1, v3, s6, v1
	v_cvt_i32_f32_e32 v9, v1
.LBB103_1432:
	s_mov_b64 s[6:7], 0
	s_mov_b64 s[12:13], -1
.LBB103_1433:
	s_andn2_b64 vcc, exec, s[6:7]
	s_mov_b64 s[6:7], 0
	s_cbranch_vccnz .LBB103_1444
; %bb.1434:
	s_cmp_gt_i32 s17, 14
	s_cbranch_scc0 .LBB103_1437
; %bb.1435:
	s_cmp_eq_u32 s17, 15
	s_cbranch_scc0 .LBB103_1440
; %bb.1436:
	global_load_ushort v1, v[14:15], off
	s_mov_b64 s[0:1], 0
	s_mov_b64 s[12:13], -1
	s_waitcnt vmcnt(0)
	v_lshlrev_b32_e32 v1, 16, v1
	v_cvt_i32_f32_e32 v9, v1
	s_branch .LBB103_1441
.LBB103_1437:
	s_mov_b64 s[14:15], -1
                                        ; implicit-def: $vgpr9
	s_branch .LBB103_1442
.LBB103_1438:
	s_andn2_saveexec_b64 s[6:7], s[6:7]
	s_cbranch_execz .LBB103_1419
.LBB103_1439:
	v_cmp_ne_u16_e32 vcc, 0, v1
	s_andn2_b64 s[12:13], s[12:13], exec
	s_and_b64 s[14:15], vcc, exec
	s_or_b64 s[12:13], s[12:13], s[14:15]
	s_or_b64 exec, exec, s[6:7]
	v_mov_b32_e32 v9, 0
	s_and_saveexec_b64 s[6:7], s[12:13]
	s_cbranch_execnz .LBB103_1420
	s_branch .LBB103_1421
.LBB103_1440:
	s_mov_b64 s[0:1], -1
                                        ; implicit-def: $vgpr9
.LBB103_1441:
	s_mov_b64 s[14:15], 0
.LBB103_1442:
	s_and_b64 vcc, exec, s[14:15]
	s_cbranch_vccz .LBB103_1444
; %bb.1443:
	s_cmp_lg_u32 s17, 11
	s_mov_b64 s[6:7], -1
	s_cselect_b64 s[0:1], -1, 0
.LBB103_1444:
	s_and_b64 vcc, exec, s[0:1]
	s_cbranch_vccnz .LBB103_1507
; %bb.1445:
	s_andn2_b64 vcc, exec, s[6:7]
	s_cbranch_vccnz .LBB103_1447
.LBB103_1446:
	global_load_ubyte v1, v[14:15], off
	s_mov_b64 s[12:13], -1
	s_waitcnt vmcnt(0)
	v_cmp_ne_u16_e32 vcc, 0, v1
	v_cndmask_b32_e64 v9, 0, 1, vcc
.LBB103_1447:
	s_branch .LBB103_1379
.LBB103_1448:
	s_and_b32 s6, 0xffff, s16
	s_cmp_lt_i32 s6, 5
	s_cbranch_scc1 .LBB103_1453
; %bb.1449:
	s_cmp_lt_i32 s6, 8
	s_cbranch_scc1 .LBB103_1454
; %bb.1450:
	;; [unrolled: 3-line block ×3, first 2 shown]
	s_cmp_gt_i32 s6, 9
	s_cbranch_scc0 .LBB103_1456
; %bb.1452:
	global_load_dwordx2 v[8:9], v[14:15], off
	s_mov_b64 s[0:1], 0
	s_waitcnt vmcnt(0)
	v_cvt_i32_f64_e32 v9, v[8:9]
	s_branch .LBB103_1457
.LBB103_1453:
	s_mov_b64 s[0:1], -1
                                        ; implicit-def: $vgpr9
	s_branch .LBB103_1475
.LBB103_1454:
	s_mov_b64 s[0:1], -1
                                        ; implicit-def: $vgpr9
	s_branch .LBB103_1463
.LBB103_1455:
	s_mov_b64 s[0:1], -1
                                        ; implicit-def: $vgpr9
	s_branch .LBB103_1460
.LBB103_1456:
	s_mov_b64 s[0:1], -1
                                        ; implicit-def: $vgpr9
.LBB103_1457:
	s_andn2_b64 vcc, exec, s[0:1]
	s_cbranch_vccnz .LBB103_1459
; %bb.1458:
	global_load_dword v1, v[14:15], off
	s_waitcnt vmcnt(0)
	v_cvt_i32_f32_e32 v9, v1
.LBB103_1459:
	s_mov_b64 s[0:1], 0
.LBB103_1460:
	s_andn2_b64 vcc, exec, s[0:1]
	s_cbranch_vccnz .LBB103_1462
; %bb.1461:
	global_load_dword v1, v[14:15], off
	s_waitcnt vmcnt(0)
	v_cvt_i16_f16_e32 v9, v1
.LBB103_1462:
	s_mov_b64 s[0:1], 0
.LBB103_1463:
	s_andn2_b64 vcc, exec, s[0:1]
	s_cbranch_vccnz .LBB103_1474
; %bb.1464:
	s_cmp_lt_i32 s6, 6
	s_cbranch_scc1 .LBB103_1467
; %bb.1465:
	s_cmp_gt_i32 s6, 6
	s_cbranch_scc0 .LBB103_1468
; %bb.1466:
	global_load_dwordx2 v[8:9], v[14:15], off
	s_mov_b64 s[0:1], 0
	s_waitcnt vmcnt(0)
	v_cvt_i32_f64_e32 v9, v[8:9]
	s_branch .LBB103_1469
.LBB103_1467:
	s_mov_b64 s[0:1], -1
                                        ; implicit-def: $vgpr9
	s_branch .LBB103_1472
.LBB103_1468:
	s_mov_b64 s[0:1], -1
                                        ; implicit-def: $vgpr9
.LBB103_1469:
	s_andn2_b64 vcc, exec, s[0:1]
	s_cbranch_vccnz .LBB103_1471
; %bb.1470:
	global_load_dword v1, v[14:15], off
	s_waitcnt vmcnt(0)
	v_cvt_i32_f32_e32 v9, v1
.LBB103_1471:
	s_mov_b64 s[0:1], 0
.LBB103_1472:
	s_andn2_b64 vcc, exec, s[0:1]
	s_cbranch_vccnz .LBB103_1474
; %bb.1473:
	global_load_ushort v1, v[14:15], off
	s_waitcnt vmcnt(0)
	v_cvt_i16_f16_e32 v9, v1
.LBB103_1474:
	s_mov_b64 s[0:1], 0
.LBB103_1475:
	s_andn2_b64 vcc, exec, s[0:1]
	s_cbranch_vccnz .LBB103_1495
; %bb.1476:
	s_cmp_lt_i32 s6, 2
	s_cbranch_scc1 .LBB103_1480
; %bb.1477:
	s_cmp_lt_i32 s6, 3
	s_cbranch_scc1 .LBB103_1481
; %bb.1478:
	s_cmp_gt_i32 s6, 3
	s_cbranch_scc0 .LBB103_1482
; %bb.1479:
	global_load_dwordx2 v[9:10], v[14:15], off
	s_mov_b64 s[0:1], 0
	s_branch .LBB103_1483
.LBB103_1480:
	s_mov_b64 s[0:1], -1
                                        ; implicit-def: $vgpr9
	s_branch .LBB103_1489
.LBB103_1481:
	s_mov_b64 s[0:1], -1
                                        ; implicit-def: $vgpr9
	s_branch .LBB103_1486
.LBB103_1482:
	s_mov_b64 s[0:1], -1
                                        ; implicit-def: $vgpr9
.LBB103_1483:
	s_andn2_b64 vcc, exec, s[0:1]
	s_cbranch_vccnz .LBB103_1485
; %bb.1484:
	global_load_dword v9, v[14:15], off
.LBB103_1485:
	s_mov_b64 s[0:1], 0
.LBB103_1486:
	s_andn2_b64 vcc, exec, s[0:1]
	s_cbranch_vccnz .LBB103_1488
; %bb.1487:
	global_load_ushort v9, v[14:15], off
.LBB103_1488:
	s_mov_b64 s[0:1], 0
.LBB103_1489:
	s_andn2_b64 vcc, exec, s[0:1]
	s_cbranch_vccnz .LBB103_1495
; %bb.1490:
	s_cmp_gt_i32 s6, 0
	s_cbranch_scc0 .LBB103_1492
; %bb.1491:
	global_load_sbyte v9, v[14:15], off
	s_mov_b64 s[0:1], 0
	s_branch .LBB103_1493
.LBB103_1492:
	s_mov_b64 s[0:1], -1
                                        ; implicit-def: $vgpr9
.LBB103_1493:
	s_andn2_b64 vcc, exec, s[0:1]
	s_cbranch_vccnz .LBB103_1495
; %bb.1494:
	global_load_ubyte v9, v[14:15], off
.LBB103_1495:
.LBB103_1496:
	v_mov_b32_e32 v1, s11
	v_add_co_u32_e32 v14, vcc, s10, v7
	s_cmp_lt_i32 s16, 11
	v_addc_co_u32_e32 v15, vcc, 0, v1, vcc
	s_cbranch_scc1 .LBB103_1503
; %bb.1497:
	s_and_b32 s14, 0xffff, s16
	s_cmp_gt_i32 s14, 25
	s_mov_b64 s[6:7], 0
	s_cbranch_scc0 .LBB103_1504
; %bb.1498:
	s_cmp_gt_i32 s14, 28
	s_cbranch_scc0 .LBB103_1505
; %bb.1499:
	s_cmp_gt_i32 s14, 43
	;; [unrolled: 3-line block ×3, first 2 shown]
	s_cbranch_scc0 .LBB103_1508
; %bb.1501:
	s_cmp_eq_u32 s14, 46
	s_mov_b64 s[12:13], 0
	s_cbranch_scc0 .LBB103_1509
; %bb.1502:
	global_load_dword v1, v[14:15], off
	s_mov_b64 s[0:1], 0
	s_mov_b64 s[10:11], -1
	s_waitcnt vmcnt(0)
	v_lshlrev_b32_e32 v1, 16, v1
	v_cvt_i32_f32_e32 v7, v1
	s_branch .LBB103_1510
.LBB103_1503:
	s_mov_b64 s[0:1], -1
	s_mov_b64 s[10:11], 0
                                        ; implicit-def: $vgpr7
	s_branch .LBB103_1572
.LBB103_1504:
	s_mov_b64 s[12:13], -1
	s_mov_b64 s[10:11], 0
	s_mov_b64 s[0:1], 0
                                        ; implicit-def: $vgpr7
	s_branch .LBB103_1537
.LBB103_1505:
	s_mov_b64 s[12:13], -1
	s_mov_b64 s[10:11], 0
	s_mov_b64 s[0:1], 0
                                        ; implicit-def: $vgpr7
	s_branch .LBB103_1520
.LBB103_1506:
	s_mov_b64 s[12:13], -1
	s_mov_b64 s[10:11], 0
	s_mov_b64 s[0:1], 0
                                        ; implicit-def: $vgpr7
	s_branch .LBB103_1515
.LBB103_1507:
	s_trap 2
	s_or_b64 s[2:3], s[2:3], exec
	s_cbranch_execz .LBB103_1446
	s_branch .LBB103_1447
.LBB103_1508:
	s_mov_b64 s[12:13], -1
	s_mov_b64 s[10:11], 0
	s_mov_b64 s[0:1], 0
                                        ; implicit-def: $vgpr7
	s_branch .LBB103_1510
.LBB103_1509:
	s_mov_b64 s[0:1], -1
                                        ; implicit-def: $vgpr7
	s_mov_b64 s[10:11], 0
.LBB103_1510:
	s_and_b64 vcc, exec, s[12:13]
	s_cbranch_vccz .LBB103_1514
; %bb.1511:
	s_cmp_eq_u32 s14, 44
	s_cbranch_scc0 .LBB103_1513
; %bb.1512:
	global_load_ubyte v1, v[14:15], off
	s_mov_b64 s[0:1], 0
	s_mov_b64 s[10:11], -1
	s_waitcnt vmcnt(0)
	v_lshlrev_b32_e32 v3, 23, v1
	v_cvt_i32_f32_e32 v3, v3
	v_cmp_ne_u32_e32 vcc, 0, v1
	v_cndmask_b32_e32 v7, 0, v3, vcc
	s_branch .LBB103_1514
.LBB103_1513:
	s_mov_b64 s[0:1], -1
                                        ; implicit-def: $vgpr7
.LBB103_1514:
	s_mov_b64 s[12:13], 0
.LBB103_1515:
	s_and_b64 vcc, exec, s[12:13]
	s_cbranch_vccz .LBB103_1519
; %bb.1516:
	s_cmp_eq_u32 s14, 29
	s_cbranch_scc0 .LBB103_1518
; %bb.1517:
	global_load_dwordx2 v[7:8], v[14:15], off
	s_mov_b64 s[0:1], 0
	s_mov_b64 s[10:11], -1
	s_branch .LBB103_1519
.LBB103_1518:
	s_mov_b64 s[0:1], -1
                                        ; implicit-def: $vgpr7
.LBB103_1519:
	s_mov_b64 s[12:13], 0
.LBB103_1520:
	s_and_b64 vcc, exec, s[12:13]
	s_cbranch_vccz .LBB103_1536
; %bb.1521:
	s_cmp_lt_i32 s14, 27
	s_cbranch_scc1 .LBB103_1524
; %bb.1522:
	s_cmp_gt_i32 s14, 27
	s_cbranch_scc0 .LBB103_1525
; %bb.1523:
	global_load_dword v7, v[14:15], off
	s_mov_b64 s[10:11], 0
	s_branch .LBB103_1526
.LBB103_1524:
	s_mov_b64 s[10:11], -1
                                        ; implicit-def: $vgpr7
	s_branch .LBB103_1529
.LBB103_1525:
	s_mov_b64 s[10:11], -1
                                        ; implicit-def: $vgpr7
.LBB103_1526:
	s_andn2_b64 vcc, exec, s[10:11]
	s_cbranch_vccnz .LBB103_1528
; %bb.1527:
	global_load_ushort v7, v[14:15], off
.LBB103_1528:
	s_mov_b64 s[10:11], 0
.LBB103_1529:
	s_andn2_b64 vcc, exec, s[10:11]
	s_cbranch_vccnz .LBB103_1535
; %bb.1530:
	global_load_ubyte v1, v[14:15], off
	s_movk_i32 s10, 0x7f
	s_mov_b64 s[12:13], 0
	s_waitcnt vmcnt(0)
	v_cmp_lt_i16_e32 vcc, s10, v1
	s_and_saveexec_b64 s[10:11], vcc
	s_xor_b64 s[10:11], exec, s[10:11]
	s_cbranch_execz .LBB103_1547
; %bb.1531:
	s_movk_i32 s12, 0x80
	v_cmp_ne_u16_e32 vcc, s12, v1
	s_and_b64 s[12:13], vcc, exec
	s_andn2_saveexec_b64 s[10:11], s[10:11]
	s_cbranch_execnz .LBB103_1548
.LBB103_1532:
	s_or_b64 exec, exec, s[10:11]
	v_mov_b32_e32 v7, 0
	s_and_saveexec_b64 s[10:11], s[12:13]
	s_cbranch_execz .LBB103_1534
.LBB103_1533:
	v_lshlrev_b32_e32 v3, 24, v1
	v_and_b32_e32 v1, 0xffff, v1
	v_and_b32_e32 v5, 7, v1
	v_ffbh_u32_e32 v8, v5
	v_min_u32_e32 v8, 32, v8
	v_subrev_u32_e32 v10, 28, v8
	v_bfe_u32 v7, v1, 3, 4
	v_lshlrev_b32_e32 v1, v10, v1
	v_sub_u32_e32 v8, 29, v8
	v_and_b32_e32 v1, 7, v1
	v_cmp_eq_u32_e32 vcc, 0, v7
	v_cndmask_b32_e32 v7, v7, v8, vcc
	v_cndmask_b32_e32 v1, v5, v1, vcc
	v_mov_b32_e32 v5, 0x3b800000
	v_lshlrev_b32_e32 v1, 20, v1
	v_and_b32_e32 v3, 0x80000000, v3
	v_lshl_add_u32 v5, v7, 23, v5
	v_or3_b32 v1, v3, v5, v1
	v_cvt_i32_f32_e32 v7, v1
.LBB103_1534:
	s_or_b64 exec, exec, s[10:11]
.LBB103_1535:
	s_mov_b64 s[10:11], -1
.LBB103_1536:
	s_mov_b64 s[12:13], 0
.LBB103_1537:
	s_and_b64 vcc, exec, s[12:13]
	s_cbranch_vccz .LBB103_1568
; %bb.1538:
	s_cmp_gt_i32 s14, 22
	s_cbranch_scc0 .LBB103_1546
; %bb.1539:
	s_cmp_lt_i32 s14, 24
	s_cbranch_scc1 .LBB103_1549
; %bb.1540:
	s_cmp_gt_i32 s14, 24
	s_cbranch_scc0 .LBB103_1550
; %bb.1541:
	global_load_ubyte v1, v[14:15], off
	s_movk_i32 s6, 0x7f
	s_mov_b64 s[10:11], 0
	s_waitcnt vmcnt(0)
	v_cmp_lt_i16_e32 vcc, s6, v1
	s_and_saveexec_b64 s[6:7], vcc
	s_xor_b64 s[6:7], exec, s[6:7]
	s_cbranch_execz .LBB103_1562
; %bb.1542:
	s_movk_i32 s10, 0x80
	v_cmp_ne_u16_e32 vcc, s10, v1
	s_and_b64 s[10:11], vcc, exec
	s_andn2_saveexec_b64 s[6:7], s[6:7]
	s_cbranch_execnz .LBB103_1563
.LBB103_1543:
	s_or_b64 exec, exec, s[6:7]
	v_mov_b32_e32 v7, 0
	s_and_saveexec_b64 s[6:7], s[10:11]
	s_cbranch_execz .LBB103_1545
.LBB103_1544:
	v_lshlrev_b32_e32 v3, 24, v1
	v_and_b32_e32 v1, 0xffff, v1
	v_and_b32_e32 v5, 3, v1
	v_ffbh_u32_e32 v8, v5
	v_min_u32_e32 v8, 32, v8
	v_subrev_u32_e32 v10, 29, v8
	v_bfe_u32 v7, v1, 2, 5
	v_lshlrev_b32_e32 v1, v10, v1
	v_sub_u32_e32 v8, 30, v8
	v_and_b32_e32 v1, 3, v1
	v_cmp_eq_u32_e32 vcc, 0, v7
	v_cndmask_b32_e32 v7, v7, v8, vcc
	v_cndmask_b32_e32 v1, v5, v1, vcc
	v_mov_b32_e32 v5, 0x37800000
	v_lshlrev_b32_e32 v1, 21, v1
	v_and_b32_e32 v3, 0x80000000, v3
	v_lshl_add_u32 v5, v7, 23, v5
	v_or3_b32 v1, v3, v5, v1
	v_cvt_i32_f32_e32 v7, v1
.LBB103_1545:
	s_or_b64 exec, exec, s[6:7]
	s_mov_b64 s[6:7], 0
	s_branch .LBB103_1551
.LBB103_1546:
	s_mov_b64 s[6:7], -1
                                        ; implicit-def: $vgpr7
	s_branch .LBB103_1557
.LBB103_1547:
	s_andn2_saveexec_b64 s[10:11], s[10:11]
	s_cbranch_execz .LBB103_1532
.LBB103_1548:
	v_cmp_ne_u16_e32 vcc, 0, v1
	s_andn2_b64 s[12:13], s[12:13], exec
	s_and_b64 s[18:19], vcc, exec
	s_or_b64 s[12:13], s[12:13], s[18:19]
	s_or_b64 exec, exec, s[10:11]
	v_mov_b32_e32 v7, 0
	s_and_saveexec_b64 s[10:11], s[12:13]
	s_cbranch_execnz .LBB103_1533
	s_branch .LBB103_1534
.LBB103_1549:
	s_mov_b64 s[6:7], -1
                                        ; implicit-def: $vgpr7
	s_branch .LBB103_1554
.LBB103_1550:
	s_mov_b64 s[6:7], -1
                                        ; implicit-def: $vgpr7
.LBB103_1551:
	s_and_b64 vcc, exec, s[6:7]
	s_cbranch_vccz .LBB103_1553
; %bb.1552:
	global_load_ubyte v1, v[14:15], off
	s_mov_b32 s6, 0x7f800000
	s_waitcnt vmcnt(0)
	v_lshlrev_b32_e32 v1, 24, v1
	v_and_b32_e32 v3, 0x7f000000, v1
	v_ffbh_u32_e32 v5, v3
	v_min_u32_e32 v5, 32, v5
	v_sub_u32_e64 v5, v5, 4 clamp
	v_lshlrev_b32_e32 v8, v5, v3
	v_lshlrev_b32_e32 v5, 23, v5
	v_lshrrev_b32_e32 v8, 4, v8
	v_add_u32_e32 v7, 0x1000000, v3
	v_sub_u32_e32 v5, v8, v5
	v_ashrrev_i32_e32 v7, 8, v7
	v_add_u32_e32 v5, 0x3c000000, v5
	v_and_or_b32 v5, v7, s6, v5
	v_cmp_ne_u32_e32 vcc, 0, v3
	v_cndmask_b32_e32 v3, 0, v5, vcc
	s_brev_b32 s6, 1
	v_and_or_b32 v1, v1, s6, v3
	v_cvt_i32_f32_e32 v7, v1
.LBB103_1553:
	s_mov_b64 s[6:7], 0
.LBB103_1554:
	s_andn2_b64 vcc, exec, s[6:7]
	s_cbranch_vccnz .LBB103_1556
; %bb.1555:
	global_load_ubyte v1, v[14:15], off
	s_movk_i32 s6, 0x7f00
	s_brev_b32 s7, 16
	s_waitcnt vmcnt(0)
	v_lshlrev_b16_e32 v3, 8, v1
	v_lshlrev_b32_e32 v1, 25, v1
	v_lshrrev_b32_e32 v5, 4, v1
	v_and_or_b32 v7, v3, s6, 0.5
	v_or_b32_e32 v5, 0x70000000, v5
	v_add_f32_e32 v7, -0.5, v7
	v_mul_f32_e32 v5, 0x7800000, v5
	v_cmp_gt_u32_e32 vcc, s7, v1
	v_bfe_i32 v3, v3, 0, 16
	v_cndmask_b32_e32 v1, v5, v7, vcc
	s_brev_b32 s6, 1
	v_and_or_b32 v1, v3, s6, v1
	v_cvt_i32_f32_e32 v7, v1
.LBB103_1556:
	s_mov_b64 s[6:7], 0
	s_mov_b64 s[10:11], -1
.LBB103_1557:
	s_andn2_b64 vcc, exec, s[6:7]
	s_mov_b64 s[6:7], 0
	s_cbranch_vccnz .LBB103_1568
; %bb.1558:
	s_cmp_gt_i32 s14, 14
	s_cbranch_scc0 .LBB103_1561
; %bb.1559:
	s_cmp_eq_u32 s14, 15
	s_cbranch_scc0 .LBB103_1564
; %bb.1560:
	global_load_ushort v1, v[14:15], off
	s_mov_b64 s[0:1], 0
	s_mov_b64 s[10:11], -1
	s_waitcnt vmcnt(0)
	v_lshlrev_b32_e32 v1, 16, v1
	v_cvt_i32_f32_e32 v7, v1
	s_branch .LBB103_1565
.LBB103_1561:
	s_mov_b64 s[12:13], -1
                                        ; implicit-def: $vgpr7
	s_branch .LBB103_1566
.LBB103_1562:
	s_andn2_saveexec_b64 s[6:7], s[6:7]
	s_cbranch_execz .LBB103_1543
.LBB103_1563:
	v_cmp_ne_u16_e32 vcc, 0, v1
	s_andn2_b64 s[10:11], s[10:11], exec
	s_and_b64 s[12:13], vcc, exec
	s_or_b64 s[10:11], s[10:11], s[12:13]
	s_or_b64 exec, exec, s[6:7]
	v_mov_b32_e32 v7, 0
	s_and_saveexec_b64 s[6:7], s[10:11]
	s_cbranch_execnz .LBB103_1544
	s_branch .LBB103_1545
.LBB103_1564:
	s_mov_b64 s[0:1], -1
                                        ; implicit-def: $vgpr7
.LBB103_1565:
	s_mov_b64 s[12:13], 0
.LBB103_1566:
	s_and_b64 vcc, exec, s[12:13]
	s_cbranch_vccz .LBB103_1568
; %bb.1567:
	s_cmp_lg_u32 s14, 11
	s_mov_b64 s[6:7], -1
	s_cselect_b64 s[0:1], -1, 0
.LBB103_1568:
	s_and_b64 vcc, exec, s[0:1]
	s_cbranch_vccnz .LBB103_2101
; %bb.1569:
	s_andn2_b64 vcc, exec, s[6:7]
	s_cbranch_vccnz .LBB103_1571
.LBB103_1570:
	global_load_ubyte v1, v[14:15], off
	s_mov_b64 s[10:11], -1
	s_waitcnt vmcnt(0)
	v_cmp_ne_u16_e32 vcc, 0, v1
	v_cndmask_b32_e64 v7, 0, 1, vcc
.LBB103_1571:
	s_mov_b64 s[0:1], 0
.LBB103_1572:
	s_and_b64 vcc, exec, s[0:1]
	s_cbranch_vccz .LBB103_1621
; %bb.1573:
	s_and_b32 s6, 0xffff, s16
	s_cmp_lt_i32 s6, 5
	s_cbranch_scc1 .LBB103_1578
; %bb.1574:
	s_cmp_lt_i32 s6, 8
	s_cbranch_scc1 .LBB103_1579
; %bb.1575:
	;; [unrolled: 3-line block ×3, first 2 shown]
	s_cmp_gt_i32 s6, 9
	s_cbranch_scc0 .LBB103_1581
; %bb.1577:
	global_load_dwordx2 v[7:8], v[14:15], off
	s_mov_b64 s[0:1], 0
	s_waitcnt vmcnt(0)
	v_cvt_i32_f64_e32 v7, v[7:8]
	s_branch .LBB103_1582
.LBB103_1578:
	s_mov_b64 s[0:1], -1
                                        ; implicit-def: $vgpr7
	s_branch .LBB103_1600
.LBB103_1579:
	s_mov_b64 s[0:1], -1
                                        ; implicit-def: $vgpr7
	s_branch .LBB103_1588
.LBB103_1580:
	s_mov_b64 s[0:1], -1
                                        ; implicit-def: $vgpr7
	s_branch .LBB103_1585
.LBB103_1581:
	s_mov_b64 s[0:1], -1
                                        ; implicit-def: $vgpr7
.LBB103_1582:
	s_andn2_b64 vcc, exec, s[0:1]
	s_cbranch_vccnz .LBB103_1584
; %bb.1583:
	global_load_dword v1, v[14:15], off
	s_waitcnt vmcnt(0)
	v_cvt_i32_f32_e32 v7, v1
.LBB103_1584:
	s_mov_b64 s[0:1], 0
.LBB103_1585:
	s_andn2_b64 vcc, exec, s[0:1]
	s_cbranch_vccnz .LBB103_1587
; %bb.1586:
	global_load_dword v1, v[14:15], off
	s_waitcnt vmcnt(0)
	v_cvt_i16_f16_e32 v7, v1
.LBB103_1587:
	s_mov_b64 s[0:1], 0
.LBB103_1588:
	s_andn2_b64 vcc, exec, s[0:1]
	s_cbranch_vccnz .LBB103_1599
; %bb.1589:
	s_cmp_lt_i32 s6, 6
	s_cbranch_scc1 .LBB103_1592
; %bb.1590:
	s_cmp_gt_i32 s6, 6
	s_cbranch_scc0 .LBB103_1593
; %bb.1591:
	global_load_dwordx2 v[7:8], v[14:15], off
	s_mov_b64 s[0:1], 0
	s_waitcnt vmcnt(0)
	v_cvt_i32_f64_e32 v7, v[7:8]
	s_branch .LBB103_1594
.LBB103_1592:
	s_mov_b64 s[0:1], -1
                                        ; implicit-def: $vgpr7
	s_branch .LBB103_1597
.LBB103_1593:
	s_mov_b64 s[0:1], -1
                                        ; implicit-def: $vgpr7
.LBB103_1594:
	s_andn2_b64 vcc, exec, s[0:1]
	s_cbranch_vccnz .LBB103_1596
; %bb.1595:
	global_load_dword v1, v[14:15], off
	s_waitcnt vmcnt(0)
	v_cvt_i32_f32_e32 v7, v1
.LBB103_1596:
	s_mov_b64 s[0:1], 0
.LBB103_1597:
	s_andn2_b64 vcc, exec, s[0:1]
	s_cbranch_vccnz .LBB103_1599
; %bb.1598:
	global_load_ushort v1, v[14:15], off
	s_waitcnt vmcnt(0)
	v_cvt_i16_f16_e32 v7, v1
.LBB103_1599:
	s_mov_b64 s[0:1], 0
.LBB103_1600:
	s_andn2_b64 vcc, exec, s[0:1]
	s_cbranch_vccnz .LBB103_1620
; %bb.1601:
	s_cmp_lt_i32 s6, 2
	s_cbranch_scc1 .LBB103_1605
; %bb.1602:
	s_cmp_lt_i32 s6, 3
	s_cbranch_scc1 .LBB103_1606
; %bb.1603:
	s_cmp_gt_i32 s6, 3
	s_cbranch_scc0 .LBB103_1607
; %bb.1604:
	global_load_dwordx2 v[7:8], v[14:15], off
	s_mov_b64 s[0:1], 0
	s_branch .LBB103_1608
.LBB103_1605:
	s_mov_b64 s[0:1], -1
                                        ; implicit-def: $vgpr7
	s_branch .LBB103_1614
.LBB103_1606:
	s_mov_b64 s[0:1], -1
                                        ; implicit-def: $vgpr7
	s_branch .LBB103_1611
.LBB103_1607:
	s_mov_b64 s[0:1], -1
                                        ; implicit-def: $vgpr7
.LBB103_1608:
	s_andn2_b64 vcc, exec, s[0:1]
	s_cbranch_vccnz .LBB103_1610
; %bb.1609:
	global_load_dword v7, v[14:15], off
.LBB103_1610:
	s_mov_b64 s[0:1], 0
.LBB103_1611:
	s_andn2_b64 vcc, exec, s[0:1]
	s_cbranch_vccnz .LBB103_1613
; %bb.1612:
	global_load_ushort v7, v[14:15], off
.LBB103_1613:
	s_mov_b64 s[0:1], 0
.LBB103_1614:
	s_andn2_b64 vcc, exec, s[0:1]
	s_cbranch_vccnz .LBB103_1620
; %bb.1615:
	s_cmp_gt_i32 s6, 0
	s_cbranch_scc0 .LBB103_1617
; %bb.1616:
	global_load_sbyte v7, v[14:15], off
	s_mov_b64 s[0:1], 0
	s_branch .LBB103_1618
.LBB103_1617:
	s_mov_b64 s[0:1], -1
                                        ; implicit-def: $vgpr7
.LBB103_1618:
	s_andn2_b64 vcc, exec, s[0:1]
	s_cbranch_vccnz .LBB103_1620
; %bb.1619:
	global_load_ubyte v7, v[14:15], off
.LBB103_1620:
	s_mov_b64 s[10:11], -1
.LBB103_1621:
	s_andn2_b64 vcc, exec, s[10:11]
	s_cbranch_vccnz .LBB103_2055
; %bb.1622:
	s_load_dword s0, s[4:5], 0x160
	s_load_dword s1, s[34:35], 0x15c
	v_cmp_gt_u16_e32 vcc, 16, v13
	v_mov_b32_e32 v3, s9
	s_waitcnt lgkmcnt(0)
	s_lshr_b32 s0, s0, 16
	s_and_b32 s15, 0xffff, s0
	v_lshlrev_b32_sdwa v1, v13, s15 dst_sel:DWORD dst_unused:UNUSED_PAD src0_sel:WORD_0 src1_sel:DWORD
	s_and_b32 s14, s1, 0xff
	v_cndmask_b32_e32 v1, 0, v1, vcc
	v_add_co_u32_e32 v5, vcc, s8, v6
	s_cmp_lt_i32 s14, 11
	v_addc_co_u32_e32 v6, vcc, 0, v3, vcc
	s_cbranch_scc1 .LBB103_1700
; %bb.1623:
	s_and_b32 s16, 0xffff, s14
	s_mov_b64 s[10:11], -1
	s_mov_b64 s[4:5], 0
	s_cmp_gt_i32 s16, 25
	s_mov_b64 s[6:7], 0
	s_mov_b64 s[0:1], 0
	s_cbranch_scc0 .LBB103_1656
; %bb.1624:
	s_cmp_gt_i32 s16, 28
	s_cbranch_scc0 .LBB103_1639
; %bb.1625:
	s_cmp_gt_i32 s16, 43
	;; [unrolled: 3-line block ×3, first 2 shown]
	s_cbranch_scc0 .LBB103_1629
; %bb.1627:
	s_mov_b64 s[0:1], -1
	s_mov_b64 s[10:11], 0
	s_cmp_eq_u32 s16, 46
	s_cbranch_scc0 .LBB103_1629
; %bb.1628:
	v_cvt_f32_i32_sdwa v3, sext(v1) dst_sel:DWORD dst_unused:UNUSED_PAD src0_sel:WORD_0
	s_movk_i32 s6, 0x7fff
	s_mov_b64 s[0:1], 0
	s_waitcnt vmcnt(0)
	v_bfe_u32 v8, v3, 16, 1
	v_add3_u32 v3, v3, v8, s6
	v_lshrrev_b32_e32 v3, 16, v3
	global_store_dword v[5:6], v3, off
	s_mov_b64 s[6:7], -1
.LBB103_1629:
	s_and_b64 vcc, exec, s[10:11]
	s_cbranch_vccz .LBB103_1634
; %bb.1630:
	s_cmp_eq_u32 s16, 44
	s_mov_b64 s[0:1], -1
	s_cbranch_scc0 .LBB103_1634
; %bb.1631:
	v_cvt_f32_i32_sdwa v3, sext(v1) dst_sel:DWORD dst_unused:UNUSED_PAD src0_sel:WORD_0
	s_movk_i32 s0, 0xff
	s_waitcnt vmcnt(0)
	v_mov_b32_e32 v10, 0xff
	v_bfe_u32 v8, v3, 23, 8
	v_cmp_ne_u32_e32 vcc, s0, v8
	s_and_saveexec_b64 s[6:7], vcc
; %bb.1632:
	s_mov_b32 s0, 0x3fffff
	v_lshrrev_b32_e32 v10, 23, v3
	v_and_b32_e32 v12, 0x400000, v3
	v_and_or_b32 v3, v3, s0, v8
	v_cmp_ne_u32_e32 vcc, 0, v12
	v_cmp_ne_u32_e64 s[0:1], 0, v3
	s_and_b64 s[0:1], vcc, s[0:1]
	v_cndmask_b32_e64 v3, 0, 1, s[0:1]
	v_add_u32_e32 v10, v10, v3
; %bb.1633:
	s_or_b64 exec, exec, s[6:7]
	s_mov_b64 s[0:1], 0
	s_mov_b64 s[6:7], -1
	global_store_byte v[5:6], v10, off
.LBB103_1634:
	s_mov_b64 s[10:11], 0
.LBB103_1635:
	s_and_b64 vcc, exec, s[10:11]
	s_cbranch_vccz .LBB103_1638
; %bb.1636:
	s_cmp_eq_u32 s16, 29
	s_mov_b64 s[0:1], -1
	s_cbranch_scc0 .LBB103_1638
; %bb.1637:
	s_waitcnt vmcnt(0)
	v_bfe_i32 v12, v1, 0, 16
	v_ashrrev_i32_e32 v13, 31, v12
	global_store_dwordx2 v[5:6], v[12:13], off
	s_mov_b64 s[0:1], 0
	s_mov_b64 s[6:7], -1
.LBB103_1638:
	s_mov_b64 s[10:11], 0
.LBB103_1639:
	s_and_b64 vcc, exec, s[10:11]
	s_cbranch_vccz .LBB103_1655
; %bb.1640:
	s_cmp_lt_i32 s16, 27
	s_mov_b64 s[6:7], -1
	s_cbranch_scc1 .LBB103_1646
; %bb.1641:
	s_cmp_gt_i32 s16, 27
	s_cbranch_scc0 .LBB103_1643
; %bb.1642:
	v_bfe_i32 v3, v1, 0, 16
	s_mov_b64 s[6:7], 0
	global_store_dword v[5:6], v3, off
.LBB103_1643:
	s_andn2_b64 vcc, exec, s[6:7]
	s_cbranch_vccnz .LBB103_1645
; %bb.1644:
	global_store_short v[5:6], v1, off
.LBB103_1645:
	s_mov_b64 s[6:7], 0
.LBB103_1646:
	s_andn2_b64 vcc, exec, s[6:7]
	s_cbranch_vccnz .LBB103_1654
; %bb.1647:
	v_cvt_f32_i32_sdwa v3, sext(v1) dst_sel:DWORD dst_unused:UNUSED_PAD src0_sel:WORD_0
	s_mov_b32 s6, 0x43800000
	s_waitcnt vmcnt(0)
	v_mov_b32_e32 v10, 0x80
	v_and_b32_e32 v8, 0x7fffffff, v3
	v_cmp_gt_u32_e32 vcc, s6, v8
	s_and_saveexec_b64 s[6:7], vcc
	s_cbranch_execz .LBB103_1653
; %bb.1648:
	s_mov_b32 s10, 0x3bffffff
	v_cmp_lt_u32_e32 vcc, s10, v8
	s_mov_b64 s[10:11], 0
                                        ; implicit-def: $vgpr8
	s_and_saveexec_b64 s[12:13], vcc
	s_xor_b64 s[12:13], exec, s[12:13]
	s_cbranch_execz .LBB103_2102
; %bb.1649:
	v_bfe_u32 v8, v3, 20, 1
	s_mov_b32 s17, 0x487ffff
	v_add3_u32 v8, v3, v8, s17
	s_mov_b64 s[10:11], exec
	v_lshrrev_b32_e32 v8, 20, v8
	s_andn2_saveexec_b64 s[12:13], s[12:13]
	s_cbranch_execnz .LBB103_2103
.LBB103_1650:
	s_or_b64 exec, exec, s[12:13]
	v_mov_b32_e32 v10, 0
	s_and_saveexec_b64 s[12:13], s[10:11]
.LBB103_1651:
	v_lshrrev_b32_e32 v3, 24, v3
	s_movk_i32 s10, 0x80
	v_and_or_b32 v10, v3, s10, v8
.LBB103_1652:
	s_or_b64 exec, exec, s[12:13]
.LBB103_1653:
	s_or_b64 exec, exec, s[6:7]
	global_store_byte v[5:6], v10, off
.LBB103_1654:
	s_mov_b64 s[6:7], -1
.LBB103_1655:
	s_mov_b64 s[10:11], 0
.LBB103_1656:
	s_and_b64 vcc, exec, s[10:11]
	s_cbranch_vccz .LBB103_1696
; %bb.1657:
	s_cmp_gt_i32 s16, 22
	s_mov_b64 s[4:5], -1
	s_cbranch_scc0 .LBB103_1689
; %bb.1658:
	s_cmp_lt_i32 s16, 24
	s_cbranch_scc1 .LBB103_1678
; %bb.1659:
	s_cmp_gt_i32 s16, 24
	s_cbranch_scc0 .LBB103_1667
; %bb.1660:
	v_cvt_f32_i32_sdwa v3, sext(v1) dst_sel:DWORD dst_unused:UNUSED_PAD src0_sel:WORD_0
	s_mov_b32 s4, 0x47800000
	s_waitcnt vmcnt(0)
	v_mov_b32_e32 v10, 0x80
	v_and_b32_e32 v8, 0x7fffffff, v3
	v_cmp_gt_u32_e32 vcc, s4, v8
	s_and_saveexec_b64 s[4:5], vcc
	s_cbranch_execz .LBB103_1666
; %bb.1661:
	s_mov_b32 s6, 0x37ffffff
	v_cmp_lt_u32_e32 vcc, s6, v8
	s_mov_b64 s[6:7], 0
                                        ; implicit-def: $vgpr8
	s_and_saveexec_b64 s[10:11], vcc
	s_xor_b64 s[10:11], exec, s[10:11]
	s_cbranch_execz .LBB103_2105
; %bb.1662:
	v_bfe_u32 v8, v3, 21, 1
	s_mov_b32 s12, 0x88fffff
	v_add3_u32 v8, v3, v8, s12
	s_mov_b64 s[6:7], exec
	v_lshrrev_b32_e32 v8, 21, v8
	s_andn2_saveexec_b64 s[10:11], s[10:11]
	s_cbranch_execnz .LBB103_2106
.LBB103_1663:
	s_or_b64 exec, exec, s[10:11]
	v_mov_b32_e32 v10, 0
	s_and_saveexec_b64 s[10:11], s[6:7]
.LBB103_1664:
	v_lshrrev_b32_e32 v3, 24, v3
	s_movk_i32 s6, 0x80
	v_and_or_b32 v10, v3, s6, v8
.LBB103_1665:
	s_or_b64 exec, exec, s[10:11]
.LBB103_1666:
	s_or_b64 exec, exec, s[4:5]
	s_mov_b64 s[4:5], 0
	global_store_byte v[5:6], v10, off
.LBB103_1667:
	s_and_b64 vcc, exec, s[4:5]
	s_cbranch_vccz .LBB103_1677
; %bb.1668:
	v_cvt_f32_i32_sdwa v3, sext(v1) dst_sel:DWORD dst_unused:UNUSED_PAD src0_sel:WORD_0
	s_mov_b32 s4, 0x43f00000
                                        ; implicit-def: $vgpr8
	s_waitcnt vmcnt(0)
	v_and_b32_e32 v10, 0x7fffffff, v3
	v_cmp_gt_u32_e32 vcc, s4, v10
	s_and_saveexec_b64 s[4:5], vcc
	s_xor_b64 s[4:5], exec, s[4:5]
	s_cbranch_execz .LBB103_1674
; %bb.1669:
	s_mov_b32 s6, 0x3c7fffff
	v_cmp_lt_u32_e32 vcc, s6, v10
                                        ; implicit-def: $vgpr8
	s_and_saveexec_b64 s[6:7], vcc
	s_xor_b64 s[6:7], exec, s[6:7]
; %bb.1670:
	v_bfe_u32 v8, v3, 20, 1
	s_mov_b32 s10, 0x407ffff
	v_add3_u32 v8, v3, v8, s10
	v_lshrrev_b32_e32 v10, 20, v8
	v_and_b32_e32 v8, 0xff00000, v8
	s_mov_b32 s10, 0x7f00000
	v_mov_b32_e32 v12, 0x7e
	v_cmp_ne_u32_e32 vcc, s10, v8
	v_cndmask_b32_e32 v8, v12, v10, vcc
; %bb.1671:
	s_andn2_saveexec_b64 s[6:7], s[6:7]
; %bb.1672:
	s_mov_b32 s10, 0x46800000
	v_add_f32_e64 v8, |v3|, s10
; %bb.1673:
	s_or_b64 exec, exec, s[6:7]
                                        ; implicit-def: $vgpr10
.LBB103_1674:
	s_andn2_saveexec_b64 s[4:5], s[4:5]
; %bb.1675:
	s_mov_b32 s6, 0x7f800000
	v_mov_b32_e32 v8, 0x7e
	v_mov_b32_e32 v12, 0x7f
	v_cmp_lt_u32_e32 vcc, s6, v10
	v_cndmask_b32_e32 v8, v8, v12, vcc
; %bb.1676:
	s_or_b64 exec, exec, s[4:5]
	v_lshrrev_b32_e32 v3, 24, v3
	s_movk_i32 s4, 0x80
	v_and_or_b32 v3, v3, s4, v8
	global_store_byte v[5:6], v3, off
.LBB103_1677:
	s_mov_b64 s[4:5], 0
.LBB103_1678:
	s_andn2_b64 vcc, exec, s[4:5]
	s_cbranch_vccnz .LBB103_1688
; %bb.1679:
	v_cvt_f32_i32_sdwa v3, sext(v1) dst_sel:DWORD dst_unused:UNUSED_PAD src0_sel:WORD_0
	s_mov_b32 s4, 0x47800000
                                        ; implicit-def: $vgpr8
	s_waitcnt vmcnt(0)
	v_and_b32_e32 v10, 0x7fffffff, v3
	v_cmp_gt_u32_e32 vcc, s4, v10
	s_and_saveexec_b64 s[4:5], vcc
	s_xor_b64 s[4:5], exec, s[4:5]
	s_cbranch_execz .LBB103_1685
; %bb.1680:
	s_mov_b32 s6, 0x387fffff
	v_cmp_lt_u32_e32 vcc, s6, v10
                                        ; implicit-def: $vgpr8
	s_and_saveexec_b64 s[6:7], vcc
	s_xor_b64 s[6:7], exec, s[6:7]
; %bb.1681:
	v_bfe_u32 v8, v3, 21, 1
	s_mov_b32 s10, 0x80fffff
	v_add3_u32 v8, v3, v8, s10
	v_lshrrev_b32_e32 v8, 21, v8
; %bb.1682:
	s_andn2_saveexec_b64 s[6:7], s[6:7]
; %bb.1683:
	s_mov_b32 s10, 0x43000000
	v_add_f32_e64 v8, |v3|, s10
; %bb.1684:
	s_or_b64 exec, exec, s[6:7]
                                        ; implicit-def: $vgpr10
.LBB103_1685:
	s_andn2_saveexec_b64 s[4:5], s[4:5]
; %bb.1686:
	s_mov_b32 s6, 0x7f800000
	v_mov_b32_e32 v8, 0x7c
	v_mov_b32_e32 v12, 0x7f
	v_cmp_lt_u32_e32 vcc, s6, v10
	v_cndmask_b32_e32 v8, v8, v12, vcc
; %bb.1687:
	s_or_b64 exec, exec, s[4:5]
	v_lshrrev_b32_e32 v3, 24, v3
	s_movk_i32 s4, 0x80
	v_and_or_b32 v3, v3, s4, v8
	global_store_byte v[5:6], v3, off
.LBB103_1688:
	s_mov_b64 s[4:5], 0
	s_mov_b64 s[6:7], -1
.LBB103_1689:
	s_andn2_b64 vcc, exec, s[4:5]
	s_mov_b64 s[4:5], 0
	s_cbranch_vccnz .LBB103_1696
; %bb.1690:
	s_cmp_gt_i32 s16, 14
	s_mov_b64 s[10:11], -1
	s_cbranch_scc0 .LBB103_1694
; %bb.1691:
	s_cmp_eq_u32 s16, 15
	s_mov_b64 s[0:1], -1
	s_cbranch_scc0 .LBB103_1693
; %bb.1692:
	v_cvt_f32_i32_sdwa v3, sext(v1) dst_sel:DWORD dst_unused:UNUSED_PAD src0_sel:WORD_0
	s_movk_i32 s4, 0x7fff
	s_mov_b64 s[0:1], 0
	s_mov_b64 s[6:7], -1
	s_waitcnt vmcnt(0)
	v_bfe_u32 v8, v3, 16, 1
	v_add3_u32 v3, v3, v8, s4
	global_store_short_d16_hi v[5:6], v3, off
.LBB103_1693:
	s_mov_b64 s[10:11], 0
.LBB103_1694:
	s_mov_b64 s[4:5], 0
	s_and_b64 vcc, exec, s[10:11]
	s_cbranch_vccz .LBB103_1696
; %bb.1695:
	s_cmp_lg_u32 s16, 11
	s_mov_b64 s[4:5], -1
	s_cselect_b64 s[0:1], -1, 0
.LBB103_1696:
	s_and_b64 vcc, exec, s[0:1]
	s_cbranch_vccnz .LBB103_2104
; %bb.1697:
	s_andn2_b64 vcc, exec, s[4:5]
	s_cbranch_vccnz .LBB103_1699
.LBB103_1698:
	v_cmp_ne_u16_e32 vcc, 0, v1
	v_cndmask_b32_e64 v3, 0, 1, vcc
	s_mov_b64 s[6:7], -1
	global_store_byte v[5:6], v3, off
.LBB103_1699:
	s_mov_b64 s[0:1], 0
	s_branch .LBB103_1701
.LBB103_1700:
	s_mov_b64 s[0:1], -1
	s_mov_b64 s[6:7], 0
.LBB103_1701:
	s_and_b64 vcc, exec, s[0:1]
	s_cbranch_vccz .LBB103_1740
; %bb.1702:
	s_and_b32 s4, 0xffff, s14
	s_cmp_lt_i32 s4, 5
	s_mov_b64 s[0:1], -1
	s_cbranch_scc1 .LBB103_1723
; %bb.1703:
	s_cmp_lt_i32 s4, 8
	s_cbranch_scc1 .LBB103_1713
; %bb.1704:
	s_cmp_lt_i32 s4, 9
	s_cbranch_scc1 .LBB103_1710
; %bb.1705:
	s_cmp_gt_i32 s4, 9
	s_cbranch_scc0 .LBB103_1707
; %bb.1706:
	v_bfe_i32 v3, v1, 0, 16
	s_waitcnt vmcnt(0)
	v_cvt_f64_i32_e32 v[12:13], v3
	v_mov_b32_e32 v14, 0
	v_mov_b32_e32 v15, v14
	s_mov_b64 s[0:1], 0
	global_store_dwordx4 v[5:6], v[12:15], off
.LBB103_1707:
	s_andn2_b64 vcc, exec, s[0:1]
	s_cbranch_vccnz .LBB103_1709
; %bb.1708:
	s_waitcnt vmcnt(0)
	v_cvt_f32_i32_sdwa v12, sext(v1) dst_sel:DWORD dst_unused:UNUSED_PAD src0_sel:WORD_0
	v_mov_b32_e32 v13, 0
	global_store_dwordx2 v[5:6], v[12:13], off
.LBB103_1709:
	s_mov_b64 s[0:1], 0
.LBB103_1710:
	s_andn2_b64 vcc, exec, s[0:1]
	s_cbranch_vccnz .LBB103_1712
; %bb.1711:
	v_cvt_f16_i16_e32 v3, v1
	global_store_dword v[5:6], v3, off
.LBB103_1712:
	s_mov_b64 s[0:1], 0
.LBB103_1713:
	s_andn2_b64 vcc, exec, s[0:1]
	s_cbranch_vccnz .LBB103_1722
; %bb.1714:
	s_cmp_lt_i32 s4, 6
	s_mov_b64 s[0:1], -1
	s_cbranch_scc1 .LBB103_1720
; %bb.1715:
	s_cmp_gt_i32 s4, 6
	s_cbranch_scc0 .LBB103_1717
; %bb.1716:
	v_bfe_i32 v3, v1, 0, 16
	s_waitcnt vmcnt(0)
	v_cvt_f64_i32_e32 v[12:13], v3
	s_mov_b64 s[0:1], 0
	global_store_dwordx2 v[5:6], v[12:13], off
.LBB103_1717:
	s_andn2_b64 vcc, exec, s[0:1]
	s_cbranch_vccnz .LBB103_1719
; %bb.1718:
	v_cvt_f32_i32_sdwa v3, sext(v1) dst_sel:DWORD dst_unused:UNUSED_PAD src0_sel:WORD_0
	global_store_dword v[5:6], v3, off
.LBB103_1719:
	s_mov_b64 s[0:1], 0
.LBB103_1720:
	s_andn2_b64 vcc, exec, s[0:1]
	s_cbranch_vccnz .LBB103_1722
; %bb.1721:
	v_cvt_f16_i16_e32 v3, v1
	global_store_short v[5:6], v3, off
.LBB103_1722:
	s_mov_b64 s[0:1], 0
.LBB103_1723:
	s_andn2_b64 vcc, exec, s[0:1]
	s_cbranch_vccnz .LBB103_1739
; %bb.1724:
	s_cmp_lt_i32 s4, 2
	s_mov_b64 s[0:1], -1
	s_cbranch_scc1 .LBB103_1734
; %bb.1725:
	s_cmp_lt_i32 s4, 3
	s_cbranch_scc1 .LBB103_1731
; %bb.1726:
	s_cmp_gt_i32 s4, 3
	s_waitcnt vmcnt(0)
	v_bfe_i32 v12, v1, 0, 16
	s_cbranch_scc0 .LBB103_1728
; %bb.1727:
	v_ashrrev_i32_e32 v13, 31, v12
	global_store_dwordx2 v[5:6], v[12:13], off
	s_mov_b64 s[0:1], 0
.LBB103_1728:
	s_andn2_b64 vcc, exec, s[0:1]
	s_cbranch_vccnz .LBB103_1730
; %bb.1729:
	global_store_dword v[5:6], v12, off
.LBB103_1730:
	s_mov_b64 s[0:1], 0
.LBB103_1731:
	s_andn2_b64 vcc, exec, s[0:1]
	s_cbranch_vccnz .LBB103_1733
; %bb.1732:
	global_store_short v[5:6], v1, off
.LBB103_1733:
	s_mov_b64 s[0:1], 0
.LBB103_1734:
	s_andn2_b64 vcc, exec, s[0:1]
	s_cbranch_vccnz .LBB103_1739
; %bb.1735:
	s_cmp_gt_i32 s4, 0
	s_mov_b64 s[0:1], -1
	s_cbranch_scc0 .LBB103_1737
; %bb.1736:
	global_store_byte v[5:6], v1, off
	s_mov_b64 s[0:1], 0
.LBB103_1737:
	s_andn2_b64 vcc, exec, s[0:1]
	s_cbranch_vccnz .LBB103_1739
; %bb.1738:
	global_store_byte v[5:6], v1, off
.LBB103_1739:
	s_mov_b64 s[6:7], -1
.LBB103_1740:
	s_andn2_b64 vcc, exec, s[6:7]
	s_cbranch_vccnz .LBB103_2055
; %bb.1741:
	s_waitcnt vmcnt(0)
	v_lshlrev_b32_sdwa v1, v11, s15 dst_sel:DWORD dst_unused:UNUSED_PAD src0_sel:WORD_0 src1_sel:DWORD
	v_cmp_gt_u16_e32 vcc, 16, v11
	v_cndmask_b32_e32 v1, 0, v1, vcc
	v_mov_b32_e32 v5, s9
	s_and_b32 s16, 0xffff, s14
	v_add_co_u32_e32 v3, vcc, s8, v4
	s_cmp_lt_i32 s16, 11
	v_addc_co_u32_e32 v4, vcc, 0, v5, vcc
	s_cbranch_scc1 .LBB103_1819
; %bb.1742:
	s_mov_b64 s[10:11], -1
	s_mov_b64 s[4:5], 0
	s_cmp_gt_i32 s16, 25
	s_mov_b64 s[6:7], 0
	s_mov_b64 s[0:1], 0
	s_cbranch_scc0 .LBB103_1775
; %bb.1743:
	s_cmp_gt_i32 s16, 28
	s_cbranch_scc0 .LBB103_1758
; %bb.1744:
	s_cmp_gt_i32 s16, 43
	s_cbranch_scc0 .LBB103_1754
; %bb.1745:
	s_cmp_gt_i32 s16, 45
	s_cbranch_scc0 .LBB103_1748
; %bb.1746:
	s_mov_b64 s[0:1], -1
	s_mov_b64 s[10:11], 0
	s_cmp_eq_u32 s16, 46
	s_cbranch_scc0 .LBB103_1748
; %bb.1747:
	v_cvt_f32_i32_sdwa v5, sext(v1) dst_sel:DWORD dst_unused:UNUSED_PAD src0_sel:WORD_0
	s_movk_i32 s6, 0x7fff
	s_mov_b64 s[0:1], 0
	v_bfe_u32 v6, v5, 16, 1
	v_add3_u32 v5, v5, v6, s6
	v_lshrrev_b32_e32 v5, 16, v5
	global_store_dword v[3:4], v5, off
	s_mov_b64 s[6:7], -1
.LBB103_1748:
	s_and_b64 vcc, exec, s[10:11]
	s_cbranch_vccz .LBB103_1753
; %bb.1749:
	s_cmp_eq_u32 s16, 44
	s_mov_b64 s[0:1], -1
	s_cbranch_scc0 .LBB103_1753
; %bb.1750:
	v_cvt_f32_i32_sdwa v5, sext(v1) dst_sel:DWORD dst_unused:UNUSED_PAD src0_sel:WORD_0
	s_movk_i32 s0, 0xff
	v_mov_b32_e32 v8, 0xff
	v_bfe_u32 v6, v5, 23, 8
	v_cmp_ne_u32_e32 vcc, s0, v6
	s_and_saveexec_b64 s[6:7], vcc
; %bb.1751:
	s_mov_b32 s0, 0x3fffff
	v_lshrrev_b32_e32 v8, 23, v5
	v_and_b32_e32 v10, 0x400000, v5
	v_and_or_b32 v5, v5, s0, v6
	v_cmp_ne_u32_e32 vcc, 0, v10
	v_cmp_ne_u32_e64 s[0:1], 0, v5
	s_and_b64 s[0:1], vcc, s[0:1]
	v_cndmask_b32_e64 v5, 0, 1, s[0:1]
	v_add_u32_e32 v8, v8, v5
; %bb.1752:
	s_or_b64 exec, exec, s[6:7]
	s_mov_b64 s[0:1], 0
	s_mov_b64 s[6:7], -1
	global_store_byte v[3:4], v8, off
.LBB103_1753:
	s_mov_b64 s[10:11], 0
.LBB103_1754:
	s_and_b64 vcc, exec, s[10:11]
	s_cbranch_vccz .LBB103_1757
; %bb.1755:
	s_cmp_eq_u32 s16, 29
	s_mov_b64 s[0:1], -1
	s_cbranch_scc0 .LBB103_1757
; %bb.1756:
	v_bfe_i32 v5, v1, 0, 16
	v_ashrrev_i32_e32 v6, 31, v5
	global_store_dwordx2 v[3:4], v[5:6], off
	s_mov_b64 s[0:1], 0
	s_mov_b64 s[6:7], -1
.LBB103_1757:
	s_mov_b64 s[10:11], 0
.LBB103_1758:
	s_and_b64 vcc, exec, s[10:11]
	s_cbranch_vccz .LBB103_1774
; %bb.1759:
	s_cmp_lt_i32 s16, 27
	s_mov_b64 s[6:7], -1
	s_cbranch_scc1 .LBB103_1765
; %bb.1760:
	s_cmp_gt_i32 s16, 27
	s_cbranch_scc0 .LBB103_1762
; %bb.1761:
	v_bfe_i32 v5, v1, 0, 16
	s_mov_b64 s[6:7], 0
	global_store_dword v[3:4], v5, off
.LBB103_1762:
	s_andn2_b64 vcc, exec, s[6:7]
	s_cbranch_vccnz .LBB103_1764
; %bb.1763:
	global_store_short v[3:4], v1, off
.LBB103_1764:
	s_mov_b64 s[6:7], 0
.LBB103_1765:
	s_andn2_b64 vcc, exec, s[6:7]
	s_cbranch_vccnz .LBB103_1773
; %bb.1766:
	v_cvt_f32_i32_sdwa v5, sext(v1) dst_sel:DWORD dst_unused:UNUSED_PAD src0_sel:WORD_0
	s_mov_b32 s6, 0x43800000
	v_mov_b32_e32 v8, 0x80
	v_and_b32_e32 v6, 0x7fffffff, v5
	v_cmp_gt_u32_e32 vcc, s6, v6
	s_and_saveexec_b64 s[6:7], vcc
	s_cbranch_execz .LBB103_1772
; %bb.1767:
	s_mov_b32 s10, 0x3bffffff
	v_cmp_lt_u32_e32 vcc, s10, v6
	s_mov_b64 s[10:11], 0
                                        ; implicit-def: $vgpr6
	s_and_saveexec_b64 s[12:13], vcc
	s_xor_b64 s[12:13], exec, s[12:13]
	s_cbranch_execz .LBB103_2107
; %bb.1768:
	v_bfe_u32 v6, v5, 20, 1
	s_mov_b32 s17, 0x487ffff
	v_add3_u32 v6, v5, v6, s17
	s_mov_b64 s[10:11], exec
	v_lshrrev_b32_e32 v6, 20, v6
	s_andn2_saveexec_b64 s[12:13], s[12:13]
	s_cbranch_execnz .LBB103_2108
.LBB103_1769:
	s_or_b64 exec, exec, s[12:13]
	v_mov_b32_e32 v8, 0
	s_and_saveexec_b64 s[12:13], s[10:11]
.LBB103_1770:
	v_lshrrev_b32_e32 v5, 24, v5
	s_movk_i32 s10, 0x80
	v_and_or_b32 v8, v5, s10, v6
.LBB103_1771:
	s_or_b64 exec, exec, s[12:13]
.LBB103_1772:
	s_or_b64 exec, exec, s[6:7]
	global_store_byte v[3:4], v8, off
.LBB103_1773:
	s_mov_b64 s[6:7], -1
.LBB103_1774:
	s_mov_b64 s[10:11], 0
.LBB103_1775:
	s_and_b64 vcc, exec, s[10:11]
	s_cbranch_vccz .LBB103_1815
; %bb.1776:
	s_cmp_gt_i32 s16, 22
	s_mov_b64 s[4:5], -1
	s_cbranch_scc0 .LBB103_1808
; %bb.1777:
	s_cmp_lt_i32 s16, 24
	s_cbranch_scc1 .LBB103_1797
; %bb.1778:
	s_cmp_gt_i32 s16, 24
	s_cbranch_scc0 .LBB103_1786
; %bb.1779:
	v_cvt_f32_i32_sdwa v5, sext(v1) dst_sel:DWORD dst_unused:UNUSED_PAD src0_sel:WORD_0
	s_mov_b32 s4, 0x47800000
	v_mov_b32_e32 v8, 0x80
	v_and_b32_e32 v6, 0x7fffffff, v5
	v_cmp_gt_u32_e32 vcc, s4, v6
	s_and_saveexec_b64 s[4:5], vcc
	s_cbranch_execz .LBB103_1785
; %bb.1780:
	s_mov_b32 s6, 0x37ffffff
	v_cmp_lt_u32_e32 vcc, s6, v6
	s_mov_b64 s[6:7], 0
                                        ; implicit-def: $vgpr6
	s_and_saveexec_b64 s[10:11], vcc
	s_xor_b64 s[10:11], exec, s[10:11]
	s_cbranch_execz .LBB103_2110
; %bb.1781:
	v_bfe_u32 v6, v5, 21, 1
	s_mov_b32 s12, 0x88fffff
	v_add3_u32 v6, v5, v6, s12
	s_mov_b64 s[6:7], exec
	v_lshrrev_b32_e32 v6, 21, v6
	s_andn2_saveexec_b64 s[10:11], s[10:11]
	s_cbranch_execnz .LBB103_2111
.LBB103_1782:
	s_or_b64 exec, exec, s[10:11]
	v_mov_b32_e32 v8, 0
	s_and_saveexec_b64 s[10:11], s[6:7]
.LBB103_1783:
	v_lshrrev_b32_e32 v5, 24, v5
	s_movk_i32 s6, 0x80
	v_and_or_b32 v8, v5, s6, v6
.LBB103_1784:
	s_or_b64 exec, exec, s[10:11]
.LBB103_1785:
	s_or_b64 exec, exec, s[4:5]
	s_mov_b64 s[4:5], 0
	global_store_byte v[3:4], v8, off
.LBB103_1786:
	s_and_b64 vcc, exec, s[4:5]
	s_cbranch_vccz .LBB103_1796
; %bb.1787:
	v_cvt_f32_i32_sdwa v5, sext(v1) dst_sel:DWORD dst_unused:UNUSED_PAD src0_sel:WORD_0
	s_mov_b32 s4, 0x43f00000
                                        ; implicit-def: $vgpr6
	v_and_b32_e32 v8, 0x7fffffff, v5
	v_cmp_gt_u32_e32 vcc, s4, v8
	s_and_saveexec_b64 s[4:5], vcc
	s_xor_b64 s[4:5], exec, s[4:5]
	s_cbranch_execz .LBB103_1793
; %bb.1788:
	s_mov_b32 s6, 0x3c7fffff
	v_cmp_lt_u32_e32 vcc, s6, v8
                                        ; implicit-def: $vgpr6
	s_and_saveexec_b64 s[6:7], vcc
	s_xor_b64 s[6:7], exec, s[6:7]
; %bb.1789:
	v_bfe_u32 v6, v5, 20, 1
	s_mov_b32 s10, 0x407ffff
	v_add3_u32 v6, v5, v6, s10
	v_lshrrev_b32_e32 v8, 20, v6
	v_and_b32_e32 v6, 0xff00000, v6
	s_mov_b32 s10, 0x7f00000
	v_mov_b32_e32 v10, 0x7e
	v_cmp_ne_u32_e32 vcc, s10, v6
	v_cndmask_b32_e32 v6, v10, v8, vcc
; %bb.1790:
	s_andn2_saveexec_b64 s[6:7], s[6:7]
; %bb.1791:
	s_mov_b32 s10, 0x46800000
	v_add_f32_e64 v6, |v5|, s10
; %bb.1792:
	s_or_b64 exec, exec, s[6:7]
                                        ; implicit-def: $vgpr8
.LBB103_1793:
	s_andn2_saveexec_b64 s[4:5], s[4:5]
; %bb.1794:
	s_mov_b32 s6, 0x7f800000
	v_mov_b32_e32 v6, 0x7e
	v_mov_b32_e32 v10, 0x7f
	v_cmp_lt_u32_e32 vcc, s6, v8
	v_cndmask_b32_e32 v6, v6, v10, vcc
; %bb.1795:
	s_or_b64 exec, exec, s[4:5]
	v_lshrrev_b32_e32 v5, 24, v5
	s_movk_i32 s4, 0x80
	v_and_or_b32 v5, v5, s4, v6
	global_store_byte v[3:4], v5, off
.LBB103_1796:
	s_mov_b64 s[4:5], 0
.LBB103_1797:
	s_andn2_b64 vcc, exec, s[4:5]
	s_cbranch_vccnz .LBB103_1807
; %bb.1798:
	v_cvt_f32_i32_sdwa v5, sext(v1) dst_sel:DWORD dst_unused:UNUSED_PAD src0_sel:WORD_0
	s_mov_b32 s4, 0x47800000
                                        ; implicit-def: $vgpr6
	v_and_b32_e32 v8, 0x7fffffff, v5
	v_cmp_gt_u32_e32 vcc, s4, v8
	s_and_saveexec_b64 s[4:5], vcc
	s_xor_b64 s[4:5], exec, s[4:5]
	s_cbranch_execz .LBB103_1804
; %bb.1799:
	s_mov_b32 s6, 0x387fffff
	v_cmp_lt_u32_e32 vcc, s6, v8
                                        ; implicit-def: $vgpr6
	s_and_saveexec_b64 s[6:7], vcc
	s_xor_b64 s[6:7], exec, s[6:7]
; %bb.1800:
	v_bfe_u32 v6, v5, 21, 1
	s_mov_b32 s10, 0x80fffff
	v_add3_u32 v6, v5, v6, s10
	v_lshrrev_b32_e32 v6, 21, v6
; %bb.1801:
	s_andn2_saveexec_b64 s[6:7], s[6:7]
; %bb.1802:
	s_mov_b32 s10, 0x43000000
	v_add_f32_e64 v6, |v5|, s10
; %bb.1803:
	s_or_b64 exec, exec, s[6:7]
                                        ; implicit-def: $vgpr8
.LBB103_1804:
	s_andn2_saveexec_b64 s[4:5], s[4:5]
; %bb.1805:
	s_mov_b32 s6, 0x7f800000
	v_mov_b32_e32 v6, 0x7c
	v_mov_b32_e32 v10, 0x7f
	v_cmp_lt_u32_e32 vcc, s6, v8
	v_cndmask_b32_e32 v6, v6, v10, vcc
; %bb.1806:
	s_or_b64 exec, exec, s[4:5]
	v_lshrrev_b32_e32 v5, 24, v5
	s_movk_i32 s4, 0x80
	v_and_or_b32 v5, v5, s4, v6
	global_store_byte v[3:4], v5, off
.LBB103_1807:
	s_mov_b64 s[4:5], 0
	s_mov_b64 s[6:7], -1
.LBB103_1808:
	s_andn2_b64 vcc, exec, s[4:5]
	s_mov_b64 s[4:5], 0
	s_cbranch_vccnz .LBB103_1815
; %bb.1809:
	s_cmp_gt_i32 s16, 14
	s_mov_b64 s[10:11], -1
	s_cbranch_scc0 .LBB103_1813
; %bb.1810:
	s_cmp_eq_u32 s16, 15
	s_mov_b64 s[0:1], -1
	s_cbranch_scc0 .LBB103_1812
; %bb.1811:
	v_cvt_f32_i32_sdwa v5, sext(v1) dst_sel:DWORD dst_unused:UNUSED_PAD src0_sel:WORD_0
	s_movk_i32 s4, 0x7fff
	s_mov_b64 s[0:1], 0
	s_mov_b64 s[6:7], -1
	v_bfe_u32 v6, v5, 16, 1
	v_add3_u32 v5, v5, v6, s4
	global_store_short_d16_hi v[3:4], v5, off
.LBB103_1812:
	s_mov_b64 s[10:11], 0
.LBB103_1813:
	s_mov_b64 s[4:5], 0
	s_and_b64 vcc, exec, s[10:11]
	s_cbranch_vccz .LBB103_1815
; %bb.1814:
	s_cmp_lg_u32 s16, 11
	s_mov_b64 s[4:5], -1
	s_cselect_b64 s[0:1], -1, 0
.LBB103_1815:
	s_and_b64 vcc, exec, s[0:1]
	s_cbranch_vccnz .LBB103_2109
; %bb.1816:
	s_andn2_b64 vcc, exec, s[4:5]
	s_cbranch_vccnz .LBB103_1818
.LBB103_1817:
	v_cmp_ne_u16_e32 vcc, 0, v1
	v_cndmask_b32_e64 v5, 0, 1, vcc
	s_mov_b64 s[6:7], -1
	global_store_byte v[3:4], v5, off
.LBB103_1818:
	s_mov_b64 s[0:1], 0
	s_branch .LBB103_1820
.LBB103_1819:
	s_mov_b64 s[0:1], -1
	s_mov_b64 s[6:7], 0
.LBB103_1820:
	s_and_b64 vcc, exec, s[0:1]
	s_cbranch_vccz .LBB103_1859
; %bb.1821:
	s_cmp_lt_i32 s16, 5
	s_mov_b64 s[0:1], -1
	s_cbranch_scc1 .LBB103_1842
; %bb.1822:
	s_cmp_lt_i32 s16, 8
	s_cbranch_scc1 .LBB103_1832
; %bb.1823:
	s_cmp_lt_i32 s16, 9
	s_cbranch_scc1 .LBB103_1829
; %bb.1824:
	s_cmp_gt_i32 s16, 9
	s_cbranch_scc0 .LBB103_1826
; %bb.1825:
	v_bfe_i32 v5, v1, 0, 16
	v_cvt_f64_i32_e32 v[10:11], v5
	v_mov_b32_e32 v12, 0
	v_mov_b32_e32 v13, v12
	s_mov_b64 s[0:1], 0
	global_store_dwordx4 v[3:4], v[10:13], off
.LBB103_1826:
	s_andn2_b64 vcc, exec, s[0:1]
	s_cbranch_vccnz .LBB103_1828
; %bb.1827:
	v_cvt_f32_i32_sdwa v5, sext(v1) dst_sel:DWORD dst_unused:UNUSED_PAD src0_sel:WORD_0
	v_mov_b32_e32 v6, 0
	global_store_dwordx2 v[3:4], v[5:6], off
.LBB103_1828:
	s_mov_b64 s[0:1], 0
.LBB103_1829:
	s_andn2_b64 vcc, exec, s[0:1]
	s_cbranch_vccnz .LBB103_1831
; %bb.1830:
	v_cvt_f16_i16_e32 v5, v1
	global_store_dword v[3:4], v5, off
.LBB103_1831:
	s_mov_b64 s[0:1], 0
.LBB103_1832:
	s_andn2_b64 vcc, exec, s[0:1]
	s_cbranch_vccnz .LBB103_1841
; %bb.1833:
	s_cmp_lt_i32 s16, 6
	s_mov_b64 s[0:1], -1
	s_cbranch_scc1 .LBB103_1839
; %bb.1834:
	s_cmp_gt_i32 s16, 6
	s_cbranch_scc0 .LBB103_1836
; %bb.1835:
	v_bfe_i32 v5, v1, 0, 16
	v_cvt_f64_i32_e32 v[5:6], v5
	s_mov_b64 s[0:1], 0
	global_store_dwordx2 v[3:4], v[5:6], off
.LBB103_1836:
	s_andn2_b64 vcc, exec, s[0:1]
	s_cbranch_vccnz .LBB103_1838
; %bb.1837:
	v_cvt_f32_i32_sdwa v5, sext(v1) dst_sel:DWORD dst_unused:UNUSED_PAD src0_sel:WORD_0
	global_store_dword v[3:4], v5, off
.LBB103_1838:
	s_mov_b64 s[0:1], 0
.LBB103_1839:
	s_andn2_b64 vcc, exec, s[0:1]
	s_cbranch_vccnz .LBB103_1841
; %bb.1840:
	v_cvt_f16_i16_e32 v5, v1
	global_store_short v[3:4], v5, off
.LBB103_1841:
	s_mov_b64 s[0:1], 0
.LBB103_1842:
	s_andn2_b64 vcc, exec, s[0:1]
	s_cbranch_vccnz .LBB103_1858
; %bb.1843:
	s_cmp_lt_i32 s16, 2
	s_mov_b64 s[0:1], -1
	s_cbranch_scc1 .LBB103_1853
; %bb.1844:
	s_cmp_lt_i32 s16, 3
	s_cbranch_scc1 .LBB103_1850
; %bb.1845:
	s_cmp_gt_i32 s16, 3
	s_cbranch_scc0 .LBB103_1847
; %bb.1846:
	v_bfe_i32 v5, v1, 0, 16
	v_ashrrev_i32_e32 v6, 31, v5
	global_store_dwordx2 v[3:4], v[5:6], off
	s_mov_b64 s[0:1], 0
.LBB103_1847:
	s_andn2_b64 vcc, exec, s[0:1]
	s_cbranch_vccnz .LBB103_1849
; %bb.1848:
	v_bfe_i32 v5, v1, 0, 16
	global_store_dword v[3:4], v5, off
.LBB103_1849:
	s_mov_b64 s[0:1], 0
.LBB103_1850:
	s_andn2_b64 vcc, exec, s[0:1]
	s_cbranch_vccnz .LBB103_1852
; %bb.1851:
	global_store_short v[3:4], v1, off
.LBB103_1852:
	s_mov_b64 s[0:1], 0
.LBB103_1853:
	s_andn2_b64 vcc, exec, s[0:1]
	s_cbranch_vccnz .LBB103_1858
; %bb.1854:
	s_cmp_gt_i32 s16, 0
	s_mov_b64 s[0:1], -1
	s_cbranch_scc0 .LBB103_1856
; %bb.1855:
	global_store_byte v[3:4], v1, off
	s_mov_b64 s[0:1], 0
.LBB103_1856:
	s_andn2_b64 vcc, exec, s[0:1]
	s_cbranch_vccnz .LBB103_1858
; %bb.1857:
	global_store_byte v[3:4], v1, off
.LBB103_1858:
	s_mov_b64 s[6:7], -1
.LBB103_1859:
	s_andn2_b64 vcc, exec, s[6:7]
	s_cbranch_vccnz .LBB103_2055
; %bb.1860:
	v_lshlrev_b32_sdwa v1, v9, s15 dst_sel:DWORD dst_unused:UNUSED_PAD src0_sel:WORD_0 src1_sel:DWORD
	v_cmp_gt_u16_e32 vcc, 16, v9
	v_cndmask_b32_e32 v5, 0, v1, vcc
	v_mov_b32_e32 v3, s9
	v_add_co_u32_e32 v1, vcc, s8, v2
	s_cmp_lt_i32 s16, 11
	v_addc_co_u32_e32 v2, vcc, 0, v3, vcc
	s_cbranch_scc1 .LBB103_1938
; %bb.1861:
	s_mov_b64 s[10:11], -1
	s_mov_b64 s[4:5], 0
	s_cmp_gt_i32 s16, 25
	s_mov_b64 s[6:7], 0
	s_mov_b64 s[0:1], 0
	s_cbranch_scc0 .LBB103_1894
; %bb.1862:
	s_cmp_gt_i32 s16, 28
	s_cbranch_scc0 .LBB103_1877
; %bb.1863:
	s_cmp_gt_i32 s16, 43
	;; [unrolled: 3-line block ×3, first 2 shown]
	s_cbranch_scc0 .LBB103_1867
; %bb.1865:
	s_mov_b64 s[0:1], -1
	s_mov_b64 s[10:11], 0
	s_cmp_eq_u32 s16, 46
	s_cbranch_scc0 .LBB103_1867
; %bb.1866:
	v_cvt_f32_i32_sdwa v3, sext(v5) dst_sel:DWORD dst_unused:UNUSED_PAD src0_sel:WORD_0
	s_movk_i32 s6, 0x7fff
	s_mov_b64 s[0:1], 0
	v_bfe_u32 v4, v3, 16, 1
	v_add3_u32 v3, v3, v4, s6
	v_lshrrev_b32_e32 v3, 16, v3
	global_store_dword v[1:2], v3, off
	s_mov_b64 s[6:7], -1
.LBB103_1867:
	s_and_b64 vcc, exec, s[10:11]
	s_cbranch_vccz .LBB103_1872
; %bb.1868:
	s_cmp_eq_u32 s16, 44
	s_mov_b64 s[0:1], -1
	s_cbranch_scc0 .LBB103_1872
; %bb.1869:
	v_cvt_f32_i32_sdwa v3, sext(v5) dst_sel:DWORD dst_unused:UNUSED_PAD src0_sel:WORD_0
	s_movk_i32 s0, 0xff
	v_mov_b32_e32 v6, 0xff
	v_bfe_u32 v4, v3, 23, 8
	v_cmp_ne_u32_e32 vcc, s0, v4
	s_and_saveexec_b64 s[6:7], vcc
; %bb.1870:
	s_mov_b32 s0, 0x3fffff
	v_lshrrev_b32_e32 v6, 23, v3
	v_and_b32_e32 v8, 0x400000, v3
	v_and_or_b32 v3, v3, s0, v4
	v_cmp_ne_u32_e32 vcc, 0, v8
	v_cmp_ne_u32_e64 s[0:1], 0, v3
	s_and_b64 s[0:1], vcc, s[0:1]
	v_cndmask_b32_e64 v3, 0, 1, s[0:1]
	v_add_u32_e32 v6, v6, v3
; %bb.1871:
	s_or_b64 exec, exec, s[6:7]
	s_mov_b64 s[0:1], 0
	s_mov_b64 s[6:7], -1
	global_store_byte v[1:2], v6, off
.LBB103_1872:
	s_mov_b64 s[10:11], 0
.LBB103_1873:
	s_and_b64 vcc, exec, s[10:11]
	s_cbranch_vccz .LBB103_1876
; %bb.1874:
	s_cmp_eq_u32 s16, 29
	s_mov_b64 s[0:1], -1
	s_cbranch_scc0 .LBB103_1876
; %bb.1875:
	v_bfe_i32 v3, v5, 0, 16
	v_ashrrev_i32_e32 v4, 31, v3
	global_store_dwordx2 v[1:2], v[3:4], off
	s_mov_b64 s[0:1], 0
	s_mov_b64 s[6:7], -1
.LBB103_1876:
	s_mov_b64 s[10:11], 0
.LBB103_1877:
	s_and_b64 vcc, exec, s[10:11]
	s_cbranch_vccz .LBB103_1893
; %bb.1878:
	s_cmp_lt_i32 s16, 27
	s_mov_b64 s[6:7], -1
	s_cbranch_scc1 .LBB103_1884
; %bb.1879:
	s_cmp_gt_i32 s16, 27
	s_cbranch_scc0 .LBB103_1881
; %bb.1880:
	v_bfe_i32 v3, v5, 0, 16
	s_mov_b64 s[6:7], 0
	global_store_dword v[1:2], v3, off
.LBB103_1881:
	s_andn2_b64 vcc, exec, s[6:7]
	s_cbranch_vccnz .LBB103_1883
; %bb.1882:
	global_store_short v[1:2], v5, off
.LBB103_1883:
	s_mov_b64 s[6:7], 0
.LBB103_1884:
	s_andn2_b64 vcc, exec, s[6:7]
	s_cbranch_vccnz .LBB103_1892
; %bb.1885:
	v_cvt_f32_i32_sdwa v3, sext(v5) dst_sel:DWORD dst_unused:UNUSED_PAD src0_sel:WORD_0
	s_mov_b32 s6, 0x43800000
	v_mov_b32_e32 v6, 0x80
	v_and_b32_e32 v4, 0x7fffffff, v3
	v_cmp_gt_u32_e32 vcc, s6, v4
	s_and_saveexec_b64 s[6:7], vcc
	s_cbranch_execz .LBB103_1891
; %bb.1886:
	s_mov_b32 s10, 0x3bffffff
	v_cmp_lt_u32_e32 vcc, s10, v4
	s_mov_b64 s[10:11], 0
                                        ; implicit-def: $vgpr4
	s_and_saveexec_b64 s[12:13], vcc
	s_xor_b64 s[12:13], exec, s[12:13]
	s_cbranch_execz .LBB103_2112
; %bb.1887:
	v_bfe_u32 v4, v3, 20, 1
	s_mov_b32 s17, 0x487ffff
	v_add3_u32 v4, v3, v4, s17
	s_mov_b64 s[10:11], exec
	v_lshrrev_b32_e32 v4, 20, v4
	s_andn2_saveexec_b64 s[12:13], s[12:13]
	s_cbranch_execnz .LBB103_2113
.LBB103_1888:
	s_or_b64 exec, exec, s[12:13]
	v_mov_b32_e32 v6, 0
	s_and_saveexec_b64 s[12:13], s[10:11]
.LBB103_1889:
	v_lshrrev_b32_e32 v3, 24, v3
	s_movk_i32 s10, 0x80
	v_and_or_b32 v6, v3, s10, v4
.LBB103_1890:
	s_or_b64 exec, exec, s[12:13]
.LBB103_1891:
	s_or_b64 exec, exec, s[6:7]
	global_store_byte v[1:2], v6, off
.LBB103_1892:
	s_mov_b64 s[6:7], -1
.LBB103_1893:
	s_mov_b64 s[10:11], 0
.LBB103_1894:
	s_and_b64 vcc, exec, s[10:11]
	s_cbranch_vccz .LBB103_1934
; %bb.1895:
	s_cmp_gt_i32 s16, 22
	s_mov_b64 s[4:5], -1
	s_cbranch_scc0 .LBB103_1927
; %bb.1896:
	s_cmp_lt_i32 s16, 24
	s_cbranch_scc1 .LBB103_1916
; %bb.1897:
	s_cmp_gt_i32 s16, 24
	s_cbranch_scc0 .LBB103_1905
; %bb.1898:
	v_cvt_f32_i32_sdwa v3, sext(v5) dst_sel:DWORD dst_unused:UNUSED_PAD src0_sel:WORD_0
	s_mov_b32 s4, 0x47800000
	v_mov_b32_e32 v6, 0x80
	v_and_b32_e32 v4, 0x7fffffff, v3
	v_cmp_gt_u32_e32 vcc, s4, v4
	s_and_saveexec_b64 s[4:5], vcc
	s_cbranch_execz .LBB103_1904
; %bb.1899:
	s_mov_b32 s6, 0x37ffffff
	v_cmp_lt_u32_e32 vcc, s6, v4
	s_mov_b64 s[6:7], 0
                                        ; implicit-def: $vgpr4
	s_and_saveexec_b64 s[10:11], vcc
	s_xor_b64 s[10:11], exec, s[10:11]
	s_cbranch_execz .LBB103_2115
; %bb.1900:
	v_bfe_u32 v4, v3, 21, 1
	s_mov_b32 s12, 0x88fffff
	v_add3_u32 v4, v3, v4, s12
	s_mov_b64 s[6:7], exec
	v_lshrrev_b32_e32 v4, 21, v4
	s_andn2_saveexec_b64 s[10:11], s[10:11]
	s_cbranch_execnz .LBB103_2116
.LBB103_1901:
	s_or_b64 exec, exec, s[10:11]
	v_mov_b32_e32 v6, 0
	s_and_saveexec_b64 s[10:11], s[6:7]
.LBB103_1902:
	v_lshrrev_b32_e32 v3, 24, v3
	s_movk_i32 s6, 0x80
	v_and_or_b32 v6, v3, s6, v4
.LBB103_1903:
	s_or_b64 exec, exec, s[10:11]
.LBB103_1904:
	s_or_b64 exec, exec, s[4:5]
	s_mov_b64 s[4:5], 0
	global_store_byte v[1:2], v6, off
.LBB103_1905:
	s_and_b64 vcc, exec, s[4:5]
	s_cbranch_vccz .LBB103_1915
; %bb.1906:
	v_cvt_f32_i32_sdwa v3, sext(v5) dst_sel:DWORD dst_unused:UNUSED_PAD src0_sel:WORD_0
	s_mov_b32 s4, 0x43f00000
                                        ; implicit-def: $vgpr4
	v_and_b32_e32 v6, 0x7fffffff, v3
	v_cmp_gt_u32_e32 vcc, s4, v6
	s_and_saveexec_b64 s[4:5], vcc
	s_xor_b64 s[4:5], exec, s[4:5]
	s_cbranch_execz .LBB103_1912
; %bb.1907:
	s_mov_b32 s6, 0x3c7fffff
	v_cmp_lt_u32_e32 vcc, s6, v6
                                        ; implicit-def: $vgpr4
	s_and_saveexec_b64 s[6:7], vcc
	s_xor_b64 s[6:7], exec, s[6:7]
; %bb.1908:
	v_bfe_u32 v4, v3, 20, 1
	s_mov_b32 s10, 0x407ffff
	v_add3_u32 v4, v3, v4, s10
	v_lshrrev_b32_e32 v6, 20, v4
	v_and_b32_e32 v4, 0xff00000, v4
	s_mov_b32 s10, 0x7f00000
	v_mov_b32_e32 v8, 0x7e
	v_cmp_ne_u32_e32 vcc, s10, v4
	v_cndmask_b32_e32 v4, v8, v6, vcc
; %bb.1909:
	s_andn2_saveexec_b64 s[6:7], s[6:7]
; %bb.1910:
	s_mov_b32 s10, 0x46800000
	v_add_f32_e64 v4, |v3|, s10
; %bb.1911:
	s_or_b64 exec, exec, s[6:7]
                                        ; implicit-def: $vgpr6
.LBB103_1912:
	s_andn2_saveexec_b64 s[4:5], s[4:5]
; %bb.1913:
	s_mov_b32 s6, 0x7f800000
	v_mov_b32_e32 v4, 0x7e
	v_mov_b32_e32 v8, 0x7f
	v_cmp_lt_u32_e32 vcc, s6, v6
	v_cndmask_b32_e32 v4, v4, v8, vcc
; %bb.1914:
	s_or_b64 exec, exec, s[4:5]
	v_lshrrev_b32_e32 v3, 24, v3
	s_movk_i32 s4, 0x80
	v_and_or_b32 v3, v3, s4, v4
	global_store_byte v[1:2], v3, off
.LBB103_1915:
	s_mov_b64 s[4:5], 0
.LBB103_1916:
	s_andn2_b64 vcc, exec, s[4:5]
	s_cbranch_vccnz .LBB103_1926
; %bb.1917:
	v_cvt_f32_i32_sdwa v3, sext(v5) dst_sel:DWORD dst_unused:UNUSED_PAD src0_sel:WORD_0
	s_mov_b32 s4, 0x47800000
                                        ; implicit-def: $vgpr4
	v_and_b32_e32 v6, 0x7fffffff, v3
	v_cmp_gt_u32_e32 vcc, s4, v6
	s_and_saveexec_b64 s[4:5], vcc
	s_xor_b64 s[4:5], exec, s[4:5]
	s_cbranch_execz .LBB103_1923
; %bb.1918:
	s_mov_b32 s6, 0x387fffff
	v_cmp_lt_u32_e32 vcc, s6, v6
                                        ; implicit-def: $vgpr4
	s_and_saveexec_b64 s[6:7], vcc
	s_xor_b64 s[6:7], exec, s[6:7]
; %bb.1919:
	v_bfe_u32 v4, v3, 21, 1
	s_mov_b32 s10, 0x80fffff
	v_add3_u32 v4, v3, v4, s10
	v_lshrrev_b32_e32 v4, 21, v4
; %bb.1920:
	s_andn2_saveexec_b64 s[6:7], s[6:7]
; %bb.1921:
	s_mov_b32 s10, 0x43000000
	v_add_f32_e64 v4, |v3|, s10
; %bb.1922:
	s_or_b64 exec, exec, s[6:7]
                                        ; implicit-def: $vgpr6
.LBB103_1923:
	s_andn2_saveexec_b64 s[4:5], s[4:5]
; %bb.1924:
	s_mov_b32 s6, 0x7f800000
	v_mov_b32_e32 v4, 0x7c
	v_mov_b32_e32 v8, 0x7f
	v_cmp_lt_u32_e32 vcc, s6, v6
	v_cndmask_b32_e32 v4, v4, v8, vcc
; %bb.1925:
	s_or_b64 exec, exec, s[4:5]
	v_lshrrev_b32_e32 v3, 24, v3
	s_movk_i32 s4, 0x80
	v_and_or_b32 v3, v3, s4, v4
	global_store_byte v[1:2], v3, off
.LBB103_1926:
	s_mov_b64 s[4:5], 0
	s_mov_b64 s[6:7], -1
.LBB103_1927:
	s_andn2_b64 vcc, exec, s[4:5]
	s_mov_b64 s[4:5], 0
	s_cbranch_vccnz .LBB103_1934
; %bb.1928:
	s_cmp_gt_i32 s16, 14
	s_mov_b64 s[10:11], -1
	s_cbranch_scc0 .LBB103_1932
; %bb.1929:
	s_cmp_eq_u32 s16, 15
	s_mov_b64 s[0:1], -1
	s_cbranch_scc0 .LBB103_1931
; %bb.1930:
	v_cvt_f32_i32_sdwa v3, sext(v5) dst_sel:DWORD dst_unused:UNUSED_PAD src0_sel:WORD_0
	s_movk_i32 s4, 0x7fff
	s_mov_b64 s[0:1], 0
	s_mov_b64 s[6:7], -1
	v_bfe_u32 v4, v3, 16, 1
	v_add3_u32 v3, v3, v4, s4
	global_store_short_d16_hi v[1:2], v3, off
.LBB103_1931:
	s_mov_b64 s[10:11], 0
.LBB103_1932:
	s_mov_b64 s[4:5], 0
	s_and_b64 vcc, exec, s[10:11]
	s_cbranch_vccz .LBB103_1934
; %bb.1933:
	s_cmp_lg_u32 s16, 11
	s_mov_b64 s[4:5], -1
	s_cselect_b64 s[0:1], -1, 0
.LBB103_1934:
	s_and_b64 vcc, exec, s[0:1]
	s_cbranch_vccnz .LBB103_2114
; %bb.1935:
	s_andn2_b64 vcc, exec, s[4:5]
	s_cbranch_vccnz .LBB103_1937
.LBB103_1936:
	v_cmp_ne_u16_e32 vcc, 0, v5
	v_cndmask_b32_e64 v3, 0, 1, vcc
	s_mov_b64 s[6:7], -1
	global_store_byte v[1:2], v3, off
.LBB103_1937:
	s_mov_b64 s[0:1], 0
	s_branch .LBB103_1939
.LBB103_1938:
	s_mov_b64 s[0:1], -1
	s_mov_b64 s[6:7], 0
.LBB103_1939:
	s_and_b64 vcc, exec, s[0:1]
	s_cbranch_vccz .LBB103_1978
; %bb.1940:
	s_cmp_lt_i32 s16, 5
	s_mov_b64 s[0:1], -1
	s_cbranch_scc1 .LBB103_1961
; %bb.1941:
	s_cmp_lt_i32 s16, 8
	s_cbranch_scc1 .LBB103_1951
; %bb.1942:
	s_cmp_lt_i32 s16, 9
	s_cbranch_scc1 .LBB103_1948
; %bb.1943:
	s_cmp_gt_i32 s16, 9
	s_cbranch_scc0 .LBB103_1945
; %bb.1944:
	v_bfe_i32 v3, v5, 0, 16
	v_cvt_f64_i32_e32 v[8:9], v3
	v_mov_b32_e32 v10, 0
	v_mov_b32_e32 v11, v10
	s_mov_b64 s[0:1], 0
	global_store_dwordx4 v[1:2], v[8:11], off
.LBB103_1945:
	s_andn2_b64 vcc, exec, s[0:1]
	s_cbranch_vccnz .LBB103_1947
; %bb.1946:
	v_cvt_f32_i32_sdwa v3, sext(v5) dst_sel:DWORD dst_unused:UNUSED_PAD src0_sel:WORD_0
	v_mov_b32_e32 v4, 0
	global_store_dwordx2 v[1:2], v[3:4], off
.LBB103_1947:
	s_mov_b64 s[0:1], 0
.LBB103_1948:
	s_andn2_b64 vcc, exec, s[0:1]
	s_cbranch_vccnz .LBB103_1950
; %bb.1949:
	v_cvt_f16_i16_e32 v3, v5
	global_store_dword v[1:2], v3, off
.LBB103_1950:
	s_mov_b64 s[0:1], 0
.LBB103_1951:
	s_andn2_b64 vcc, exec, s[0:1]
	s_cbranch_vccnz .LBB103_1960
; %bb.1952:
	s_cmp_lt_i32 s16, 6
	s_mov_b64 s[0:1], -1
	s_cbranch_scc1 .LBB103_1958
; %bb.1953:
	s_cmp_gt_i32 s16, 6
	s_cbranch_scc0 .LBB103_1955
; %bb.1954:
	v_bfe_i32 v3, v5, 0, 16
	v_cvt_f64_i32_e32 v[3:4], v3
	s_mov_b64 s[0:1], 0
	global_store_dwordx2 v[1:2], v[3:4], off
.LBB103_1955:
	s_andn2_b64 vcc, exec, s[0:1]
	s_cbranch_vccnz .LBB103_1957
; %bb.1956:
	v_cvt_f32_i32_sdwa v3, sext(v5) dst_sel:DWORD dst_unused:UNUSED_PAD src0_sel:WORD_0
	global_store_dword v[1:2], v3, off
.LBB103_1957:
	s_mov_b64 s[0:1], 0
.LBB103_1958:
	s_andn2_b64 vcc, exec, s[0:1]
	s_cbranch_vccnz .LBB103_1960
; %bb.1959:
	v_cvt_f16_i16_e32 v3, v5
	global_store_short v[1:2], v3, off
.LBB103_1960:
	s_mov_b64 s[0:1], 0
.LBB103_1961:
	s_andn2_b64 vcc, exec, s[0:1]
	s_cbranch_vccnz .LBB103_1977
; %bb.1962:
	s_cmp_lt_i32 s16, 2
	s_mov_b64 s[0:1], -1
	s_cbranch_scc1 .LBB103_1972
; %bb.1963:
	s_cmp_lt_i32 s16, 3
	s_cbranch_scc1 .LBB103_1969
; %bb.1964:
	s_cmp_gt_i32 s16, 3
	v_bfe_i32 v3, v5, 0, 16
	s_cbranch_scc0 .LBB103_1966
; %bb.1965:
	v_ashrrev_i32_e32 v4, 31, v3
	global_store_dwordx2 v[1:2], v[3:4], off
	s_mov_b64 s[0:1], 0
.LBB103_1966:
	s_andn2_b64 vcc, exec, s[0:1]
	s_cbranch_vccnz .LBB103_1968
; %bb.1967:
	global_store_dword v[1:2], v3, off
.LBB103_1968:
	s_mov_b64 s[0:1], 0
.LBB103_1969:
	s_andn2_b64 vcc, exec, s[0:1]
	s_cbranch_vccnz .LBB103_1971
; %bb.1970:
	global_store_short v[1:2], v5, off
.LBB103_1971:
	s_mov_b64 s[0:1], 0
.LBB103_1972:
	s_andn2_b64 vcc, exec, s[0:1]
	s_cbranch_vccnz .LBB103_1977
; %bb.1973:
	s_cmp_gt_i32 s16, 0
	s_mov_b64 s[0:1], -1
	s_cbranch_scc0 .LBB103_1975
; %bb.1974:
	global_store_byte v[1:2], v5, off
	s_mov_b64 s[0:1], 0
.LBB103_1975:
	s_andn2_b64 vcc, exec, s[0:1]
	s_cbranch_vccnz .LBB103_1977
; %bb.1976:
	global_store_byte v[1:2], v5, off
.LBB103_1977:
	s_mov_b64 s[6:7], -1
.LBB103_1978:
	s_andn2_b64 vcc, exec, s[6:7]
	s_cbranch_vccnz .LBB103_2055
; %bb.1979:
	v_lshlrev_b32_sdwa v1, v7, s15 dst_sel:DWORD dst_unused:UNUSED_PAD src0_sel:WORD_0 src1_sel:DWORD
	v_cmp_gt_u16_e32 vcc, 16, v7
	v_cndmask_b32_e32 v2, 0, v1, vcc
	v_mov_b32_e32 v1, s9
	v_add_co_u32_e32 v0, vcc, s8, v0
	s_cmp_lt_i32 s16, 11
	v_addc_co_u32_e32 v1, vcc, 0, v1, vcc
	s_cbranch_scc1 .LBB103_2100
; %bb.1980:
	s_mov_b64 s[6:7], -1
	s_mov_b64 s[4:5], 0
	s_cmp_gt_i32 s16, 25
	s_mov_b64 s[0:1], 0
	s_cbranch_scc0 .LBB103_2013
; %bb.1981:
	s_cmp_gt_i32 s16, 28
	s_cbranch_scc0 .LBB103_1997
; %bb.1982:
	s_cmp_gt_i32 s16, 43
	;; [unrolled: 3-line block ×3, first 2 shown]
	s_cbranch_scc0 .LBB103_1987
; %bb.1984:
	s_cmp_eq_u32 s16, 46
	s_mov_b64 s[0:1], -1
	s_cbranch_scc0 .LBB103_1986
; %bb.1985:
	v_cvt_f32_i32_sdwa v3, sext(v2) dst_sel:DWORD dst_unused:UNUSED_PAD src0_sel:WORD_0
	s_movk_i32 s0, 0x7fff
	v_bfe_u32 v4, v3, 16, 1
	v_add3_u32 v3, v3, v4, s0
	v_lshrrev_b32_e32 v3, 16, v3
	global_store_dword v[0:1], v3, off
	s_mov_b64 s[0:1], 0
.LBB103_1986:
	s_mov_b64 s[6:7], 0
.LBB103_1987:
	s_and_b64 vcc, exec, s[6:7]
	s_cbranch_vccz .LBB103_1992
; %bb.1988:
	s_cmp_eq_u32 s16, 44
	s_mov_b64 s[0:1], -1
	s_cbranch_scc0 .LBB103_1992
; %bb.1989:
	v_cvt_f32_i32_sdwa v3, sext(v2) dst_sel:DWORD dst_unused:UNUSED_PAD src0_sel:WORD_0
	s_movk_i32 s0, 0xff
	v_mov_b32_e32 v5, 0xff
	v_bfe_u32 v4, v3, 23, 8
	v_cmp_ne_u32_e32 vcc, s0, v4
	s_and_saveexec_b64 s[6:7], vcc
; %bb.1990:
	s_mov_b32 s0, 0x3fffff
	v_lshrrev_b32_e32 v5, 23, v3
	v_and_b32_e32 v6, 0x400000, v3
	v_and_or_b32 v3, v3, s0, v4
	v_cmp_ne_u32_e32 vcc, 0, v6
	v_cmp_ne_u32_e64 s[0:1], 0, v3
	s_and_b64 s[0:1], vcc, s[0:1]
	v_cndmask_b32_e64 v3, 0, 1, s[0:1]
	v_add_u32_e32 v5, v5, v3
; %bb.1991:
	s_or_b64 exec, exec, s[6:7]
	s_mov_b64 s[0:1], 0
	global_store_byte v[0:1], v5, off
.LBB103_1992:
	s_mov_b64 s[6:7], 0
.LBB103_1993:
	s_and_b64 vcc, exec, s[6:7]
	s_cbranch_vccz .LBB103_1996
; %bb.1994:
	s_cmp_eq_u32 s16, 29
	s_mov_b64 s[0:1], -1
	s_cbranch_scc0 .LBB103_1996
; %bb.1995:
	v_bfe_i32 v3, v2, 0, 16
	v_ashrrev_i32_e32 v4, 31, v3
	global_store_dwordx2 v[0:1], v[3:4], off
	s_mov_b64 s[0:1], 0
.LBB103_1996:
	s_mov_b64 s[6:7], 0
.LBB103_1997:
	s_and_b64 vcc, exec, s[6:7]
	s_cbranch_vccz .LBB103_2012
; %bb.1998:
	s_cmp_lt_i32 s16, 27
	s_mov_b64 s[6:7], -1
	s_cbranch_scc1 .LBB103_2004
; %bb.1999:
	s_cmp_gt_i32 s16, 27
	s_cbranch_scc0 .LBB103_2001
; %bb.2000:
	v_bfe_i32 v3, v2, 0, 16
	global_store_dword v[0:1], v3, off
	s_mov_b64 s[6:7], 0
.LBB103_2001:
	s_andn2_b64 vcc, exec, s[6:7]
	s_cbranch_vccnz .LBB103_2003
; %bb.2002:
	global_store_short v[0:1], v2, off
.LBB103_2003:
	s_mov_b64 s[6:7], 0
.LBB103_2004:
	s_andn2_b64 vcc, exec, s[6:7]
	s_cbranch_vccnz .LBB103_2012
; %bb.2005:
	v_cvt_f32_i32_sdwa v3, sext(v2) dst_sel:DWORD dst_unused:UNUSED_PAD src0_sel:WORD_0
	s_mov_b32 s6, 0x43800000
	v_mov_b32_e32 v5, 0x80
	v_and_b32_e32 v4, 0x7fffffff, v3
	v_cmp_gt_u32_e32 vcc, s6, v4
	s_and_saveexec_b64 s[6:7], vcc
	s_cbranch_execz .LBB103_2011
; %bb.2006:
	s_mov_b32 s8, 0x3bffffff
	v_cmp_lt_u32_e32 vcc, s8, v4
	s_mov_b64 s[8:9], 0
                                        ; implicit-def: $vgpr4
	s_and_saveexec_b64 s[10:11], vcc
	s_xor_b64 s[10:11], exec, s[10:11]
	s_cbranch_execz .LBB103_2117
; %bb.2007:
	v_bfe_u32 v4, v3, 20, 1
	s_mov_b32 s12, 0x487ffff
	v_add3_u32 v4, v3, v4, s12
	s_mov_b64 s[8:9], exec
	v_lshrrev_b32_e32 v4, 20, v4
	s_andn2_saveexec_b64 s[10:11], s[10:11]
	s_cbranch_execnz .LBB103_2118
.LBB103_2008:
	s_or_b64 exec, exec, s[10:11]
	v_mov_b32_e32 v5, 0
	s_and_saveexec_b64 s[10:11], s[8:9]
.LBB103_2009:
	v_lshrrev_b32_e32 v3, 24, v3
	s_movk_i32 s8, 0x80
	v_and_or_b32 v5, v3, s8, v4
.LBB103_2010:
	s_or_b64 exec, exec, s[10:11]
.LBB103_2011:
	s_or_b64 exec, exec, s[6:7]
	global_store_byte v[0:1], v5, off
.LBB103_2012:
	s_mov_b64 s[6:7], 0
.LBB103_2013:
	s_and_b64 vcc, exec, s[6:7]
	s_cbranch_vccz .LBB103_2053
; %bb.2014:
	s_cmp_gt_i32 s16, 22
	s_mov_b64 s[4:5], -1
	s_cbranch_scc0 .LBB103_2046
; %bb.2015:
	s_cmp_lt_i32 s16, 24
	s_cbranch_scc1 .LBB103_2035
; %bb.2016:
	s_cmp_gt_i32 s16, 24
	s_cbranch_scc0 .LBB103_2024
; %bb.2017:
	v_cvt_f32_i32_sdwa v3, sext(v2) dst_sel:DWORD dst_unused:UNUSED_PAD src0_sel:WORD_0
	s_mov_b32 s4, 0x47800000
	v_mov_b32_e32 v5, 0x80
	v_and_b32_e32 v4, 0x7fffffff, v3
	v_cmp_gt_u32_e32 vcc, s4, v4
	s_and_saveexec_b64 s[4:5], vcc
	s_cbranch_execz .LBB103_2023
; %bb.2018:
	s_mov_b32 s6, 0x37ffffff
	v_cmp_lt_u32_e32 vcc, s6, v4
	s_mov_b64 s[6:7], 0
                                        ; implicit-def: $vgpr4
	s_and_saveexec_b64 s[8:9], vcc
	s_xor_b64 s[8:9], exec, s[8:9]
	s_cbranch_execz .LBB103_2120
; %bb.2019:
	v_bfe_u32 v4, v3, 21, 1
	s_mov_b32 s10, 0x88fffff
	v_add3_u32 v4, v3, v4, s10
	s_mov_b64 s[6:7], exec
	v_lshrrev_b32_e32 v4, 21, v4
	s_andn2_saveexec_b64 s[8:9], s[8:9]
	s_cbranch_execnz .LBB103_2121
.LBB103_2020:
	s_or_b64 exec, exec, s[8:9]
	v_mov_b32_e32 v5, 0
	s_and_saveexec_b64 s[8:9], s[6:7]
.LBB103_2021:
	v_lshrrev_b32_e32 v3, 24, v3
	s_movk_i32 s6, 0x80
	v_and_or_b32 v5, v3, s6, v4
.LBB103_2022:
	s_or_b64 exec, exec, s[8:9]
.LBB103_2023:
	s_or_b64 exec, exec, s[4:5]
	s_mov_b64 s[4:5], 0
	global_store_byte v[0:1], v5, off
.LBB103_2024:
	s_and_b64 vcc, exec, s[4:5]
	s_cbranch_vccz .LBB103_2034
; %bb.2025:
	v_cvt_f32_i32_sdwa v3, sext(v2) dst_sel:DWORD dst_unused:UNUSED_PAD src0_sel:WORD_0
	s_mov_b32 s4, 0x43f00000
                                        ; implicit-def: $vgpr4
	v_and_b32_e32 v5, 0x7fffffff, v3
	v_cmp_gt_u32_e32 vcc, s4, v5
	s_and_saveexec_b64 s[4:5], vcc
	s_xor_b64 s[4:5], exec, s[4:5]
	s_cbranch_execz .LBB103_2031
; %bb.2026:
	s_mov_b32 s6, 0x3c7fffff
	v_cmp_lt_u32_e32 vcc, s6, v5
                                        ; implicit-def: $vgpr4
	s_and_saveexec_b64 s[6:7], vcc
	s_xor_b64 s[6:7], exec, s[6:7]
; %bb.2027:
	v_bfe_u32 v4, v3, 20, 1
	s_mov_b32 s8, 0x407ffff
	v_add3_u32 v4, v3, v4, s8
	v_lshrrev_b32_e32 v5, 20, v4
	v_and_b32_e32 v4, 0xff00000, v4
	s_mov_b32 s8, 0x7f00000
	v_mov_b32_e32 v6, 0x7e
	v_cmp_ne_u32_e32 vcc, s8, v4
	v_cndmask_b32_e32 v4, v6, v5, vcc
; %bb.2028:
	s_andn2_saveexec_b64 s[6:7], s[6:7]
; %bb.2029:
	s_mov_b32 s8, 0x46800000
	v_add_f32_e64 v4, |v3|, s8
; %bb.2030:
	s_or_b64 exec, exec, s[6:7]
                                        ; implicit-def: $vgpr5
.LBB103_2031:
	s_andn2_saveexec_b64 s[4:5], s[4:5]
; %bb.2032:
	s_mov_b32 s6, 0x7f800000
	v_mov_b32_e32 v4, 0x7e
	v_mov_b32_e32 v6, 0x7f
	v_cmp_lt_u32_e32 vcc, s6, v5
	v_cndmask_b32_e32 v4, v4, v6, vcc
; %bb.2033:
	s_or_b64 exec, exec, s[4:5]
	v_lshrrev_b32_e32 v3, 24, v3
	s_movk_i32 s4, 0x80
	v_and_or_b32 v3, v3, s4, v4
	global_store_byte v[0:1], v3, off
.LBB103_2034:
	s_mov_b64 s[4:5], 0
.LBB103_2035:
	s_andn2_b64 vcc, exec, s[4:5]
	s_cbranch_vccnz .LBB103_2045
; %bb.2036:
	v_cvt_f32_i32_sdwa v3, sext(v2) dst_sel:DWORD dst_unused:UNUSED_PAD src0_sel:WORD_0
	s_mov_b32 s4, 0x47800000
                                        ; implicit-def: $vgpr4
	v_and_b32_e32 v5, 0x7fffffff, v3
	v_cmp_gt_u32_e32 vcc, s4, v5
	s_and_saveexec_b64 s[4:5], vcc
	s_xor_b64 s[4:5], exec, s[4:5]
	s_cbranch_execz .LBB103_2042
; %bb.2037:
	s_mov_b32 s6, 0x387fffff
	v_cmp_lt_u32_e32 vcc, s6, v5
                                        ; implicit-def: $vgpr4
	s_and_saveexec_b64 s[6:7], vcc
	s_xor_b64 s[6:7], exec, s[6:7]
; %bb.2038:
	v_bfe_u32 v4, v3, 21, 1
	s_mov_b32 s8, 0x80fffff
	v_add3_u32 v4, v3, v4, s8
	v_lshrrev_b32_e32 v4, 21, v4
; %bb.2039:
	s_andn2_saveexec_b64 s[6:7], s[6:7]
; %bb.2040:
	s_mov_b32 s8, 0x43000000
	v_add_f32_e64 v4, |v3|, s8
; %bb.2041:
	s_or_b64 exec, exec, s[6:7]
                                        ; implicit-def: $vgpr5
.LBB103_2042:
	s_andn2_saveexec_b64 s[4:5], s[4:5]
; %bb.2043:
	s_mov_b32 s6, 0x7f800000
	v_mov_b32_e32 v4, 0x7c
	v_mov_b32_e32 v6, 0x7f
	v_cmp_lt_u32_e32 vcc, s6, v5
	v_cndmask_b32_e32 v4, v4, v6, vcc
; %bb.2044:
	s_or_b64 exec, exec, s[4:5]
	v_lshrrev_b32_e32 v3, 24, v3
	s_movk_i32 s4, 0x80
	v_and_or_b32 v3, v3, s4, v4
	global_store_byte v[0:1], v3, off
.LBB103_2045:
	s_mov_b64 s[4:5], 0
.LBB103_2046:
	s_andn2_b64 vcc, exec, s[4:5]
	s_mov_b64 s[4:5], 0
	s_cbranch_vccnz .LBB103_2053
; %bb.2047:
	s_cmp_gt_i32 s16, 14
	s_mov_b64 s[6:7], -1
	s_cbranch_scc0 .LBB103_2051
; %bb.2048:
	s_cmp_eq_u32 s16, 15
	s_mov_b64 s[0:1], -1
	s_cbranch_scc0 .LBB103_2050
; %bb.2049:
	v_cvt_f32_i32_sdwa v3, sext(v2) dst_sel:DWORD dst_unused:UNUSED_PAD src0_sel:WORD_0
	s_movk_i32 s0, 0x7fff
	v_bfe_u32 v4, v3, 16, 1
	v_add3_u32 v3, v3, v4, s0
	global_store_short_d16_hi v[0:1], v3, off
	s_mov_b64 s[0:1], 0
.LBB103_2050:
	s_mov_b64 s[6:7], 0
.LBB103_2051:
	s_and_b64 vcc, exec, s[6:7]
	s_cbranch_vccz .LBB103_2053
; %bb.2052:
	s_cmp_lg_u32 s16, 11
	s_mov_b64 s[4:5], -1
	s_cselect_b64 s[0:1], -1, 0
.LBB103_2053:
	s_and_b64 vcc, exec, s[0:1]
	s_cbranch_vccnz .LBB103_2119
.LBB103_2054:
	s_mov_b64 s[0:1], 0
	s_branch .LBB103_2056
.LBB103_2055:
	s_mov_b64 s[0:1], 0
	s_mov_b64 s[4:5], 0
                                        ; implicit-def: $vgpr0_vgpr1
                                        ; implicit-def: $sgpr14
                                        ; implicit-def: $vgpr2
.LBB103_2056:
	s_and_b64 s[6:7], s[4:5], exec
	s_andn2_b64 s[4:5], s[28:29], exec
	s_and_b64 s[2:3], s[2:3], exec
	s_and_b64 s[0:1], s[0:1], exec
	s_or_b64 s[28:29], s[4:5], s[2:3]
.LBB103_2057:
	s_or_b64 exec, exec, s[30:31]
	s_and_saveexec_b64 s[2:3], s[28:29]
	s_cbranch_execz .LBB103_2060
; %bb.2058:
	; divergent unreachable
	s_or_b64 exec, exec, s[2:3]
	s_and_saveexec_b64 s[2:3], s[6:7]
	s_xor_b64 s[2:3], exec, s[2:3]
	s_cbranch_execnz .LBB103_2061
.LBB103_2059:
	s_or_b64 exec, exec, s[2:3]
	s_and_saveexec_b64 s[2:3], s[0:1]
	s_cbranch_execnz .LBB103_2062
	s_branch .LBB103_2099
.LBB103_2060:
	s_or_b64 exec, exec, s[2:3]
	s_and_saveexec_b64 s[2:3], s[6:7]
	s_xor_b64 s[2:3], exec, s[2:3]
	s_cbranch_execz .LBB103_2059
.LBB103_2061:
	v_cmp_ne_u16_e32 vcc, 0, v2
	s_waitcnt vmcnt(0)
	v_cndmask_b32_e64 v3, 0, 1, vcc
	global_store_byte v[0:1], v3, off
	s_or_b64 exec, exec, s[2:3]
	s_and_saveexec_b64 s[2:3], s[0:1]
	s_cbranch_execz .LBB103_2099
.LBB103_2062:
	s_sext_i32_i16 s2, s14
	s_cmp_lt_i32 s2, 5
	s_mov_b64 s[0:1], -1
	s_cbranch_scc1 .LBB103_2083
; %bb.2063:
	s_cmp_lt_i32 s2, 8
	s_cbranch_scc1 .LBB103_2073
; %bb.2064:
	s_cmp_lt_i32 s2, 9
	s_cbranch_scc1 .LBB103_2070
; %bb.2065:
	s_cmp_gt_i32 s2, 9
	s_cbranch_scc0 .LBB103_2067
; %bb.2066:
	s_waitcnt vmcnt(0)
	v_bfe_i32 v3, v2, 0, 16
	v_cvt_f64_i32_e32 v[3:4], v3
	v_mov_b32_e32 v5, 0
	v_mov_b32_e32 v6, v5
	s_mov_b64 s[0:1], 0
	global_store_dwordx4 v[0:1], v[3:6], off
.LBB103_2067:
	s_andn2_b64 vcc, exec, s[0:1]
	s_cbranch_vccnz .LBB103_2069
; %bb.2068:
	s_waitcnt vmcnt(0)
	v_cvt_f32_i32_sdwa v3, sext(v2) dst_sel:DWORD dst_unused:UNUSED_PAD src0_sel:WORD_0
	v_mov_b32_e32 v4, 0
	global_store_dwordx2 v[0:1], v[3:4], off
.LBB103_2069:
	s_mov_b64 s[0:1], 0
.LBB103_2070:
	s_andn2_b64 vcc, exec, s[0:1]
	s_cbranch_vccnz .LBB103_2072
; %bb.2071:
	s_waitcnt vmcnt(0)
	v_cvt_f16_i16_e32 v3, v2
	global_store_dword v[0:1], v3, off
.LBB103_2072:
	s_mov_b64 s[0:1], 0
.LBB103_2073:
	s_andn2_b64 vcc, exec, s[0:1]
	s_cbranch_vccnz .LBB103_2082
; %bb.2074:
	s_sext_i32_i16 s2, s14
	s_cmp_lt_i32 s2, 6
	s_mov_b64 s[0:1], -1
	s_cbranch_scc1 .LBB103_2080
; %bb.2075:
	s_cmp_gt_i32 s2, 6
	s_cbranch_scc0 .LBB103_2077
; %bb.2076:
	s_waitcnt vmcnt(0)
	v_bfe_i32 v3, v2, 0, 16
	v_cvt_f64_i32_e32 v[3:4], v3
	s_mov_b64 s[0:1], 0
	global_store_dwordx2 v[0:1], v[3:4], off
.LBB103_2077:
	s_andn2_b64 vcc, exec, s[0:1]
	s_cbranch_vccnz .LBB103_2079
; %bb.2078:
	s_waitcnt vmcnt(0)
	v_cvt_f32_i32_sdwa v3, sext(v2) dst_sel:DWORD dst_unused:UNUSED_PAD src0_sel:WORD_0
	global_store_dword v[0:1], v3, off
.LBB103_2079:
	s_mov_b64 s[0:1], 0
.LBB103_2080:
	s_andn2_b64 vcc, exec, s[0:1]
	s_cbranch_vccnz .LBB103_2082
; %bb.2081:
	s_waitcnt vmcnt(0)
	v_cvt_f16_i16_e32 v3, v2
	global_store_short v[0:1], v3, off
.LBB103_2082:
	s_mov_b64 s[0:1], 0
.LBB103_2083:
	s_andn2_b64 vcc, exec, s[0:1]
	s_cbranch_vccnz .LBB103_2099
; %bb.2084:
	s_sext_i32_i16 s2, s14
	s_cmp_lt_i32 s2, 2
	s_mov_b64 s[0:1], -1
	s_cbranch_scc1 .LBB103_2094
; %bb.2085:
	s_cmp_lt_i32 s2, 3
	s_cbranch_scc1 .LBB103_2091
; %bb.2086:
	s_cmp_gt_i32 s2, 3
	s_cbranch_scc0 .LBB103_2088
; %bb.2087:
	s_waitcnt vmcnt(0)
	v_bfe_i32 v3, v2, 0, 16
	v_ashrrev_i32_e32 v4, 31, v3
	global_store_dwordx2 v[0:1], v[3:4], off
	s_mov_b64 s[0:1], 0
.LBB103_2088:
	s_andn2_b64 vcc, exec, s[0:1]
	s_cbranch_vccnz .LBB103_2090
; %bb.2089:
	s_waitcnt vmcnt(0)
	v_bfe_i32 v3, v2, 0, 16
	global_store_dword v[0:1], v3, off
.LBB103_2090:
	s_mov_b64 s[0:1], 0
.LBB103_2091:
	s_andn2_b64 vcc, exec, s[0:1]
	s_cbranch_vccnz .LBB103_2093
; %bb.2092:
	global_store_short v[0:1], v2, off
.LBB103_2093:
	s_mov_b64 s[0:1], 0
.LBB103_2094:
	s_andn2_b64 vcc, exec, s[0:1]
	s_cbranch_vccnz .LBB103_2099
; %bb.2095:
	s_sext_i32_i16 s0, s14
	s_cmp_gt_i32 s0, 0
	s_mov_b64 s[0:1], -1
	s_cbranch_scc0 .LBB103_2097
; %bb.2096:
	global_store_byte v[0:1], v2, off
	s_mov_b64 s[0:1], 0
.LBB103_2097:
	s_andn2_b64 vcc, exec, s[0:1]
	s_cbranch_vccnz .LBB103_2099
; %bb.2098:
	global_store_byte v[0:1], v2, off
	s_endpgm
.LBB103_2099:
	s_endpgm
.LBB103_2100:
	s_mov_b64 s[4:5], 0
	s_mov_b64 s[0:1], -1
	s_branch .LBB103_2056
.LBB103_2101:
	s_trap 2
	s_or_b64 s[2:3], s[2:3], exec
	s_cbranch_execz .LBB103_1570
	s_branch .LBB103_1571
.LBB103_2102:
	s_andn2_saveexec_b64 s[12:13], s[12:13]
	s_cbranch_execz .LBB103_1650
.LBB103_2103:
	s_mov_b32 s17, 0x46000000
	v_add_f32_e64 v8, |v3|, s17
	v_and_b32_e32 v8, 0xff, v8
	v_cmp_ne_u32_e32 vcc, 0, v8
	s_andn2_b64 s[10:11], s[10:11], exec
	s_and_b64 s[18:19], vcc, exec
	s_or_b64 s[10:11], s[10:11], s[18:19]
	s_or_b64 exec, exec, s[12:13]
	v_mov_b32_e32 v10, 0
	s_and_saveexec_b64 s[12:13], s[10:11]
	s_cbranch_execnz .LBB103_1651
	s_branch .LBB103_1652
.LBB103_2104:
	s_trap 2
	s_or_b64 s[2:3], s[2:3], exec
	s_cbranch_execz .LBB103_1698
	s_branch .LBB103_1699
.LBB103_2105:
	s_andn2_saveexec_b64 s[10:11], s[10:11]
	s_cbranch_execz .LBB103_1663
.LBB103_2106:
	s_mov_b32 s12, 0x42800000
	v_add_f32_e64 v8, |v3|, s12
	v_and_b32_e32 v8, 0xff, v8
	v_cmp_ne_u32_e32 vcc, 0, v8
	s_andn2_b64 s[6:7], s[6:7], exec
	s_and_b64 s[12:13], vcc, exec
	s_or_b64 s[6:7], s[6:7], s[12:13]
	s_or_b64 exec, exec, s[10:11]
	v_mov_b32_e32 v10, 0
	s_and_saveexec_b64 s[10:11], s[6:7]
	s_cbranch_execnz .LBB103_1664
	s_branch .LBB103_1665
.LBB103_2107:
	s_andn2_saveexec_b64 s[12:13], s[12:13]
	s_cbranch_execz .LBB103_1769
.LBB103_2108:
	s_mov_b32 s17, 0x46000000
	v_add_f32_e64 v6, |v5|, s17
	v_and_b32_e32 v6, 0xff, v6
	v_cmp_ne_u32_e32 vcc, 0, v6
	s_andn2_b64 s[10:11], s[10:11], exec
	s_and_b64 s[18:19], vcc, exec
	s_or_b64 s[10:11], s[10:11], s[18:19]
	s_or_b64 exec, exec, s[12:13]
	v_mov_b32_e32 v8, 0
	s_and_saveexec_b64 s[12:13], s[10:11]
	s_cbranch_execnz .LBB103_1770
	s_branch .LBB103_1771
.LBB103_2109:
	s_trap 2
	s_or_b64 s[2:3], s[2:3], exec
	s_cbranch_execz .LBB103_1817
	s_branch .LBB103_1818
.LBB103_2110:
	s_andn2_saveexec_b64 s[10:11], s[10:11]
	s_cbranch_execz .LBB103_1782
.LBB103_2111:
	s_mov_b32 s12, 0x42800000
	v_add_f32_e64 v6, |v5|, s12
	v_and_b32_e32 v6, 0xff, v6
	v_cmp_ne_u32_e32 vcc, 0, v6
	s_andn2_b64 s[6:7], s[6:7], exec
	s_and_b64 s[12:13], vcc, exec
	s_or_b64 s[6:7], s[6:7], s[12:13]
	s_or_b64 exec, exec, s[10:11]
	v_mov_b32_e32 v8, 0
	s_and_saveexec_b64 s[10:11], s[6:7]
	s_cbranch_execnz .LBB103_1783
	s_branch .LBB103_1784
.LBB103_2112:
	s_andn2_saveexec_b64 s[12:13], s[12:13]
	s_cbranch_execz .LBB103_1888
.LBB103_2113:
	s_mov_b32 s17, 0x46000000
	v_add_f32_e64 v4, |v3|, s17
	v_and_b32_e32 v4, 0xff, v4
	v_cmp_ne_u32_e32 vcc, 0, v4
	s_andn2_b64 s[10:11], s[10:11], exec
	s_and_b64 s[18:19], vcc, exec
	s_or_b64 s[10:11], s[10:11], s[18:19]
	s_or_b64 exec, exec, s[12:13]
	v_mov_b32_e32 v6, 0
	s_and_saveexec_b64 s[12:13], s[10:11]
	s_cbranch_execnz .LBB103_1889
	s_branch .LBB103_1890
.LBB103_2114:
	s_trap 2
	s_or_b64 s[2:3], s[2:3], exec
	s_cbranch_execz .LBB103_1936
	s_branch .LBB103_1937
.LBB103_2115:
	s_andn2_saveexec_b64 s[10:11], s[10:11]
	s_cbranch_execz .LBB103_1901
.LBB103_2116:
	s_mov_b32 s12, 0x42800000
	v_add_f32_e64 v4, |v3|, s12
	v_and_b32_e32 v4, 0xff, v4
	v_cmp_ne_u32_e32 vcc, 0, v4
	s_andn2_b64 s[6:7], s[6:7], exec
	s_and_b64 s[12:13], vcc, exec
	s_or_b64 s[6:7], s[6:7], s[12:13]
	s_or_b64 exec, exec, s[10:11]
	v_mov_b32_e32 v6, 0
	s_and_saveexec_b64 s[10:11], s[6:7]
	s_cbranch_execnz .LBB103_1902
	s_branch .LBB103_1903
.LBB103_2117:
	s_andn2_saveexec_b64 s[10:11], s[10:11]
	s_cbranch_execz .LBB103_2008
.LBB103_2118:
	s_mov_b32 s12, 0x46000000
	v_add_f32_e64 v4, |v3|, s12
	v_and_b32_e32 v4, 0xff, v4
	v_cmp_ne_u32_e32 vcc, 0, v4
	s_andn2_b64 s[8:9], s[8:9], exec
	s_and_b64 s[12:13], vcc, exec
	s_or_b64 s[8:9], s[8:9], s[12:13]
	s_or_b64 exec, exec, s[10:11]
	v_mov_b32_e32 v5, 0
	s_and_saveexec_b64 s[10:11], s[8:9]
	s_cbranch_execnz .LBB103_2009
	s_branch .LBB103_2010
.LBB103_2119:
	s_mov_b64 s[4:5], 0
	s_or_b64 s[2:3], s[2:3], exec
	s_trap 2
	s_branch .LBB103_2054
.LBB103_2120:
	s_andn2_saveexec_b64 s[8:9], s[8:9]
	s_cbranch_execz .LBB103_2020
.LBB103_2121:
	s_mov_b32 s10, 0x42800000
	v_add_f32_e64 v4, |v3|, s10
	v_and_b32_e32 v4, 0xff, v4
	v_cmp_ne_u32_e32 vcc, 0, v4
	s_andn2_b64 s[6:7], s[6:7], exec
	s_and_b64 s[10:11], vcc, exec
	s_or_b64 s[6:7], s[6:7], s[10:11]
	s_or_b64 exec, exec, s[8:9]
	v_mov_b32_e32 v5, 0
	s_and_saveexec_b64 s[8:9], s[6:7]
	s_cbranch_execnz .LBB103_2021
	s_branch .LBB103_2022
	.section	.rodata,"a",@progbits
	.p2align	6, 0x0
	.amdhsa_kernel _ZN2at6native32elementwise_kernel_manual_unrollILi128ELi4EZNS0_15gpu_kernel_implINS0_13AUnaryFunctorIsssZZZNS0_18lshift_kernel_cudaERNS_18TensorIteratorBaseEENKUlvE_clEvENKUlvE3_clEvEUlssE_EEEEvS5_RKT_EUlibE0_EEviT1_
		.amdhsa_group_segment_fixed_size 0
		.amdhsa_private_segment_fixed_size 0
		.amdhsa_kernarg_size 360
		.amdhsa_user_sgpr_count 6
		.amdhsa_user_sgpr_private_segment_buffer 1
		.amdhsa_user_sgpr_dispatch_ptr 0
		.amdhsa_user_sgpr_queue_ptr 0
		.amdhsa_user_sgpr_kernarg_segment_ptr 1
		.amdhsa_user_sgpr_dispatch_id 0
		.amdhsa_user_sgpr_flat_scratch_init 0
		.amdhsa_user_sgpr_private_segment_size 0
		.amdhsa_uses_dynamic_stack 0
		.amdhsa_system_sgpr_private_segment_wavefront_offset 0
		.amdhsa_system_sgpr_workgroup_id_x 1
		.amdhsa_system_sgpr_workgroup_id_y 0
		.amdhsa_system_sgpr_workgroup_id_z 0
		.amdhsa_system_sgpr_workgroup_info 0
		.amdhsa_system_vgpr_workitem_id 0
		.amdhsa_next_free_vgpr 18
		.amdhsa_next_free_sgpr 79
		.amdhsa_reserve_vcc 1
		.amdhsa_reserve_flat_scratch 0
		.amdhsa_float_round_mode_32 0
		.amdhsa_float_round_mode_16_64 0
		.amdhsa_float_denorm_mode_32 3
		.amdhsa_float_denorm_mode_16_64 3
		.amdhsa_dx10_clamp 1
		.amdhsa_ieee_mode 1
		.amdhsa_fp16_overflow 0
		.amdhsa_exception_fp_ieee_invalid_op 0
		.amdhsa_exception_fp_denorm_src 0
		.amdhsa_exception_fp_ieee_div_zero 0
		.amdhsa_exception_fp_ieee_overflow 0
		.amdhsa_exception_fp_ieee_underflow 0
		.amdhsa_exception_fp_ieee_inexact 0
		.amdhsa_exception_int_div_zero 0
	.end_amdhsa_kernel
	.section	.text._ZN2at6native32elementwise_kernel_manual_unrollILi128ELi4EZNS0_15gpu_kernel_implINS0_13AUnaryFunctorIsssZZZNS0_18lshift_kernel_cudaERNS_18TensorIteratorBaseEENKUlvE_clEvENKUlvE3_clEvEUlssE_EEEEvS5_RKT_EUlibE0_EEviT1_,"axG",@progbits,_ZN2at6native32elementwise_kernel_manual_unrollILi128ELi4EZNS0_15gpu_kernel_implINS0_13AUnaryFunctorIsssZZZNS0_18lshift_kernel_cudaERNS_18TensorIteratorBaseEENKUlvE_clEvENKUlvE3_clEvEUlssE_EEEEvS5_RKT_EUlibE0_EEviT1_,comdat
.Lfunc_end103:
	.size	_ZN2at6native32elementwise_kernel_manual_unrollILi128ELi4EZNS0_15gpu_kernel_implINS0_13AUnaryFunctorIsssZZZNS0_18lshift_kernel_cudaERNS_18TensorIteratorBaseEENKUlvE_clEvENKUlvE3_clEvEUlssE_EEEEvS5_RKT_EUlibE0_EEviT1_, .Lfunc_end103-_ZN2at6native32elementwise_kernel_manual_unrollILi128ELi4EZNS0_15gpu_kernel_implINS0_13AUnaryFunctorIsssZZZNS0_18lshift_kernel_cudaERNS_18TensorIteratorBaseEENKUlvE_clEvENKUlvE3_clEvEUlssE_EEEEvS5_RKT_EUlibE0_EEviT1_
                                        ; -- End function
	.set _ZN2at6native32elementwise_kernel_manual_unrollILi128ELi4EZNS0_15gpu_kernel_implINS0_13AUnaryFunctorIsssZZZNS0_18lshift_kernel_cudaERNS_18TensorIteratorBaseEENKUlvE_clEvENKUlvE3_clEvEUlssE_EEEEvS5_RKT_EUlibE0_EEviT1_.num_vgpr, 18
	.set _ZN2at6native32elementwise_kernel_manual_unrollILi128ELi4EZNS0_15gpu_kernel_implINS0_13AUnaryFunctorIsssZZZNS0_18lshift_kernel_cudaERNS_18TensorIteratorBaseEENKUlvE_clEvENKUlvE3_clEvEUlssE_EEEEvS5_RKT_EUlibE0_EEviT1_.num_agpr, 0
	.set _ZN2at6native32elementwise_kernel_manual_unrollILi128ELi4EZNS0_15gpu_kernel_implINS0_13AUnaryFunctorIsssZZZNS0_18lshift_kernel_cudaERNS_18TensorIteratorBaseEENKUlvE_clEvENKUlvE3_clEvEUlssE_EEEEvS5_RKT_EUlibE0_EEviT1_.numbered_sgpr, 79
	.set _ZN2at6native32elementwise_kernel_manual_unrollILi128ELi4EZNS0_15gpu_kernel_implINS0_13AUnaryFunctorIsssZZZNS0_18lshift_kernel_cudaERNS_18TensorIteratorBaseEENKUlvE_clEvENKUlvE3_clEvEUlssE_EEEEvS5_RKT_EUlibE0_EEviT1_.num_named_barrier, 0
	.set _ZN2at6native32elementwise_kernel_manual_unrollILi128ELi4EZNS0_15gpu_kernel_implINS0_13AUnaryFunctorIsssZZZNS0_18lshift_kernel_cudaERNS_18TensorIteratorBaseEENKUlvE_clEvENKUlvE3_clEvEUlssE_EEEEvS5_RKT_EUlibE0_EEviT1_.private_seg_size, 0
	.set _ZN2at6native32elementwise_kernel_manual_unrollILi128ELi4EZNS0_15gpu_kernel_implINS0_13AUnaryFunctorIsssZZZNS0_18lshift_kernel_cudaERNS_18TensorIteratorBaseEENKUlvE_clEvENKUlvE3_clEvEUlssE_EEEEvS5_RKT_EUlibE0_EEviT1_.uses_vcc, 1
	.set _ZN2at6native32elementwise_kernel_manual_unrollILi128ELi4EZNS0_15gpu_kernel_implINS0_13AUnaryFunctorIsssZZZNS0_18lshift_kernel_cudaERNS_18TensorIteratorBaseEENKUlvE_clEvENKUlvE3_clEvEUlssE_EEEEvS5_RKT_EUlibE0_EEviT1_.uses_flat_scratch, 0
	.set _ZN2at6native32elementwise_kernel_manual_unrollILi128ELi4EZNS0_15gpu_kernel_implINS0_13AUnaryFunctorIsssZZZNS0_18lshift_kernel_cudaERNS_18TensorIteratorBaseEENKUlvE_clEvENKUlvE3_clEvEUlssE_EEEEvS5_RKT_EUlibE0_EEviT1_.has_dyn_sized_stack, 0
	.set _ZN2at6native32elementwise_kernel_manual_unrollILi128ELi4EZNS0_15gpu_kernel_implINS0_13AUnaryFunctorIsssZZZNS0_18lshift_kernel_cudaERNS_18TensorIteratorBaseEENKUlvE_clEvENKUlvE3_clEvEUlssE_EEEEvS5_RKT_EUlibE0_EEviT1_.has_recursion, 0
	.set _ZN2at6native32elementwise_kernel_manual_unrollILi128ELi4EZNS0_15gpu_kernel_implINS0_13AUnaryFunctorIsssZZZNS0_18lshift_kernel_cudaERNS_18TensorIteratorBaseEENKUlvE_clEvENKUlvE3_clEvEUlssE_EEEEvS5_RKT_EUlibE0_EEviT1_.has_indirect_call, 0
	.section	.AMDGPU.csdata,"",@progbits
; Kernel info:
; codeLenInByte = 35256
; TotalNumSgprs: 83
; NumVgprs: 18
; ScratchSize: 0
; MemoryBound: 1
; FloatMode: 240
; IeeeMode: 1
; LDSByteSize: 0 bytes/workgroup (compile time only)
; SGPRBlocks: 10
; VGPRBlocks: 4
; NumSGPRsForWavesPerEU: 83
; NumVGPRsForWavesPerEU: 18
; Occupancy: 9
; WaveLimiterHint : 1
; COMPUTE_PGM_RSRC2:SCRATCH_EN: 0
; COMPUTE_PGM_RSRC2:USER_SGPR: 6
; COMPUTE_PGM_RSRC2:TRAP_HANDLER: 0
; COMPUTE_PGM_RSRC2:TGID_X_EN: 1
; COMPUTE_PGM_RSRC2:TGID_Y_EN: 0
; COMPUTE_PGM_RSRC2:TGID_Z_EN: 0
; COMPUTE_PGM_RSRC2:TIDIG_COMP_CNT: 0
	.section	.text._ZN2at6native29vectorized_elementwise_kernelILi16ENS0_13BUnaryFunctorIsssZZZNS0_18lshift_kernel_cudaERNS_18TensorIteratorBaseEENKUlvE_clEvENKUlvE3_clEvEUlssE_EESt5arrayIPcLm2EEEEviT0_T1_,"axG",@progbits,_ZN2at6native29vectorized_elementwise_kernelILi16ENS0_13BUnaryFunctorIsssZZZNS0_18lshift_kernel_cudaERNS_18TensorIteratorBaseEENKUlvE_clEvENKUlvE3_clEvEUlssE_EESt5arrayIPcLm2EEEEviT0_T1_,comdat
	.globl	_ZN2at6native29vectorized_elementwise_kernelILi16ENS0_13BUnaryFunctorIsssZZZNS0_18lshift_kernel_cudaERNS_18TensorIteratorBaseEENKUlvE_clEvENKUlvE3_clEvEUlssE_EESt5arrayIPcLm2EEEEviT0_T1_ ; -- Begin function _ZN2at6native29vectorized_elementwise_kernelILi16ENS0_13BUnaryFunctorIsssZZZNS0_18lshift_kernel_cudaERNS_18TensorIteratorBaseEENKUlvE_clEvENKUlvE3_clEvEUlssE_EESt5arrayIPcLm2EEEEviT0_T1_
	.p2align	8
	.type	_ZN2at6native29vectorized_elementwise_kernelILi16ENS0_13BUnaryFunctorIsssZZZNS0_18lshift_kernel_cudaERNS_18TensorIteratorBaseEENKUlvE_clEvENKUlvE3_clEvEUlssE_EESt5arrayIPcLm2EEEEviT0_T1_,@function
_ZN2at6native29vectorized_elementwise_kernelILi16ENS0_13BUnaryFunctorIsssZZZNS0_18lshift_kernel_cudaERNS_18TensorIteratorBaseEENKUlvE_clEvENKUlvE3_clEvEUlssE_EESt5arrayIPcLm2EEEEviT0_T1_: ; @_ZN2at6native29vectorized_elementwise_kernelILi16ENS0_13BUnaryFunctorIsssZZZNS0_18lshift_kernel_cudaERNS_18TensorIteratorBaseEENKUlvE_clEvENKUlvE3_clEvEUlssE_EESt5arrayIPcLm2EEEEviT0_T1_
; %bb.0:
	s_load_dwordx2 s[12:13], s[4:5], 0x0
	s_load_dwordx4 s[8:11], s[4:5], 0x8
	s_lshl_b32 s2, s6, 11
	s_mov_b64 s[0:1], -1
	s_waitcnt lgkmcnt(0)
	s_sub_i32 s6, s12, s2
	s_lshr_b32 s7, s13, 16
	s_cmpk_gt_i32 s6, 0x7ff
	s_cbranch_scc0 .LBB104_2
; %bb.1:
	s_ashr_i32 s3, s2, 31
	s_lshl_b64 s[0:1], s[2:3], 1
	s_add_u32 s4, s10, s0
	s_addc_u32 s5, s11, s1
	v_lshlrev_b32_e32 v5, 4, v0
	global_load_dwordx4 v[1:4], v5, s[4:5]
	s_cmp_gt_u32 s13, 0xfffff
	s_cselect_b64 s[4:5], -1, 0
	s_mov_b32 s3, 0x5040100
	s_add_u32 s0, s8, s0
	s_addc_u32 s1, s9, s1
	s_waitcnt vmcnt(0)
	v_lshlrev_b32_e32 v6, s7, v1
	v_lshlrev_b32_sdwa v1, s7, v1 dst_sel:DWORD dst_unused:UNUSED_PAD src0_sel:DWORD src1_sel:WORD_1
	v_lshlrev_b32_e32 v7, s7, v2
	v_lshlrev_b32_sdwa v2, s7, v2 dst_sel:DWORD dst_unused:UNUSED_PAD src0_sel:DWORD src1_sel:WORD_1
	;; [unrolled: 2-line block ×4, first 2 shown]
	v_cndmask_b32_e64 v6, v6, 0, s[4:5]
	v_cndmask_b32_e64 v1, v1, 0, s[4:5]
	;; [unrolled: 1-line block ×8, first 2 shown]
	v_perm_b32 v4, v4, v9, s3
	v_perm_b32 v3, v3, v8, s3
	;; [unrolled: 1-line block ×4, first 2 shown]
	global_store_dwordx4 v5, v[1:4], s[0:1]
	s_mov_b64 s[0:1], 0
.LBB104_2:
	s_andn2_b64 vcc, exec, s[0:1]
	s_cbranch_vccnz .LBB104_28
; %bb.3:
	v_cmp_gt_i32_e64 s[0:1], s6, v0
	v_mov_b32_e32 v3, 0
	v_or_b32_e32 v1, s2, v0
	v_mov_b32_e32 v2, 0
	v_mov_b32_e32 v4, v0
	s_and_saveexec_b64 s[4:5], s[0:1]
	s_cbranch_execz .LBB104_5
; %bb.4:
	v_mov_b32_e32 v2, 0
	v_lshlrev_b64 v[4:5], 1, v[1:2]
	v_mov_b32_e32 v2, s11
	v_add_co_u32_e32 v4, vcc, s10, v4
	v_addc_co_u32_e32 v5, vcc, v2, v5, vcc
	global_load_ushort v2, v[4:5], off
	v_or_b32_e32 v4, 0x100, v0
.LBB104_5:
	s_or_b64 exec, exec, s[4:5]
	v_cmp_gt_i32_e32 vcc, s6, v4
	s_and_saveexec_b64 s[4:5], vcc
	s_cbranch_execz .LBB104_7
; %bb.6:
	v_add_u32_e32 v5, s2, v4
	v_mov_b32_e32 v6, 0
	v_lshlrev_b64 v[5:6], 1, v[5:6]
	v_mov_b32_e32 v3, s11
	v_add_co_u32_e32 v5, vcc, s10, v5
	v_addc_co_u32_e32 v6, vcc, v3, v6, vcc
	global_load_ushort v3, v[5:6], off
	v_add_u32_e32 v4, 0x100, v4
.LBB104_7:
	s_or_b64 exec, exec, s[4:5]
	v_cmp_gt_i32_e32 vcc, s6, v4
	v_mov_b32_e32 v5, 0
	v_mov_b32_e32 v6, 0
	s_and_saveexec_b64 s[4:5], vcc
	s_cbranch_execz .LBB104_9
; %bb.8:
	v_add_u32_e32 v6, s2, v4
	v_mov_b32_e32 v7, 0
	v_lshlrev_b64 v[6:7], 1, v[6:7]
	v_mov_b32_e32 v8, s11
	v_add_co_u32_e32 v6, vcc, s10, v6
	v_addc_co_u32_e32 v7, vcc, v8, v7, vcc
	global_load_ushort v6, v[6:7], off
	v_add_u32_e32 v4, 0x100, v4
.LBB104_9:
	s_or_b64 exec, exec, s[4:5]
	v_cmp_gt_i32_e32 vcc, s6, v4
	s_and_saveexec_b64 s[4:5], vcc
	s_cbranch_execz .LBB104_11
; %bb.10:
	v_add_u32_e32 v7, s2, v4
	v_mov_b32_e32 v8, 0
	v_lshlrev_b64 v[7:8], 1, v[7:8]
	v_mov_b32_e32 v5, s11
	v_add_co_u32_e32 v7, vcc, s10, v7
	v_addc_co_u32_e32 v8, vcc, v5, v8, vcc
	global_load_ushort v5, v[7:8], off
	v_add_u32_e32 v4, 0x100, v4
.LBB104_11:
	s_or_b64 exec, exec, s[4:5]
	v_cmp_gt_i32_e32 vcc, s6, v4
	v_mov_b32_e32 v7, 0
	v_mov_b32_e32 v8, 0
	s_and_saveexec_b64 s[4:5], vcc
	s_cbranch_execz .LBB104_13
; %bb.12:
	v_add_u32_e32 v8, s2, v4
	v_mov_b32_e32 v9, 0
	v_lshlrev_b64 v[8:9], 1, v[8:9]
	v_mov_b32_e32 v10, s11
	v_add_co_u32_e32 v8, vcc, s10, v8
	v_addc_co_u32_e32 v9, vcc, v10, v9, vcc
	global_load_ushort v8, v[8:9], off
	v_add_u32_e32 v4, 0x100, v4
.LBB104_13:
	;; [unrolled: 30-line block ×3, first 2 shown]
	s_or_b64 exec, exec, s[4:5]
	v_cmp_gt_i32_e32 vcc, s6, v4
	s_and_saveexec_b64 s[4:5], vcc
	s_cbranch_execz .LBB104_19
; %bb.18:
	v_add_u32_e32 v11, s2, v4
	v_mov_b32_e32 v12, 0
	v_lshlrev_b64 v[11:12], 1, v[11:12]
	v_mov_b32_e32 v4, s11
	v_add_co_u32_e32 v11, vcc, s10, v11
	v_addc_co_u32_e32 v12, vcc, v4, v12, vcc
	global_load_ushort v9, v[11:12], off
.LBB104_19:
	s_or_b64 exec, exec, s[4:5]
	s_cmp_gt_u32 s13, 0xfffff
	s_waitcnt vmcnt(0)
	v_lshlrev_b32_e32 v2, s7, v2
	s_cselect_b64 s[4:5], -1, 0
	s_mov_b64 vcc, s[0:1]
	v_cndmask_b32_e64 v4, v2, 0, s[4:5]
	v_mov_b32_e32 v2, 0
	v_lshlrev_b32_e32 v3, s7, v3
	v_cndmask_b32_sdwa v4, v2, v4, vcc dst_sel:DWORD dst_unused:UNUSED_PAD src0_sel:DWORD src1_sel:WORD_0
	v_or_b32_e32 v12, 0x100, v0
	v_cndmask_b32_e64 v3, v3, 0, s[4:5]
	s_mov_b32 s3, 0x5040100
	v_perm_b32 v3, v3, v4, s3
	v_cmp_gt_i32_e32 vcc, s6, v12
	v_cndmask_b32_e32 v11, v4, v3, vcc
	v_lshlrev_b32_e32 v4, s7, v6
	v_or_b32_e32 v3, 0x200, v0
	v_cndmask_b32_e64 v4, v4, 0, s[4:5]
	v_and_b32_e32 v4, 0xffff, v4
	v_cmp_gt_i32_e32 vcc, s6, v3
	v_lshlrev_b32_e32 v5, s7, v5
	v_cndmask_b32_e32 v3, 0, v4, vcc
	v_or_b32_e32 v4, 0x300, v0
	v_cndmask_b32_e64 v5, v5, 0, s[4:5]
	v_perm_b32 v5, v5, v3, s3
	v_cmp_gt_i32_e32 vcc, s6, v4
	v_lshlrev_b32_e32 v4, s7, v8
	v_cndmask_b32_e32 v5, v3, v5, vcc
	v_or_b32_e32 v3, 0x400, v0
	v_cndmask_b32_e64 v4, v4, 0, s[4:5]
	v_and_b32_e32 v4, 0xffff, v4
	v_cmp_gt_i32_e32 vcc, s6, v3
	v_lshlrev_b32_e32 v6, s7, v7
	v_cndmask_b32_e32 v3, 0, v4, vcc
	v_or_b32_e32 v4, 0x500, v0
	v_cndmask_b32_e64 v6, v6, 0, s[4:5]
	v_perm_b32 v6, v6, v3, s3
	v_cmp_gt_i32_e32 vcc, s6, v4
	v_cndmask_b32_e32 v4, v3, v6, vcc
	v_or_b32_e32 v3, 0x600, v0
	v_cmp_gt_i32_e32 vcc, s6, v3
	v_lshlrev_b32_e32 v3, s7, v10
	v_cndmask_b32_e64 v3, v3, 0, s[4:5]
	v_lshlrev_b32_e32 v7, s7, v9
	v_cndmask_b32_sdwa v3, v2, v3, vcc dst_sel:DWORD dst_unused:UNUSED_PAD src0_sel:DWORD src1_sel:WORD_0
	v_or_b32_e32 v6, 0x700, v0
	v_cndmask_b32_e64 v7, v7, 0, s[4:5]
	v_perm_b32 v7, v7, v3, s3
	v_cmp_gt_i32_e32 vcc, s6, v6
	v_cndmask_b32_e32 v3, v3, v7, vcc
	s_and_saveexec_b64 s[4:5], s[0:1]
	s_cbranch_execnz .LBB104_29
; %bb.20:
	s_or_b64 exec, exec, s[4:5]
	v_cmp_gt_i32_e32 vcc, s6, v0
	s_and_saveexec_b64 s[0:1], vcc
	s_cbranch_execnz .LBB104_30
.LBB104_21:
	s_or_b64 exec, exec, s[0:1]
	v_cmp_gt_i32_e32 vcc, s6, v0
	s_and_saveexec_b64 s[0:1], vcc
	s_cbranch_execnz .LBB104_31
.LBB104_22:
	s_or_b64 exec, exec, s[0:1]
	v_cmp_gt_i32_e32 vcc, s6, v0
	s_and_saveexec_b64 s[0:1], vcc
	s_cbranch_execnz .LBB104_32
.LBB104_23:
	s_or_b64 exec, exec, s[0:1]
	v_cmp_gt_i32_e32 vcc, s6, v0
	s_and_saveexec_b64 s[0:1], vcc
	s_cbranch_execnz .LBB104_33
.LBB104_24:
	s_or_b64 exec, exec, s[0:1]
	v_cmp_gt_i32_e32 vcc, s6, v0
	s_and_saveexec_b64 s[0:1], vcc
	s_cbranch_execnz .LBB104_34
.LBB104_25:
	s_or_b64 exec, exec, s[0:1]
	v_cmp_gt_i32_e32 vcc, s6, v0
	s_and_saveexec_b64 s[0:1], vcc
	s_cbranch_execnz .LBB104_35
.LBB104_26:
	s_or_b64 exec, exec, s[0:1]
	v_cmp_gt_i32_e32 vcc, s6, v0
	s_and_saveexec_b64 s[0:1], vcc
	s_cbranch_execz .LBB104_28
.LBB104_27:
	v_add_u32_e32 v0, s2, v0
	v_mov_b32_e32 v1, 0
	v_lshlrev_b64 v[0:1], 1, v[0:1]
	v_mov_b32_e32 v2, s9
	v_add_co_u32_e32 v0, vcc, s8, v0
	v_addc_co_u32_e32 v1, vcc, v2, v1, vcc
	global_store_short_d16_hi v[0:1], v3, off
.LBB104_28:
	s_endpgm
.LBB104_29:
	v_lshlrev_b64 v[0:1], 1, v[1:2]
	v_mov_b32_e32 v2, s9
	v_add_co_u32_e32 v0, vcc, s8, v0
	v_addc_co_u32_e32 v1, vcc, v2, v1, vcc
	global_store_short v[0:1], v11, off
	v_mov_b32_e32 v0, v12
	s_or_b64 exec, exec, s[4:5]
	v_cmp_gt_i32_e32 vcc, s6, v0
	s_and_saveexec_b64 s[0:1], vcc
	s_cbranch_execz .LBB104_21
.LBB104_30:
	v_add_u32_e32 v1, s2, v0
	v_mov_b32_e32 v2, 0
	v_lshlrev_b64 v[1:2], 1, v[1:2]
	v_mov_b32_e32 v6, s9
	v_add_co_u32_e32 v1, vcc, s8, v1
	v_addc_co_u32_e32 v2, vcc, v6, v2, vcc
	v_add_u32_e32 v0, 0x100, v0
	global_store_short_d16_hi v[1:2], v11, off
	s_or_b64 exec, exec, s[0:1]
	v_cmp_gt_i32_e32 vcc, s6, v0
	s_and_saveexec_b64 s[0:1], vcc
	s_cbranch_execz .LBB104_22
.LBB104_31:
	v_add_u32_e32 v1, s2, v0
	v_mov_b32_e32 v2, 0
	v_lshlrev_b64 v[1:2], 1, v[1:2]
	v_mov_b32_e32 v6, s9
	v_add_co_u32_e32 v1, vcc, s8, v1
	v_addc_co_u32_e32 v2, vcc, v6, v2, vcc
	v_add_u32_e32 v0, 0x100, v0
	global_store_short v[1:2], v5, off
	s_or_b64 exec, exec, s[0:1]
	v_cmp_gt_i32_e32 vcc, s6, v0
	s_and_saveexec_b64 s[0:1], vcc
	s_cbranch_execz .LBB104_23
.LBB104_32:
	v_add_u32_e32 v1, s2, v0
	v_mov_b32_e32 v2, 0
	v_lshlrev_b64 v[1:2], 1, v[1:2]
	v_mov_b32_e32 v6, s9
	v_add_co_u32_e32 v1, vcc, s8, v1
	v_addc_co_u32_e32 v2, vcc, v6, v2, vcc
	v_add_u32_e32 v0, 0x100, v0
	global_store_short_d16_hi v[1:2], v5, off
	s_or_b64 exec, exec, s[0:1]
	v_cmp_gt_i32_e32 vcc, s6, v0
	s_and_saveexec_b64 s[0:1], vcc
	s_cbranch_execz .LBB104_24
.LBB104_33:
	v_add_u32_e32 v1, s2, v0
	v_mov_b32_e32 v2, 0
	v_lshlrev_b64 v[1:2], 1, v[1:2]
	v_mov_b32_e32 v5, s9
	v_add_co_u32_e32 v1, vcc, s8, v1
	v_addc_co_u32_e32 v2, vcc, v5, v2, vcc
	v_add_u32_e32 v0, 0x100, v0
	global_store_short v[1:2], v4, off
	s_or_b64 exec, exec, s[0:1]
	v_cmp_gt_i32_e32 vcc, s6, v0
	s_and_saveexec_b64 s[0:1], vcc
	s_cbranch_execz .LBB104_25
.LBB104_34:
	v_add_u32_e32 v1, s2, v0
	v_mov_b32_e32 v2, 0
	v_lshlrev_b64 v[1:2], 1, v[1:2]
	v_mov_b32_e32 v5, s9
	v_add_co_u32_e32 v1, vcc, s8, v1
	v_addc_co_u32_e32 v2, vcc, v5, v2, vcc
	v_add_u32_e32 v0, 0x100, v0
	global_store_short_d16_hi v[1:2], v4, off
	s_or_b64 exec, exec, s[0:1]
	v_cmp_gt_i32_e32 vcc, s6, v0
	s_and_saveexec_b64 s[0:1], vcc
	s_cbranch_execz .LBB104_26
.LBB104_35:
	v_add_u32_e32 v1, s2, v0
	v_mov_b32_e32 v2, 0
	v_lshlrev_b64 v[1:2], 1, v[1:2]
	v_mov_b32_e32 v4, s9
	v_add_co_u32_e32 v1, vcc, s8, v1
	v_addc_co_u32_e32 v2, vcc, v4, v2, vcc
	v_add_u32_e32 v0, 0x100, v0
	global_store_short v[1:2], v3, off
	s_or_b64 exec, exec, s[0:1]
	v_cmp_gt_i32_e32 vcc, s6, v0
	s_and_saveexec_b64 s[0:1], vcc
	s_cbranch_execnz .LBB104_27
	s_branch .LBB104_28
	.section	.rodata,"a",@progbits
	.p2align	6, 0x0
	.amdhsa_kernel _ZN2at6native29vectorized_elementwise_kernelILi16ENS0_13BUnaryFunctorIsssZZZNS0_18lshift_kernel_cudaERNS_18TensorIteratorBaseEENKUlvE_clEvENKUlvE3_clEvEUlssE_EESt5arrayIPcLm2EEEEviT0_T1_
		.amdhsa_group_segment_fixed_size 0
		.amdhsa_private_segment_fixed_size 0
		.amdhsa_kernarg_size 24
		.amdhsa_user_sgpr_count 6
		.amdhsa_user_sgpr_private_segment_buffer 1
		.amdhsa_user_sgpr_dispatch_ptr 0
		.amdhsa_user_sgpr_queue_ptr 0
		.amdhsa_user_sgpr_kernarg_segment_ptr 1
		.amdhsa_user_sgpr_dispatch_id 0
		.amdhsa_user_sgpr_flat_scratch_init 0
		.amdhsa_user_sgpr_private_segment_size 0
		.amdhsa_uses_dynamic_stack 0
		.amdhsa_system_sgpr_private_segment_wavefront_offset 0
		.amdhsa_system_sgpr_workgroup_id_x 1
		.amdhsa_system_sgpr_workgroup_id_y 0
		.amdhsa_system_sgpr_workgroup_id_z 0
		.amdhsa_system_sgpr_workgroup_info 0
		.amdhsa_system_vgpr_workitem_id 0
		.amdhsa_next_free_vgpr 13
		.amdhsa_next_free_sgpr 14
		.amdhsa_reserve_vcc 1
		.amdhsa_reserve_flat_scratch 0
		.amdhsa_float_round_mode_32 0
		.amdhsa_float_round_mode_16_64 0
		.amdhsa_float_denorm_mode_32 3
		.amdhsa_float_denorm_mode_16_64 3
		.amdhsa_dx10_clamp 1
		.amdhsa_ieee_mode 1
		.amdhsa_fp16_overflow 0
		.amdhsa_exception_fp_ieee_invalid_op 0
		.amdhsa_exception_fp_denorm_src 0
		.amdhsa_exception_fp_ieee_div_zero 0
		.amdhsa_exception_fp_ieee_overflow 0
		.amdhsa_exception_fp_ieee_underflow 0
		.amdhsa_exception_fp_ieee_inexact 0
		.amdhsa_exception_int_div_zero 0
	.end_amdhsa_kernel
	.section	.text._ZN2at6native29vectorized_elementwise_kernelILi16ENS0_13BUnaryFunctorIsssZZZNS0_18lshift_kernel_cudaERNS_18TensorIteratorBaseEENKUlvE_clEvENKUlvE3_clEvEUlssE_EESt5arrayIPcLm2EEEEviT0_T1_,"axG",@progbits,_ZN2at6native29vectorized_elementwise_kernelILi16ENS0_13BUnaryFunctorIsssZZZNS0_18lshift_kernel_cudaERNS_18TensorIteratorBaseEENKUlvE_clEvENKUlvE3_clEvEUlssE_EESt5arrayIPcLm2EEEEviT0_T1_,comdat
.Lfunc_end104:
	.size	_ZN2at6native29vectorized_elementwise_kernelILi16ENS0_13BUnaryFunctorIsssZZZNS0_18lshift_kernel_cudaERNS_18TensorIteratorBaseEENKUlvE_clEvENKUlvE3_clEvEUlssE_EESt5arrayIPcLm2EEEEviT0_T1_, .Lfunc_end104-_ZN2at6native29vectorized_elementwise_kernelILi16ENS0_13BUnaryFunctorIsssZZZNS0_18lshift_kernel_cudaERNS_18TensorIteratorBaseEENKUlvE_clEvENKUlvE3_clEvEUlssE_EESt5arrayIPcLm2EEEEviT0_T1_
                                        ; -- End function
	.set _ZN2at6native29vectorized_elementwise_kernelILi16ENS0_13BUnaryFunctorIsssZZZNS0_18lshift_kernel_cudaERNS_18TensorIteratorBaseEENKUlvE_clEvENKUlvE3_clEvEUlssE_EESt5arrayIPcLm2EEEEviT0_T1_.num_vgpr, 13
	.set _ZN2at6native29vectorized_elementwise_kernelILi16ENS0_13BUnaryFunctorIsssZZZNS0_18lshift_kernel_cudaERNS_18TensorIteratorBaseEENKUlvE_clEvENKUlvE3_clEvEUlssE_EESt5arrayIPcLm2EEEEviT0_T1_.num_agpr, 0
	.set _ZN2at6native29vectorized_elementwise_kernelILi16ENS0_13BUnaryFunctorIsssZZZNS0_18lshift_kernel_cudaERNS_18TensorIteratorBaseEENKUlvE_clEvENKUlvE3_clEvEUlssE_EESt5arrayIPcLm2EEEEviT0_T1_.numbered_sgpr, 14
	.set _ZN2at6native29vectorized_elementwise_kernelILi16ENS0_13BUnaryFunctorIsssZZZNS0_18lshift_kernel_cudaERNS_18TensorIteratorBaseEENKUlvE_clEvENKUlvE3_clEvEUlssE_EESt5arrayIPcLm2EEEEviT0_T1_.num_named_barrier, 0
	.set _ZN2at6native29vectorized_elementwise_kernelILi16ENS0_13BUnaryFunctorIsssZZZNS0_18lshift_kernel_cudaERNS_18TensorIteratorBaseEENKUlvE_clEvENKUlvE3_clEvEUlssE_EESt5arrayIPcLm2EEEEviT0_T1_.private_seg_size, 0
	.set _ZN2at6native29vectorized_elementwise_kernelILi16ENS0_13BUnaryFunctorIsssZZZNS0_18lshift_kernel_cudaERNS_18TensorIteratorBaseEENKUlvE_clEvENKUlvE3_clEvEUlssE_EESt5arrayIPcLm2EEEEviT0_T1_.uses_vcc, 1
	.set _ZN2at6native29vectorized_elementwise_kernelILi16ENS0_13BUnaryFunctorIsssZZZNS0_18lshift_kernel_cudaERNS_18TensorIteratorBaseEENKUlvE_clEvENKUlvE3_clEvEUlssE_EESt5arrayIPcLm2EEEEviT0_T1_.uses_flat_scratch, 0
	.set _ZN2at6native29vectorized_elementwise_kernelILi16ENS0_13BUnaryFunctorIsssZZZNS0_18lshift_kernel_cudaERNS_18TensorIteratorBaseEENKUlvE_clEvENKUlvE3_clEvEUlssE_EESt5arrayIPcLm2EEEEviT0_T1_.has_dyn_sized_stack, 0
	.set _ZN2at6native29vectorized_elementwise_kernelILi16ENS0_13BUnaryFunctorIsssZZZNS0_18lshift_kernel_cudaERNS_18TensorIteratorBaseEENKUlvE_clEvENKUlvE3_clEvEUlssE_EESt5arrayIPcLm2EEEEviT0_T1_.has_recursion, 0
	.set _ZN2at6native29vectorized_elementwise_kernelILi16ENS0_13BUnaryFunctorIsssZZZNS0_18lshift_kernel_cudaERNS_18TensorIteratorBaseEENKUlvE_clEvENKUlvE3_clEvEUlssE_EESt5arrayIPcLm2EEEEviT0_T1_.has_indirect_call, 0
	.section	.AMDGPU.csdata,"",@progbits
; Kernel info:
; codeLenInByte = 1652
; TotalNumSgprs: 18
; NumVgprs: 13
; ScratchSize: 0
; MemoryBound: 0
; FloatMode: 240
; IeeeMode: 1
; LDSByteSize: 0 bytes/workgroup (compile time only)
; SGPRBlocks: 2
; VGPRBlocks: 3
; NumSGPRsForWavesPerEU: 18
; NumVGPRsForWavesPerEU: 13
; Occupancy: 10
; WaveLimiterHint : 0
; COMPUTE_PGM_RSRC2:SCRATCH_EN: 0
; COMPUTE_PGM_RSRC2:USER_SGPR: 6
; COMPUTE_PGM_RSRC2:TRAP_HANDLER: 0
; COMPUTE_PGM_RSRC2:TGID_X_EN: 1
; COMPUTE_PGM_RSRC2:TGID_Y_EN: 0
; COMPUTE_PGM_RSRC2:TGID_Z_EN: 0
; COMPUTE_PGM_RSRC2:TIDIG_COMP_CNT: 0
	.section	.text._ZN2at6native29vectorized_elementwise_kernelILi8ENS0_13BUnaryFunctorIsssZZZNS0_18lshift_kernel_cudaERNS_18TensorIteratorBaseEENKUlvE_clEvENKUlvE3_clEvEUlssE_EESt5arrayIPcLm2EEEEviT0_T1_,"axG",@progbits,_ZN2at6native29vectorized_elementwise_kernelILi8ENS0_13BUnaryFunctorIsssZZZNS0_18lshift_kernel_cudaERNS_18TensorIteratorBaseEENKUlvE_clEvENKUlvE3_clEvEUlssE_EESt5arrayIPcLm2EEEEviT0_T1_,comdat
	.globl	_ZN2at6native29vectorized_elementwise_kernelILi8ENS0_13BUnaryFunctorIsssZZZNS0_18lshift_kernel_cudaERNS_18TensorIteratorBaseEENKUlvE_clEvENKUlvE3_clEvEUlssE_EESt5arrayIPcLm2EEEEviT0_T1_ ; -- Begin function _ZN2at6native29vectorized_elementwise_kernelILi8ENS0_13BUnaryFunctorIsssZZZNS0_18lshift_kernel_cudaERNS_18TensorIteratorBaseEENKUlvE_clEvENKUlvE3_clEvEUlssE_EESt5arrayIPcLm2EEEEviT0_T1_
	.p2align	8
	.type	_ZN2at6native29vectorized_elementwise_kernelILi8ENS0_13BUnaryFunctorIsssZZZNS0_18lshift_kernel_cudaERNS_18TensorIteratorBaseEENKUlvE_clEvENKUlvE3_clEvEUlssE_EESt5arrayIPcLm2EEEEviT0_T1_,@function
_ZN2at6native29vectorized_elementwise_kernelILi8ENS0_13BUnaryFunctorIsssZZZNS0_18lshift_kernel_cudaERNS_18TensorIteratorBaseEENKUlvE_clEvENKUlvE3_clEvEUlssE_EESt5arrayIPcLm2EEEEviT0_T1_: ; @_ZN2at6native29vectorized_elementwise_kernelILi8ENS0_13BUnaryFunctorIsssZZZNS0_18lshift_kernel_cudaERNS_18TensorIteratorBaseEENKUlvE_clEvENKUlvE3_clEvEUlssE_EESt5arrayIPcLm2EEEEviT0_T1_
; %bb.0:
	s_load_dwordx2 s[12:13], s[4:5], 0x0
	s_load_dwordx4 s[8:11], s[4:5], 0x8
	s_lshl_b32 s2, s6, 11
	s_mov_b64 s[0:1], -1
	s_waitcnt lgkmcnt(0)
	s_sub_i32 s6, s12, s2
	s_lshr_b32 s7, s13, 16
	s_cmpk_gt_i32 s6, 0x7ff
	s_cbranch_scc0 .LBB105_2
; %bb.1:
	s_ashr_i32 s3, s2, 31
	s_lshl_b64 s[0:1], s[2:3], 1
	s_add_u32 s4, s10, s0
	s_addc_u32 s5, s11, s1
	v_lshlrev_b32_e32 v5, 4, v0
	global_load_dwordx4 v[1:4], v5, s[4:5]
	s_cmp_gt_u32 s13, 0xfffff
	s_cselect_b64 s[4:5], -1, 0
	s_mov_b32 s3, 0x5040100
	s_add_u32 s0, s8, s0
	s_addc_u32 s1, s9, s1
	s_waitcnt vmcnt(0)
	v_lshlrev_b32_e32 v6, s7, v1
	v_lshlrev_b32_sdwa v1, s7, v1 dst_sel:DWORD dst_unused:UNUSED_PAD src0_sel:DWORD src1_sel:WORD_1
	v_lshlrev_b32_e32 v7, s7, v2
	v_lshlrev_b32_sdwa v2, s7, v2 dst_sel:DWORD dst_unused:UNUSED_PAD src0_sel:DWORD src1_sel:WORD_1
	;; [unrolled: 2-line block ×4, first 2 shown]
	v_cndmask_b32_e64 v6, v6, 0, s[4:5]
	v_cndmask_b32_e64 v1, v1, 0, s[4:5]
	;; [unrolled: 1-line block ×8, first 2 shown]
	v_perm_b32 v4, v4, v9, s3
	v_perm_b32 v3, v3, v8, s3
	;; [unrolled: 1-line block ×4, first 2 shown]
	global_store_dwordx4 v5, v[1:4], s[0:1]
	s_mov_b64 s[0:1], 0
.LBB105_2:
	s_andn2_b64 vcc, exec, s[0:1]
	s_cbranch_vccnz .LBB105_28
; %bb.3:
	v_cmp_gt_i32_e64 s[0:1], s6, v0
	v_mov_b32_e32 v3, 0
	v_or_b32_e32 v1, s2, v0
	v_mov_b32_e32 v2, 0
	v_mov_b32_e32 v4, v0
	s_and_saveexec_b64 s[4:5], s[0:1]
	s_cbranch_execz .LBB105_5
; %bb.4:
	v_mov_b32_e32 v2, 0
	v_lshlrev_b64 v[4:5], 1, v[1:2]
	v_mov_b32_e32 v2, s11
	v_add_co_u32_e32 v4, vcc, s10, v4
	v_addc_co_u32_e32 v5, vcc, v2, v5, vcc
	global_load_ushort v2, v[4:5], off
	v_or_b32_e32 v4, 0x100, v0
.LBB105_5:
	s_or_b64 exec, exec, s[4:5]
	v_cmp_gt_i32_e32 vcc, s6, v4
	s_and_saveexec_b64 s[4:5], vcc
	s_cbranch_execz .LBB105_7
; %bb.6:
	v_add_u32_e32 v5, s2, v4
	v_mov_b32_e32 v6, 0
	v_lshlrev_b64 v[5:6], 1, v[5:6]
	v_mov_b32_e32 v3, s11
	v_add_co_u32_e32 v5, vcc, s10, v5
	v_addc_co_u32_e32 v6, vcc, v3, v6, vcc
	global_load_ushort v3, v[5:6], off
	v_add_u32_e32 v4, 0x100, v4
.LBB105_7:
	s_or_b64 exec, exec, s[4:5]
	v_cmp_gt_i32_e32 vcc, s6, v4
	v_mov_b32_e32 v5, 0
	v_mov_b32_e32 v6, 0
	s_and_saveexec_b64 s[4:5], vcc
	s_cbranch_execz .LBB105_9
; %bb.8:
	v_add_u32_e32 v6, s2, v4
	v_mov_b32_e32 v7, 0
	v_lshlrev_b64 v[6:7], 1, v[6:7]
	v_mov_b32_e32 v8, s11
	v_add_co_u32_e32 v6, vcc, s10, v6
	v_addc_co_u32_e32 v7, vcc, v8, v7, vcc
	global_load_ushort v6, v[6:7], off
	v_add_u32_e32 v4, 0x100, v4
.LBB105_9:
	s_or_b64 exec, exec, s[4:5]
	v_cmp_gt_i32_e32 vcc, s6, v4
	s_and_saveexec_b64 s[4:5], vcc
	s_cbranch_execz .LBB105_11
; %bb.10:
	v_add_u32_e32 v7, s2, v4
	v_mov_b32_e32 v8, 0
	v_lshlrev_b64 v[7:8], 1, v[7:8]
	v_mov_b32_e32 v5, s11
	v_add_co_u32_e32 v7, vcc, s10, v7
	v_addc_co_u32_e32 v8, vcc, v5, v8, vcc
	global_load_ushort v5, v[7:8], off
	v_add_u32_e32 v4, 0x100, v4
.LBB105_11:
	s_or_b64 exec, exec, s[4:5]
	v_cmp_gt_i32_e32 vcc, s6, v4
	v_mov_b32_e32 v7, 0
	v_mov_b32_e32 v8, 0
	s_and_saveexec_b64 s[4:5], vcc
	s_cbranch_execz .LBB105_13
; %bb.12:
	v_add_u32_e32 v8, s2, v4
	v_mov_b32_e32 v9, 0
	v_lshlrev_b64 v[8:9], 1, v[8:9]
	v_mov_b32_e32 v10, s11
	v_add_co_u32_e32 v8, vcc, s10, v8
	v_addc_co_u32_e32 v9, vcc, v10, v9, vcc
	global_load_ushort v8, v[8:9], off
	v_add_u32_e32 v4, 0x100, v4
.LBB105_13:
	;; [unrolled: 30-line block ×3, first 2 shown]
	s_or_b64 exec, exec, s[4:5]
	v_cmp_gt_i32_e32 vcc, s6, v4
	s_and_saveexec_b64 s[4:5], vcc
	s_cbranch_execz .LBB105_19
; %bb.18:
	v_add_u32_e32 v11, s2, v4
	v_mov_b32_e32 v12, 0
	v_lshlrev_b64 v[11:12], 1, v[11:12]
	v_mov_b32_e32 v4, s11
	v_add_co_u32_e32 v11, vcc, s10, v11
	v_addc_co_u32_e32 v12, vcc, v4, v12, vcc
	global_load_ushort v9, v[11:12], off
.LBB105_19:
	s_or_b64 exec, exec, s[4:5]
	s_cmp_gt_u32 s13, 0xfffff
	s_waitcnt vmcnt(0)
	v_lshlrev_b32_e32 v2, s7, v2
	s_cselect_b64 s[4:5], -1, 0
	s_mov_b64 vcc, s[0:1]
	v_cndmask_b32_e64 v4, v2, 0, s[4:5]
	v_mov_b32_e32 v2, 0
	v_lshlrev_b32_e32 v3, s7, v3
	v_cndmask_b32_sdwa v4, v2, v4, vcc dst_sel:DWORD dst_unused:UNUSED_PAD src0_sel:DWORD src1_sel:WORD_0
	v_or_b32_e32 v12, 0x100, v0
	v_cndmask_b32_e64 v3, v3, 0, s[4:5]
	s_mov_b32 s3, 0x5040100
	v_perm_b32 v3, v3, v4, s3
	v_cmp_gt_i32_e32 vcc, s6, v12
	v_cndmask_b32_e32 v11, v4, v3, vcc
	v_lshlrev_b32_e32 v4, s7, v6
	v_or_b32_e32 v3, 0x200, v0
	v_cndmask_b32_e64 v4, v4, 0, s[4:5]
	v_and_b32_e32 v4, 0xffff, v4
	v_cmp_gt_i32_e32 vcc, s6, v3
	v_lshlrev_b32_e32 v5, s7, v5
	v_cndmask_b32_e32 v3, 0, v4, vcc
	v_or_b32_e32 v4, 0x300, v0
	v_cndmask_b32_e64 v5, v5, 0, s[4:5]
	v_perm_b32 v5, v5, v3, s3
	v_cmp_gt_i32_e32 vcc, s6, v4
	v_lshlrev_b32_e32 v4, s7, v8
	v_cndmask_b32_e32 v5, v3, v5, vcc
	v_or_b32_e32 v3, 0x400, v0
	v_cndmask_b32_e64 v4, v4, 0, s[4:5]
	v_and_b32_e32 v4, 0xffff, v4
	v_cmp_gt_i32_e32 vcc, s6, v3
	v_lshlrev_b32_e32 v6, s7, v7
	v_cndmask_b32_e32 v3, 0, v4, vcc
	v_or_b32_e32 v4, 0x500, v0
	v_cndmask_b32_e64 v6, v6, 0, s[4:5]
	v_perm_b32 v6, v6, v3, s3
	v_cmp_gt_i32_e32 vcc, s6, v4
	v_cndmask_b32_e32 v4, v3, v6, vcc
	v_or_b32_e32 v3, 0x600, v0
	v_cmp_gt_i32_e32 vcc, s6, v3
	v_lshlrev_b32_e32 v3, s7, v10
	v_cndmask_b32_e64 v3, v3, 0, s[4:5]
	v_lshlrev_b32_e32 v7, s7, v9
	v_cndmask_b32_sdwa v3, v2, v3, vcc dst_sel:DWORD dst_unused:UNUSED_PAD src0_sel:DWORD src1_sel:WORD_0
	v_or_b32_e32 v6, 0x700, v0
	v_cndmask_b32_e64 v7, v7, 0, s[4:5]
	v_perm_b32 v7, v7, v3, s3
	v_cmp_gt_i32_e32 vcc, s6, v6
	v_cndmask_b32_e32 v3, v3, v7, vcc
	s_and_saveexec_b64 s[4:5], s[0:1]
	s_cbranch_execnz .LBB105_29
; %bb.20:
	s_or_b64 exec, exec, s[4:5]
	v_cmp_gt_i32_e32 vcc, s6, v0
	s_and_saveexec_b64 s[0:1], vcc
	s_cbranch_execnz .LBB105_30
.LBB105_21:
	s_or_b64 exec, exec, s[0:1]
	v_cmp_gt_i32_e32 vcc, s6, v0
	s_and_saveexec_b64 s[0:1], vcc
	s_cbranch_execnz .LBB105_31
.LBB105_22:
	s_or_b64 exec, exec, s[0:1]
	v_cmp_gt_i32_e32 vcc, s6, v0
	s_and_saveexec_b64 s[0:1], vcc
	s_cbranch_execnz .LBB105_32
.LBB105_23:
	s_or_b64 exec, exec, s[0:1]
	v_cmp_gt_i32_e32 vcc, s6, v0
	s_and_saveexec_b64 s[0:1], vcc
	s_cbranch_execnz .LBB105_33
.LBB105_24:
	s_or_b64 exec, exec, s[0:1]
	v_cmp_gt_i32_e32 vcc, s6, v0
	s_and_saveexec_b64 s[0:1], vcc
	s_cbranch_execnz .LBB105_34
.LBB105_25:
	s_or_b64 exec, exec, s[0:1]
	v_cmp_gt_i32_e32 vcc, s6, v0
	s_and_saveexec_b64 s[0:1], vcc
	s_cbranch_execnz .LBB105_35
.LBB105_26:
	s_or_b64 exec, exec, s[0:1]
	v_cmp_gt_i32_e32 vcc, s6, v0
	s_and_saveexec_b64 s[0:1], vcc
	s_cbranch_execz .LBB105_28
.LBB105_27:
	v_add_u32_e32 v0, s2, v0
	v_mov_b32_e32 v1, 0
	v_lshlrev_b64 v[0:1], 1, v[0:1]
	v_mov_b32_e32 v2, s9
	v_add_co_u32_e32 v0, vcc, s8, v0
	v_addc_co_u32_e32 v1, vcc, v2, v1, vcc
	global_store_short_d16_hi v[0:1], v3, off
.LBB105_28:
	s_endpgm
.LBB105_29:
	v_lshlrev_b64 v[0:1], 1, v[1:2]
	v_mov_b32_e32 v2, s9
	v_add_co_u32_e32 v0, vcc, s8, v0
	v_addc_co_u32_e32 v1, vcc, v2, v1, vcc
	global_store_short v[0:1], v11, off
	v_mov_b32_e32 v0, v12
	s_or_b64 exec, exec, s[4:5]
	v_cmp_gt_i32_e32 vcc, s6, v0
	s_and_saveexec_b64 s[0:1], vcc
	s_cbranch_execz .LBB105_21
.LBB105_30:
	v_add_u32_e32 v1, s2, v0
	v_mov_b32_e32 v2, 0
	v_lshlrev_b64 v[1:2], 1, v[1:2]
	v_mov_b32_e32 v6, s9
	v_add_co_u32_e32 v1, vcc, s8, v1
	v_addc_co_u32_e32 v2, vcc, v6, v2, vcc
	v_add_u32_e32 v0, 0x100, v0
	global_store_short_d16_hi v[1:2], v11, off
	s_or_b64 exec, exec, s[0:1]
	v_cmp_gt_i32_e32 vcc, s6, v0
	s_and_saveexec_b64 s[0:1], vcc
	s_cbranch_execz .LBB105_22
.LBB105_31:
	v_add_u32_e32 v1, s2, v0
	v_mov_b32_e32 v2, 0
	v_lshlrev_b64 v[1:2], 1, v[1:2]
	v_mov_b32_e32 v6, s9
	v_add_co_u32_e32 v1, vcc, s8, v1
	v_addc_co_u32_e32 v2, vcc, v6, v2, vcc
	v_add_u32_e32 v0, 0x100, v0
	global_store_short v[1:2], v5, off
	s_or_b64 exec, exec, s[0:1]
	v_cmp_gt_i32_e32 vcc, s6, v0
	s_and_saveexec_b64 s[0:1], vcc
	s_cbranch_execz .LBB105_23
.LBB105_32:
	v_add_u32_e32 v1, s2, v0
	v_mov_b32_e32 v2, 0
	v_lshlrev_b64 v[1:2], 1, v[1:2]
	v_mov_b32_e32 v6, s9
	v_add_co_u32_e32 v1, vcc, s8, v1
	v_addc_co_u32_e32 v2, vcc, v6, v2, vcc
	v_add_u32_e32 v0, 0x100, v0
	global_store_short_d16_hi v[1:2], v5, off
	s_or_b64 exec, exec, s[0:1]
	v_cmp_gt_i32_e32 vcc, s6, v0
	s_and_saveexec_b64 s[0:1], vcc
	s_cbranch_execz .LBB105_24
.LBB105_33:
	v_add_u32_e32 v1, s2, v0
	v_mov_b32_e32 v2, 0
	v_lshlrev_b64 v[1:2], 1, v[1:2]
	v_mov_b32_e32 v5, s9
	v_add_co_u32_e32 v1, vcc, s8, v1
	v_addc_co_u32_e32 v2, vcc, v5, v2, vcc
	v_add_u32_e32 v0, 0x100, v0
	global_store_short v[1:2], v4, off
	s_or_b64 exec, exec, s[0:1]
	v_cmp_gt_i32_e32 vcc, s6, v0
	s_and_saveexec_b64 s[0:1], vcc
	s_cbranch_execz .LBB105_25
.LBB105_34:
	v_add_u32_e32 v1, s2, v0
	v_mov_b32_e32 v2, 0
	v_lshlrev_b64 v[1:2], 1, v[1:2]
	v_mov_b32_e32 v5, s9
	v_add_co_u32_e32 v1, vcc, s8, v1
	v_addc_co_u32_e32 v2, vcc, v5, v2, vcc
	v_add_u32_e32 v0, 0x100, v0
	global_store_short_d16_hi v[1:2], v4, off
	s_or_b64 exec, exec, s[0:1]
	v_cmp_gt_i32_e32 vcc, s6, v0
	s_and_saveexec_b64 s[0:1], vcc
	s_cbranch_execz .LBB105_26
.LBB105_35:
	v_add_u32_e32 v1, s2, v0
	v_mov_b32_e32 v2, 0
	v_lshlrev_b64 v[1:2], 1, v[1:2]
	v_mov_b32_e32 v4, s9
	v_add_co_u32_e32 v1, vcc, s8, v1
	v_addc_co_u32_e32 v2, vcc, v4, v2, vcc
	v_add_u32_e32 v0, 0x100, v0
	global_store_short v[1:2], v3, off
	s_or_b64 exec, exec, s[0:1]
	v_cmp_gt_i32_e32 vcc, s6, v0
	s_and_saveexec_b64 s[0:1], vcc
	s_cbranch_execnz .LBB105_27
	s_branch .LBB105_28
	.section	.rodata,"a",@progbits
	.p2align	6, 0x0
	.amdhsa_kernel _ZN2at6native29vectorized_elementwise_kernelILi8ENS0_13BUnaryFunctorIsssZZZNS0_18lshift_kernel_cudaERNS_18TensorIteratorBaseEENKUlvE_clEvENKUlvE3_clEvEUlssE_EESt5arrayIPcLm2EEEEviT0_T1_
		.amdhsa_group_segment_fixed_size 0
		.amdhsa_private_segment_fixed_size 0
		.amdhsa_kernarg_size 24
		.amdhsa_user_sgpr_count 6
		.amdhsa_user_sgpr_private_segment_buffer 1
		.amdhsa_user_sgpr_dispatch_ptr 0
		.amdhsa_user_sgpr_queue_ptr 0
		.amdhsa_user_sgpr_kernarg_segment_ptr 1
		.amdhsa_user_sgpr_dispatch_id 0
		.amdhsa_user_sgpr_flat_scratch_init 0
		.amdhsa_user_sgpr_private_segment_size 0
		.amdhsa_uses_dynamic_stack 0
		.amdhsa_system_sgpr_private_segment_wavefront_offset 0
		.amdhsa_system_sgpr_workgroup_id_x 1
		.amdhsa_system_sgpr_workgroup_id_y 0
		.amdhsa_system_sgpr_workgroup_id_z 0
		.amdhsa_system_sgpr_workgroup_info 0
		.amdhsa_system_vgpr_workitem_id 0
		.amdhsa_next_free_vgpr 13
		.amdhsa_next_free_sgpr 14
		.amdhsa_reserve_vcc 1
		.amdhsa_reserve_flat_scratch 0
		.amdhsa_float_round_mode_32 0
		.amdhsa_float_round_mode_16_64 0
		.amdhsa_float_denorm_mode_32 3
		.amdhsa_float_denorm_mode_16_64 3
		.amdhsa_dx10_clamp 1
		.amdhsa_ieee_mode 1
		.amdhsa_fp16_overflow 0
		.amdhsa_exception_fp_ieee_invalid_op 0
		.amdhsa_exception_fp_denorm_src 0
		.amdhsa_exception_fp_ieee_div_zero 0
		.amdhsa_exception_fp_ieee_overflow 0
		.amdhsa_exception_fp_ieee_underflow 0
		.amdhsa_exception_fp_ieee_inexact 0
		.amdhsa_exception_int_div_zero 0
	.end_amdhsa_kernel
	.section	.text._ZN2at6native29vectorized_elementwise_kernelILi8ENS0_13BUnaryFunctorIsssZZZNS0_18lshift_kernel_cudaERNS_18TensorIteratorBaseEENKUlvE_clEvENKUlvE3_clEvEUlssE_EESt5arrayIPcLm2EEEEviT0_T1_,"axG",@progbits,_ZN2at6native29vectorized_elementwise_kernelILi8ENS0_13BUnaryFunctorIsssZZZNS0_18lshift_kernel_cudaERNS_18TensorIteratorBaseEENKUlvE_clEvENKUlvE3_clEvEUlssE_EESt5arrayIPcLm2EEEEviT0_T1_,comdat
.Lfunc_end105:
	.size	_ZN2at6native29vectorized_elementwise_kernelILi8ENS0_13BUnaryFunctorIsssZZZNS0_18lshift_kernel_cudaERNS_18TensorIteratorBaseEENKUlvE_clEvENKUlvE3_clEvEUlssE_EESt5arrayIPcLm2EEEEviT0_T1_, .Lfunc_end105-_ZN2at6native29vectorized_elementwise_kernelILi8ENS0_13BUnaryFunctorIsssZZZNS0_18lshift_kernel_cudaERNS_18TensorIteratorBaseEENKUlvE_clEvENKUlvE3_clEvEUlssE_EESt5arrayIPcLm2EEEEviT0_T1_
                                        ; -- End function
	.set _ZN2at6native29vectorized_elementwise_kernelILi8ENS0_13BUnaryFunctorIsssZZZNS0_18lshift_kernel_cudaERNS_18TensorIteratorBaseEENKUlvE_clEvENKUlvE3_clEvEUlssE_EESt5arrayIPcLm2EEEEviT0_T1_.num_vgpr, 13
	.set _ZN2at6native29vectorized_elementwise_kernelILi8ENS0_13BUnaryFunctorIsssZZZNS0_18lshift_kernel_cudaERNS_18TensorIteratorBaseEENKUlvE_clEvENKUlvE3_clEvEUlssE_EESt5arrayIPcLm2EEEEviT0_T1_.num_agpr, 0
	.set _ZN2at6native29vectorized_elementwise_kernelILi8ENS0_13BUnaryFunctorIsssZZZNS0_18lshift_kernel_cudaERNS_18TensorIteratorBaseEENKUlvE_clEvENKUlvE3_clEvEUlssE_EESt5arrayIPcLm2EEEEviT0_T1_.numbered_sgpr, 14
	.set _ZN2at6native29vectorized_elementwise_kernelILi8ENS0_13BUnaryFunctorIsssZZZNS0_18lshift_kernel_cudaERNS_18TensorIteratorBaseEENKUlvE_clEvENKUlvE3_clEvEUlssE_EESt5arrayIPcLm2EEEEviT0_T1_.num_named_barrier, 0
	.set _ZN2at6native29vectorized_elementwise_kernelILi8ENS0_13BUnaryFunctorIsssZZZNS0_18lshift_kernel_cudaERNS_18TensorIteratorBaseEENKUlvE_clEvENKUlvE3_clEvEUlssE_EESt5arrayIPcLm2EEEEviT0_T1_.private_seg_size, 0
	.set _ZN2at6native29vectorized_elementwise_kernelILi8ENS0_13BUnaryFunctorIsssZZZNS0_18lshift_kernel_cudaERNS_18TensorIteratorBaseEENKUlvE_clEvENKUlvE3_clEvEUlssE_EESt5arrayIPcLm2EEEEviT0_T1_.uses_vcc, 1
	.set _ZN2at6native29vectorized_elementwise_kernelILi8ENS0_13BUnaryFunctorIsssZZZNS0_18lshift_kernel_cudaERNS_18TensorIteratorBaseEENKUlvE_clEvENKUlvE3_clEvEUlssE_EESt5arrayIPcLm2EEEEviT0_T1_.uses_flat_scratch, 0
	.set _ZN2at6native29vectorized_elementwise_kernelILi8ENS0_13BUnaryFunctorIsssZZZNS0_18lshift_kernel_cudaERNS_18TensorIteratorBaseEENKUlvE_clEvENKUlvE3_clEvEUlssE_EESt5arrayIPcLm2EEEEviT0_T1_.has_dyn_sized_stack, 0
	.set _ZN2at6native29vectorized_elementwise_kernelILi8ENS0_13BUnaryFunctorIsssZZZNS0_18lshift_kernel_cudaERNS_18TensorIteratorBaseEENKUlvE_clEvENKUlvE3_clEvEUlssE_EESt5arrayIPcLm2EEEEviT0_T1_.has_recursion, 0
	.set _ZN2at6native29vectorized_elementwise_kernelILi8ENS0_13BUnaryFunctorIsssZZZNS0_18lshift_kernel_cudaERNS_18TensorIteratorBaseEENKUlvE_clEvENKUlvE3_clEvEUlssE_EESt5arrayIPcLm2EEEEviT0_T1_.has_indirect_call, 0
	.section	.AMDGPU.csdata,"",@progbits
; Kernel info:
; codeLenInByte = 1652
; TotalNumSgprs: 18
; NumVgprs: 13
; ScratchSize: 0
; MemoryBound: 0
; FloatMode: 240
; IeeeMode: 1
; LDSByteSize: 0 bytes/workgroup (compile time only)
; SGPRBlocks: 2
; VGPRBlocks: 3
; NumSGPRsForWavesPerEU: 18
; NumVGPRsForWavesPerEU: 13
; Occupancy: 10
; WaveLimiterHint : 0
; COMPUTE_PGM_RSRC2:SCRATCH_EN: 0
; COMPUTE_PGM_RSRC2:USER_SGPR: 6
; COMPUTE_PGM_RSRC2:TRAP_HANDLER: 0
; COMPUTE_PGM_RSRC2:TGID_X_EN: 1
; COMPUTE_PGM_RSRC2:TGID_Y_EN: 0
; COMPUTE_PGM_RSRC2:TGID_Z_EN: 0
; COMPUTE_PGM_RSRC2:TIDIG_COMP_CNT: 0
	.section	.text._ZN2at6native29vectorized_elementwise_kernelILi4ENS0_13BUnaryFunctorIsssZZZNS0_18lshift_kernel_cudaERNS_18TensorIteratorBaseEENKUlvE_clEvENKUlvE3_clEvEUlssE_EESt5arrayIPcLm2EEEEviT0_T1_,"axG",@progbits,_ZN2at6native29vectorized_elementwise_kernelILi4ENS0_13BUnaryFunctorIsssZZZNS0_18lshift_kernel_cudaERNS_18TensorIteratorBaseEENKUlvE_clEvENKUlvE3_clEvEUlssE_EESt5arrayIPcLm2EEEEviT0_T1_,comdat
	.globl	_ZN2at6native29vectorized_elementwise_kernelILi4ENS0_13BUnaryFunctorIsssZZZNS0_18lshift_kernel_cudaERNS_18TensorIteratorBaseEENKUlvE_clEvENKUlvE3_clEvEUlssE_EESt5arrayIPcLm2EEEEviT0_T1_ ; -- Begin function _ZN2at6native29vectorized_elementwise_kernelILi4ENS0_13BUnaryFunctorIsssZZZNS0_18lshift_kernel_cudaERNS_18TensorIteratorBaseEENKUlvE_clEvENKUlvE3_clEvEUlssE_EESt5arrayIPcLm2EEEEviT0_T1_
	.p2align	8
	.type	_ZN2at6native29vectorized_elementwise_kernelILi4ENS0_13BUnaryFunctorIsssZZZNS0_18lshift_kernel_cudaERNS_18TensorIteratorBaseEENKUlvE_clEvENKUlvE3_clEvEUlssE_EESt5arrayIPcLm2EEEEviT0_T1_,@function
_ZN2at6native29vectorized_elementwise_kernelILi4ENS0_13BUnaryFunctorIsssZZZNS0_18lshift_kernel_cudaERNS_18TensorIteratorBaseEENKUlvE_clEvENKUlvE3_clEvEUlssE_EESt5arrayIPcLm2EEEEviT0_T1_: ; @_ZN2at6native29vectorized_elementwise_kernelILi4ENS0_13BUnaryFunctorIsssZZZNS0_18lshift_kernel_cudaERNS_18TensorIteratorBaseEENKUlvE_clEvENKUlvE3_clEvEUlssE_EESt5arrayIPcLm2EEEEviT0_T1_
; %bb.0:
	s_load_dwordx2 s[12:13], s[4:5], 0x0
	s_load_dwordx4 s[8:11], s[4:5], 0x8
	s_lshl_b32 s2, s6, 11
	s_mov_b64 s[0:1], -1
	s_waitcnt lgkmcnt(0)
	s_sub_i32 s6, s12, s2
	s_lshr_b32 s7, s13, 16
	s_cmpk_gt_i32 s6, 0x7ff
	s_cbranch_scc0 .LBB106_2
; %bb.1:
	s_ashr_i32 s3, s2, 31
	s_lshl_b64 s[0:1], s[2:3], 1
	s_add_u32 s4, s10, s0
	s_addc_u32 s5, s11, s1
	v_lshlrev_b32_e32 v5, 3, v0
	global_load_dwordx2 v[1:2], v5, s[4:5]
	global_load_dwordx2 v[3:4], v5, s[4:5] offset:2048
	s_cmp_gt_u32 s13, 0xfffff
	s_cselect_b64 s[4:5], -1, 0
	s_mov_b32 s3, 0x5040100
	s_add_u32 s0, s8, s0
	s_addc_u32 s1, s9, s1
	s_waitcnt vmcnt(1)
	v_lshlrev_b32_e32 v6, s7, v1
	v_lshlrev_b32_sdwa v1, s7, v1 dst_sel:DWORD dst_unused:UNUSED_PAD src0_sel:DWORD src1_sel:WORD_1
	v_lshlrev_b32_e32 v7, s7, v2
	v_lshlrev_b32_sdwa v2, s7, v2 dst_sel:DWORD dst_unused:UNUSED_PAD src0_sel:DWORD src1_sel:WORD_1
	s_waitcnt vmcnt(0)
	v_lshlrev_b32_e32 v8, s7, v3
	v_lshlrev_b32_sdwa v3, s7, v3 dst_sel:DWORD dst_unused:UNUSED_PAD src0_sel:DWORD src1_sel:WORD_1
	v_lshlrev_b32_e32 v9, s7, v4
	v_lshlrev_b32_sdwa v4, s7, v4 dst_sel:DWORD dst_unused:UNUSED_PAD src0_sel:DWORD src1_sel:WORD_1
	v_cndmask_b32_e64 v6, v6, 0, s[4:5]
	v_cndmask_b32_e64 v10, v1, 0, s[4:5]
	;; [unrolled: 1-line block ×8, first 2 shown]
	v_perm_b32 v2, v4, v2, s3
	v_perm_b32 v1, v3, v1, s3
	;; [unrolled: 1-line block ×4, first 2 shown]
	global_store_dwordx2 v5, v[3:4], s[0:1]
	global_store_dwordx2 v5, v[1:2], s[0:1] offset:2048
	s_mov_b64 s[0:1], 0
.LBB106_2:
	s_andn2_b64 vcc, exec, s[0:1]
	s_cbranch_vccnz .LBB106_28
; %bb.3:
	v_cmp_gt_i32_e64 s[0:1], s6, v0
	v_mov_b32_e32 v3, 0
	v_or_b32_e32 v1, s2, v0
	v_mov_b32_e32 v2, 0
	v_mov_b32_e32 v4, v0
	s_and_saveexec_b64 s[4:5], s[0:1]
	s_cbranch_execz .LBB106_5
; %bb.4:
	v_mov_b32_e32 v2, 0
	v_lshlrev_b64 v[4:5], 1, v[1:2]
	v_mov_b32_e32 v2, s11
	v_add_co_u32_e32 v4, vcc, s10, v4
	v_addc_co_u32_e32 v5, vcc, v2, v5, vcc
	global_load_ushort v2, v[4:5], off
	v_or_b32_e32 v4, 0x100, v0
.LBB106_5:
	s_or_b64 exec, exec, s[4:5]
	v_cmp_gt_i32_e32 vcc, s6, v4
	s_and_saveexec_b64 s[4:5], vcc
	s_cbranch_execz .LBB106_7
; %bb.6:
	v_add_u32_e32 v5, s2, v4
	v_mov_b32_e32 v6, 0
	v_lshlrev_b64 v[5:6], 1, v[5:6]
	v_mov_b32_e32 v3, s11
	v_add_co_u32_e32 v5, vcc, s10, v5
	v_addc_co_u32_e32 v6, vcc, v3, v6, vcc
	global_load_ushort v3, v[5:6], off
	v_add_u32_e32 v4, 0x100, v4
.LBB106_7:
	s_or_b64 exec, exec, s[4:5]
	v_cmp_gt_i32_e32 vcc, s6, v4
	v_mov_b32_e32 v5, 0
	v_mov_b32_e32 v6, 0
	s_and_saveexec_b64 s[4:5], vcc
	s_cbranch_execz .LBB106_9
; %bb.8:
	v_add_u32_e32 v6, s2, v4
	v_mov_b32_e32 v7, 0
	v_lshlrev_b64 v[6:7], 1, v[6:7]
	v_mov_b32_e32 v8, s11
	v_add_co_u32_e32 v6, vcc, s10, v6
	v_addc_co_u32_e32 v7, vcc, v8, v7, vcc
	global_load_ushort v6, v[6:7], off
	v_add_u32_e32 v4, 0x100, v4
.LBB106_9:
	s_or_b64 exec, exec, s[4:5]
	v_cmp_gt_i32_e32 vcc, s6, v4
	s_and_saveexec_b64 s[4:5], vcc
	s_cbranch_execz .LBB106_11
; %bb.10:
	v_add_u32_e32 v7, s2, v4
	v_mov_b32_e32 v8, 0
	v_lshlrev_b64 v[7:8], 1, v[7:8]
	v_mov_b32_e32 v5, s11
	v_add_co_u32_e32 v7, vcc, s10, v7
	v_addc_co_u32_e32 v8, vcc, v5, v8, vcc
	global_load_ushort v5, v[7:8], off
	v_add_u32_e32 v4, 0x100, v4
.LBB106_11:
	s_or_b64 exec, exec, s[4:5]
	v_cmp_gt_i32_e32 vcc, s6, v4
	v_mov_b32_e32 v7, 0
	v_mov_b32_e32 v8, 0
	s_and_saveexec_b64 s[4:5], vcc
	s_cbranch_execz .LBB106_13
; %bb.12:
	v_add_u32_e32 v8, s2, v4
	v_mov_b32_e32 v9, 0
	v_lshlrev_b64 v[8:9], 1, v[8:9]
	v_mov_b32_e32 v10, s11
	v_add_co_u32_e32 v8, vcc, s10, v8
	v_addc_co_u32_e32 v9, vcc, v10, v9, vcc
	global_load_ushort v8, v[8:9], off
	v_add_u32_e32 v4, 0x100, v4
.LBB106_13:
	;; [unrolled: 30-line block ×3, first 2 shown]
	s_or_b64 exec, exec, s[4:5]
	v_cmp_gt_i32_e32 vcc, s6, v4
	s_and_saveexec_b64 s[4:5], vcc
	s_cbranch_execz .LBB106_19
; %bb.18:
	v_add_u32_e32 v11, s2, v4
	v_mov_b32_e32 v12, 0
	v_lshlrev_b64 v[11:12], 1, v[11:12]
	v_mov_b32_e32 v4, s11
	v_add_co_u32_e32 v11, vcc, s10, v11
	v_addc_co_u32_e32 v12, vcc, v4, v12, vcc
	global_load_ushort v9, v[11:12], off
.LBB106_19:
	s_or_b64 exec, exec, s[4:5]
	s_cmp_gt_u32 s13, 0xfffff
	s_waitcnt vmcnt(0)
	v_lshlrev_b32_e32 v2, s7, v2
	s_cselect_b64 s[4:5], -1, 0
	s_mov_b64 vcc, s[0:1]
	v_cndmask_b32_e64 v4, v2, 0, s[4:5]
	v_mov_b32_e32 v2, 0
	v_lshlrev_b32_e32 v3, s7, v3
	v_cndmask_b32_sdwa v4, v2, v4, vcc dst_sel:DWORD dst_unused:UNUSED_PAD src0_sel:DWORD src1_sel:WORD_0
	v_or_b32_e32 v12, 0x100, v0
	v_cndmask_b32_e64 v3, v3, 0, s[4:5]
	s_mov_b32 s3, 0x5040100
	v_perm_b32 v3, v3, v4, s3
	v_cmp_gt_i32_e32 vcc, s6, v12
	v_cndmask_b32_e32 v11, v4, v3, vcc
	v_lshlrev_b32_e32 v4, s7, v6
	v_or_b32_e32 v3, 0x200, v0
	v_cndmask_b32_e64 v4, v4, 0, s[4:5]
	v_and_b32_e32 v4, 0xffff, v4
	v_cmp_gt_i32_e32 vcc, s6, v3
	v_lshlrev_b32_e32 v5, s7, v5
	v_cndmask_b32_e32 v3, 0, v4, vcc
	v_or_b32_e32 v4, 0x300, v0
	v_cndmask_b32_e64 v5, v5, 0, s[4:5]
	v_perm_b32 v5, v5, v3, s3
	v_cmp_gt_i32_e32 vcc, s6, v4
	v_lshlrev_b32_e32 v4, s7, v8
	v_cndmask_b32_e32 v5, v3, v5, vcc
	v_or_b32_e32 v3, 0x400, v0
	v_cndmask_b32_e64 v4, v4, 0, s[4:5]
	v_and_b32_e32 v4, 0xffff, v4
	v_cmp_gt_i32_e32 vcc, s6, v3
	v_lshlrev_b32_e32 v6, s7, v7
	v_cndmask_b32_e32 v3, 0, v4, vcc
	v_or_b32_e32 v4, 0x500, v0
	v_cndmask_b32_e64 v6, v6, 0, s[4:5]
	v_perm_b32 v6, v6, v3, s3
	v_cmp_gt_i32_e32 vcc, s6, v4
	v_cndmask_b32_e32 v4, v3, v6, vcc
	v_or_b32_e32 v3, 0x600, v0
	v_cmp_gt_i32_e32 vcc, s6, v3
	v_lshlrev_b32_e32 v3, s7, v10
	v_cndmask_b32_e64 v3, v3, 0, s[4:5]
	v_lshlrev_b32_e32 v7, s7, v9
	v_cndmask_b32_sdwa v3, v2, v3, vcc dst_sel:DWORD dst_unused:UNUSED_PAD src0_sel:DWORD src1_sel:WORD_0
	v_or_b32_e32 v6, 0x700, v0
	v_cndmask_b32_e64 v7, v7, 0, s[4:5]
	v_perm_b32 v7, v7, v3, s3
	v_cmp_gt_i32_e32 vcc, s6, v6
	v_cndmask_b32_e32 v3, v3, v7, vcc
	s_and_saveexec_b64 s[4:5], s[0:1]
	s_cbranch_execnz .LBB106_29
; %bb.20:
	s_or_b64 exec, exec, s[4:5]
	v_cmp_gt_i32_e32 vcc, s6, v0
	s_and_saveexec_b64 s[0:1], vcc
	s_cbranch_execnz .LBB106_30
.LBB106_21:
	s_or_b64 exec, exec, s[0:1]
	v_cmp_gt_i32_e32 vcc, s6, v0
	s_and_saveexec_b64 s[0:1], vcc
	s_cbranch_execnz .LBB106_31
.LBB106_22:
	s_or_b64 exec, exec, s[0:1]
	v_cmp_gt_i32_e32 vcc, s6, v0
	s_and_saveexec_b64 s[0:1], vcc
	s_cbranch_execnz .LBB106_32
.LBB106_23:
	s_or_b64 exec, exec, s[0:1]
	v_cmp_gt_i32_e32 vcc, s6, v0
	s_and_saveexec_b64 s[0:1], vcc
	s_cbranch_execnz .LBB106_33
.LBB106_24:
	s_or_b64 exec, exec, s[0:1]
	v_cmp_gt_i32_e32 vcc, s6, v0
	s_and_saveexec_b64 s[0:1], vcc
	s_cbranch_execnz .LBB106_34
.LBB106_25:
	s_or_b64 exec, exec, s[0:1]
	v_cmp_gt_i32_e32 vcc, s6, v0
	s_and_saveexec_b64 s[0:1], vcc
	s_cbranch_execnz .LBB106_35
.LBB106_26:
	s_or_b64 exec, exec, s[0:1]
	v_cmp_gt_i32_e32 vcc, s6, v0
	s_and_saveexec_b64 s[0:1], vcc
	s_cbranch_execz .LBB106_28
.LBB106_27:
	v_add_u32_e32 v0, s2, v0
	v_mov_b32_e32 v1, 0
	v_lshlrev_b64 v[0:1], 1, v[0:1]
	v_mov_b32_e32 v2, s9
	v_add_co_u32_e32 v0, vcc, s8, v0
	v_addc_co_u32_e32 v1, vcc, v2, v1, vcc
	global_store_short_d16_hi v[0:1], v3, off
.LBB106_28:
	s_endpgm
.LBB106_29:
	v_lshlrev_b64 v[0:1], 1, v[1:2]
	v_mov_b32_e32 v2, s9
	v_add_co_u32_e32 v0, vcc, s8, v0
	v_addc_co_u32_e32 v1, vcc, v2, v1, vcc
	global_store_short v[0:1], v11, off
	v_mov_b32_e32 v0, v12
	s_or_b64 exec, exec, s[4:5]
	v_cmp_gt_i32_e32 vcc, s6, v0
	s_and_saveexec_b64 s[0:1], vcc
	s_cbranch_execz .LBB106_21
.LBB106_30:
	v_add_u32_e32 v1, s2, v0
	v_mov_b32_e32 v2, 0
	v_lshlrev_b64 v[1:2], 1, v[1:2]
	v_mov_b32_e32 v6, s9
	v_add_co_u32_e32 v1, vcc, s8, v1
	v_addc_co_u32_e32 v2, vcc, v6, v2, vcc
	v_add_u32_e32 v0, 0x100, v0
	global_store_short_d16_hi v[1:2], v11, off
	s_or_b64 exec, exec, s[0:1]
	v_cmp_gt_i32_e32 vcc, s6, v0
	s_and_saveexec_b64 s[0:1], vcc
	s_cbranch_execz .LBB106_22
.LBB106_31:
	v_add_u32_e32 v1, s2, v0
	v_mov_b32_e32 v2, 0
	v_lshlrev_b64 v[1:2], 1, v[1:2]
	v_mov_b32_e32 v6, s9
	v_add_co_u32_e32 v1, vcc, s8, v1
	v_addc_co_u32_e32 v2, vcc, v6, v2, vcc
	v_add_u32_e32 v0, 0x100, v0
	global_store_short v[1:2], v5, off
	s_or_b64 exec, exec, s[0:1]
	v_cmp_gt_i32_e32 vcc, s6, v0
	s_and_saveexec_b64 s[0:1], vcc
	s_cbranch_execz .LBB106_23
.LBB106_32:
	v_add_u32_e32 v1, s2, v0
	v_mov_b32_e32 v2, 0
	v_lshlrev_b64 v[1:2], 1, v[1:2]
	v_mov_b32_e32 v6, s9
	v_add_co_u32_e32 v1, vcc, s8, v1
	v_addc_co_u32_e32 v2, vcc, v6, v2, vcc
	v_add_u32_e32 v0, 0x100, v0
	global_store_short_d16_hi v[1:2], v5, off
	s_or_b64 exec, exec, s[0:1]
	v_cmp_gt_i32_e32 vcc, s6, v0
	s_and_saveexec_b64 s[0:1], vcc
	s_cbranch_execz .LBB106_24
.LBB106_33:
	v_add_u32_e32 v1, s2, v0
	v_mov_b32_e32 v2, 0
	v_lshlrev_b64 v[1:2], 1, v[1:2]
	v_mov_b32_e32 v5, s9
	v_add_co_u32_e32 v1, vcc, s8, v1
	v_addc_co_u32_e32 v2, vcc, v5, v2, vcc
	v_add_u32_e32 v0, 0x100, v0
	global_store_short v[1:2], v4, off
	s_or_b64 exec, exec, s[0:1]
	v_cmp_gt_i32_e32 vcc, s6, v0
	s_and_saveexec_b64 s[0:1], vcc
	s_cbranch_execz .LBB106_25
.LBB106_34:
	v_add_u32_e32 v1, s2, v0
	v_mov_b32_e32 v2, 0
	v_lshlrev_b64 v[1:2], 1, v[1:2]
	v_mov_b32_e32 v5, s9
	v_add_co_u32_e32 v1, vcc, s8, v1
	v_addc_co_u32_e32 v2, vcc, v5, v2, vcc
	v_add_u32_e32 v0, 0x100, v0
	global_store_short_d16_hi v[1:2], v4, off
	s_or_b64 exec, exec, s[0:1]
	v_cmp_gt_i32_e32 vcc, s6, v0
	s_and_saveexec_b64 s[0:1], vcc
	s_cbranch_execz .LBB106_26
.LBB106_35:
	v_add_u32_e32 v1, s2, v0
	v_mov_b32_e32 v2, 0
	v_lshlrev_b64 v[1:2], 1, v[1:2]
	v_mov_b32_e32 v4, s9
	v_add_co_u32_e32 v1, vcc, s8, v1
	v_addc_co_u32_e32 v2, vcc, v4, v2, vcc
	v_add_u32_e32 v0, 0x100, v0
	global_store_short v[1:2], v3, off
	s_or_b64 exec, exec, s[0:1]
	v_cmp_gt_i32_e32 vcc, s6, v0
	s_and_saveexec_b64 s[0:1], vcc
	s_cbranch_execnz .LBB106_27
	s_branch .LBB106_28
	.section	.rodata,"a",@progbits
	.p2align	6, 0x0
	.amdhsa_kernel _ZN2at6native29vectorized_elementwise_kernelILi4ENS0_13BUnaryFunctorIsssZZZNS0_18lshift_kernel_cudaERNS_18TensorIteratorBaseEENKUlvE_clEvENKUlvE3_clEvEUlssE_EESt5arrayIPcLm2EEEEviT0_T1_
		.amdhsa_group_segment_fixed_size 0
		.amdhsa_private_segment_fixed_size 0
		.amdhsa_kernarg_size 24
		.amdhsa_user_sgpr_count 6
		.amdhsa_user_sgpr_private_segment_buffer 1
		.amdhsa_user_sgpr_dispatch_ptr 0
		.amdhsa_user_sgpr_queue_ptr 0
		.amdhsa_user_sgpr_kernarg_segment_ptr 1
		.amdhsa_user_sgpr_dispatch_id 0
		.amdhsa_user_sgpr_flat_scratch_init 0
		.amdhsa_user_sgpr_private_segment_size 0
		.amdhsa_uses_dynamic_stack 0
		.amdhsa_system_sgpr_private_segment_wavefront_offset 0
		.amdhsa_system_sgpr_workgroup_id_x 1
		.amdhsa_system_sgpr_workgroup_id_y 0
		.amdhsa_system_sgpr_workgroup_id_z 0
		.amdhsa_system_sgpr_workgroup_info 0
		.amdhsa_system_vgpr_workitem_id 0
		.amdhsa_next_free_vgpr 13
		.amdhsa_next_free_sgpr 14
		.amdhsa_reserve_vcc 1
		.amdhsa_reserve_flat_scratch 0
		.amdhsa_float_round_mode_32 0
		.amdhsa_float_round_mode_16_64 0
		.amdhsa_float_denorm_mode_32 3
		.amdhsa_float_denorm_mode_16_64 3
		.amdhsa_dx10_clamp 1
		.amdhsa_ieee_mode 1
		.amdhsa_fp16_overflow 0
		.amdhsa_exception_fp_ieee_invalid_op 0
		.amdhsa_exception_fp_denorm_src 0
		.amdhsa_exception_fp_ieee_div_zero 0
		.amdhsa_exception_fp_ieee_overflow 0
		.amdhsa_exception_fp_ieee_underflow 0
		.amdhsa_exception_fp_ieee_inexact 0
		.amdhsa_exception_int_div_zero 0
	.end_amdhsa_kernel
	.section	.text._ZN2at6native29vectorized_elementwise_kernelILi4ENS0_13BUnaryFunctorIsssZZZNS0_18lshift_kernel_cudaERNS_18TensorIteratorBaseEENKUlvE_clEvENKUlvE3_clEvEUlssE_EESt5arrayIPcLm2EEEEviT0_T1_,"axG",@progbits,_ZN2at6native29vectorized_elementwise_kernelILi4ENS0_13BUnaryFunctorIsssZZZNS0_18lshift_kernel_cudaERNS_18TensorIteratorBaseEENKUlvE_clEvENKUlvE3_clEvEUlssE_EESt5arrayIPcLm2EEEEviT0_T1_,comdat
.Lfunc_end106:
	.size	_ZN2at6native29vectorized_elementwise_kernelILi4ENS0_13BUnaryFunctorIsssZZZNS0_18lshift_kernel_cudaERNS_18TensorIteratorBaseEENKUlvE_clEvENKUlvE3_clEvEUlssE_EESt5arrayIPcLm2EEEEviT0_T1_, .Lfunc_end106-_ZN2at6native29vectorized_elementwise_kernelILi4ENS0_13BUnaryFunctorIsssZZZNS0_18lshift_kernel_cudaERNS_18TensorIteratorBaseEENKUlvE_clEvENKUlvE3_clEvEUlssE_EESt5arrayIPcLm2EEEEviT0_T1_
                                        ; -- End function
	.set _ZN2at6native29vectorized_elementwise_kernelILi4ENS0_13BUnaryFunctorIsssZZZNS0_18lshift_kernel_cudaERNS_18TensorIteratorBaseEENKUlvE_clEvENKUlvE3_clEvEUlssE_EESt5arrayIPcLm2EEEEviT0_T1_.num_vgpr, 13
	.set _ZN2at6native29vectorized_elementwise_kernelILi4ENS0_13BUnaryFunctorIsssZZZNS0_18lshift_kernel_cudaERNS_18TensorIteratorBaseEENKUlvE_clEvENKUlvE3_clEvEUlssE_EESt5arrayIPcLm2EEEEviT0_T1_.num_agpr, 0
	.set _ZN2at6native29vectorized_elementwise_kernelILi4ENS0_13BUnaryFunctorIsssZZZNS0_18lshift_kernel_cudaERNS_18TensorIteratorBaseEENKUlvE_clEvENKUlvE3_clEvEUlssE_EESt5arrayIPcLm2EEEEviT0_T1_.numbered_sgpr, 14
	.set _ZN2at6native29vectorized_elementwise_kernelILi4ENS0_13BUnaryFunctorIsssZZZNS0_18lshift_kernel_cudaERNS_18TensorIteratorBaseEENKUlvE_clEvENKUlvE3_clEvEUlssE_EESt5arrayIPcLm2EEEEviT0_T1_.num_named_barrier, 0
	.set _ZN2at6native29vectorized_elementwise_kernelILi4ENS0_13BUnaryFunctorIsssZZZNS0_18lshift_kernel_cudaERNS_18TensorIteratorBaseEENKUlvE_clEvENKUlvE3_clEvEUlssE_EESt5arrayIPcLm2EEEEviT0_T1_.private_seg_size, 0
	.set _ZN2at6native29vectorized_elementwise_kernelILi4ENS0_13BUnaryFunctorIsssZZZNS0_18lshift_kernel_cudaERNS_18TensorIteratorBaseEENKUlvE_clEvENKUlvE3_clEvEUlssE_EESt5arrayIPcLm2EEEEviT0_T1_.uses_vcc, 1
	.set _ZN2at6native29vectorized_elementwise_kernelILi4ENS0_13BUnaryFunctorIsssZZZNS0_18lshift_kernel_cudaERNS_18TensorIteratorBaseEENKUlvE_clEvENKUlvE3_clEvEUlssE_EESt5arrayIPcLm2EEEEviT0_T1_.uses_flat_scratch, 0
	.set _ZN2at6native29vectorized_elementwise_kernelILi4ENS0_13BUnaryFunctorIsssZZZNS0_18lshift_kernel_cudaERNS_18TensorIteratorBaseEENKUlvE_clEvENKUlvE3_clEvEUlssE_EESt5arrayIPcLm2EEEEviT0_T1_.has_dyn_sized_stack, 0
	.set _ZN2at6native29vectorized_elementwise_kernelILi4ENS0_13BUnaryFunctorIsssZZZNS0_18lshift_kernel_cudaERNS_18TensorIteratorBaseEENKUlvE_clEvENKUlvE3_clEvEUlssE_EESt5arrayIPcLm2EEEEviT0_T1_.has_recursion, 0
	.set _ZN2at6native29vectorized_elementwise_kernelILi4ENS0_13BUnaryFunctorIsssZZZNS0_18lshift_kernel_cudaERNS_18TensorIteratorBaseEENKUlvE_clEvENKUlvE3_clEvEUlssE_EESt5arrayIPcLm2EEEEviT0_T1_.has_indirect_call, 0
	.section	.AMDGPU.csdata,"",@progbits
; Kernel info:
; codeLenInByte = 1672
; TotalNumSgprs: 18
; NumVgprs: 13
; ScratchSize: 0
; MemoryBound: 0
; FloatMode: 240
; IeeeMode: 1
; LDSByteSize: 0 bytes/workgroup (compile time only)
; SGPRBlocks: 2
; VGPRBlocks: 3
; NumSGPRsForWavesPerEU: 18
; NumVGPRsForWavesPerEU: 13
; Occupancy: 10
; WaveLimiterHint : 1
; COMPUTE_PGM_RSRC2:SCRATCH_EN: 0
; COMPUTE_PGM_RSRC2:USER_SGPR: 6
; COMPUTE_PGM_RSRC2:TRAP_HANDLER: 0
; COMPUTE_PGM_RSRC2:TGID_X_EN: 1
; COMPUTE_PGM_RSRC2:TGID_Y_EN: 0
; COMPUTE_PGM_RSRC2:TGID_Z_EN: 0
; COMPUTE_PGM_RSRC2:TIDIG_COMP_CNT: 0
	.section	.text._ZN2at6native29vectorized_elementwise_kernelILi2ENS0_13BUnaryFunctorIsssZZZNS0_18lshift_kernel_cudaERNS_18TensorIteratorBaseEENKUlvE_clEvENKUlvE3_clEvEUlssE_EESt5arrayIPcLm2EEEEviT0_T1_,"axG",@progbits,_ZN2at6native29vectorized_elementwise_kernelILi2ENS0_13BUnaryFunctorIsssZZZNS0_18lshift_kernel_cudaERNS_18TensorIteratorBaseEENKUlvE_clEvENKUlvE3_clEvEUlssE_EESt5arrayIPcLm2EEEEviT0_T1_,comdat
	.globl	_ZN2at6native29vectorized_elementwise_kernelILi2ENS0_13BUnaryFunctorIsssZZZNS0_18lshift_kernel_cudaERNS_18TensorIteratorBaseEENKUlvE_clEvENKUlvE3_clEvEUlssE_EESt5arrayIPcLm2EEEEviT0_T1_ ; -- Begin function _ZN2at6native29vectorized_elementwise_kernelILi2ENS0_13BUnaryFunctorIsssZZZNS0_18lshift_kernel_cudaERNS_18TensorIteratorBaseEENKUlvE_clEvENKUlvE3_clEvEUlssE_EESt5arrayIPcLm2EEEEviT0_T1_
	.p2align	8
	.type	_ZN2at6native29vectorized_elementwise_kernelILi2ENS0_13BUnaryFunctorIsssZZZNS0_18lshift_kernel_cudaERNS_18TensorIteratorBaseEENKUlvE_clEvENKUlvE3_clEvEUlssE_EESt5arrayIPcLm2EEEEviT0_T1_,@function
_ZN2at6native29vectorized_elementwise_kernelILi2ENS0_13BUnaryFunctorIsssZZZNS0_18lshift_kernel_cudaERNS_18TensorIteratorBaseEENKUlvE_clEvENKUlvE3_clEvEUlssE_EESt5arrayIPcLm2EEEEviT0_T1_: ; @_ZN2at6native29vectorized_elementwise_kernelILi2ENS0_13BUnaryFunctorIsssZZZNS0_18lshift_kernel_cudaERNS_18TensorIteratorBaseEENKUlvE_clEvENKUlvE3_clEvEUlssE_EESt5arrayIPcLm2EEEEviT0_T1_
; %bb.0:
	s_load_dwordx2 s[12:13], s[4:5], 0x0
	s_load_dwordx4 s[8:11], s[4:5], 0x8
	s_lshl_b32 s2, s6, 11
	s_mov_b64 s[0:1], -1
	s_waitcnt lgkmcnt(0)
	s_sub_i32 s6, s12, s2
	s_lshr_b32 s7, s13, 16
	s_cmpk_gt_i32 s6, 0x7ff
	s_cbranch_scc0 .LBB107_2
; %bb.1:
	s_ashr_i32 s3, s2, 31
	s_lshl_b64 s[0:1], s[2:3], 1
	s_add_u32 s4, s10, s0
	s_addc_u32 s5, s11, s1
	v_lshlrev_b32_e32 v1, 2, v0
	global_load_dword v2, v1, s[4:5]
	global_load_dword v3, v1, s[4:5] offset:1024
	global_load_dword v4, v1, s[4:5] offset:2048
	;; [unrolled: 1-line block ×3, first 2 shown]
	s_cmp_gt_u32 s13, 0xfffff
	s_cselect_b64 s[4:5], -1, 0
	s_mov_b32 s3, 0x5040100
	s_add_u32 s0, s8, s0
	s_addc_u32 s1, s9, s1
	s_waitcnt vmcnt(3)
	v_lshlrev_b32_e32 v6, s7, v2
	v_lshlrev_b32_sdwa v2, s7, v2 dst_sel:DWORD dst_unused:UNUSED_PAD src0_sel:DWORD src1_sel:WORD_1
	s_waitcnt vmcnt(2)
	v_lshlrev_b32_e32 v7, s7, v3
	v_lshlrev_b32_sdwa v3, s7, v3 dst_sel:DWORD dst_unused:UNUSED_PAD src0_sel:DWORD src1_sel:WORD_1
	;; [unrolled: 3-line block ×4, first 2 shown]
	v_cndmask_b32_e64 v6, v6, 0, s[4:5]
	v_cndmask_b32_e64 v2, v2, 0, s[4:5]
	;; [unrolled: 1-line block ×8, first 2 shown]
	v_perm_b32 v2, v2, v6, s3
	v_perm_b32 v5, v5, v9, s3
	;; [unrolled: 1-line block ×4, first 2 shown]
	global_store_dword v1, v2, s[0:1]
	global_store_dword v1, v3, s[0:1] offset:1024
	global_store_dword v1, v4, s[0:1] offset:2048
	;; [unrolled: 1-line block ×3, first 2 shown]
	s_mov_b64 s[0:1], 0
.LBB107_2:
	s_andn2_b64 vcc, exec, s[0:1]
	s_cbranch_vccnz .LBB107_28
; %bb.3:
	v_cmp_gt_i32_e64 s[0:1], s6, v0
	v_mov_b32_e32 v3, 0
	v_or_b32_e32 v1, s2, v0
	v_mov_b32_e32 v2, 0
	v_mov_b32_e32 v4, v0
	s_and_saveexec_b64 s[4:5], s[0:1]
	s_cbranch_execz .LBB107_5
; %bb.4:
	v_mov_b32_e32 v2, 0
	v_lshlrev_b64 v[4:5], 1, v[1:2]
	v_mov_b32_e32 v2, s11
	v_add_co_u32_e32 v4, vcc, s10, v4
	v_addc_co_u32_e32 v5, vcc, v2, v5, vcc
	global_load_ushort v2, v[4:5], off
	v_or_b32_e32 v4, 0x100, v0
.LBB107_5:
	s_or_b64 exec, exec, s[4:5]
	v_cmp_gt_i32_e32 vcc, s6, v4
	s_and_saveexec_b64 s[4:5], vcc
	s_cbranch_execz .LBB107_7
; %bb.6:
	v_add_u32_e32 v5, s2, v4
	v_mov_b32_e32 v6, 0
	v_lshlrev_b64 v[5:6], 1, v[5:6]
	v_mov_b32_e32 v3, s11
	v_add_co_u32_e32 v5, vcc, s10, v5
	v_addc_co_u32_e32 v6, vcc, v3, v6, vcc
	global_load_ushort v3, v[5:6], off
	v_add_u32_e32 v4, 0x100, v4
.LBB107_7:
	s_or_b64 exec, exec, s[4:5]
	v_cmp_gt_i32_e32 vcc, s6, v4
	v_mov_b32_e32 v5, 0
	v_mov_b32_e32 v6, 0
	s_and_saveexec_b64 s[4:5], vcc
	s_cbranch_execz .LBB107_9
; %bb.8:
	v_add_u32_e32 v6, s2, v4
	v_mov_b32_e32 v7, 0
	v_lshlrev_b64 v[6:7], 1, v[6:7]
	v_mov_b32_e32 v8, s11
	v_add_co_u32_e32 v6, vcc, s10, v6
	v_addc_co_u32_e32 v7, vcc, v8, v7, vcc
	global_load_ushort v6, v[6:7], off
	v_add_u32_e32 v4, 0x100, v4
.LBB107_9:
	s_or_b64 exec, exec, s[4:5]
	v_cmp_gt_i32_e32 vcc, s6, v4
	s_and_saveexec_b64 s[4:5], vcc
	s_cbranch_execz .LBB107_11
; %bb.10:
	v_add_u32_e32 v7, s2, v4
	v_mov_b32_e32 v8, 0
	v_lshlrev_b64 v[7:8], 1, v[7:8]
	v_mov_b32_e32 v5, s11
	v_add_co_u32_e32 v7, vcc, s10, v7
	v_addc_co_u32_e32 v8, vcc, v5, v8, vcc
	global_load_ushort v5, v[7:8], off
	v_add_u32_e32 v4, 0x100, v4
.LBB107_11:
	s_or_b64 exec, exec, s[4:5]
	v_cmp_gt_i32_e32 vcc, s6, v4
	v_mov_b32_e32 v7, 0
	v_mov_b32_e32 v8, 0
	s_and_saveexec_b64 s[4:5], vcc
	s_cbranch_execz .LBB107_13
; %bb.12:
	v_add_u32_e32 v8, s2, v4
	v_mov_b32_e32 v9, 0
	v_lshlrev_b64 v[8:9], 1, v[8:9]
	v_mov_b32_e32 v10, s11
	v_add_co_u32_e32 v8, vcc, s10, v8
	v_addc_co_u32_e32 v9, vcc, v10, v9, vcc
	global_load_ushort v8, v[8:9], off
	v_add_u32_e32 v4, 0x100, v4
.LBB107_13:
	;; [unrolled: 30-line block ×3, first 2 shown]
	s_or_b64 exec, exec, s[4:5]
	v_cmp_gt_i32_e32 vcc, s6, v4
	s_and_saveexec_b64 s[4:5], vcc
	s_cbranch_execz .LBB107_19
; %bb.18:
	v_add_u32_e32 v11, s2, v4
	v_mov_b32_e32 v12, 0
	v_lshlrev_b64 v[11:12], 1, v[11:12]
	v_mov_b32_e32 v4, s11
	v_add_co_u32_e32 v11, vcc, s10, v11
	v_addc_co_u32_e32 v12, vcc, v4, v12, vcc
	global_load_ushort v9, v[11:12], off
.LBB107_19:
	s_or_b64 exec, exec, s[4:5]
	s_cmp_gt_u32 s13, 0xfffff
	s_waitcnt vmcnt(0)
	v_lshlrev_b32_e32 v2, s7, v2
	s_cselect_b64 s[4:5], -1, 0
	s_mov_b64 vcc, s[0:1]
	v_cndmask_b32_e64 v4, v2, 0, s[4:5]
	v_mov_b32_e32 v2, 0
	v_lshlrev_b32_e32 v3, s7, v3
	v_cndmask_b32_sdwa v4, v2, v4, vcc dst_sel:DWORD dst_unused:UNUSED_PAD src0_sel:DWORD src1_sel:WORD_0
	v_or_b32_e32 v12, 0x100, v0
	v_cndmask_b32_e64 v3, v3, 0, s[4:5]
	s_mov_b32 s3, 0x5040100
	v_perm_b32 v3, v3, v4, s3
	v_cmp_gt_i32_e32 vcc, s6, v12
	v_cndmask_b32_e32 v11, v4, v3, vcc
	v_lshlrev_b32_e32 v4, s7, v6
	v_or_b32_e32 v3, 0x200, v0
	v_cndmask_b32_e64 v4, v4, 0, s[4:5]
	v_and_b32_e32 v4, 0xffff, v4
	v_cmp_gt_i32_e32 vcc, s6, v3
	v_lshlrev_b32_e32 v5, s7, v5
	v_cndmask_b32_e32 v3, 0, v4, vcc
	v_or_b32_e32 v4, 0x300, v0
	v_cndmask_b32_e64 v5, v5, 0, s[4:5]
	v_perm_b32 v5, v5, v3, s3
	v_cmp_gt_i32_e32 vcc, s6, v4
	v_lshlrev_b32_e32 v4, s7, v8
	v_cndmask_b32_e32 v5, v3, v5, vcc
	v_or_b32_e32 v3, 0x400, v0
	v_cndmask_b32_e64 v4, v4, 0, s[4:5]
	v_and_b32_e32 v4, 0xffff, v4
	v_cmp_gt_i32_e32 vcc, s6, v3
	v_lshlrev_b32_e32 v6, s7, v7
	v_cndmask_b32_e32 v3, 0, v4, vcc
	v_or_b32_e32 v4, 0x500, v0
	v_cndmask_b32_e64 v6, v6, 0, s[4:5]
	v_perm_b32 v6, v6, v3, s3
	v_cmp_gt_i32_e32 vcc, s6, v4
	v_cndmask_b32_e32 v4, v3, v6, vcc
	v_or_b32_e32 v3, 0x600, v0
	v_cmp_gt_i32_e32 vcc, s6, v3
	v_lshlrev_b32_e32 v3, s7, v10
	v_cndmask_b32_e64 v3, v3, 0, s[4:5]
	v_lshlrev_b32_e32 v7, s7, v9
	v_cndmask_b32_sdwa v3, v2, v3, vcc dst_sel:DWORD dst_unused:UNUSED_PAD src0_sel:DWORD src1_sel:WORD_0
	v_or_b32_e32 v6, 0x700, v0
	v_cndmask_b32_e64 v7, v7, 0, s[4:5]
	v_perm_b32 v7, v7, v3, s3
	v_cmp_gt_i32_e32 vcc, s6, v6
	v_cndmask_b32_e32 v3, v3, v7, vcc
	s_and_saveexec_b64 s[4:5], s[0:1]
	s_cbranch_execnz .LBB107_29
; %bb.20:
	s_or_b64 exec, exec, s[4:5]
	v_cmp_gt_i32_e32 vcc, s6, v0
	s_and_saveexec_b64 s[0:1], vcc
	s_cbranch_execnz .LBB107_30
.LBB107_21:
	s_or_b64 exec, exec, s[0:1]
	v_cmp_gt_i32_e32 vcc, s6, v0
	s_and_saveexec_b64 s[0:1], vcc
	s_cbranch_execnz .LBB107_31
.LBB107_22:
	s_or_b64 exec, exec, s[0:1]
	v_cmp_gt_i32_e32 vcc, s6, v0
	s_and_saveexec_b64 s[0:1], vcc
	s_cbranch_execnz .LBB107_32
.LBB107_23:
	s_or_b64 exec, exec, s[0:1]
	v_cmp_gt_i32_e32 vcc, s6, v0
	s_and_saveexec_b64 s[0:1], vcc
	s_cbranch_execnz .LBB107_33
.LBB107_24:
	s_or_b64 exec, exec, s[0:1]
	v_cmp_gt_i32_e32 vcc, s6, v0
	s_and_saveexec_b64 s[0:1], vcc
	s_cbranch_execnz .LBB107_34
.LBB107_25:
	s_or_b64 exec, exec, s[0:1]
	v_cmp_gt_i32_e32 vcc, s6, v0
	s_and_saveexec_b64 s[0:1], vcc
	s_cbranch_execnz .LBB107_35
.LBB107_26:
	s_or_b64 exec, exec, s[0:1]
	v_cmp_gt_i32_e32 vcc, s6, v0
	s_and_saveexec_b64 s[0:1], vcc
	s_cbranch_execz .LBB107_28
.LBB107_27:
	v_add_u32_e32 v0, s2, v0
	v_mov_b32_e32 v1, 0
	v_lshlrev_b64 v[0:1], 1, v[0:1]
	v_mov_b32_e32 v2, s9
	v_add_co_u32_e32 v0, vcc, s8, v0
	v_addc_co_u32_e32 v1, vcc, v2, v1, vcc
	global_store_short_d16_hi v[0:1], v3, off
.LBB107_28:
	s_endpgm
.LBB107_29:
	v_lshlrev_b64 v[0:1], 1, v[1:2]
	v_mov_b32_e32 v2, s9
	v_add_co_u32_e32 v0, vcc, s8, v0
	v_addc_co_u32_e32 v1, vcc, v2, v1, vcc
	global_store_short v[0:1], v11, off
	v_mov_b32_e32 v0, v12
	s_or_b64 exec, exec, s[4:5]
	v_cmp_gt_i32_e32 vcc, s6, v0
	s_and_saveexec_b64 s[0:1], vcc
	s_cbranch_execz .LBB107_21
.LBB107_30:
	v_add_u32_e32 v1, s2, v0
	v_mov_b32_e32 v2, 0
	v_lshlrev_b64 v[1:2], 1, v[1:2]
	v_mov_b32_e32 v6, s9
	v_add_co_u32_e32 v1, vcc, s8, v1
	v_addc_co_u32_e32 v2, vcc, v6, v2, vcc
	v_add_u32_e32 v0, 0x100, v0
	global_store_short_d16_hi v[1:2], v11, off
	s_or_b64 exec, exec, s[0:1]
	v_cmp_gt_i32_e32 vcc, s6, v0
	s_and_saveexec_b64 s[0:1], vcc
	s_cbranch_execz .LBB107_22
.LBB107_31:
	v_add_u32_e32 v1, s2, v0
	v_mov_b32_e32 v2, 0
	v_lshlrev_b64 v[1:2], 1, v[1:2]
	v_mov_b32_e32 v6, s9
	v_add_co_u32_e32 v1, vcc, s8, v1
	v_addc_co_u32_e32 v2, vcc, v6, v2, vcc
	v_add_u32_e32 v0, 0x100, v0
	global_store_short v[1:2], v5, off
	s_or_b64 exec, exec, s[0:1]
	v_cmp_gt_i32_e32 vcc, s6, v0
	s_and_saveexec_b64 s[0:1], vcc
	s_cbranch_execz .LBB107_23
.LBB107_32:
	v_add_u32_e32 v1, s2, v0
	v_mov_b32_e32 v2, 0
	v_lshlrev_b64 v[1:2], 1, v[1:2]
	v_mov_b32_e32 v6, s9
	v_add_co_u32_e32 v1, vcc, s8, v1
	v_addc_co_u32_e32 v2, vcc, v6, v2, vcc
	v_add_u32_e32 v0, 0x100, v0
	global_store_short_d16_hi v[1:2], v5, off
	s_or_b64 exec, exec, s[0:1]
	v_cmp_gt_i32_e32 vcc, s6, v0
	s_and_saveexec_b64 s[0:1], vcc
	s_cbranch_execz .LBB107_24
.LBB107_33:
	v_add_u32_e32 v1, s2, v0
	v_mov_b32_e32 v2, 0
	v_lshlrev_b64 v[1:2], 1, v[1:2]
	v_mov_b32_e32 v5, s9
	v_add_co_u32_e32 v1, vcc, s8, v1
	v_addc_co_u32_e32 v2, vcc, v5, v2, vcc
	v_add_u32_e32 v0, 0x100, v0
	global_store_short v[1:2], v4, off
	s_or_b64 exec, exec, s[0:1]
	v_cmp_gt_i32_e32 vcc, s6, v0
	s_and_saveexec_b64 s[0:1], vcc
	s_cbranch_execz .LBB107_25
.LBB107_34:
	v_add_u32_e32 v1, s2, v0
	v_mov_b32_e32 v2, 0
	v_lshlrev_b64 v[1:2], 1, v[1:2]
	v_mov_b32_e32 v5, s9
	v_add_co_u32_e32 v1, vcc, s8, v1
	v_addc_co_u32_e32 v2, vcc, v5, v2, vcc
	v_add_u32_e32 v0, 0x100, v0
	global_store_short_d16_hi v[1:2], v4, off
	s_or_b64 exec, exec, s[0:1]
	v_cmp_gt_i32_e32 vcc, s6, v0
	s_and_saveexec_b64 s[0:1], vcc
	s_cbranch_execz .LBB107_26
.LBB107_35:
	v_add_u32_e32 v1, s2, v0
	v_mov_b32_e32 v2, 0
	v_lshlrev_b64 v[1:2], 1, v[1:2]
	v_mov_b32_e32 v4, s9
	v_add_co_u32_e32 v1, vcc, s8, v1
	v_addc_co_u32_e32 v2, vcc, v4, v2, vcc
	v_add_u32_e32 v0, 0x100, v0
	global_store_short v[1:2], v3, off
	s_or_b64 exec, exec, s[0:1]
	v_cmp_gt_i32_e32 vcc, s6, v0
	s_and_saveexec_b64 s[0:1], vcc
	s_cbranch_execnz .LBB107_27
	s_branch .LBB107_28
	.section	.rodata,"a",@progbits
	.p2align	6, 0x0
	.amdhsa_kernel _ZN2at6native29vectorized_elementwise_kernelILi2ENS0_13BUnaryFunctorIsssZZZNS0_18lshift_kernel_cudaERNS_18TensorIteratorBaseEENKUlvE_clEvENKUlvE3_clEvEUlssE_EESt5arrayIPcLm2EEEEviT0_T1_
		.amdhsa_group_segment_fixed_size 0
		.amdhsa_private_segment_fixed_size 0
		.amdhsa_kernarg_size 24
		.amdhsa_user_sgpr_count 6
		.amdhsa_user_sgpr_private_segment_buffer 1
		.amdhsa_user_sgpr_dispatch_ptr 0
		.amdhsa_user_sgpr_queue_ptr 0
		.amdhsa_user_sgpr_kernarg_segment_ptr 1
		.amdhsa_user_sgpr_dispatch_id 0
		.amdhsa_user_sgpr_flat_scratch_init 0
		.amdhsa_user_sgpr_private_segment_size 0
		.amdhsa_uses_dynamic_stack 0
		.amdhsa_system_sgpr_private_segment_wavefront_offset 0
		.amdhsa_system_sgpr_workgroup_id_x 1
		.amdhsa_system_sgpr_workgroup_id_y 0
		.amdhsa_system_sgpr_workgroup_id_z 0
		.amdhsa_system_sgpr_workgroup_info 0
		.amdhsa_system_vgpr_workitem_id 0
		.amdhsa_next_free_vgpr 13
		.amdhsa_next_free_sgpr 14
		.amdhsa_reserve_vcc 1
		.amdhsa_reserve_flat_scratch 0
		.amdhsa_float_round_mode_32 0
		.amdhsa_float_round_mode_16_64 0
		.amdhsa_float_denorm_mode_32 3
		.amdhsa_float_denorm_mode_16_64 3
		.amdhsa_dx10_clamp 1
		.amdhsa_ieee_mode 1
		.amdhsa_fp16_overflow 0
		.amdhsa_exception_fp_ieee_invalid_op 0
		.amdhsa_exception_fp_denorm_src 0
		.amdhsa_exception_fp_ieee_div_zero 0
		.amdhsa_exception_fp_ieee_overflow 0
		.amdhsa_exception_fp_ieee_underflow 0
		.amdhsa_exception_fp_ieee_inexact 0
		.amdhsa_exception_int_div_zero 0
	.end_amdhsa_kernel
	.section	.text._ZN2at6native29vectorized_elementwise_kernelILi2ENS0_13BUnaryFunctorIsssZZZNS0_18lshift_kernel_cudaERNS_18TensorIteratorBaseEENKUlvE_clEvENKUlvE3_clEvEUlssE_EESt5arrayIPcLm2EEEEviT0_T1_,"axG",@progbits,_ZN2at6native29vectorized_elementwise_kernelILi2ENS0_13BUnaryFunctorIsssZZZNS0_18lshift_kernel_cudaERNS_18TensorIteratorBaseEENKUlvE_clEvENKUlvE3_clEvEUlssE_EESt5arrayIPcLm2EEEEviT0_T1_,comdat
.Lfunc_end107:
	.size	_ZN2at6native29vectorized_elementwise_kernelILi2ENS0_13BUnaryFunctorIsssZZZNS0_18lshift_kernel_cudaERNS_18TensorIteratorBaseEENKUlvE_clEvENKUlvE3_clEvEUlssE_EESt5arrayIPcLm2EEEEviT0_T1_, .Lfunc_end107-_ZN2at6native29vectorized_elementwise_kernelILi2ENS0_13BUnaryFunctorIsssZZZNS0_18lshift_kernel_cudaERNS_18TensorIteratorBaseEENKUlvE_clEvENKUlvE3_clEvEUlssE_EESt5arrayIPcLm2EEEEviT0_T1_
                                        ; -- End function
	.set _ZN2at6native29vectorized_elementwise_kernelILi2ENS0_13BUnaryFunctorIsssZZZNS0_18lshift_kernel_cudaERNS_18TensorIteratorBaseEENKUlvE_clEvENKUlvE3_clEvEUlssE_EESt5arrayIPcLm2EEEEviT0_T1_.num_vgpr, 13
	.set _ZN2at6native29vectorized_elementwise_kernelILi2ENS0_13BUnaryFunctorIsssZZZNS0_18lshift_kernel_cudaERNS_18TensorIteratorBaseEENKUlvE_clEvENKUlvE3_clEvEUlssE_EESt5arrayIPcLm2EEEEviT0_T1_.num_agpr, 0
	.set _ZN2at6native29vectorized_elementwise_kernelILi2ENS0_13BUnaryFunctorIsssZZZNS0_18lshift_kernel_cudaERNS_18TensorIteratorBaseEENKUlvE_clEvENKUlvE3_clEvEUlssE_EESt5arrayIPcLm2EEEEviT0_T1_.numbered_sgpr, 14
	.set _ZN2at6native29vectorized_elementwise_kernelILi2ENS0_13BUnaryFunctorIsssZZZNS0_18lshift_kernel_cudaERNS_18TensorIteratorBaseEENKUlvE_clEvENKUlvE3_clEvEUlssE_EESt5arrayIPcLm2EEEEviT0_T1_.num_named_barrier, 0
	.set _ZN2at6native29vectorized_elementwise_kernelILi2ENS0_13BUnaryFunctorIsssZZZNS0_18lshift_kernel_cudaERNS_18TensorIteratorBaseEENKUlvE_clEvENKUlvE3_clEvEUlssE_EESt5arrayIPcLm2EEEEviT0_T1_.private_seg_size, 0
	.set _ZN2at6native29vectorized_elementwise_kernelILi2ENS0_13BUnaryFunctorIsssZZZNS0_18lshift_kernel_cudaERNS_18TensorIteratorBaseEENKUlvE_clEvENKUlvE3_clEvEUlssE_EESt5arrayIPcLm2EEEEviT0_T1_.uses_vcc, 1
	.set _ZN2at6native29vectorized_elementwise_kernelILi2ENS0_13BUnaryFunctorIsssZZZNS0_18lshift_kernel_cudaERNS_18TensorIteratorBaseEENKUlvE_clEvENKUlvE3_clEvEUlssE_EESt5arrayIPcLm2EEEEviT0_T1_.uses_flat_scratch, 0
	.set _ZN2at6native29vectorized_elementwise_kernelILi2ENS0_13BUnaryFunctorIsssZZZNS0_18lshift_kernel_cudaERNS_18TensorIteratorBaseEENKUlvE_clEvENKUlvE3_clEvEUlssE_EESt5arrayIPcLm2EEEEviT0_T1_.has_dyn_sized_stack, 0
	.set _ZN2at6native29vectorized_elementwise_kernelILi2ENS0_13BUnaryFunctorIsssZZZNS0_18lshift_kernel_cudaERNS_18TensorIteratorBaseEENKUlvE_clEvENKUlvE3_clEvEUlssE_EESt5arrayIPcLm2EEEEviT0_T1_.has_recursion, 0
	.set _ZN2at6native29vectorized_elementwise_kernelILi2ENS0_13BUnaryFunctorIsssZZZNS0_18lshift_kernel_cudaERNS_18TensorIteratorBaseEENKUlvE_clEvENKUlvE3_clEvEUlssE_EESt5arrayIPcLm2EEEEviT0_T1_.has_indirect_call, 0
	.section	.AMDGPU.csdata,"",@progbits
; Kernel info:
; codeLenInByte = 1712
; TotalNumSgprs: 18
; NumVgprs: 13
; ScratchSize: 0
; MemoryBound: 0
; FloatMode: 240
; IeeeMode: 1
; LDSByteSize: 0 bytes/workgroup (compile time only)
; SGPRBlocks: 2
; VGPRBlocks: 3
; NumSGPRsForWavesPerEU: 18
; NumVGPRsForWavesPerEU: 13
; Occupancy: 10
; WaveLimiterHint : 1
; COMPUTE_PGM_RSRC2:SCRATCH_EN: 0
; COMPUTE_PGM_RSRC2:USER_SGPR: 6
; COMPUTE_PGM_RSRC2:TRAP_HANDLER: 0
; COMPUTE_PGM_RSRC2:TGID_X_EN: 1
; COMPUTE_PGM_RSRC2:TGID_Y_EN: 0
; COMPUTE_PGM_RSRC2:TGID_Z_EN: 0
; COMPUTE_PGM_RSRC2:TIDIG_COMP_CNT: 0
	.section	.text._ZN2at6native27unrolled_elementwise_kernelINS0_13BUnaryFunctorIsssZZZNS0_18lshift_kernel_cudaERNS_18TensorIteratorBaseEENKUlvE_clEvENKUlvE3_clEvEUlssE_EESt5arrayIPcLm2EELi4E23TrivialOffsetCalculatorILi1EjESD_NS0_6memory15LoadWithoutCastENSE_16StoreWithoutCastEEEviT_T0_T2_T3_T4_T5_,"axG",@progbits,_ZN2at6native27unrolled_elementwise_kernelINS0_13BUnaryFunctorIsssZZZNS0_18lshift_kernel_cudaERNS_18TensorIteratorBaseEENKUlvE_clEvENKUlvE3_clEvEUlssE_EESt5arrayIPcLm2EELi4E23TrivialOffsetCalculatorILi1EjESD_NS0_6memory15LoadWithoutCastENSE_16StoreWithoutCastEEEviT_T0_T2_T3_T4_T5_,comdat
	.globl	_ZN2at6native27unrolled_elementwise_kernelINS0_13BUnaryFunctorIsssZZZNS0_18lshift_kernel_cudaERNS_18TensorIteratorBaseEENKUlvE_clEvENKUlvE3_clEvEUlssE_EESt5arrayIPcLm2EELi4E23TrivialOffsetCalculatorILi1EjESD_NS0_6memory15LoadWithoutCastENSE_16StoreWithoutCastEEEviT_T0_T2_T3_T4_T5_ ; -- Begin function _ZN2at6native27unrolled_elementwise_kernelINS0_13BUnaryFunctorIsssZZZNS0_18lshift_kernel_cudaERNS_18TensorIteratorBaseEENKUlvE_clEvENKUlvE3_clEvEUlssE_EESt5arrayIPcLm2EELi4E23TrivialOffsetCalculatorILi1EjESD_NS0_6memory15LoadWithoutCastENSE_16StoreWithoutCastEEEviT_T0_T2_T3_T4_T5_
	.p2align	8
	.type	_ZN2at6native27unrolled_elementwise_kernelINS0_13BUnaryFunctorIsssZZZNS0_18lshift_kernel_cudaERNS_18TensorIteratorBaseEENKUlvE_clEvENKUlvE3_clEvEUlssE_EESt5arrayIPcLm2EELi4E23TrivialOffsetCalculatorILi1EjESD_NS0_6memory15LoadWithoutCastENSE_16StoreWithoutCastEEEviT_T0_T2_T3_T4_T5_,@function
_ZN2at6native27unrolled_elementwise_kernelINS0_13BUnaryFunctorIsssZZZNS0_18lshift_kernel_cudaERNS_18TensorIteratorBaseEENKUlvE_clEvENKUlvE3_clEvEUlssE_EESt5arrayIPcLm2EELi4E23TrivialOffsetCalculatorILi1EjESD_NS0_6memory15LoadWithoutCastENSE_16StoreWithoutCastEEEviT_T0_T2_T3_T4_T5_: ; @_ZN2at6native27unrolled_elementwise_kernelINS0_13BUnaryFunctorIsssZZZNS0_18lshift_kernel_cudaERNS_18TensorIteratorBaseEENKUlvE_clEvENKUlvE3_clEvEUlssE_EESt5arrayIPcLm2EELi4E23TrivialOffsetCalculatorILi1EjESD_NS0_6memory15LoadWithoutCastENSE_16StoreWithoutCastEEEviT_T0_T2_T3_T4_T5_
; %bb.0:
	s_load_dwordx2 s[2:3], s[4:5], 0x0
	s_load_dwordx4 s[8:11], s[4:5], 0x8
	s_lshl_b32 s6, s6, 10
	v_mov_b32_e32 v3, 0
	v_or_b32_e32 v1, s6, v0
	s_waitcnt lgkmcnt(0)
	s_sub_i32 s7, s2, s6
	v_cmp_gt_i32_e64 s[0:1], s7, v0
	v_mov_b32_e32 v2, 0
	v_mov_b32_e32 v4, v0
	s_and_saveexec_b64 s[4:5], s[0:1]
	s_cbranch_execz .LBB108_2
; %bb.1:
	v_mov_b32_e32 v2, 0
	v_lshlrev_b64 v[4:5], 1, v[1:2]
	v_mov_b32_e32 v2, s11
	v_add_co_u32_e32 v4, vcc, s10, v4
	v_addc_co_u32_e32 v5, vcc, v2, v5, vcc
	global_load_ushort v2, v[4:5], off
	v_or_b32_e32 v4, 0x100, v0
.LBB108_2:
	s_or_b64 exec, exec, s[4:5]
	v_cmp_gt_i32_e32 vcc, s7, v4
	s_and_saveexec_b64 s[4:5], vcc
	s_cbranch_execz .LBB108_4
; %bb.3:
	v_add_u32_e32 v5, s6, v4
	v_mov_b32_e32 v6, 0
	v_lshlrev_b64 v[5:6], 1, v[5:6]
	v_mov_b32_e32 v3, s11
	v_add_co_u32_e32 v5, vcc, s10, v5
	v_addc_co_u32_e32 v6, vcc, v3, v6, vcc
	global_load_ushort v3, v[5:6], off
	v_add_u32_e32 v4, 0x100, v4
.LBB108_4:
	s_or_b64 exec, exec, s[4:5]
	v_cmp_gt_i32_e32 vcc, s7, v4
	v_mov_b32_e32 v5, 0
	v_mov_b32_e32 v6, 0
	s_and_saveexec_b64 s[4:5], vcc
	s_cbranch_execz .LBB108_6
; %bb.5:
	v_add_u32_e32 v6, s6, v4
	v_mov_b32_e32 v7, 0
	v_lshlrev_b64 v[6:7], 1, v[6:7]
	v_mov_b32_e32 v8, s11
	v_add_co_u32_e32 v6, vcc, s10, v6
	v_addc_co_u32_e32 v7, vcc, v8, v7, vcc
	global_load_ushort v6, v[6:7], off
	v_add_u32_e32 v4, 0x100, v4
.LBB108_6:
	s_or_b64 exec, exec, s[4:5]
	v_cmp_gt_i32_e32 vcc, s7, v4
	s_and_saveexec_b64 s[4:5], vcc
	s_cbranch_execz .LBB108_8
; %bb.7:
	v_add_u32_e32 v4, s6, v4
	v_mov_b32_e32 v5, 0
	v_lshlrev_b64 v[4:5], 1, v[4:5]
	v_mov_b32_e32 v7, s11
	v_add_co_u32_e32 v4, vcc, s10, v4
	v_addc_co_u32_e32 v5, vcc, v7, v5, vcc
	global_load_ushort v5, v[4:5], off
.LBB108_8:
	s_or_b64 exec, exec, s[4:5]
	s_lshr_b32 s4, s3, 16
	s_cmp_gt_u32 s3, 0xfffff
	s_waitcnt vmcnt(0)
	v_lshlrev_b32_e32 v2, s4, v2
	s_cselect_b64 s[2:3], -1, 0
	s_mov_b64 vcc, s[0:1]
	v_cndmask_b32_e64 v4, v2, 0, s[2:3]
	v_mov_b32_e32 v2, 0
	v_lshlrev_b32_e32 v3, s4, v3
	v_cndmask_b32_sdwa v4, v2, v4, vcc dst_sel:DWORD dst_unused:UNUSED_PAD src0_sel:DWORD src1_sel:WORD_0
	v_or_b32_e32 v7, 0x100, v0
	v_cndmask_b32_e64 v3, v3, 0, s[2:3]
	s_mov_b32 s5, 0x5040100
	v_perm_b32 v3, v3, v4, s5
	v_cmp_gt_i32_e32 vcc, s7, v7
	v_cndmask_b32_e32 v4, v4, v3, vcc
	v_or_b32_e32 v3, 0x200, v0
	v_cmp_gt_i32_e32 vcc, s7, v3
	v_lshlrev_b32_e32 v3, s4, v6
	v_cndmask_b32_e64 v3, v3, 0, s[2:3]
	v_lshlrev_b32_e32 v5, s4, v5
	v_cndmask_b32_sdwa v3, v2, v3, vcc dst_sel:DWORD dst_unused:UNUSED_PAD src0_sel:DWORD src1_sel:WORD_0
	v_or_b32_e32 v6, 0x300, v0
	v_cndmask_b32_e64 v5, v5, 0, s[2:3]
	v_perm_b32 v5, v5, v3, s5
	v_cmp_gt_i32_e32 vcc, s7, v6
	v_cndmask_b32_e32 v3, v3, v5, vcc
	s_and_saveexec_b64 s[2:3], s[0:1]
	s_cbranch_execnz .LBB108_13
; %bb.9:
	s_or_b64 exec, exec, s[2:3]
	v_cmp_gt_i32_e32 vcc, s7, v0
	s_and_saveexec_b64 s[0:1], vcc
	s_cbranch_execnz .LBB108_14
.LBB108_10:
	s_or_b64 exec, exec, s[0:1]
	v_cmp_gt_i32_e32 vcc, s7, v0
	s_and_saveexec_b64 s[0:1], vcc
	s_cbranch_execnz .LBB108_15
.LBB108_11:
	s_or_b64 exec, exec, s[0:1]
	v_cmp_gt_i32_e32 vcc, s7, v0
	s_and_saveexec_b64 s[0:1], vcc
	s_cbranch_execnz .LBB108_16
.LBB108_12:
	s_endpgm
.LBB108_13:
	v_lshlrev_b64 v[0:1], 1, v[1:2]
	v_mov_b32_e32 v2, s9
	v_add_co_u32_e32 v0, vcc, s8, v0
	v_addc_co_u32_e32 v1, vcc, v2, v1, vcc
	global_store_short v[0:1], v4, off
	v_mov_b32_e32 v0, v7
	s_or_b64 exec, exec, s[2:3]
	v_cmp_gt_i32_e32 vcc, s7, v0
	s_and_saveexec_b64 s[0:1], vcc
	s_cbranch_execz .LBB108_10
.LBB108_14:
	v_add_u32_e32 v2, 0x100, v0
	v_add_u32_e32 v0, s6, v0
	v_mov_b32_e32 v1, 0
	v_lshlrev_b64 v[0:1], 1, v[0:1]
	v_mov_b32_e32 v5, s9
	v_add_co_u32_e32 v0, vcc, s8, v0
	v_addc_co_u32_e32 v1, vcc, v5, v1, vcc
	global_store_short_d16_hi v[0:1], v4, off
	v_mov_b32_e32 v0, v2
	s_or_b64 exec, exec, s[0:1]
	v_cmp_gt_i32_e32 vcc, s7, v0
	s_and_saveexec_b64 s[0:1], vcc
	s_cbranch_execz .LBB108_11
.LBB108_15:
	v_add_u32_e32 v2, 0x100, v0
	v_add_u32_e32 v0, s6, v0
	v_mov_b32_e32 v1, 0
	v_lshlrev_b64 v[0:1], 1, v[0:1]
	v_mov_b32_e32 v4, s9
	v_add_co_u32_e32 v0, vcc, s8, v0
	v_addc_co_u32_e32 v1, vcc, v4, v1, vcc
	global_store_short v[0:1], v3, off
	v_mov_b32_e32 v0, v2
	s_or_b64 exec, exec, s[0:1]
	v_cmp_gt_i32_e32 vcc, s7, v0
	s_and_saveexec_b64 s[0:1], vcc
	s_cbranch_execz .LBB108_12
.LBB108_16:
	v_add_u32_e32 v0, s6, v0
	v_mov_b32_e32 v1, 0
	v_lshlrev_b64 v[0:1], 1, v[0:1]
	v_mov_b32_e32 v2, s9
	v_add_co_u32_e32 v0, vcc, s8, v0
	v_addc_co_u32_e32 v1, vcc, v2, v1, vcc
	global_store_short_d16_hi v[0:1], v3, off
	s_endpgm
	.section	.rodata,"a",@progbits
	.p2align	6, 0x0
	.amdhsa_kernel _ZN2at6native27unrolled_elementwise_kernelINS0_13BUnaryFunctorIsssZZZNS0_18lshift_kernel_cudaERNS_18TensorIteratorBaseEENKUlvE_clEvENKUlvE3_clEvEUlssE_EESt5arrayIPcLm2EELi4E23TrivialOffsetCalculatorILi1EjESD_NS0_6memory15LoadWithoutCastENSE_16StoreWithoutCastEEEviT_T0_T2_T3_T4_T5_
		.amdhsa_group_segment_fixed_size 0
		.amdhsa_private_segment_fixed_size 0
		.amdhsa_kernarg_size 28
		.amdhsa_user_sgpr_count 6
		.amdhsa_user_sgpr_private_segment_buffer 1
		.amdhsa_user_sgpr_dispatch_ptr 0
		.amdhsa_user_sgpr_queue_ptr 0
		.amdhsa_user_sgpr_kernarg_segment_ptr 1
		.amdhsa_user_sgpr_dispatch_id 0
		.amdhsa_user_sgpr_flat_scratch_init 0
		.amdhsa_user_sgpr_private_segment_size 0
		.amdhsa_uses_dynamic_stack 0
		.amdhsa_system_sgpr_private_segment_wavefront_offset 0
		.amdhsa_system_sgpr_workgroup_id_x 1
		.amdhsa_system_sgpr_workgroup_id_y 0
		.amdhsa_system_sgpr_workgroup_id_z 0
		.amdhsa_system_sgpr_workgroup_info 0
		.amdhsa_system_vgpr_workitem_id 0
		.amdhsa_next_free_vgpr 9
		.amdhsa_next_free_sgpr 12
		.amdhsa_reserve_vcc 1
		.amdhsa_reserve_flat_scratch 0
		.amdhsa_float_round_mode_32 0
		.amdhsa_float_round_mode_16_64 0
		.amdhsa_float_denorm_mode_32 3
		.amdhsa_float_denorm_mode_16_64 3
		.amdhsa_dx10_clamp 1
		.amdhsa_ieee_mode 1
		.amdhsa_fp16_overflow 0
		.amdhsa_exception_fp_ieee_invalid_op 0
		.amdhsa_exception_fp_denorm_src 0
		.amdhsa_exception_fp_ieee_div_zero 0
		.amdhsa_exception_fp_ieee_overflow 0
		.amdhsa_exception_fp_ieee_underflow 0
		.amdhsa_exception_fp_ieee_inexact 0
		.amdhsa_exception_int_div_zero 0
	.end_amdhsa_kernel
	.section	.text._ZN2at6native27unrolled_elementwise_kernelINS0_13BUnaryFunctorIsssZZZNS0_18lshift_kernel_cudaERNS_18TensorIteratorBaseEENKUlvE_clEvENKUlvE3_clEvEUlssE_EESt5arrayIPcLm2EELi4E23TrivialOffsetCalculatorILi1EjESD_NS0_6memory15LoadWithoutCastENSE_16StoreWithoutCastEEEviT_T0_T2_T3_T4_T5_,"axG",@progbits,_ZN2at6native27unrolled_elementwise_kernelINS0_13BUnaryFunctorIsssZZZNS0_18lshift_kernel_cudaERNS_18TensorIteratorBaseEENKUlvE_clEvENKUlvE3_clEvEUlssE_EESt5arrayIPcLm2EELi4E23TrivialOffsetCalculatorILi1EjESD_NS0_6memory15LoadWithoutCastENSE_16StoreWithoutCastEEEviT_T0_T2_T3_T4_T5_,comdat
.Lfunc_end108:
	.size	_ZN2at6native27unrolled_elementwise_kernelINS0_13BUnaryFunctorIsssZZZNS0_18lshift_kernel_cudaERNS_18TensorIteratorBaseEENKUlvE_clEvENKUlvE3_clEvEUlssE_EESt5arrayIPcLm2EELi4E23TrivialOffsetCalculatorILi1EjESD_NS0_6memory15LoadWithoutCastENSE_16StoreWithoutCastEEEviT_T0_T2_T3_T4_T5_, .Lfunc_end108-_ZN2at6native27unrolled_elementwise_kernelINS0_13BUnaryFunctorIsssZZZNS0_18lshift_kernel_cudaERNS_18TensorIteratorBaseEENKUlvE_clEvENKUlvE3_clEvEUlssE_EESt5arrayIPcLm2EELi4E23TrivialOffsetCalculatorILi1EjESD_NS0_6memory15LoadWithoutCastENSE_16StoreWithoutCastEEEviT_T0_T2_T3_T4_T5_
                                        ; -- End function
	.set _ZN2at6native27unrolled_elementwise_kernelINS0_13BUnaryFunctorIsssZZZNS0_18lshift_kernel_cudaERNS_18TensorIteratorBaseEENKUlvE_clEvENKUlvE3_clEvEUlssE_EESt5arrayIPcLm2EELi4E23TrivialOffsetCalculatorILi1EjESD_NS0_6memory15LoadWithoutCastENSE_16StoreWithoutCastEEEviT_T0_T2_T3_T4_T5_.num_vgpr, 9
	.set _ZN2at6native27unrolled_elementwise_kernelINS0_13BUnaryFunctorIsssZZZNS0_18lshift_kernel_cudaERNS_18TensorIteratorBaseEENKUlvE_clEvENKUlvE3_clEvEUlssE_EESt5arrayIPcLm2EELi4E23TrivialOffsetCalculatorILi1EjESD_NS0_6memory15LoadWithoutCastENSE_16StoreWithoutCastEEEviT_T0_T2_T3_T4_T5_.num_agpr, 0
	.set _ZN2at6native27unrolled_elementwise_kernelINS0_13BUnaryFunctorIsssZZZNS0_18lshift_kernel_cudaERNS_18TensorIteratorBaseEENKUlvE_clEvENKUlvE3_clEvEUlssE_EESt5arrayIPcLm2EELi4E23TrivialOffsetCalculatorILi1EjESD_NS0_6memory15LoadWithoutCastENSE_16StoreWithoutCastEEEviT_T0_T2_T3_T4_T5_.numbered_sgpr, 12
	.set _ZN2at6native27unrolled_elementwise_kernelINS0_13BUnaryFunctorIsssZZZNS0_18lshift_kernel_cudaERNS_18TensorIteratorBaseEENKUlvE_clEvENKUlvE3_clEvEUlssE_EESt5arrayIPcLm2EELi4E23TrivialOffsetCalculatorILi1EjESD_NS0_6memory15LoadWithoutCastENSE_16StoreWithoutCastEEEviT_T0_T2_T3_T4_T5_.num_named_barrier, 0
	.set _ZN2at6native27unrolled_elementwise_kernelINS0_13BUnaryFunctorIsssZZZNS0_18lshift_kernel_cudaERNS_18TensorIteratorBaseEENKUlvE_clEvENKUlvE3_clEvEUlssE_EESt5arrayIPcLm2EELi4E23TrivialOffsetCalculatorILi1EjESD_NS0_6memory15LoadWithoutCastENSE_16StoreWithoutCastEEEviT_T0_T2_T3_T4_T5_.private_seg_size, 0
	.set _ZN2at6native27unrolled_elementwise_kernelINS0_13BUnaryFunctorIsssZZZNS0_18lshift_kernel_cudaERNS_18TensorIteratorBaseEENKUlvE_clEvENKUlvE3_clEvEUlssE_EESt5arrayIPcLm2EELi4E23TrivialOffsetCalculatorILi1EjESD_NS0_6memory15LoadWithoutCastENSE_16StoreWithoutCastEEEviT_T0_T2_T3_T4_T5_.uses_vcc, 1
	.set _ZN2at6native27unrolled_elementwise_kernelINS0_13BUnaryFunctorIsssZZZNS0_18lshift_kernel_cudaERNS_18TensorIteratorBaseEENKUlvE_clEvENKUlvE3_clEvEUlssE_EESt5arrayIPcLm2EELi4E23TrivialOffsetCalculatorILi1EjESD_NS0_6memory15LoadWithoutCastENSE_16StoreWithoutCastEEEviT_T0_T2_T3_T4_T5_.uses_flat_scratch, 0
	.set _ZN2at6native27unrolled_elementwise_kernelINS0_13BUnaryFunctorIsssZZZNS0_18lshift_kernel_cudaERNS_18TensorIteratorBaseEENKUlvE_clEvENKUlvE3_clEvEUlssE_EESt5arrayIPcLm2EELi4E23TrivialOffsetCalculatorILi1EjESD_NS0_6memory15LoadWithoutCastENSE_16StoreWithoutCastEEEviT_T0_T2_T3_T4_T5_.has_dyn_sized_stack, 0
	.set _ZN2at6native27unrolled_elementwise_kernelINS0_13BUnaryFunctorIsssZZZNS0_18lshift_kernel_cudaERNS_18TensorIteratorBaseEENKUlvE_clEvENKUlvE3_clEvEUlssE_EESt5arrayIPcLm2EELi4E23TrivialOffsetCalculatorILi1EjESD_NS0_6memory15LoadWithoutCastENSE_16StoreWithoutCastEEEviT_T0_T2_T3_T4_T5_.has_recursion, 0
	.set _ZN2at6native27unrolled_elementwise_kernelINS0_13BUnaryFunctorIsssZZZNS0_18lshift_kernel_cudaERNS_18TensorIteratorBaseEENKUlvE_clEvENKUlvE3_clEvEUlssE_EESt5arrayIPcLm2EELi4E23TrivialOffsetCalculatorILi1EjESD_NS0_6memory15LoadWithoutCastENSE_16StoreWithoutCastEEEviT_T0_T2_T3_T4_T5_.has_indirect_call, 0
	.section	.AMDGPU.csdata,"",@progbits
; Kernel info:
; codeLenInByte = 720
; TotalNumSgprs: 16
; NumVgprs: 9
; ScratchSize: 0
; MemoryBound: 0
; FloatMode: 240
; IeeeMode: 1
; LDSByteSize: 0 bytes/workgroup (compile time only)
; SGPRBlocks: 1
; VGPRBlocks: 2
; NumSGPRsForWavesPerEU: 16
; NumVGPRsForWavesPerEU: 9
; Occupancy: 10
; WaveLimiterHint : 0
; COMPUTE_PGM_RSRC2:SCRATCH_EN: 0
; COMPUTE_PGM_RSRC2:USER_SGPR: 6
; COMPUTE_PGM_RSRC2:TRAP_HANDLER: 0
; COMPUTE_PGM_RSRC2:TGID_X_EN: 1
; COMPUTE_PGM_RSRC2:TGID_Y_EN: 0
; COMPUTE_PGM_RSRC2:TGID_Z_EN: 0
; COMPUTE_PGM_RSRC2:TIDIG_COMP_CNT: 0
	.section	.text._ZN2at6native32elementwise_kernel_manual_unrollILi128ELi8EZNS0_22gpu_kernel_impl_nocastINS0_13BUnaryFunctorIsssZZZNS0_18lshift_kernel_cudaERNS_18TensorIteratorBaseEENKUlvE_clEvENKUlvE3_clEvEUlssE_EEEEvS5_RKT_EUlibE_EEviT1_,"axG",@progbits,_ZN2at6native32elementwise_kernel_manual_unrollILi128ELi8EZNS0_22gpu_kernel_impl_nocastINS0_13BUnaryFunctorIsssZZZNS0_18lshift_kernel_cudaERNS_18TensorIteratorBaseEENKUlvE_clEvENKUlvE3_clEvEUlssE_EEEEvS5_RKT_EUlibE_EEviT1_,comdat
	.globl	_ZN2at6native32elementwise_kernel_manual_unrollILi128ELi8EZNS0_22gpu_kernel_impl_nocastINS0_13BUnaryFunctorIsssZZZNS0_18lshift_kernel_cudaERNS_18TensorIteratorBaseEENKUlvE_clEvENKUlvE3_clEvEUlssE_EEEEvS5_RKT_EUlibE_EEviT1_ ; -- Begin function _ZN2at6native32elementwise_kernel_manual_unrollILi128ELi8EZNS0_22gpu_kernel_impl_nocastINS0_13BUnaryFunctorIsssZZZNS0_18lshift_kernel_cudaERNS_18TensorIteratorBaseEENKUlvE_clEvENKUlvE3_clEvEUlssE_EEEEvS5_RKT_EUlibE_EEviT1_
	.p2align	8
	.type	_ZN2at6native32elementwise_kernel_manual_unrollILi128ELi8EZNS0_22gpu_kernel_impl_nocastINS0_13BUnaryFunctorIsssZZZNS0_18lshift_kernel_cudaERNS_18TensorIteratorBaseEENKUlvE_clEvENKUlvE3_clEvEUlssE_EEEEvS5_RKT_EUlibE_EEviT1_,@function
_ZN2at6native32elementwise_kernel_manual_unrollILi128ELi8EZNS0_22gpu_kernel_impl_nocastINS0_13BUnaryFunctorIsssZZZNS0_18lshift_kernel_cudaERNS_18TensorIteratorBaseEENKUlvE_clEvENKUlvE3_clEvEUlssE_EEEEvS5_RKT_EUlibE_EEviT1_: ; @_ZN2at6native32elementwise_kernel_manual_unrollILi128ELi8EZNS0_22gpu_kernel_impl_nocastINS0_13BUnaryFunctorIsssZZZNS0_18lshift_kernel_cudaERNS_18TensorIteratorBaseEENKUlvE_clEvENKUlvE3_clEvEUlssE_EEEEvS5_RKT_EUlibE_EEviT1_
; %bb.0:
	s_load_dword s60, s[4:5], 0x0
	s_load_dword s33, s[4:5], 0x8
	s_add_u32 s34, s4, 8
	s_addc_u32 s35, s5, 0
	v_lshl_or_b32 v19, s6, 10, v0
	v_or_b32_e32 v25, 0x380, v19
	s_waitcnt lgkmcnt(0)
	s_add_i32 s58, s33, -1
	s_cmp_gt_u32 s58, 1
	v_cmp_le_i32_e32 vcc, s60, v25
	s_cselect_b64 s[6:7], -1, 0
	s_and_saveexec_b64 s[0:1], vcc
	s_xor_b64 s[40:41], exec, s[0:1]
	s_cbranch_execz .LBB109_7
; %bb.1:
	s_load_dwordx4 s[24:27], s[34:35], 0x4
	s_load_dwordx2 s[44:45], s[34:35], 0x14
	s_load_dword s8, s[4:5], 0x160
	s_cmp_lg_u32 s33, 0
	s_cselect_b64 s[50:51], -1, 0
	s_add_u32 s48, s34, 0xc4
	s_addc_u32 s49, s35, 0
	s_min_u32 s61, s58, 15
	s_load_dwordx4 s[28:31], s[34:35], 0xc4
	s_load_dwordx4 s[0:3], s[34:35], 0x148
	s_cmp_gt_u32 s33, 1
	s_cselect_b64 s[46:47], -1, 0
	s_waitcnt lgkmcnt(0)
	s_lshr_b32 s59, s8, 16
	s_cmp_gt_u32 s59, 15
	s_cselect_b64 s[42:43], -1, 0
	v_cmp_gt_i32_e32 vcc, s60, v19
	s_and_saveexec_b64 s[52:53], vcc
	s_cbranch_execz .LBB109_14
; %bb.2:
	s_andn2_b64 vcc, exec, s[6:7]
	s_cbranch_vccnz .LBB109_21
; %bb.3:
	s_andn2_b64 vcc, exec, s[50:51]
	s_cbranch_vccnz .LBB109_129
; %bb.4:
	s_add_i32 s63, s61, 1
	s_cmp_eq_u32 s58, 2
	s_cbranch_scc1 .LBB109_131
; %bb.5:
	s_and_b32 s62, s63, 28
	v_mov_b32_e32 v2, 0
	s_mov_b32 s64, 0
	s_mov_b64 s[54:55], s[34:35]
	s_mov_b64 s[56:57], s[48:49]
	v_mov_b32_e32 v0, 0
	v_mov_b32_e32 v1, v19
.LBB109_6:                              ; =>This Inner Loop Header: Depth=1
	s_load_dwordx8 s[16:23], s[54:55], 0x4
	s_load_dwordx4 s[36:39], s[54:55], 0x24
	s_load_dwordx8 s[8:15], s[56:57], 0x0
	s_add_u32 s54, s54, 48
	s_addc_u32 s55, s55, 0
	s_waitcnt lgkmcnt(0)
	v_mul_hi_u32 v3, s17, v1
	s_add_i32 s64, s64, 4
	s_add_u32 s56, s56, 32
	s_addc_u32 s57, s57, 0
	v_add_u32_e32 v3, v1, v3
	v_lshrrev_b32_e32 v3, s18, v3
	v_mul_lo_u32 v4, v3, s16
	v_mul_hi_u32 v5, s20, v3
	s_cmp_lg_u32 s62, s64
	v_sub_u32_e32 v1, v1, v4
	v_add_u32_e32 v4, v3, v5
	v_mul_lo_u32 v5, v1, s8
	v_mul_lo_u32 v6, v1, s9
	v_lshrrev_b32_e32 v1, s21, v4
	v_mul_lo_u32 v4, v1, s19
	v_mul_hi_u32 v7, s23, v1
	v_sub_u32_e32 v3, v3, v4
	v_add_u32_e32 v4, v1, v7
	v_lshrrev_b32_e32 v4, s36, v4
	v_mul_hi_u32 v8, s38, v4
	v_mul_lo_u32 v9, v4, s22
	v_mul_lo_u32 v7, v3, s10
	;; [unrolled: 1-line block ×3, first 2 shown]
	v_sub_u32_e32 v9, v1, v9
	v_add_u32_e32 v1, v4, v8
	v_lshrrev_b32_e32 v1, s39, v1
	v_mul_lo_u32 v8, v1, s37
	v_mul_lo_u32 v10, v9, s12
	;; [unrolled: 1-line block ×3, first 2 shown]
	v_add3_u32 v0, v5, v0, v7
	v_sub_u32_e32 v4, v4, v8
	v_mul_lo_u32 v8, v4, s14
	v_mul_lo_u32 v4, v4, s15
	v_add3_u32 v2, v6, v2, v3
	v_add3_u32 v0, v10, v0, v8
	;; [unrolled: 1-line block ×3, first 2 shown]
	s_cbranch_scc1 .LBB109_6
	s_branch .LBB109_132
.LBB109_7:
	s_andn2_saveexec_b64 s[0:1], s[40:41]
	s_cbranch_execz .LBB109_221
.LBB109_8:
	v_cndmask_b32_e64 v0, 0, 1, s[6:7]
	v_cmp_ne_u32_e64 s[0:1], 1, v0
	s_andn2_b64 vcc, exec, s[6:7]
	s_cbranch_vccnz .LBB109_20
; %bb.9:
	s_cmp_lg_u32 s33, 0
	s_mov_b32 s28, 0
	s_cbranch_scc0 .LBB109_23
; %bb.10:
	s_min_u32 s29, s58, 15
	s_add_i32 s29, s29, 1
	s_cmp_eq_u32 s58, 2
	s_cbranch_scc1 .LBB109_24
; %bb.11:
	s_and_b32 s28, s29, 28
	s_add_u32 s2, s34, 0xc4
	s_addc_u32 s3, s35, 0
	v_mov_b32_e32 v2, 0
	s_mov_b32 s30, 0
	s_mov_b64 s[6:7], s[34:35]
	v_mov_b32_e32 v0, 0
	v_mov_b32_e32 v1, v19
.LBB109_12:                             ; =>This Inner Loop Header: Depth=1
	s_load_dwordx8 s[16:23], s[6:7], 0x4
	s_load_dwordx4 s[24:27], s[6:7], 0x24
	s_load_dwordx8 s[8:15], s[2:3], 0x0
	s_add_u32 s6, s6, 48
	s_addc_u32 s7, s7, 0
	s_waitcnt lgkmcnt(0)
	v_mul_hi_u32 v3, s17, v1
	s_add_i32 s30, s30, 4
	s_add_u32 s2, s2, 32
	s_addc_u32 s3, s3, 0
	v_add_u32_e32 v3, v1, v3
	v_lshrrev_b32_e32 v3, s18, v3
	v_mul_lo_u32 v4, v3, s16
	v_mul_hi_u32 v5, s20, v3
	s_cmp_lg_u32 s28, s30
	v_sub_u32_e32 v1, v1, v4
	v_add_u32_e32 v4, v3, v5
	v_mul_lo_u32 v5, v1, s8
	v_mul_lo_u32 v6, v1, s9
	v_lshrrev_b32_e32 v1, s21, v4
	v_mul_lo_u32 v4, v1, s19
	v_mul_hi_u32 v7, s23, v1
	v_sub_u32_e32 v3, v3, v4
	v_add_u32_e32 v4, v1, v7
	v_lshrrev_b32_e32 v4, s24, v4
	v_mul_hi_u32 v8, s26, v4
	v_mul_lo_u32 v9, v4, s22
	v_mul_lo_u32 v7, v3, s10
	;; [unrolled: 1-line block ×3, first 2 shown]
	v_sub_u32_e32 v9, v1, v9
	v_add_u32_e32 v1, v4, v8
	v_lshrrev_b32_e32 v1, s27, v1
	v_mul_lo_u32 v8, v1, s25
	v_mul_lo_u32 v10, v9, s12
	;; [unrolled: 1-line block ×3, first 2 shown]
	v_add3_u32 v0, v5, v0, v7
	v_sub_u32_e32 v4, v4, v8
	v_mul_lo_u32 v8, v4, s14
	v_mul_lo_u32 v4, v4, s15
	v_add3_u32 v2, v6, v2, v3
	v_add3_u32 v0, v10, v0, v8
	;; [unrolled: 1-line block ×3, first 2 shown]
	s_cbranch_scc1 .LBB109_12
; %bb.13:
	s_and_b32 s8, s29, 3
	s_cmp_eq_u32 s8, 0
	s_cbranch_scc0 .LBB109_25
	s_branch .LBB109_27
.LBB109_14:
	s_or_b64 exec, exec, s[52:53]
	v_cmp_gt_i32_e32 vcc, s60, v19
	s_and_saveexec_b64 s[52:53], vcc
	s_cbranch_execz .LBB109_139
.LBB109_15:
	s_andn2_b64 vcc, exec, s[6:7]
	s_cbranch_vccnz .LBB109_22
; %bb.16:
	s_andn2_b64 vcc, exec, s[50:51]
	s_cbranch_vccnz .LBB109_130
; %bb.17:
	s_add_i32 s63, s61, 1
	s_cmp_eq_u32 s58, 2
	s_cbranch_scc1 .LBB109_147
; %bb.18:
	s_and_b32 s62, s63, 28
	v_mov_b32_e32 v2, 0
	s_mov_b32 s64, 0
	s_mov_b64 s[54:55], s[34:35]
	s_mov_b64 s[56:57], s[48:49]
	v_mov_b32_e32 v0, 0
	v_mov_b32_e32 v1, v19
.LBB109_19:                             ; =>This Inner Loop Header: Depth=1
	s_load_dwordx8 s[16:23], s[54:55], 0x4
	s_load_dwordx4 s[36:39], s[54:55], 0x24
	s_load_dwordx8 s[8:15], s[56:57], 0x0
	s_add_u32 s54, s54, 48
	s_addc_u32 s55, s55, 0
	s_waitcnt lgkmcnt(0)
	v_mul_hi_u32 v3, s17, v1
	s_add_i32 s64, s64, 4
	s_add_u32 s56, s56, 32
	s_addc_u32 s57, s57, 0
	v_add_u32_e32 v3, v1, v3
	v_lshrrev_b32_e32 v3, s18, v3
	v_mul_lo_u32 v4, v3, s16
	v_mul_hi_u32 v5, s20, v3
	s_cmp_eq_u32 s62, s64
	v_sub_u32_e32 v1, v1, v4
	v_add_u32_e32 v4, v3, v5
	v_mul_lo_u32 v5, v1, s8
	v_mul_lo_u32 v6, v1, s9
	v_lshrrev_b32_e32 v1, s21, v4
	v_mul_lo_u32 v4, v1, s19
	v_mul_hi_u32 v7, s23, v1
	v_sub_u32_e32 v3, v3, v4
	v_add_u32_e32 v4, v1, v7
	v_lshrrev_b32_e32 v4, s36, v4
	v_mul_hi_u32 v8, s38, v4
	v_mul_lo_u32 v9, v4, s22
	v_mul_lo_u32 v7, v3, s10
	;; [unrolled: 1-line block ×3, first 2 shown]
	v_sub_u32_e32 v9, v1, v9
	v_add_u32_e32 v1, v4, v8
	v_lshrrev_b32_e32 v1, s39, v1
	v_mul_lo_u32 v8, v1, s37
	v_mul_lo_u32 v10, v9, s12
	;; [unrolled: 1-line block ×3, first 2 shown]
	v_add3_u32 v0, v5, v0, v7
	v_sub_u32_e32 v4, v4, v8
	v_mul_lo_u32 v8, v4, s14
	v_mul_lo_u32 v4, v4, s15
	v_add3_u32 v2, v6, v2, v3
	v_add3_u32 v0, v10, v0, v8
	;; [unrolled: 1-line block ×3, first 2 shown]
	s_cbranch_scc0 .LBB109_19
	s_branch .LBB109_148
.LBB109_20:
                                        ; implicit-def: $vgpr0
                                        ; implicit-def: $vgpr2
	s_branch .LBB109_28
.LBB109_21:
                                        ; implicit-def: $vgpr0
                                        ; implicit-def: $vgpr2
	s_branch .LBB109_136
.LBB109_22:
                                        ; implicit-def: $vgpr0
                                        ; implicit-def: $vgpr2
	s_branch .LBB109_152
.LBB109_23:
	v_mov_b32_e32 v0, 0
	v_mov_b32_e32 v2, 0
	s_branch .LBB109_27
.LBB109_24:
	v_mov_b32_e32 v0, 0
	v_mov_b32_e32 v2, 0
	;; [unrolled: 1-line block ×3, first 2 shown]
	s_and_b32 s8, s29, 3
	s_cmp_eq_u32 s8, 0
	s_cbranch_scc1 .LBB109_27
.LBB109_25:
	s_lshl_b32 s2, s28, 3
	s_add_u32 s2, s34, s2
	s_addc_u32 s3, s35, 0
	s_add_u32 s2, s2, 0xc4
	s_addc_u32 s3, s3, 0
	s_mul_i32 s6, s28, 12
	s_add_u32 s6, s34, s6
	s_addc_u32 s7, s35, 0
.LBB109_26:                             ; =>This Inner Loop Header: Depth=1
	s_load_dwordx2 s[10:11], s[6:7], 0x4
	s_load_dword s9, s[6:7], 0xc
	s_load_dwordx2 s[12:13], s[2:3], 0x0
	s_add_u32 s6, s6, 12
	s_addc_u32 s7, s7, 0
	s_waitcnt lgkmcnt(0)
	v_mul_hi_u32 v4, s11, v1
	s_add_u32 s2, s2, 8
	s_addc_u32 s3, s3, 0
	s_add_i32 s8, s8, -1
	v_add_u32_e32 v4, v1, v4
	v_lshrrev_b32_e32 v4, s9, v4
	v_mul_lo_u32 v5, v4, s10
	s_cmp_lg_u32 s8, 0
	v_sub_u32_e32 v5, v1, v5
	v_mad_u64_u32 v[0:1], s[10:11], v5, s12, v[0:1]
	v_mad_u64_u32 v[2:3], s[10:11], v5, s13, v[2:3]
	v_mov_b32_e32 v1, v4
	s_cbranch_scc1 .LBB109_26
.LBB109_27:
	s_cbranch_execnz .LBB109_30
.LBB109_28:
	s_load_dwordx4 s[8:11], s[34:35], 0x4
	s_load_dwordx2 s[2:3], s[34:35], 0xc4
	s_cmp_lt_u32 s33, 2
	s_waitcnt lgkmcnt(0)
	v_mul_hi_u32 v0, s9, v19
	v_add_u32_e32 v0, v19, v0
	v_lshrrev_b32_e32 v1, s10, v0
	v_mul_lo_u32 v0, v1, s8
	v_sub_u32_e32 v2, v19, v0
	v_mul_lo_u32 v0, v2, s2
	v_mul_lo_u32 v2, v2, s3
	s_cbranch_scc1 .LBB109_30
; %bb.29:
	s_load_dwordx4 s[8:11], s[34:35], 0x10
	s_load_dwordx2 s[2:3], s[34:35], 0xcc
	s_waitcnt lgkmcnt(0)
	v_mul_hi_u32 v3, s9, v1
	v_add_u32_e32 v3, v1, v3
	v_lshrrev_b32_e32 v3, s10, v3
	v_mul_lo_u32 v3, v3, s8
	v_sub_u32_e32 v3, v1, v3
	v_mad_u64_u32 v[0:1], s[6:7], v3, s2, v[0:1]
	v_mad_u64_u32 v[2:3], s[2:3], v3, s3, v[2:3]
.LBB109_30:
	s_and_b64 vcc, exec, s[0:1]
	v_add_u32_e32 v1, 0x80, v19
	s_cbranch_vccnz .LBB109_36
; %bb.31:
	s_cmp_lg_u32 s33, 0
	s_mov_b32 s28, 0
	s_cbranch_scc0 .LBB109_37
; %bb.32:
	s_min_u32 s29, s58, 15
	s_add_i32 s29, s29, 1
	s_cmp_eq_u32 s58, 2
	s_cbranch_scc1 .LBB109_38
; %bb.33:
	s_and_b32 s28, s29, 28
	s_add_u32 s2, s34, 0xc4
	s_addc_u32 s3, s35, 0
	v_mov_b32_e32 v5, 0
	s_mov_b32 s30, 0
	s_mov_b64 s[6:7], s[34:35]
	v_mov_b32_e32 v3, 0
	v_mov_b32_e32 v4, v1
.LBB109_34:                             ; =>This Inner Loop Header: Depth=1
	s_load_dwordx8 s[16:23], s[6:7], 0x4
	s_load_dwordx4 s[24:27], s[6:7], 0x24
	s_load_dwordx8 s[8:15], s[2:3], 0x0
	s_add_u32 s6, s6, 48
	s_addc_u32 s7, s7, 0
	s_waitcnt lgkmcnt(0)
	v_mul_hi_u32 v6, s17, v4
	s_add_i32 s30, s30, 4
	s_add_u32 s2, s2, 32
	s_addc_u32 s3, s3, 0
	v_add_u32_e32 v6, v4, v6
	v_lshrrev_b32_e32 v6, s18, v6
	v_mul_lo_u32 v7, v6, s16
	v_mul_hi_u32 v8, s20, v6
	s_cmp_lg_u32 s28, s30
	v_sub_u32_e32 v4, v4, v7
	v_add_u32_e32 v7, v6, v8
	v_mul_lo_u32 v8, v4, s8
	v_mul_lo_u32 v9, v4, s9
	v_lshrrev_b32_e32 v4, s21, v7
	v_mul_lo_u32 v7, v4, s19
	v_mul_hi_u32 v10, s23, v4
	v_sub_u32_e32 v6, v6, v7
	v_add_u32_e32 v7, v4, v10
	v_lshrrev_b32_e32 v7, s24, v7
	v_mul_hi_u32 v11, s26, v7
	v_mul_lo_u32 v12, v7, s22
	v_mul_lo_u32 v10, v6, s10
	;; [unrolled: 1-line block ×3, first 2 shown]
	v_sub_u32_e32 v12, v4, v12
	v_add_u32_e32 v4, v7, v11
	v_lshrrev_b32_e32 v4, s27, v4
	v_mul_lo_u32 v11, v4, s25
	v_mul_lo_u32 v13, v12, s12
	;; [unrolled: 1-line block ×3, first 2 shown]
	v_add3_u32 v3, v8, v3, v10
	v_sub_u32_e32 v7, v7, v11
	v_mul_lo_u32 v11, v7, s14
	v_mul_lo_u32 v7, v7, s15
	v_add3_u32 v5, v9, v5, v6
	v_add3_u32 v3, v13, v3, v11
	;; [unrolled: 1-line block ×3, first 2 shown]
	s_cbranch_scc1 .LBB109_34
; %bb.35:
	s_and_b32 s8, s29, 3
	s_cmp_eq_u32 s8, 0
	s_cbranch_scc0 .LBB109_39
	s_branch .LBB109_41
.LBB109_36:
                                        ; implicit-def: $vgpr3
                                        ; implicit-def: $vgpr5
	s_branch .LBB109_42
.LBB109_37:
	v_mov_b32_e32 v3, 0
	v_mov_b32_e32 v5, 0
	s_branch .LBB109_41
.LBB109_38:
	v_mov_b32_e32 v3, 0
	v_mov_b32_e32 v5, 0
	v_mov_b32_e32 v4, v1
	s_and_b32 s8, s29, 3
	s_cmp_eq_u32 s8, 0
	s_cbranch_scc1 .LBB109_41
.LBB109_39:
	s_lshl_b32 s2, s28, 3
	s_add_u32 s2, s34, s2
	s_addc_u32 s3, s35, 0
	s_add_u32 s2, s2, 0xc4
	s_addc_u32 s3, s3, 0
	s_mul_i32 s6, s28, 12
	s_add_u32 s6, s34, s6
	s_addc_u32 s7, s35, 0
.LBB109_40:                             ; =>This Inner Loop Header: Depth=1
	s_load_dwordx2 s[10:11], s[6:7], 0x4
	s_load_dword s9, s[6:7], 0xc
	s_load_dwordx2 s[12:13], s[2:3], 0x0
	s_add_u32 s6, s6, 12
	s_addc_u32 s7, s7, 0
	s_waitcnt lgkmcnt(0)
	v_mul_hi_u32 v7, s11, v4
	s_add_u32 s2, s2, 8
	s_addc_u32 s3, s3, 0
	s_add_i32 s8, s8, -1
	v_add_u32_e32 v7, v4, v7
	v_lshrrev_b32_e32 v7, s9, v7
	v_mul_lo_u32 v8, v7, s10
	s_cmp_lg_u32 s8, 0
	v_sub_u32_e32 v8, v4, v8
	v_mad_u64_u32 v[3:4], s[10:11], v8, s12, v[3:4]
	v_mad_u64_u32 v[5:6], s[10:11], v8, s13, v[5:6]
	v_mov_b32_e32 v4, v7
	s_cbranch_scc1 .LBB109_40
.LBB109_41:
	s_cbranch_execnz .LBB109_44
.LBB109_42:
	s_load_dwordx4 s[8:11], s[34:35], 0x4
	s_load_dwordx2 s[2:3], s[34:35], 0xc4
	s_cmp_lt_u32 s33, 2
	s_waitcnt lgkmcnt(0)
	v_mul_hi_u32 v3, s9, v1
	v_add_u32_e32 v3, v1, v3
	v_lshrrev_b32_e32 v4, s10, v3
	v_mul_lo_u32 v3, v4, s8
	v_sub_u32_e32 v1, v1, v3
	v_mul_lo_u32 v3, v1, s2
	v_mul_lo_u32 v5, v1, s3
	s_cbranch_scc1 .LBB109_44
; %bb.43:
	s_load_dwordx4 s[8:11], s[34:35], 0x10
	s_load_dwordx2 s[2:3], s[34:35], 0xcc
	s_waitcnt lgkmcnt(0)
	v_mul_hi_u32 v1, s9, v4
	v_add_u32_e32 v1, v4, v1
	v_lshrrev_b32_e32 v1, s10, v1
	v_mul_lo_u32 v1, v1, s8
	v_sub_u32_e32 v1, v4, v1
	v_mad_u64_u32 v[3:4], s[6:7], v1, s2, v[3:4]
	v_mad_u64_u32 v[5:6], s[2:3], v1, s3, v[5:6]
.LBB109_44:
	s_and_b64 vcc, exec, s[0:1]
	v_add_u32_e32 v1, 0x100, v19
	s_cbranch_vccnz .LBB109_50
; %bb.45:
	s_cmp_lg_u32 s33, 0
	s_mov_b32 s28, 0
	s_cbranch_scc0 .LBB109_51
; %bb.46:
	s_min_u32 s29, s58, 15
	s_add_i32 s29, s29, 1
	s_cmp_eq_u32 s58, 2
	s_cbranch_scc1 .LBB109_52
; %bb.47:
	s_and_b32 s28, s29, 28
	s_add_u32 s2, s34, 0xc4
	s_addc_u32 s3, s35, 0
	v_mov_b32_e32 v8, 0
	s_mov_b32 s30, 0
	s_mov_b64 s[6:7], s[34:35]
	v_mov_b32_e32 v6, 0
	v_mov_b32_e32 v4, v1
.LBB109_48:                             ; =>This Inner Loop Header: Depth=1
	s_load_dwordx8 s[16:23], s[6:7], 0x4
	s_load_dwordx4 s[24:27], s[6:7], 0x24
	s_load_dwordx8 s[8:15], s[2:3], 0x0
	s_add_u32 s6, s6, 48
	s_addc_u32 s7, s7, 0
	s_waitcnt lgkmcnt(0)
	v_mul_hi_u32 v7, s17, v4
	s_add_i32 s30, s30, 4
	s_add_u32 s2, s2, 32
	s_addc_u32 s3, s3, 0
	v_add_u32_e32 v7, v4, v7
	v_lshrrev_b32_e32 v7, s18, v7
	v_mul_lo_u32 v9, v7, s16
	v_mul_hi_u32 v10, s20, v7
	s_cmp_lg_u32 s28, s30
	v_sub_u32_e32 v4, v4, v9
	v_add_u32_e32 v9, v7, v10
	v_mul_lo_u32 v10, v4, s8
	v_mul_lo_u32 v11, v4, s9
	v_lshrrev_b32_e32 v4, s21, v9
	v_mul_lo_u32 v9, v4, s19
	v_mul_hi_u32 v12, s23, v4
	v_sub_u32_e32 v7, v7, v9
	v_add_u32_e32 v9, v4, v12
	v_lshrrev_b32_e32 v9, s24, v9
	v_mul_hi_u32 v13, s26, v9
	v_mul_lo_u32 v14, v9, s22
	v_mul_lo_u32 v12, v7, s10
	;; [unrolled: 1-line block ×3, first 2 shown]
	v_sub_u32_e32 v14, v4, v14
	v_add_u32_e32 v4, v9, v13
	v_lshrrev_b32_e32 v4, s27, v4
	v_mul_lo_u32 v13, v4, s25
	v_mul_lo_u32 v15, v14, s12
	;; [unrolled: 1-line block ×3, first 2 shown]
	v_add3_u32 v6, v10, v6, v12
	v_sub_u32_e32 v9, v9, v13
	v_mul_lo_u32 v13, v9, s14
	v_mul_lo_u32 v9, v9, s15
	v_add3_u32 v7, v11, v8, v7
	v_add3_u32 v6, v15, v6, v13
	v_add3_u32 v8, v14, v7, v9
	s_cbranch_scc1 .LBB109_48
; %bb.49:
	s_and_b32 s8, s29, 3
	s_cmp_eq_u32 s8, 0
	s_cbranch_scc0 .LBB109_53
	s_branch .LBB109_55
.LBB109_50:
                                        ; implicit-def: $vgpr6
                                        ; implicit-def: $vgpr8
	s_branch .LBB109_56
.LBB109_51:
	v_mov_b32_e32 v6, 0
	v_mov_b32_e32 v8, 0
	s_branch .LBB109_55
.LBB109_52:
	v_mov_b32_e32 v6, 0
	v_mov_b32_e32 v8, 0
	;; [unrolled: 1-line block ×3, first 2 shown]
	s_and_b32 s8, s29, 3
	s_cmp_eq_u32 s8, 0
	s_cbranch_scc1 .LBB109_55
.LBB109_53:
	s_lshl_b32 s2, s28, 3
	s_add_u32 s2, s34, s2
	s_addc_u32 s3, s35, 0
	s_add_u32 s2, s2, 0xc4
	s_addc_u32 s3, s3, 0
	s_mul_i32 s6, s28, 12
	s_add_u32 s6, s34, s6
	s_addc_u32 s7, s35, 0
.LBB109_54:                             ; =>This Inner Loop Header: Depth=1
	s_load_dwordx2 s[10:11], s[6:7], 0x4
	s_load_dword s9, s[6:7], 0xc
	s_load_dwordx2 s[12:13], s[2:3], 0x0
	s_add_u32 s6, s6, 12
	s_addc_u32 s7, s7, 0
	s_waitcnt lgkmcnt(0)
	v_mul_hi_u32 v7, s11, v4
	s_add_u32 s2, s2, 8
	s_addc_u32 s3, s3, 0
	s_add_i32 s8, s8, -1
	v_add_u32_e32 v7, v4, v7
	v_lshrrev_b32_e32 v10, s9, v7
	v_mul_lo_u32 v7, v10, s10
	s_cmp_lg_u32 s8, 0
	v_sub_u32_e32 v4, v4, v7
	v_mad_u64_u32 v[6:7], s[10:11], v4, s12, v[6:7]
	v_mad_u64_u32 v[8:9], s[10:11], v4, s13, v[8:9]
	v_mov_b32_e32 v4, v10
	s_cbranch_scc1 .LBB109_54
.LBB109_55:
	s_cbranch_execnz .LBB109_58
.LBB109_56:
	s_load_dwordx4 s[8:11], s[34:35], 0x4
	s_load_dwordx2 s[2:3], s[34:35], 0xc4
	s_cmp_lt_u32 s33, 2
	s_waitcnt lgkmcnt(0)
	v_mul_hi_u32 v4, s9, v1
	v_add_u32_e32 v4, v1, v4
	v_lshrrev_b32_e32 v4, s10, v4
	v_mul_lo_u32 v6, v4, s8
	v_sub_u32_e32 v1, v1, v6
	v_mul_lo_u32 v6, v1, s2
	v_mul_lo_u32 v8, v1, s3
	s_cbranch_scc1 .LBB109_58
; %bb.57:
	s_load_dwordx4 s[8:11], s[34:35], 0x10
	s_load_dwordx2 s[2:3], s[34:35], 0xcc
	s_waitcnt lgkmcnt(0)
	v_mul_hi_u32 v1, s9, v4
	v_add_u32_e32 v1, v4, v1
	v_lshrrev_b32_e32 v1, s10, v1
	v_mul_lo_u32 v1, v1, s8
	v_sub_u32_e32 v1, v4, v1
	v_mad_u64_u32 v[6:7], s[6:7], v1, s2, v[6:7]
	v_mad_u64_u32 v[8:9], s[2:3], v1, s3, v[8:9]
.LBB109_58:
	s_and_b64 vcc, exec, s[0:1]
	v_add_u32_e32 v1, 0x180, v19
	s_cbranch_vccnz .LBB109_64
; %bb.59:
	s_cmp_lg_u32 s33, 0
	s_mov_b32 s28, 0
	s_cbranch_scc0 .LBB109_65
; %bb.60:
	s_min_u32 s29, s58, 15
	s_add_i32 s29, s29, 1
	s_cmp_eq_u32 s58, 2
	s_cbranch_scc1 .LBB109_66
; %bb.61:
	s_and_b32 s28, s29, 28
	s_add_u32 s2, s34, 0xc4
	s_addc_u32 s3, s35, 0
	v_mov_b32_e32 v11, 0
	s_mov_b32 s30, 0
	s_mov_b64 s[6:7], s[34:35]
	v_mov_b32_e32 v9, 0
	v_mov_b32_e32 v4, v1
.LBB109_62:                             ; =>This Inner Loop Header: Depth=1
	s_load_dwordx8 s[16:23], s[6:7], 0x4
	s_load_dwordx4 s[24:27], s[6:7], 0x24
	s_load_dwordx8 s[8:15], s[2:3], 0x0
	s_add_u32 s6, s6, 48
	s_addc_u32 s7, s7, 0
	s_waitcnt lgkmcnt(0)
	v_mul_hi_u32 v7, s17, v4
	s_add_i32 s30, s30, 4
	s_add_u32 s2, s2, 32
	s_addc_u32 s3, s3, 0
	v_add_u32_e32 v7, v4, v7
	v_lshrrev_b32_e32 v7, s18, v7
	v_mul_lo_u32 v10, v7, s16
	v_mul_hi_u32 v12, s20, v7
	s_cmp_lg_u32 s28, s30
	v_sub_u32_e32 v4, v4, v10
	v_add_u32_e32 v10, v7, v12
	v_mul_lo_u32 v12, v4, s8
	v_mul_lo_u32 v13, v4, s9
	v_lshrrev_b32_e32 v4, s21, v10
	v_mul_lo_u32 v10, v4, s19
	v_mul_hi_u32 v14, s23, v4
	v_sub_u32_e32 v7, v7, v10
	v_add_u32_e32 v10, v4, v14
	v_lshrrev_b32_e32 v10, s24, v10
	v_mul_hi_u32 v15, s26, v10
	v_mul_lo_u32 v16, v10, s22
	v_mul_lo_u32 v14, v7, s10
	;; [unrolled: 1-line block ×3, first 2 shown]
	v_sub_u32_e32 v16, v4, v16
	v_add_u32_e32 v4, v10, v15
	v_lshrrev_b32_e32 v4, s27, v4
	v_mul_lo_u32 v15, v4, s25
	v_mul_lo_u32 v17, v16, s12
	;; [unrolled: 1-line block ×3, first 2 shown]
	v_add3_u32 v9, v12, v9, v14
	v_sub_u32_e32 v10, v10, v15
	v_mul_lo_u32 v15, v10, s14
	v_mul_lo_u32 v10, v10, s15
	v_add3_u32 v7, v13, v11, v7
	v_add3_u32 v9, v17, v9, v15
	;; [unrolled: 1-line block ×3, first 2 shown]
	s_cbranch_scc1 .LBB109_62
; %bb.63:
	s_and_b32 s8, s29, 3
	s_cmp_eq_u32 s8, 0
	s_cbranch_scc0 .LBB109_67
	s_branch .LBB109_69
.LBB109_64:
                                        ; implicit-def: $vgpr9
                                        ; implicit-def: $vgpr11
	s_branch .LBB109_70
.LBB109_65:
	v_mov_b32_e32 v9, 0
	v_mov_b32_e32 v11, 0
	s_branch .LBB109_69
.LBB109_66:
	v_mov_b32_e32 v9, 0
	v_mov_b32_e32 v11, 0
	;; [unrolled: 1-line block ×3, first 2 shown]
	s_and_b32 s8, s29, 3
	s_cmp_eq_u32 s8, 0
	s_cbranch_scc1 .LBB109_69
.LBB109_67:
	s_lshl_b32 s2, s28, 3
	s_add_u32 s2, s34, s2
	s_addc_u32 s3, s35, 0
	s_add_u32 s2, s2, 0xc4
	s_addc_u32 s3, s3, 0
	s_mul_i32 s6, s28, 12
	s_add_u32 s6, s34, s6
	s_addc_u32 s7, s35, 0
.LBB109_68:                             ; =>This Inner Loop Header: Depth=1
	s_load_dwordx2 s[10:11], s[6:7], 0x4
	s_load_dword s9, s[6:7], 0xc
	s_load_dwordx2 s[12:13], s[2:3], 0x0
	s_add_u32 s6, s6, 12
	s_addc_u32 s7, s7, 0
	s_waitcnt lgkmcnt(0)
	v_mul_hi_u32 v7, s11, v4
	s_add_u32 s2, s2, 8
	s_addc_u32 s3, s3, 0
	s_add_i32 s8, s8, -1
	v_add_u32_e32 v7, v4, v7
	v_lshrrev_b32_e32 v7, s9, v7
	v_mul_lo_u32 v10, v7, s10
	s_cmp_lg_u32 s8, 0
	v_sub_u32_e32 v4, v4, v10
	v_mad_u64_u32 v[9:10], s[10:11], v4, s12, v[9:10]
	v_mad_u64_u32 v[11:12], s[10:11], v4, s13, v[11:12]
	v_mov_b32_e32 v4, v7
	s_cbranch_scc1 .LBB109_68
.LBB109_69:
	s_cbranch_execnz .LBB109_72
.LBB109_70:
	s_load_dwordx4 s[8:11], s[34:35], 0x4
	s_load_dwordx2 s[2:3], s[34:35], 0xc4
	s_cmp_lt_u32 s33, 2
	s_waitcnt lgkmcnt(0)
	v_mul_hi_u32 v4, s9, v1
	v_add_u32_e32 v4, v1, v4
	v_lshrrev_b32_e32 v4, s10, v4
	v_mul_lo_u32 v7, v4, s8
	v_sub_u32_e32 v1, v1, v7
	v_mul_lo_u32 v9, v1, s2
	v_mul_lo_u32 v11, v1, s3
	s_cbranch_scc1 .LBB109_72
; %bb.71:
	s_load_dwordx4 s[8:11], s[34:35], 0x10
	s_load_dwordx2 s[2:3], s[34:35], 0xcc
	s_waitcnt lgkmcnt(0)
	v_mul_hi_u32 v1, s9, v4
	v_add_u32_e32 v1, v4, v1
	v_lshrrev_b32_e32 v1, s10, v1
	v_mul_lo_u32 v1, v1, s8
	v_sub_u32_e32 v1, v4, v1
	v_mad_u64_u32 v[9:10], s[6:7], v1, s2, v[9:10]
	v_mad_u64_u32 v[11:12], s[2:3], v1, s3, v[11:12]
.LBB109_72:
	s_and_b64 vcc, exec, s[0:1]
	v_add_u32_e32 v1, 0x200, v19
	s_cbranch_vccnz .LBB109_78
; %bb.73:
	s_cmp_lg_u32 s33, 0
	s_mov_b32 s28, 0
	s_cbranch_scc0 .LBB109_79
; %bb.74:
	s_min_u32 s29, s58, 15
	s_add_i32 s29, s29, 1
	s_cmp_eq_u32 s58, 2
	s_cbranch_scc1 .LBB109_80
; %bb.75:
	s_and_b32 s28, s29, 28
	s_add_u32 s2, s34, 0xc4
	s_addc_u32 s3, s35, 0
	v_mov_b32_e32 v14, 0
	s_mov_b32 s30, 0
	s_mov_b64 s[6:7], s[34:35]
	v_mov_b32_e32 v12, 0
	v_mov_b32_e32 v4, v1
.LBB109_76:                             ; =>This Inner Loop Header: Depth=1
	s_load_dwordx8 s[16:23], s[6:7], 0x4
	s_load_dwordx4 s[24:27], s[6:7], 0x24
	s_load_dwordx8 s[8:15], s[2:3], 0x0
	s_add_u32 s6, s6, 48
	s_addc_u32 s7, s7, 0
	s_waitcnt lgkmcnt(0)
	v_mul_hi_u32 v7, s17, v4
	s_add_i32 s30, s30, 4
	s_add_u32 s2, s2, 32
	s_addc_u32 s3, s3, 0
	v_add_u32_e32 v7, v4, v7
	v_lshrrev_b32_e32 v7, s18, v7
	v_mul_lo_u32 v10, v7, s16
	v_mul_hi_u32 v13, s20, v7
	s_cmp_lg_u32 s28, s30
	v_sub_u32_e32 v4, v4, v10
	v_add_u32_e32 v10, v7, v13
	v_mul_lo_u32 v13, v4, s8
	v_mul_lo_u32 v15, v4, s9
	v_lshrrev_b32_e32 v4, s21, v10
	v_mul_lo_u32 v10, v4, s19
	v_mul_hi_u32 v16, s23, v4
	v_sub_u32_e32 v7, v7, v10
	v_add_u32_e32 v10, v4, v16
	v_lshrrev_b32_e32 v10, s24, v10
	v_mul_hi_u32 v17, s26, v10
	v_mul_lo_u32 v18, v10, s22
	v_mul_lo_u32 v16, v7, s10
	;; [unrolled: 1-line block ×3, first 2 shown]
	v_sub_u32_e32 v18, v4, v18
	v_add_u32_e32 v4, v10, v17
	v_lshrrev_b32_e32 v4, s27, v4
	v_mul_lo_u32 v17, v4, s25
	v_mul_lo_u32 v20, v18, s12
	;; [unrolled: 1-line block ×3, first 2 shown]
	v_add3_u32 v12, v13, v12, v16
	v_sub_u32_e32 v10, v10, v17
	v_mul_lo_u32 v17, v10, s14
	v_mul_lo_u32 v10, v10, s15
	v_add3_u32 v7, v15, v14, v7
	v_add3_u32 v12, v20, v12, v17
	;; [unrolled: 1-line block ×3, first 2 shown]
	s_cbranch_scc1 .LBB109_76
; %bb.77:
	s_and_b32 s8, s29, 3
	s_cmp_eq_u32 s8, 0
	s_cbranch_scc0 .LBB109_81
	s_branch .LBB109_83
.LBB109_78:
                                        ; implicit-def: $vgpr12
                                        ; implicit-def: $vgpr14
	s_branch .LBB109_84
.LBB109_79:
	v_mov_b32_e32 v12, 0
	v_mov_b32_e32 v14, 0
	s_branch .LBB109_83
.LBB109_80:
	v_mov_b32_e32 v12, 0
	v_mov_b32_e32 v14, 0
	;; [unrolled: 1-line block ×3, first 2 shown]
	s_and_b32 s8, s29, 3
	s_cmp_eq_u32 s8, 0
	s_cbranch_scc1 .LBB109_83
.LBB109_81:
	s_lshl_b32 s2, s28, 3
	s_add_u32 s2, s34, s2
	s_addc_u32 s3, s35, 0
	s_add_u32 s2, s2, 0xc4
	s_addc_u32 s3, s3, 0
	s_mul_i32 s6, s28, 12
	s_add_u32 s6, s34, s6
	s_addc_u32 s7, s35, 0
.LBB109_82:                             ; =>This Inner Loop Header: Depth=1
	s_load_dwordx2 s[10:11], s[6:7], 0x4
	s_load_dword s9, s[6:7], 0xc
	s_load_dwordx2 s[12:13], s[2:3], 0x0
	s_add_u32 s6, s6, 12
	s_addc_u32 s7, s7, 0
	s_waitcnt lgkmcnt(0)
	v_mul_hi_u32 v7, s11, v4
	s_add_u32 s2, s2, 8
	s_addc_u32 s3, s3, 0
	s_add_i32 s8, s8, -1
	v_add_u32_e32 v7, v4, v7
	v_lshrrev_b32_e32 v7, s9, v7
	v_mul_lo_u32 v10, v7, s10
	s_cmp_lg_u32 s8, 0
	v_sub_u32_e32 v4, v4, v10
	v_mad_u64_u32 v[12:13], s[10:11], v4, s12, v[12:13]
	v_mad_u64_u32 v[14:15], s[10:11], v4, s13, v[14:15]
	v_mov_b32_e32 v4, v7
	s_cbranch_scc1 .LBB109_82
.LBB109_83:
	s_cbranch_execnz .LBB109_86
.LBB109_84:
	s_load_dwordx4 s[8:11], s[34:35], 0x4
	s_load_dwordx2 s[2:3], s[34:35], 0xc4
	s_cmp_lt_u32 s33, 2
	s_waitcnt lgkmcnt(0)
	v_mul_hi_u32 v4, s9, v1
	v_add_u32_e32 v4, v1, v4
	v_lshrrev_b32_e32 v4, s10, v4
	v_mul_lo_u32 v7, v4, s8
	v_sub_u32_e32 v1, v1, v7
	v_mul_lo_u32 v12, v1, s2
	v_mul_lo_u32 v14, v1, s3
	s_cbranch_scc1 .LBB109_86
; %bb.85:
	s_load_dwordx4 s[8:11], s[34:35], 0x10
	s_load_dwordx2 s[2:3], s[34:35], 0xcc
	s_waitcnt lgkmcnt(0)
	v_mul_hi_u32 v1, s9, v4
	v_add_u32_e32 v1, v4, v1
	v_lshrrev_b32_e32 v1, s10, v1
	v_mul_lo_u32 v1, v1, s8
	v_sub_u32_e32 v1, v4, v1
	v_mad_u64_u32 v[12:13], s[6:7], v1, s2, v[12:13]
	v_mad_u64_u32 v[14:15], s[2:3], v1, s3, v[14:15]
.LBB109_86:
	s_and_b64 vcc, exec, s[0:1]
	v_add_u32_e32 v1, 0x280, v19
	s_cbranch_vccnz .LBB109_92
; %bb.87:
	s_cmp_lg_u32 s33, 0
	s_mov_b32 s28, 0
	s_cbranch_scc0 .LBB109_93
; %bb.88:
	s_min_u32 s29, s58, 15
	s_add_i32 s29, s29, 1
	s_cmp_eq_u32 s58, 2
	s_cbranch_scc1 .LBB109_94
; %bb.89:
	s_and_b32 s28, s29, 28
	s_add_u32 s2, s34, 0xc4
	s_addc_u32 s3, s35, 0
	v_mov_b32_e32 v17, 0
	s_mov_b32 s30, 0
	s_mov_b64 s[6:7], s[34:35]
	v_mov_b32_e32 v15, 0
	v_mov_b32_e32 v4, v1
.LBB109_90:                             ; =>This Inner Loop Header: Depth=1
	s_load_dwordx8 s[16:23], s[6:7], 0x4
	s_load_dwordx4 s[24:27], s[6:7], 0x24
	s_load_dwordx8 s[8:15], s[2:3], 0x0
	s_add_u32 s6, s6, 48
	s_addc_u32 s7, s7, 0
	s_waitcnt lgkmcnt(0)
	v_mul_hi_u32 v7, s17, v4
	s_add_i32 s30, s30, 4
	s_add_u32 s2, s2, 32
	s_addc_u32 s3, s3, 0
	v_add_u32_e32 v7, v4, v7
	v_lshrrev_b32_e32 v7, s18, v7
	v_mul_lo_u32 v10, v7, s16
	v_mul_hi_u32 v13, s20, v7
	s_cmp_lg_u32 s28, s30
	v_sub_u32_e32 v4, v4, v10
	v_add_u32_e32 v10, v7, v13
	v_mul_lo_u32 v13, v4, s8
	v_mul_lo_u32 v16, v4, s9
	v_lshrrev_b32_e32 v4, s21, v10
	v_mul_lo_u32 v10, v4, s19
	v_mul_hi_u32 v18, s23, v4
	v_sub_u32_e32 v7, v7, v10
	v_add_u32_e32 v10, v4, v18
	v_lshrrev_b32_e32 v10, s24, v10
	v_mul_hi_u32 v20, s26, v10
	v_mul_lo_u32 v21, v10, s22
	v_mul_lo_u32 v18, v7, s10
	;; [unrolled: 1-line block ×3, first 2 shown]
	v_sub_u32_e32 v21, v4, v21
	v_add_u32_e32 v4, v10, v20
	v_lshrrev_b32_e32 v4, s27, v4
	v_mul_lo_u32 v20, v4, s25
	v_mul_lo_u32 v22, v21, s12
	;; [unrolled: 1-line block ×3, first 2 shown]
	v_add3_u32 v13, v13, v15, v18
	v_sub_u32_e32 v10, v10, v20
	v_mul_lo_u32 v20, v10, s14
	v_mul_lo_u32 v10, v10, s15
	v_add3_u32 v7, v16, v17, v7
	v_add3_u32 v15, v22, v13, v20
	;; [unrolled: 1-line block ×3, first 2 shown]
	s_cbranch_scc1 .LBB109_90
; %bb.91:
	s_and_b32 s8, s29, 3
	s_cmp_eq_u32 s8, 0
	s_cbranch_scc0 .LBB109_95
	s_branch .LBB109_97
.LBB109_92:
                                        ; implicit-def: $vgpr15
                                        ; implicit-def: $vgpr17
	s_branch .LBB109_98
.LBB109_93:
	v_mov_b32_e32 v15, 0
	v_mov_b32_e32 v17, 0
	s_branch .LBB109_97
.LBB109_94:
	v_mov_b32_e32 v15, 0
	v_mov_b32_e32 v17, 0
	;; [unrolled: 1-line block ×3, first 2 shown]
	s_and_b32 s8, s29, 3
	s_cmp_eq_u32 s8, 0
	s_cbranch_scc1 .LBB109_97
.LBB109_95:
	s_lshl_b32 s2, s28, 3
	s_add_u32 s2, s34, s2
	s_addc_u32 s3, s35, 0
	s_add_u32 s2, s2, 0xc4
	s_addc_u32 s3, s3, 0
	s_mul_i32 s6, s28, 12
	s_add_u32 s6, s34, s6
	s_addc_u32 s7, s35, 0
.LBB109_96:                             ; =>This Inner Loop Header: Depth=1
	s_load_dwordx2 s[10:11], s[6:7], 0x4
	s_load_dword s9, s[6:7], 0xc
	s_load_dwordx2 s[12:13], s[2:3], 0x0
	s_add_u32 s6, s6, 12
	s_addc_u32 s7, s7, 0
	s_waitcnt lgkmcnt(0)
	v_mul_hi_u32 v7, s11, v4
	s_add_u32 s2, s2, 8
	s_addc_u32 s3, s3, 0
	s_add_i32 s8, s8, -1
	v_add_u32_e32 v7, v4, v7
	v_lshrrev_b32_e32 v7, s9, v7
	v_mul_lo_u32 v10, v7, s10
	s_cmp_lg_u32 s8, 0
	v_sub_u32_e32 v4, v4, v10
	v_mad_u64_u32 v[15:16], s[10:11], v4, s12, v[15:16]
	v_mad_u64_u32 v[17:18], s[10:11], v4, s13, v[17:18]
	v_mov_b32_e32 v4, v7
	s_cbranch_scc1 .LBB109_96
.LBB109_97:
	s_cbranch_execnz .LBB109_100
.LBB109_98:
	s_load_dwordx4 s[8:11], s[34:35], 0x4
	s_load_dwordx2 s[2:3], s[34:35], 0xc4
	s_cmp_lt_u32 s33, 2
	s_waitcnt lgkmcnt(0)
	v_mul_hi_u32 v4, s9, v1
	v_add_u32_e32 v4, v1, v4
	v_lshrrev_b32_e32 v4, s10, v4
	v_mul_lo_u32 v7, v4, s8
	v_sub_u32_e32 v1, v1, v7
	v_mul_lo_u32 v15, v1, s2
	v_mul_lo_u32 v17, v1, s3
	s_cbranch_scc1 .LBB109_100
; %bb.99:
	s_load_dwordx4 s[8:11], s[34:35], 0x10
	s_load_dwordx2 s[2:3], s[34:35], 0xcc
	s_waitcnt lgkmcnt(0)
	v_mul_hi_u32 v1, s9, v4
	v_add_u32_e32 v1, v4, v1
	v_lshrrev_b32_e32 v1, s10, v1
	v_mul_lo_u32 v1, v1, s8
	v_sub_u32_e32 v1, v4, v1
	v_mad_u64_u32 v[15:16], s[6:7], v1, s2, v[15:16]
	v_mad_u64_u32 v[17:18], s[2:3], v1, s3, v[17:18]
.LBB109_100:
	s_and_b64 vcc, exec, s[0:1]
	v_add_u32_e32 v1, 0x300, v19
	s_cbranch_vccnz .LBB109_106
; %bb.101:
	s_cmp_lg_u32 s33, 0
	s_mov_b32 s28, 0
	s_cbranch_scc0 .LBB109_107
; %bb.102:
	s_min_u32 s29, s58, 15
	s_add_i32 s29, s29, 1
	s_cmp_eq_u32 s58, 2
	s_cbranch_scc1 .LBB109_108
; %bb.103:
	s_and_b32 s28, s29, 28
	s_add_u32 s2, s34, 0xc4
	s_addc_u32 s3, s35, 0
	v_mov_b32_e32 v20, 0
	s_mov_b32 s30, 0
	s_mov_b64 s[6:7], s[34:35]
	v_mov_b32_e32 v18, 0
	v_mov_b32_e32 v4, v1
.LBB109_104:                            ; =>This Inner Loop Header: Depth=1
	s_load_dwordx8 s[16:23], s[6:7], 0x4
	s_load_dwordx4 s[24:27], s[6:7], 0x24
	s_load_dwordx8 s[8:15], s[2:3], 0x0
	s_add_u32 s6, s6, 48
	s_addc_u32 s7, s7, 0
	s_waitcnt lgkmcnt(0)
	v_mul_hi_u32 v7, s17, v4
	s_add_i32 s30, s30, 4
	s_add_u32 s2, s2, 32
	s_addc_u32 s3, s3, 0
	v_add_u32_e32 v7, v4, v7
	v_lshrrev_b32_e32 v7, s18, v7
	v_mul_lo_u32 v10, v7, s16
	v_mul_hi_u32 v13, s20, v7
	s_cmp_lg_u32 s28, s30
	v_sub_u32_e32 v4, v4, v10
	v_add_u32_e32 v10, v7, v13
	v_mul_lo_u32 v13, v4, s8
	v_mul_lo_u32 v16, v4, s9
	v_lshrrev_b32_e32 v4, s21, v10
	v_mul_lo_u32 v10, v4, s19
	v_mul_hi_u32 v19, s23, v4
	v_sub_u32_e32 v7, v7, v10
	v_add_u32_e32 v10, v4, v19
	v_lshrrev_b32_e32 v10, s24, v10
	v_mul_hi_u32 v21, s26, v10
	v_mul_lo_u32 v22, v10, s22
	v_mul_lo_u32 v19, v7, s10
	;; [unrolled: 1-line block ×3, first 2 shown]
	v_sub_u32_e32 v22, v4, v22
	v_add_u32_e32 v4, v10, v21
	v_lshrrev_b32_e32 v4, s27, v4
	v_mul_lo_u32 v21, v4, s25
	v_mul_lo_u32 v23, v22, s12
	;; [unrolled: 1-line block ×3, first 2 shown]
	v_add3_u32 v13, v13, v18, v19
	v_sub_u32_e32 v10, v10, v21
	v_mul_lo_u32 v21, v10, s14
	v_mul_lo_u32 v10, v10, s15
	v_add3_u32 v7, v16, v20, v7
	v_add3_u32 v18, v23, v13, v21
	;; [unrolled: 1-line block ×3, first 2 shown]
	s_cbranch_scc1 .LBB109_104
; %bb.105:
	s_and_b32 s8, s29, 3
	s_cmp_eq_u32 s8, 0
	s_cbranch_scc0 .LBB109_109
	s_branch .LBB109_111
.LBB109_106:
                                        ; implicit-def: $vgpr18
                                        ; implicit-def: $vgpr20
	s_branch .LBB109_112
.LBB109_107:
	v_mov_b32_e32 v18, 0
	v_mov_b32_e32 v20, 0
	s_branch .LBB109_111
.LBB109_108:
	v_mov_b32_e32 v18, 0
	v_mov_b32_e32 v20, 0
	;; [unrolled: 1-line block ×3, first 2 shown]
	s_and_b32 s8, s29, 3
	s_cmp_eq_u32 s8, 0
	s_cbranch_scc1 .LBB109_111
.LBB109_109:
	s_lshl_b32 s2, s28, 3
	s_add_u32 s2, s34, s2
	s_addc_u32 s3, s35, 0
	s_add_u32 s2, s2, 0xc4
	s_addc_u32 s3, s3, 0
	s_mul_i32 s6, s28, 12
	s_add_u32 s6, s34, s6
	s_addc_u32 s7, s35, 0
.LBB109_110:                            ; =>This Inner Loop Header: Depth=1
	s_load_dwordx2 s[10:11], s[6:7], 0x4
	s_load_dword s9, s[6:7], 0xc
	s_load_dwordx2 s[12:13], s[2:3], 0x0
	s_add_u32 s6, s6, 12
	s_addc_u32 s7, s7, 0
	s_waitcnt lgkmcnt(0)
	v_mul_hi_u32 v7, s11, v4
	s_add_u32 s2, s2, 8
	s_addc_u32 s3, s3, 0
	s_add_i32 s8, s8, -1
	v_add_u32_e32 v7, v4, v7
	v_lshrrev_b32_e32 v7, s9, v7
	v_mul_lo_u32 v10, v7, s10
	s_cmp_lg_u32 s8, 0
	v_sub_u32_e32 v4, v4, v10
	v_mad_u64_u32 v[18:19], s[10:11], v4, s12, v[18:19]
	v_mad_u64_u32 v[20:21], s[10:11], v4, s13, v[20:21]
	v_mov_b32_e32 v4, v7
	s_cbranch_scc1 .LBB109_110
.LBB109_111:
	s_cbranch_execnz .LBB109_114
.LBB109_112:
	s_load_dwordx4 s[8:11], s[34:35], 0x4
	s_load_dwordx2 s[2:3], s[34:35], 0xc4
	s_cmp_lt_u32 s33, 2
	s_waitcnt lgkmcnt(0)
	v_mul_hi_u32 v4, s9, v1
	v_add_u32_e32 v4, v1, v4
	v_lshrrev_b32_e32 v4, s10, v4
	v_mul_lo_u32 v7, v4, s8
	v_sub_u32_e32 v1, v1, v7
	v_mul_lo_u32 v18, v1, s2
	v_mul_lo_u32 v20, v1, s3
	s_cbranch_scc1 .LBB109_114
; %bb.113:
	s_load_dwordx4 s[8:11], s[34:35], 0x10
	s_load_dwordx2 s[2:3], s[34:35], 0xcc
	s_waitcnt lgkmcnt(0)
	v_mul_hi_u32 v1, s9, v4
	v_add_u32_e32 v1, v4, v1
	v_lshrrev_b32_e32 v1, s10, v1
	v_mul_lo_u32 v1, v1, s8
	v_sub_u32_e32 v1, v4, v1
	v_mad_u64_u32 v[18:19], s[6:7], v1, s2, v[18:19]
	v_mad_u64_u32 v[20:21], s[2:3], v1, s3, v[20:21]
.LBB109_114:
	s_and_b64 vcc, exec, s[0:1]
	s_cbranch_vccnz .LBB109_120
; %bb.115:
	s_cmp_lg_u32 s33, 0
	s_mov_b32 s26, 0
	s_cbranch_scc0 .LBB109_121
; %bb.116:
	s_min_u32 s27, s58, 15
	s_add_i32 s27, s27, 1
	s_cmp_eq_u32 s58, 2
	s_cbranch_scc1 .LBB109_122
; %bb.117:
	s_and_b32 s26, s27, 28
	s_add_u32 s6, s34, 0xc4
	s_addc_u32 s7, s35, 0
	v_mov_b32_e32 v23, 0
	s_mov_b32 s28, 0
	s_mov_b64 s[24:25], s[34:35]
	v_mov_b32_e32 v21, 0
	v_mov_b32_e32 v1, v25
.LBB109_118:                            ; =>This Inner Loop Header: Depth=1
	s_load_dwordx8 s[16:23], s[24:25], 0x4
	s_load_dwordx4 s[0:3], s[24:25], 0x24
	s_load_dwordx8 s[8:15], s[6:7], 0x0
	s_add_u32 s24, s24, 48
	s_addc_u32 s25, s25, 0
	s_waitcnt lgkmcnt(0)
	v_mul_hi_u32 v4, s17, v1
	s_add_i32 s28, s28, 4
	s_add_u32 s6, s6, 32
	s_addc_u32 s7, s7, 0
	v_add_u32_e32 v4, v1, v4
	v_lshrrev_b32_e32 v4, s18, v4
	v_mul_lo_u32 v7, v4, s16
	v_mul_hi_u32 v10, s20, v4
	s_cmp_lg_u32 s26, s28
	v_sub_u32_e32 v1, v1, v7
	v_add_u32_e32 v7, v4, v10
	v_mul_lo_u32 v10, v1, s8
	v_mul_lo_u32 v13, v1, s9
	v_lshrrev_b32_e32 v1, s21, v7
	v_mul_lo_u32 v7, v1, s19
	v_mul_hi_u32 v16, s23, v1
	v_sub_u32_e32 v4, v4, v7
	v_add_u32_e32 v7, v1, v16
	v_lshrrev_b32_e32 v7, s0, v7
	v_mul_hi_u32 v19, s2, v7
	v_mul_lo_u32 v22, v7, s22
	v_mul_lo_u32 v16, v4, s10
	;; [unrolled: 1-line block ×3, first 2 shown]
	v_sub_u32_e32 v22, v1, v22
	v_add_u32_e32 v1, v7, v19
	v_lshrrev_b32_e32 v1, s3, v1
	v_mul_lo_u32 v19, v1, s1
	v_mul_lo_u32 v24, v22, s12
	;; [unrolled: 1-line block ×3, first 2 shown]
	v_add3_u32 v10, v10, v21, v16
	v_sub_u32_e32 v7, v7, v19
	v_mul_lo_u32 v19, v7, s14
	v_mul_lo_u32 v7, v7, s15
	v_add3_u32 v4, v13, v23, v4
	v_add3_u32 v21, v24, v10, v19
	;; [unrolled: 1-line block ×3, first 2 shown]
	s_cbranch_scc1 .LBB109_118
; %bb.119:
	s_and_b32 s6, s27, 3
	s_cmp_eq_u32 s6, 0
	s_cbranch_scc0 .LBB109_123
	s_branch .LBB109_125
.LBB109_120:
                                        ; implicit-def: $vgpr21
                                        ; implicit-def: $vgpr23
	s_branch .LBB109_126
.LBB109_121:
	v_mov_b32_e32 v21, 0
	v_mov_b32_e32 v23, 0
	s_branch .LBB109_125
.LBB109_122:
	v_mov_b32_e32 v21, 0
	v_mov_b32_e32 v23, 0
	;; [unrolled: 1-line block ×3, first 2 shown]
	s_and_b32 s6, s27, 3
	s_cmp_eq_u32 s6, 0
	s_cbranch_scc1 .LBB109_125
.LBB109_123:
	s_lshl_b32 s0, s26, 3
	s_add_u32 s0, s34, s0
	s_addc_u32 s1, s35, 0
	s_add_u32 s0, s0, 0xc4
	s_addc_u32 s1, s1, 0
	s_mul_i32 s2, s26, 12
	s_add_u32 s2, s34, s2
	s_addc_u32 s3, s35, 0
.LBB109_124:                            ; =>This Inner Loop Header: Depth=1
	s_load_dwordx2 s[8:9], s[2:3], 0x4
	s_load_dword s7, s[2:3], 0xc
	s_load_dwordx2 s[10:11], s[0:1], 0x0
	s_add_u32 s2, s2, 12
	s_addc_u32 s3, s3, 0
	s_waitcnt lgkmcnt(0)
	v_mul_hi_u32 v4, s9, v1
	s_add_u32 s0, s0, 8
	s_addc_u32 s1, s1, 0
	s_add_i32 s6, s6, -1
	v_add_u32_e32 v4, v1, v4
	v_lshrrev_b32_e32 v4, s7, v4
	v_mul_lo_u32 v7, v4, s8
	s_cmp_lg_u32 s6, 0
	v_sub_u32_e32 v1, v1, v7
	v_mad_u64_u32 v[21:22], s[8:9], v1, s10, v[21:22]
	v_mad_u64_u32 v[23:24], s[8:9], v1, s11, v[23:24]
	v_mov_b32_e32 v1, v4
	s_cbranch_scc1 .LBB109_124
.LBB109_125:
	s_cbranch_execnz .LBB109_128
.LBB109_126:
	s_load_dwordx4 s[0:3], s[34:35], 0x4
	s_load_dwordx2 s[6:7], s[34:35], 0xc4
	s_cmp_lt_u32 s33, 2
	s_waitcnt lgkmcnt(0)
	v_mul_hi_u32 v1, s1, v25
	v_add_u32_e32 v1, v25, v1
	v_lshrrev_b32_e32 v1, s2, v1
	v_mul_lo_u32 v4, v1, s0
	v_sub_u32_e32 v4, v25, v4
	v_mul_lo_u32 v21, v4, s6
	v_mul_lo_u32 v23, v4, s7
	s_cbranch_scc1 .LBB109_128
; %bb.127:
	s_load_dwordx4 s[0:3], s[34:35], 0x10
	s_load_dwordx2 s[6:7], s[34:35], 0xcc
	s_waitcnt lgkmcnt(0)
	v_mul_hi_u32 v4, s1, v1
	v_add_u32_e32 v4, v1, v4
	v_lshrrev_b32_e32 v4, s2, v4
	v_mul_lo_u32 v4, v4, s0
	v_sub_u32_e32 v1, v1, v4
	v_mad_u64_u32 v[21:22], s[0:1], v1, s6, v[21:22]
	v_mad_u64_u32 v[23:24], s[0:1], v1, s7, v[23:24]
.LBB109_128:
	s_load_dwordx4 s[0:3], s[34:35], 0x148
	s_load_dword s6, s[4:5], 0x160
	s_waitcnt lgkmcnt(0)
	global_load_ushort v1, v2, s[2:3]
	global_load_ushort v4, v5, s[2:3]
	;; [unrolled: 1-line block ×8, first 2 shown]
	s_lshr_b32 s2, s6, 16
	s_cmp_gt_u32 s2, 15
	s_waitcnt vmcnt(7)
	v_lshlrev_b32_e32 v1, s2, v1
	s_waitcnt vmcnt(6)
	v_lshlrev_b32_e32 v2, s2, v4
	;; [unrolled: 2-line block ×8, first 2 shown]
	s_cselect_b64 s[2:3], -1, 0
	v_cndmask_b32_e64 v1, v1, 0, s[2:3]
	v_cndmask_b32_e64 v2, v2, 0, s[2:3]
	;; [unrolled: 1-line block ×8, first 2 shown]
	global_store_short v0, v1, s[0:1]
	global_store_short v3, v2, s[0:1]
	;; [unrolled: 1-line block ×8, first 2 shown]
	s_endpgm
.LBB109_129:
	v_mov_b32_e32 v0, 0
	v_mov_b32_e32 v2, 0
	s_branch .LBB109_135
.LBB109_130:
	v_mov_b32_e32 v0, 0
	v_mov_b32_e32 v2, 0
	s_branch .LBB109_151
.LBB109_131:
	s_mov_b32 s62, 0
	v_mov_b32_e32 v0, 0
	v_mov_b32_e32 v2, 0
	;; [unrolled: 1-line block ×3, first 2 shown]
.LBB109_132:
	s_and_b32 s12, s63, 3
	s_cmp_eq_u32 s12, 0
	s_cbranch_scc1 .LBB109_135
; %bb.133:
	s_lshl_b32 s8, s62, 3
	s_add_u32 s8, s34, s8
	s_addc_u32 s9, s35, 0
	s_add_u32 s8, s8, 0xc4
	s_addc_u32 s9, s9, 0
	s_mul_i32 s10, s62, 12
	s_add_u32 s10, s34, s10
	s_addc_u32 s11, s35, 0
.LBB109_134:                            ; =>This Inner Loop Header: Depth=1
	s_load_dwordx2 s[14:15], s[10:11], 0x4
	s_load_dword s13, s[10:11], 0xc
	s_load_dwordx2 s[16:17], s[8:9], 0x0
	s_add_u32 s10, s10, 12
	s_addc_u32 s11, s11, 0
	s_waitcnt lgkmcnt(0)
	v_mul_hi_u32 v3, s15, v1
	s_add_u32 s8, s8, 8
	s_addc_u32 s9, s9, 0
	s_add_i32 s12, s12, -1
	v_add_u32_e32 v3, v1, v3
	v_lshrrev_b32_e32 v4, s13, v3
	v_mul_lo_u32 v3, v4, s14
	s_cmp_lg_u32 s12, 0
	v_sub_u32_e32 v3, v1, v3
	v_mad_u64_u32 v[0:1], s[14:15], v3, s16, v[0:1]
	v_mad_u64_u32 v[2:3], s[14:15], v3, s17, v[2:3]
	v_mov_b32_e32 v1, v4
	s_cbranch_scc1 .LBB109_134
.LBB109_135:
	s_cbranch_execnz .LBB109_138
.LBB109_136:
	v_mul_hi_u32 v0, s25, v19
	s_andn2_b64 vcc, exec, s[46:47]
	v_add_u32_e32 v0, v19, v0
	v_lshrrev_b32_e32 v1, s26, v0
	v_mul_lo_u32 v0, v1, s24
	v_sub_u32_e32 v2, v19, v0
	v_mul_lo_u32 v0, v2, s28
	v_mul_lo_u32 v2, v2, s29
	s_cbranch_vccnz .LBB109_138
; %bb.137:
	v_mul_hi_u32 v3, s44, v1
	v_add_u32_e32 v3, v1, v3
	v_lshrrev_b32_e32 v3, s45, v3
	v_mul_lo_u32 v3, v3, s27
	v_sub_u32_e32 v3, v1, v3
	v_mad_u64_u32 v[0:1], s[8:9], v3, s30, v[0:1]
	v_mad_u64_u32 v[2:3], s[8:9], v3, s31, v[2:3]
.LBB109_138:
	global_load_ushort v1, v2, s[2:3]
	v_add_u32_e32 v19, 0x80, v19
	s_waitcnt vmcnt(0)
	v_lshlrev_b32_e32 v1, s59, v1
	v_cndmask_b32_e64 v1, v1, 0, s[42:43]
	global_store_short v0, v1, s[0:1]
	s_or_b64 exec, exec, s[52:53]
	v_cmp_gt_i32_e32 vcc, s60, v19
	s_and_saveexec_b64 s[52:53], vcc
	s_cbranch_execnz .LBB109_15
.LBB109_139:
	s_or_b64 exec, exec, s[52:53]
	v_cmp_gt_i32_e32 vcc, s60, v19
	s_and_saveexec_b64 s[52:53], vcc
	s_cbranch_execz .LBB109_155
.LBB109_140:
	s_andn2_b64 vcc, exec, s[6:7]
	s_cbranch_vccnz .LBB109_145
; %bb.141:
	s_andn2_b64 vcc, exec, s[50:51]
	s_cbranch_vccnz .LBB109_146
; %bb.142:
	s_add_i32 s63, s61, 1
	s_cmp_eq_u32 s58, 2
	s_cbranch_scc1 .LBB109_163
; %bb.143:
	s_and_b32 s62, s63, 28
	v_mov_b32_e32 v2, 0
	s_mov_b32 s64, 0
	s_mov_b64 s[54:55], s[34:35]
	s_mov_b64 s[56:57], s[48:49]
	v_mov_b32_e32 v0, 0
	v_mov_b32_e32 v1, v19
.LBB109_144:                            ; =>This Inner Loop Header: Depth=1
	s_load_dwordx8 s[16:23], s[54:55], 0x4
	s_load_dwordx4 s[36:39], s[54:55], 0x24
	s_load_dwordx8 s[8:15], s[56:57], 0x0
	s_add_u32 s54, s54, 48
	s_addc_u32 s55, s55, 0
	s_waitcnt lgkmcnt(0)
	v_mul_hi_u32 v3, s17, v1
	s_add_i32 s64, s64, 4
	s_add_u32 s56, s56, 32
	s_addc_u32 s57, s57, 0
	v_add_u32_e32 v3, v1, v3
	v_lshrrev_b32_e32 v3, s18, v3
	v_mul_lo_u32 v4, v3, s16
	v_mul_hi_u32 v5, s20, v3
	s_cmp_eq_u32 s62, s64
	v_sub_u32_e32 v1, v1, v4
	v_add_u32_e32 v4, v3, v5
	v_mul_lo_u32 v5, v1, s8
	v_mul_lo_u32 v6, v1, s9
	v_lshrrev_b32_e32 v1, s21, v4
	v_mul_lo_u32 v4, v1, s19
	v_mul_hi_u32 v7, s23, v1
	v_sub_u32_e32 v3, v3, v4
	v_add_u32_e32 v4, v1, v7
	v_lshrrev_b32_e32 v4, s36, v4
	v_mul_hi_u32 v8, s38, v4
	v_mul_lo_u32 v9, v4, s22
	v_mul_lo_u32 v7, v3, s10
	;; [unrolled: 1-line block ×3, first 2 shown]
	v_sub_u32_e32 v9, v1, v9
	v_add_u32_e32 v1, v4, v8
	v_lshrrev_b32_e32 v1, s39, v1
	v_mul_lo_u32 v8, v1, s37
	v_mul_lo_u32 v10, v9, s12
	;; [unrolled: 1-line block ×3, first 2 shown]
	v_add3_u32 v0, v5, v0, v7
	v_sub_u32_e32 v4, v4, v8
	v_mul_lo_u32 v8, v4, s14
	v_mul_lo_u32 v4, v4, s15
	v_add3_u32 v2, v6, v2, v3
	v_add3_u32 v0, v10, v0, v8
	;; [unrolled: 1-line block ×3, first 2 shown]
	s_cbranch_scc0 .LBB109_144
	s_branch .LBB109_164
.LBB109_145:
                                        ; implicit-def: $vgpr0
                                        ; implicit-def: $vgpr2
	s_branch .LBB109_168
.LBB109_146:
	v_mov_b32_e32 v0, 0
	v_mov_b32_e32 v2, 0
	s_branch .LBB109_167
.LBB109_147:
	s_mov_b32 s62, 0
	v_mov_b32_e32 v0, 0
	v_mov_b32_e32 v2, 0
	;; [unrolled: 1-line block ×3, first 2 shown]
.LBB109_148:
	s_and_b32 s12, s63, 3
	s_cmp_eq_u32 s12, 0
	s_cbranch_scc1 .LBB109_151
; %bb.149:
	s_lshl_b32 s8, s62, 3
	s_add_u32 s8, s34, s8
	s_addc_u32 s9, s35, 0
	s_add_u32 s8, s8, 0xc4
	s_addc_u32 s9, s9, 0
	s_mul_i32 s10, s62, 12
	s_add_u32 s10, s34, s10
	s_addc_u32 s11, s35, 0
.LBB109_150:                            ; =>This Inner Loop Header: Depth=1
	s_load_dwordx2 s[14:15], s[10:11], 0x4
	s_load_dword s13, s[10:11], 0xc
	s_load_dwordx2 s[16:17], s[8:9], 0x0
	s_add_u32 s10, s10, 12
	s_addc_u32 s11, s11, 0
	s_waitcnt lgkmcnt(0)
	v_mul_hi_u32 v3, s15, v1
	s_add_u32 s8, s8, 8
	s_addc_u32 s9, s9, 0
	s_add_i32 s12, s12, -1
	v_add_u32_e32 v3, v1, v3
	v_lshrrev_b32_e32 v4, s13, v3
	v_mul_lo_u32 v3, v4, s14
	s_cmp_lg_u32 s12, 0
	v_sub_u32_e32 v3, v1, v3
	v_mad_u64_u32 v[0:1], s[14:15], v3, s16, v[0:1]
	v_mad_u64_u32 v[2:3], s[14:15], v3, s17, v[2:3]
	v_mov_b32_e32 v1, v4
	s_cbranch_scc1 .LBB109_150
.LBB109_151:
	s_cbranch_execnz .LBB109_154
.LBB109_152:
	v_mul_hi_u32 v0, s25, v19
	s_andn2_b64 vcc, exec, s[46:47]
	v_add_u32_e32 v0, v19, v0
	v_lshrrev_b32_e32 v1, s26, v0
	v_mul_lo_u32 v0, v1, s24
	v_sub_u32_e32 v2, v19, v0
	v_mul_lo_u32 v0, v2, s28
	v_mul_lo_u32 v2, v2, s29
	s_cbranch_vccnz .LBB109_154
; %bb.153:
	v_mul_hi_u32 v3, s44, v1
	v_add_u32_e32 v3, v1, v3
	v_lshrrev_b32_e32 v3, s45, v3
	v_mul_lo_u32 v3, v3, s27
	v_sub_u32_e32 v3, v1, v3
	v_mad_u64_u32 v[0:1], s[8:9], v3, s30, v[0:1]
	v_mad_u64_u32 v[2:3], s[8:9], v3, s31, v[2:3]
.LBB109_154:
	global_load_ushort v1, v2, s[2:3]
	v_add_u32_e32 v19, 0x80, v19
	s_waitcnt vmcnt(0)
	v_lshlrev_b32_e32 v1, s59, v1
	v_cndmask_b32_e64 v1, v1, 0, s[42:43]
	global_store_short v0, v1, s[0:1]
	s_or_b64 exec, exec, s[52:53]
	v_cmp_gt_i32_e32 vcc, s60, v19
	s_and_saveexec_b64 s[52:53], vcc
	s_cbranch_execnz .LBB109_140
.LBB109_155:
	s_or_b64 exec, exec, s[52:53]
	v_cmp_gt_i32_e32 vcc, s60, v19
	s_and_saveexec_b64 s[52:53], vcc
	s_cbranch_execz .LBB109_171
.LBB109_156:
	s_andn2_b64 vcc, exec, s[6:7]
	s_cbranch_vccnz .LBB109_161
; %bb.157:
	s_andn2_b64 vcc, exec, s[50:51]
	s_cbranch_vccnz .LBB109_162
; %bb.158:
	s_add_i32 s63, s61, 1
	s_cmp_eq_u32 s58, 2
	s_cbranch_scc1 .LBB109_179
; %bb.159:
	s_and_b32 s62, s63, 28
	v_mov_b32_e32 v2, 0
	s_mov_b32 s64, 0
	s_mov_b64 s[54:55], s[34:35]
	s_mov_b64 s[56:57], s[48:49]
	v_mov_b32_e32 v0, 0
	v_mov_b32_e32 v1, v19
.LBB109_160:                            ; =>This Inner Loop Header: Depth=1
	s_load_dwordx8 s[16:23], s[54:55], 0x4
	s_load_dwordx4 s[36:39], s[54:55], 0x24
	s_load_dwordx8 s[8:15], s[56:57], 0x0
	s_add_u32 s54, s54, 48
	s_addc_u32 s55, s55, 0
	s_waitcnt lgkmcnt(0)
	v_mul_hi_u32 v3, s17, v1
	s_add_i32 s64, s64, 4
	s_add_u32 s56, s56, 32
	s_addc_u32 s57, s57, 0
	v_add_u32_e32 v3, v1, v3
	v_lshrrev_b32_e32 v3, s18, v3
	v_mul_lo_u32 v4, v3, s16
	v_mul_hi_u32 v5, s20, v3
	s_cmp_eq_u32 s62, s64
	v_sub_u32_e32 v1, v1, v4
	v_add_u32_e32 v4, v3, v5
	v_mul_lo_u32 v5, v1, s8
	v_mul_lo_u32 v6, v1, s9
	v_lshrrev_b32_e32 v1, s21, v4
	v_mul_lo_u32 v4, v1, s19
	v_mul_hi_u32 v7, s23, v1
	v_sub_u32_e32 v3, v3, v4
	v_add_u32_e32 v4, v1, v7
	v_lshrrev_b32_e32 v4, s36, v4
	v_mul_hi_u32 v8, s38, v4
	v_mul_lo_u32 v9, v4, s22
	v_mul_lo_u32 v7, v3, s10
	;; [unrolled: 1-line block ×3, first 2 shown]
	v_sub_u32_e32 v9, v1, v9
	v_add_u32_e32 v1, v4, v8
	v_lshrrev_b32_e32 v1, s39, v1
	v_mul_lo_u32 v8, v1, s37
	v_mul_lo_u32 v10, v9, s12
	;; [unrolled: 1-line block ×3, first 2 shown]
	v_add3_u32 v0, v5, v0, v7
	v_sub_u32_e32 v4, v4, v8
	v_mul_lo_u32 v8, v4, s14
	v_mul_lo_u32 v4, v4, s15
	v_add3_u32 v2, v6, v2, v3
	v_add3_u32 v0, v10, v0, v8
	;; [unrolled: 1-line block ×3, first 2 shown]
	s_cbranch_scc0 .LBB109_160
	s_branch .LBB109_180
.LBB109_161:
                                        ; implicit-def: $vgpr0
                                        ; implicit-def: $vgpr2
	s_branch .LBB109_184
.LBB109_162:
	v_mov_b32_e32 v0, 0
	v_mov_b32_e32 v2, 0
	s_branch .LBB109_183
.LBB109_163:
	s_mov_b32 s62, 0
	v_mov_b32_e32 v0, 0
	v_mov_b32_e32 v2, 0
	;; [unrolled: 1-line block ×3, first 2 shown]
.LBB109_164:
	s_and_b32 s12, s63, 3
	s_cmp_eq_u32 s12, 0
	s_cbranch_scc1 .LBB109_167
; %bb.165:
	s_lshl_b32 s8, s62, 3
	s_add_u32 s8, s34, s8
	s_addc_u32 s9, s35, 0
	s_add_u32 s8, s8, 0xc4
	s_addc_u32 s9, s9, 0
	s_mul_i32 s10, s62, 12
	s_add_u32 s10, s34, s10
	s_addc_u32 s11, s35, 0
.LBB109_166:                            ; =>This Inner Loop Header: Depth=1
	s_load_dwordx2 s[14:15], s[10:11], 0x4
	s_load_dword s13, s[10:11], 0xc
	s_load_dwordx2 s[16:17], s[8:9], 0x0
	s_add_u32 s10, s10, 12
	s_addc_u32 s11, s11, 0
	s_waitcnt lgkmcnt(0)
	v_mul_hi_u32 v3, s15, v1
	s_add_u32 s8, s8, 8
	s_addc_u32 s9, s9, 0
	s_add_i32 s12, s12, -1
	v_add_u32_e32 v3, v1, v3
	v_lshrrev_b32_e32 v4, s13, v3
	v_mul_lo_u32 v3, v4, s14
	s_cmp_lg_u32 s12, 0
	v_sub_u32_e32 v3, v1, v3
	v_mad_u64_u32 v[0:1], s[14:15], v3, s16, v[0:1]
	v_mad_u64_u32 v[2:3], s[14:15], v3, s17, v[2:3]
	v_mov_b32_e32 v1, v4
	s_cbranch_scc1 .LBB109_166
.LBB109_167:
	s_cbranch_execnz .LBB109_170
.LBB109_168:
	v_mul_hi_u32 v0, s25, v19
	s_andn2_b64 vcc, exec, s[46:47]
	v_add_u32_e32 v0, v19, v0
	v_lshrrev_b32_e32 v1, s26, v0
	v_mul_lo_u32 v0, v1, s24
	v_sub_u32_e32 v2, v19, v0
	v_mul_lo_u32 v0, v2, s28
	v_mul_lo_u32 v2, v2, s29
	s_cbranch_vccnz .LBB109_170
; %bb.169:
	v_mul_hi_u32 v3, s44, v1
	v_add_u32_e32 v3, v1, v3
	v_lshrrev_b32_e32 v3, s45, v3
	v_mul_lo_u32 v3, v3, s27
	v_sub_u32_e32 v3, v1, v3
	v_mad_u64_u32 v[0:1], s[8:9], v3, s30, v[0:1]
	v_mad_u64_u32 v[2:3], s[8:9], v3, s31, v[2:3]
.LBB109_170:
	global_load_ushort v1, v2, s[2:3]
	v_add_u32_e32 v19, 0x80, v19
	s_waitcnt vmcnt(0)
	v_lshlrev_b32_e32 v1, s59, v1
	v_cndmask_b32_e64 v1, v1, 0, s[42:43]
	global_store_short v0, v1, s[0:1]
	s_or_b64 exec, exec, s[52:53]
	v_cmp_gt_i32_e32 vcc, s60, v19
	s_and_saveexec_b64 s[52:53], vcc
	s_cbranch_execnz .LBB109_156
.LBB109_171:
	s_or_b64 exec, exec, s[52:53]
	v_cmp_gt_i32_e32 vcc, s60, v19
	s_and_saveexec_b64 s[52:53], vcc
	s_cbranch_execz .LBB109_187
.LBB109_172:
	s_andn2_b64 vcc, exec, s[6:7]
	s_cbranch_vccnz .LBB109_177
; %bb.173:
	s_andn2_b64 vcc, exec, s[50:51]
	s_cbranch_vccnz .LBB109_178
; %bb.174:
	s_add_i32 s63, s61, 1
	s_cmp_eq_u32 s58, 2
	s_cbranch_scc1 .LBB109_195
; %bb.175:
	s_and_b32 s62, s63, 28
	v_mov_b32_e32 v2, 0
	s_mov_b32 s64, 0
	s_mov_b64 s[54:55], s[34:35]
	s_mov_b64 s[56:57], s[48:49]
	v_mov_b32_e32 v0, 0
	v_mov_b32_e32 v1, v19
.LBB109_176:                            ; =>This Inner Loop Header: Depth=1
	s_load_dwordx8 s[16:23], s[54:55], 0x4
	s_load_dwordx4 s[36:39], s[54:55], 0x24
	s_load_dwordx8 s[8:15], s[56:57], 0x0
	s_add_u32 s54, s54, 48
	s_addc_u32 s55, s55, 0
	s_waitcnt lgkmcnt(0)
	v_mul_hi_u32 v3, s17, v1
	s_add_i32 s64, s64, 4
	s_add_u32 s56, s56, 32
	s_addc_u32 s57, s57, 0
	v_add_u32_e32 v3, v1, v3
	v_lshrrev_b32_e32 v3, s18, v3
	v_mul_lo_u32 v4, v3, s16
	v_mul_hi_u32 v5, s20, v3
	s_cmp_eq_u32 s62, s64
	v_sub_u32_e32 v1, v1, v4
	v_add_u32_e32 v4, v3, v5
	v_mul_lo_u32 v5, v1, s8
	v_mul_lo_u32 v6, v1, s9
	v_lshrrev_b32_e32 v1, s21, v4
	v_mul_lo_u32 v4, v1, s19
	v_mul_hi_u32 v7, s23, v1
	v_sub_u32_e32 v3, v3, v4
	v_add_u32_e32 v4, v1, v7
	v_lshrrev_b32_e32 v4, s36, v4
	v_mul_hi_u32 v8, s38, v4
	v_mul_lo_u32 v9, v4, s22
	v_mul_lo_u32 v7, v3, s10
	;; [unrolled: 1-line block ×3, first 2 shown]
	v_sub_u32_e32 v9, v1, v9
	v_add_u32_e32 v1, v4, v8
	v_lshrrev_b32_e32 v1, s39, v1
	v_mul_lo_u32 v8, v1, s37
	v_mul_lo_u32 v10, v9, s12
	;; [unrolled: 1-line block ×3, first 2 shown]
	v_add3_u32 v0, v5, v0, v7
	v_sub_u32_e32 v4, v4, v8
	v_mul_lo_u32 v8, v4, s14
	v_mul_lo_u32 v4, v4, s15
	v_add3_u32 v2, v6, v2, v3
	v_add3_u32 v0, v10, v0, v8
	;; [unrolled: 1-line block ×3, first 2 shown]
	s_cbranch_scc0 .LBB109_176
	s_branch .LBB109_196
.LBB109_177:
                                        ; implicit-def: $vgpr0
                                        ; implicit-def: $vgpr2
	s_branch .LBB109_200
.LBB109_178:
	v_mov_b32_e32 v0, 0
	v_mov_b32_e32 v2, 0
	s_branch .LBB109_199
.LBB109_179:
	s_mov_b32 s62, 0
	v_mov_b32_e32 v0, 0
	v_mov_b32_e32 v2, 0
	;; [unrolled: 1-line block ×3, first 2 shown]
.LBB109_180:
	s_and_b32 s12, s63, 3
	s_cmp_eq_u32 s12, 0
	s_cbranch_scc1 .LBB109_183
; %bb.181:
	s_lshl_b32 s8, s62, 3
	s_add_u32 s8, s34, s8
	s_addc_u32 s9, s35, 0
	s_add_u32 s8, s8, 0xc4
	s_addc_u32 s9, s9, 0
	s_mul_i32 s10, s62, 12
	s_add_u32 s10, s34, s10
	s_addc_u32 s11, s35, 0
.LBB109_182:                            ; =>This Inner Loop Header: Depth=1
	s_load_dwordx2 s[14:15], s[10:11], 0x4
	s_load_dword s13, s[10:11], 0xc
	s_load_dwordx2 s[16:17], s[8:9], 0x0
	s_add_u32 s10, s10, 12
	s_addc_u32 s11, s11, 0
	s_waitcnt lgkmcnt(0)
	v_mul_hi_u32 v3, s15, v1
	s_add_u32 s8, s8, 8
	s_addc_u32 s9, s9, 0
	s_add_i32 s12, s12, -1
	v_add_u32_e32 v3, v1, v3
	v_lshrrev_b32_e32 v4, s13, v3
	v_mul_lo_u32 v3, v4, s14
	s_cmp_lg_u32 s12, 0
	v_sub_u32_e32 v3, v1, v3
	v_mad_u64_u32 v[0:1], s[14:15], v3, s16, v[0:1]
	v_mad_u64_u32 v[2:3], s[14:15], v3, s17, v[2:3]
	v_mov_b32_e32 v1, v4
	s_cbranch_scc1 .LBB109_182
.LBB109_183:
	s_cbranch_execnz .LBB109_186
.LBB109_184:
	v_mul_hi_u32 v0, s25, v19
	s_andn2_b64 vcc, exec, s[46:47]
	v_add_u32_e32 v0, v19, v0
	v_lshrrev_b32_e32 v1, s26, v0
	v_mul_lo_u32 v0, v1, s24
	v_sub_u32_e32 v2, v19, v0
	v_mul_lo_u32 v0, v2, s28
	v_mul_lo_u32 v2, v2, s29
	s_cbranch_vccnz .LBB109_186
; %bb.185:
	v_mul_hi_u32 v3, s44, v1
	v_add_u32_e32 v3, v1, v3
	v_lshrrev_b32_e32 v3, s45, v3
	v_mul_lo_u32 v3, v3, s27
	v_sub_u32_e32 v3, v1, v3
	v_mad_u64_u32 v[0:1], s[8:9], v3, s30, v[0:1]
	v_mad_u64_u32 v[2:3], s[8:9], v3, s31, v[2:3]
.LBB109_186:
	global_load_ushort v1, v2, s[2:3]
	v_add_u32_e32 v19, 0x80, v19
	s_waitcnt vmcnt(0)
	v_lshlrev_b32_e32 v1, s59, v1
	v_cndmask_b32_e64 v1, v1, 0, s[42:43]
	global_store_short v0, v1, s[0:1]
	s_or_b64 exec, exec, s[52:53]
	v_cmp_gt_i32_e32 vcc, s60, v19
	s_and_saveexec_b64 s[52:53], vcc
	s_cbranch_execnz .LBB109_172
.LBB109_187:
	s_or_b64 exec, exec, s[52:53]
	v_cmp_gt_i32_e32 vcc, s60, v19
	s_and_saveexec_b64 s[52:53], vcc
	s_cbranch_execz .LBB109_203
.LBB109_188:
	s_andn2_b64 vcc, exec, s[6:7]
	s_cbranch_vccnz .LBB109_193
; %bb.189:
	s_andn2_b64 vcc, exec, s[50:51]
	s_cbranch_vccnz .LBB109_194
; %bb.190:
	s_add_i32 s63, s61, 1
	s_cmp_eq_u32 s58, 2
	s_cbranch_scc1 .LBB109_211
; %bb.191:
	s_and_b32 s62, s63, 28
	v_mov_b32_e32 v2, 0
	s_mov_b32 s64, 0
	s_mov_b64 s[54:55], s[34:35]
	s_mov_b64 s[56:57], s[48:49]
	v_mov_b32_e32 v0, 0
	v_mov_b32_e32 v1, v19
.LBB109_192:                            ; =>This Inner Loop Header: Depth=1
	s_load_dwordx8 s[16:23], s[54:55], 0x4
	s_load_dwordx4 s[36:39], s[54:55], 0x24
	s_load_dwordx8 s[8:15], s[56:57], 0x0
	s_add_u32 s54, s54, 48
	s_addc_u32 s55, s55, 0
	s_waitcnt lgkmcnt(0)
	v_mul_hi_u32 v3, s17, v1
	s_add_i32 s64, s64, 4
	s_add_u32 s56, s56, 32
	s_addc_u32 s57, s57, 0
	v_add_u32_e32 v3, v1, v3
	v_lshrrev_b32_e32 v3, s18, v3
	v_mul_lo_u32 v4, v3, s16
	v_mul_hi_u32 v5, s20, v3
	s_cmp_eq_u32 s62, s64
	v_sub_u32_e32 v1, v1, v4
	v_add_u32_e32 v4, v3, v5
	v_mul_lo_u32 v5, v1, s8
	v_mul_lo_u32 v6, v1, s9
	v_lshrrev_b32_e32 v1, s21, v4
	v_mul_lo_u32 v4, v1, s19
	v_mul_hi_u32 v7, s23, v1
	v_sub_u32_e32 v3, v3, v4
	v_add_u32_e32 v4, v1, v7
	v_lshrrev_b32_e32 v4, s36, v4
	v_mul_hi_u32 v8, s38, v4
	v_mul_lo_u32 v9, v4, s22
	v_mul_lo_u32 v7, v3, s10
	;; [unrolled: 1-line block ×3, first 2 shown]
	v_sub_u32_e32 v9, v1, v9
	v_add_u32_e32 v1, v4, v8
	v_lshrrev_b32_e32 v1, s39, v1
	v_mul_lo_u32 v8, v1, s37
	v_mul_lo_u32 v10, v9, s12
	;; [unrolled: 1-line block ×3, first 2 shown]
	v_add3_u32 v0, v5, v0, v7
	v_sub_u32_e32 v4, v4, v8
	v_mul_lo_u32 v8, v4, s14
	v_mul_lo_u32 v4, v4, s15
	v_add3_u32 v2, v6, v2, v3
	v_add3_u32 v0, v10, v0, v8
	;; [unrolled: 1-line block ×3, first 2 shown]
	s_cbranch_scc0 .LBB109_192
	s_branch .LBB109_212
.LBB109_193:
                                        ; implicit-def: $vgpr0
                                        ; implicit-def: $vgpr2
	s_branch .LBB109_216
.LBB109_194:
	v_mov_b32_e32 v0, 0
	v_mov_b32_e32 v2, 0
	s_branch .LBB109_215
.LBB109_195:
	s_mov_b32 s62, 0
	v_mov_b32_e32 v0, 0
	v_mov_b32_e32 v2, 0
	;; [unrolled: 1-line block ×3, first 2 shown]
.LBB109_196:
	s_and_b32 s12, s63, 3
	s_cmp_eq_u32 s12, 0
	s_cbranch_scc1 .LBB109_199
; %bb.197:
	s_lshl_b32 s8, s62, 3
	s_add_u32 s8, s34, s8
	s_addc_u32 s9, s35, 0
	s_add_u32 s8, s8, 0xc4
	s_addc_u32 s9, s9, 0
	s_mul_i32 s10, s62, 12
	s_add_u32 s10, s34, s10
	s_addc_u32 s11, s35, 0
.LBB109_198:                            ; =>This Inner Loop Header: Depth=1
	s_load_dwordx2 s[14:15], s[10:11], 0x4
	s_load_dword s13, s[10:11], 0xc
	s_load_dwordx2 s[16:17], s[8:9], 0x0
	s_add_u32 s10, s10, 12
	s_addc_u32 s11, s11, 0
	s_waitcnt lgkmcnt(0)
	v_mul_hi_u32 v3, s15, v1
	s_add_u32 s8, s8, 8
	s_addc_u32 s9, s9, 0
	s_add_i32 s12, s12, -1
	v_add_u32_e32 v3, v1, v3
	v_lshrrev_b32_e32 v4, s13, v3
	v_mul_lo_u32 v3, v4, s14
	s_cmp_lg_u32 s12, 0
	v_sub_u32_e32 v3, v1, v3
	v_mad_u64_u32 v[0:1], s[14:15], v3, s16, v[0:1]
	v_mad_u64_u32 v[2:3], s[14:15], v3, s17, v[2:3]
	v_mov_b32_e32 v1, v4
	s_cbranch_scc1 .LBB109_198
.LBB109_199:
	s_cbranch_execnz .LBB109_202
.LBB109_200:
	v_mul_hi_u32 v0, s25, v19
	s_andn2_b64 vcc, exec, s[46:47]
	v_add_u32_e32 v0, v19, v0
	v_lshrrev_b32_e32 v1, s26, v0
	v_mul_lo_u32 v0, v1, s24
	v_sub_u32_e32 v2, v19, v0
	v_mul_lo_u32 v0, v2, s28
	v_mul_lo_u32 v2, v2, s29
	s_cbranch_vccnz .LBB109_202
; %bb.201:
	v_mul_hi_u32 v3, s44, v1
	v_add_u32_e32 v3, v1, v3
	v_lshrrev_b32_e32 v3, s45, v3
	v_mul_lo_u32 v3, v3, s27
	v_sub_u32_e32 v3, v1, v3
	v_mad_u64_u32 v[0:1], s[8:9], v3, s30, v[0:1]
	v_mad_u64_u32 v[2:3], s[8:9], v3, s31, v[2:3]
.LBB109_202:
	global_load_ushort v1, v2, s[2:3]
	v_add_u32_e32 v19, 0x80, v19
	s_waitcnt vmcnt(0)
	v_lshlrev_b32_e32 v1, s59, v1
	v_cndmask_b32_e64 v1, v1, 0, s[42:43]
	global_store_short v0, v1, s[0:1]
	s_or_b64 exec, exec, s[52:53]
	v_cmp_gt_i32_e32 vcc, s60, v19
	s_and_saveexec_b64 s[52:53], vcc
	s_cbranch_execnz .LBB109_188
.LBB109_203:
	s_or_b64 exec, exec, s[52:53]
	v_cmp_gt_i32_e32 vcc, s60, v19
	s_and_saveexec_b64 s[52:53], vcc
	s_cbranch_execz .LBB109_219
.LBB109_204:
	s_andn2_b64 vcc, exec, s[6:7]
	s_cbranch_vccnz .LBB109_209
; %bb.205:
	s_andn2_b64 vcc, exec, s[50:51]
	s_cbranch_vccnz .LBB109_210
; %bb.206:
	s_add_i32 s63, s61, 1
	s_cmp_eq_u32 s58, 2
	s_cbranch_scc1 .LBB109_222
; %bb.207:
	s_and_b32 s62, s63, 28
	v_mov_b32_e32 v2, 0
	s_mov_b32 s64, 0
	s_mov_b64 s[54:55], s[34:35]
	s_mov_b64 s[56:57], s[48:49]
	v_mov_b32_e32 v0, 0
	v_mov_b32_e32 v1, v19
.LBB109_208:                            ; =>This Inner Loop Header: Depth=1
	s_load_dwordx8 s[16:23], s[54:55], 0x4
	s_load_dwordx4 s[36:39], s[54:55], 0x24
	s_load_dwordx8 s[8:15], s[56:57], 0x0
	s_add_u32 s54, s54, 48
	s_addc_u32 s55, s55, 0
	s_waitcnt lgkmcnt(0)
	v_mul_hi_u32 v3, s17, v1
	s_add_i32 s64, s64, 4
	s_add_u32 s56, s56, 32
	s_addc_u32 s57, s57, 0
	v_add_u32_e32 v3, v1, v3
	v_lshrrev_b32_e32 v3, s18, v3
	v_mul_lo_u32 v4, v3, s16
	v_mul_hi_u32 v5, s20, v3
	s_cmp_eq_u32 s62, s64
	v_sub_u32_e32 v1, v1, v4
	v_add_u32_e32 v4, v3, v5
	v_mul_lo_u32 v5, v1, s8
	v_mul_lo_u32 v6, v1, s9
	v_lshrrev_b32_e32 v1, s21, v4
	v_mul_lo_u32 v4, v1, s19
	v_mul_hi_u32 v7, s23, v1
	v_sub_u32_e32 v3, v3, v4
	v_add_u32_e32 v4, v1, v7
	v_lshrrev_b32_e32 v4, s36, v4
	v_mul_hi_u32 v8, s38, v4
	v_mul_lo_u32 v9, v4, s22
	v_mul_lo_u32 v7, v3, s10
	;; [unrolled: 1-line block ×3, first 2 shown]
	v_sub_u32_e32 v9, v1, v9
	v_add_u32_e32 v1, v4, v8
	v_lshrrev_b32_e32 v1, s39, v1
	v_mul_lo_u32 v8, v1, s37
	v_mul_lo_u32 v10, v9, s12
	;; [unrolled: 1-line block ×3, first 2 shown]
	v_add3_u32 v0, v5, v0, v7
	v_sub_u32_e32 v4, v4, v8
	v_mul_lo_u32 v8, v4, s14
	v_mul_lo_u32 v4, v4, s15
	v_add3_u32 v2, v6, v2, v3
	v_add3_u32 v0, v10, v0, v8
	;; [unrolled: 1-line block ×3, first 2 shown]
	s_cbranch_scc0 .LBB109_208
	s_branch .LBB109_223
.LBB109_209:
                                        ; implicit-def: $vgpr0
                                        ; implicit-def: $vgpr2
	s_branch .LBB109_227
.LBB109_210:
	v_mov_b32_e32 v0, 0
	v_mov_b32_e32 v2, 0
	s_branch .LBB109_226
.LBB109_211:
	s_mov_b32 s62, 0
	v_mov_b32_e32 v0, 0
	v_mov_b32_e32 v2, 0
	;; [unrolled: 1-line block ×3, first 2 shown]
.LBB109_212:
	s_and_b32 s12, s63, 3
	s_cmp_eq_u32 s12, 0
	s_cbranch_scc1 .LBB109_215
; %bb.213:
	s_lshl_b32 s8, s62, 3
	s_add_u32 s8, s34, s8
	s_addc_u32 s9, s35, 0
	s_add_u32 s8, s8, 0xc4
	s_addc_u32 s9, s9, 0
	s_mul_i32 s10, s62, 12
	s_add_u32 s10, s34, s10
	s_addc_u32 s11, s35, 0
.LBB109_214:                            ; =>This Inner Loop Header: Depth=1
	s_load_dwordx2 s[14:15], s[10:11], 0x4
	s_load_dword s13, s[10:11], 0xc
	s_load_dwordx2 s[16:17], s[8:9], 0x0
	s_add_u32 s10, s10, 12
	s_addc_u32 s11, s11, 0
	s_waitcnt lgkmcnt(0)
	v_mul_hi_u32 v3, s15, v1
	s_add_u32 s8, s8, 8
	s_addc_u32 s9, s9, 0
	s_add_i32 s12, s12, -1
	v_add_u32_e32 v3, v1, v3
	v_lshrrev_b32_e32 v4, s13, v3
	v_mul_lo_u32 v3, v4, s14
	s_cmp_lg_u32 s12, 0
	v_sub_u32_e32 v3, v1, v3
	v_mad_u64_u32 v[0:1], s[14:15], v3, s16, v[0:1]
	v_mad_u64_u32 v[2:3], s[14:15], v3, s17, v[2:3]
	v_mov_b32_e32 v1, v4
	s_cbranch_scc1 .LBB109_214
.LBB109_215:
	s_cbranch_execnz .LBB109_218
.LBB109_216:
	v_mul_hi_u32 v0, s25, v19
	s_andn2_b64 vcc, exec, s[46:47]
	v_add_u32_e32 v0, v19, v0
	v_lshrrev_b32_e32 v1, s26, v0
	v_mul_lo_u32 v0, v1, s24
	v_sub_u32_e32 v2, v19, v0
	v_mul_lo_u32 v0, v2, s28
	v_mul_lo_u32 v2, v2, s29
	s_cbranch_vccnz .LBB109_218
; %bb.217:
	v_mul_hi_u32 v3, s44, v1
	v_add_u32_e32 v3, v1, v3
	v_lshrrev_b32_e32 v3, s45, v3
	v_mul_lo_u32 v3, v3, s27
	v_sub_u32_e32 v3, v1, v3
	v_mad_u64_u32 v[0:1], s[8:9], v3, s30, v[0:1]
	v_mad_u64_u32 v[2:3], s[8:9], v3, s31, v[2:3]
.LBB109_218:
	global_load_ushort v1, v2, s[2:3]
	v_add_u32_e32 v19, 0x80, v19
	s_waitcnt vmcnt(0)
	v_lshlrev_b32_e32 v1, s59, v1
	v_cndmask_b32_e64 v1, v1, 0, s[42:43]
	global_store_short v0, v1, s[0:1]
	s_or_b64 exec, exec, s[52:53]
	v_cmp_gt_i32_e32 vcc, s60, v19
	s_and_saveexec_b64 s[52:53], vcc
	s_cbranch_execnz .LBB109_204
.LBB109_219:
	s_or_b64 exec, exec, s[52:53]
	v_cmp_gt_i32_e32 vcc, s60, v19
	s_and_saveexec_b64 s[52:53], vcc
	s_cbranch_execnz .LBB109_230
.LBB109_220:
	s_or_b64 exec, exec, s[52:53]
                                        ; implicit-def: $vgpr25
                                        ; implicit-def: $vgpr19
	s_andn2_saveexec_b64 s[0:1], s[40:41]
	s_cbranch_execnz .LBB109_8
.LBB109_221:
	s_endpgm
.LBB109_222:
	s_mov_b32 s62, 0
	v_mov_b32_e32 v0, 0
	v_mov_b32_e32 v2, 0
	;; [unrolled: 1-line block ×3, first 2 shown]
.LBB109_223:
	s_and_b32 s12, s63, 3
	s_cmp_eq_u32 s12, 0
	s_cbranch_scc1 .LBB109_226
; %bb.224:
	s_lshl_b32 s8, s62, 3
	s_add_u32 s8, s34, s8
	s_addc_u32 s9, s35, 0
	s_add_u32 s8, s8, 0xc4
	s_addc_u32 s9, s9, 0
	s_mul_i32 s10, s62, 12
	s_add_u32 s10, s34, s10
	s_addc_u32 s11, s35, 0
.LBB109_225:                            ; =>This Inner Loop Header: Depth=1
	s_load_dwordx2 s[14:15], s[10:11], 0x4
	s_load_dword s13, s[10:11], 0xc
	s_load_dwordx2 s[16:17], s[8:9], 0x0
	s_add_u32 s10, s10, 12
	s_addc_u32 s11, s11, 0
	s_waitcnt lgkmcnt(0)
	v_mul_hi_u32 v3, s15, v1
	s_add_u32 s8, s8, 8
	s_addc_u32 s9, s9, 0
	s_add_i32 s12, s12, -1
	v_add_u32_e32 v3, v1, v3
	v_lshrrev_b32_e32 v4, s13, v3
	v_mul_lo_u32 v3, v4, s14
	s_cmp_lg_u32 s12, 0
	v_sub_u32_e32 v3, v1, v3
	v_mad_u64_u32 v[0:1], s[14:15], v3, s16, v[0:1]
	v_mad_u64_u32 v[2:3], s[14:15], v3, s17, v[2:3]
	v_mov_b32_e32 v1, v4
	s_cbranch_scc1 .LBB109_225
.LBB109_226:
	s_cbranch_execnz .LBB109_229
.LBB109_227:
	v_mul_hi_u32 v0, s25, v19
	s_andn2_b64 vcc, exec, s[46:47]
	v_add_u32_e32 v0, v19, v0
	v_lshrrev_b32_e32 v1, s26, v0
	v_mul_lo_u32 v0, v1, s24
	v_sub_u32_e32 v2, v19, v0
	v_mul_lo_u32 v0, v2, s28
	v_mul_lo_u32 v2, v2, s29
	s_cbranch_vccnz .LBB109_229
; %bb.228:
	v_mul_hi_u32 v3, s44, v1
	v_add_u32_e32 v3, v1, v3
	v_lshrrev_b32_e32 v3, s45, v3
	v_mul_lo_u32 v3, v3, s27
	v_sub_u32_e32 v3, v1, v3
	v_mad_u64_u32 v[0:1], s[8:9], v3, s30, v[0:1]
	v_mad_u64_u32 v[2:3], s[8:9], v3, s31, v[2:3]
.LBB109_229:
	global_load_ushort v1, v2, s[2:3]
	v_add_u32_e32 v19, 0x80, v19
	s_waitcnt vmcnt(0)
	v_lshlrev_b32_e32 v1, s59, v1
	v_cndmask_b32_e64 v1, v1, 0, s[42:43]
	global_store_short v0, v1, s[0:1]
	s_or_b64 exec, exec, s[52:53]
	v_cmp_gt_i32_e32 vcc, s60, v19
	s_and_saveexec_b64 s[52:53], vcc
	s_cbranch_execz .LBB109_220
.LBB109_230:
	s_andn2_b64 vcc, exec, s[6:7]
	s_cbranch_vccnz .LBB109_235
; %bb.231:
	s_andn2_b64 vcc, exec, s[50:51]
	s_cbranch_vccnz .LBB109_236
; %bb.232:
	s_add_i32 s61, s61, 1
	s_cmp_eq_u32 s58, 2
	s_cbranch_scc1 .LBB109_237
; %bb.233:
	s_and_b32 s54, s61, 28
	v_mov_b32_e32 v2, 0
	s_mov_b32 s55, 0
	s_mov_b64 s[50:51], s[34:35]
	v_mov_b32_e32 v0, 0
	v_mov_b32_e32 v1, v19
.LBB109_234:                            ; =>This Inner Loop Header: Depth=1
	s_load_dwordx8 s[16:23], s[50:51], 0x4
	s_load_dwordx4 s[36:39], s[50:51], 0x24
	s_load_dwordx8 s[8:15], s[48:49], 0x0
	s_add_u32 s50, s50, 48
	s_addc_u32 s51, s51, 0
	s_waitcnt lgkmcnt(0)
	v_mul_hi_u32 v3, s17, v1
	s_add_i32 s55, s55, 4
	s_add_u32 s48, s48, 32
	s_addc_u32 s49, s49, 0
	v_add_u32_e32 v3, v1, v3
	v_lshrrev_b32_e32 v3, s18, v3
	v_mul_lo_u32 v4, v3, s16
	v_mul_hi_u32 v5, s20, v3
	s_cmp_eq_u32 s54, s55
	v_sub_u32_e32 v1, v1, v4
	v_add_u32_e32 v4, v3, v5
	v_mul_lo_u32 v5, v1, s8
	v_mul_lo_u32 v6, v1, s9
	v_lshrrev_b32_e32 v1, s21, v4
	v_mul_lo_u32 v4, v1, s19
	v_mul_hi_u32 v7, s23, v1
	v_sub_u32_e32 v3, v3, v4
	v_add_u32_e32 v4, v1, v7
	v_lshrrev_b32_e32 v4, s36, v4
	v_mul_hi_u32 v8, s38, v4
	v_mul_lo_u32 v9, v4, s22
	v_mul_lo_u32 v7, v3, s10
	;; [unrolled: 1-line block ×3, first 2 shown]
	v_sub_u32_e32 v9, v1, v9
	v_add_u32_e32 v1, v4, v8
	v_lshrrev_b32_e32 v1, s39, v1
	v_mul_lo_u32 v8, v1, s37
	v_mul_lo_u32 v10, v9, s12
	;; [unrolled: 1-line block ×3, first 2 shown]
	v_add3_u32 v0, v5, v0, v7
	v_sub_u32_e32 v4, v4, v8
	v_mul_lo_u32 v8, v4, s14
	v_mul_lo_u32 v4, v4, s15
	v_add3_u32 v2, v6, v2, v3
	v_add3_u32 v0, v10, v0, v8
	;; [unrolled: 1-line block ×3, first 2 shown]
	s_cbranch_scc0 .LBB109_234
	s_branch .LBB109_238
.LBB109_235:
                                        ; implicit-def: $vgpr0
                                        ; implicit-def: $vgpr2
	s_branch .LBB109_242
.LBB109_236:
	v_mov_b32_e32 v0, 0
	v_mov_b32_e32 v2, 0
	s_branch .LBB109_241
.LBB109_237:
	s_mov_b32 s54, 0
	v_mov_b32_e32 v0, 0
	v_mov_b32_e32 v2, 0
	;; [unrolled: 1-line block ×3, first 2 shown]
.LBB109_238:
	s_and_b32 s12, s61, 3
	s_cmp_eq_u32 s12, 0
	s_cbranch_scc1 .LBB109_241
; %bb.239:
	s_lshl_b32 s8, s54, 3
	s_add_u32 s8, s34, s8
	s_addc_u32 s9, s35, 0
	s_add_u32 s8, s8, 0xc4
	s_addc_u32 s9, s9, 0
	s_mul_i32 s10, s54, 12
	s_add_u32 s10, s34, s10
	s_addc_u32 s11, s35, 0
.LBB109_240:                            ; =>This Inner Loop Header: Depth=1
	s_load_dwordx2 s[14:15], s[10:11], 0x4
	s_load_dword s13, s[10:11], 0xc
	s_load_dwordx2 s[16:17], s[8:9], 0x0
	s_add_u32 s10, s10, 12
	s_addc_u32 s11, s11, 0
	s_waitcnt lgkmcnt(0)
	v_mul_hi_u32 v3, s15, v1
	s_add_u32 s8, s8, 8
	s_addc_u32 s9, s9, 0
	s_add_i32 s12, s12, -1
	v_add_u32_e32 v3, v1, v3
	v_lshrrev_b32_e32 v4, s13, v3
	v_mul_lo_u32 v3, v4, s14
	s_cmp_lg_u32 s12, 0
	v_sub_u32_e32 v3, v1, v3
	v_mad_u64_u32 v[0:1], s[14:15], v3, s16, v[0:1]
	v_mad_u64_u32 v[2:3], s[14:15], v3, s17, v[2:3]
	v_mov_b32_e32 v1, v4
	s_cbranch_scc1 .LBB109_240
.LBB109_241:
	s_cbranch_execnz .LBB109_244
.LBB109_242:
	v_mul_hi_u32 v0, s25, v19
	s_andn2_b64 vcc, exec, s[46:47]
	v_add_u32_e32 v0, v19, v0
	v_lshrrev_b32_e32 v1, s26, v0
	v_mul_lo_u32 v0, v1, s24
	v_sub_u32_e32 v2, v19, v0
	v_mul_lo_u32 v0, v2, s28
	v_mul_lo_u32 v2, v2, s29
	s_cbranch_vccnz .LBB109_244
; %bb.243:
	v_mul_hi_u32 v3, s44, v1
	v_add_u32_e32 v3, v1, v3
	v_lshrrev_b32_e32 v3, s45, v3
	v_mul_lo_u32 v3, v3, s27
	v_sub_u32_e32 v3, v1, v3
	v_mad_u64_u32 v[0:1], s[8:9], v3, s30, v[0:1]
	v_mad_u64_u32 v[2:3], s[8:9], v3, s31, v[2:3]
.LBB109_244:
	global_load_ushort v1, v2, s[2:3]
	s_waitcnt vmcnt(0)
	v_lshlrev_b32_e32 v1, s59, v1
	v_cndmask_b32_e64 v1, v1, 0, s[42:43]
	global_store_short v0, v1, s[0:1]
	s_or_b64 exec, exec, s[52:53]
                                        ; implicit-def: $vgpr25
                                        ; implicit-def: $vgpr19
	s_andn2_saveexec_b64 s[0:1], s[40:41]
	s_cbranch_execz .LBB109_221
	s_branch .LBB109_8
	.section	.rodata,"a",@progbits
	.p2align	6, 0x0
	.amdhsa_kernel _ZN2at6native32elementwise_kernel_manual_unrollILi128ELi8EZNS0_22gpu_kernel_impl_nocastINS0_13BUnaryFunctorIsssZZZNS0_18lshift_kernel_cudaERNS_18TensorIteratorBaseEENKUlvE_clEvENKUlvE3_clEvEUlssE_EEEEvS5_RKT_EUlibE_EEviT1_
		.amdhsa_group_segment_fixed_size 0
		.amdhsa_private_segment_fixed_size 0
		.amdhsa_kernarg_size 360
		.amdhsa_user_sgpr_count 6
		.amdhsa_user_sgpr_private_segment_buffer 1
		.amdhsa_user_sgpr_dispatch_ptr 0
		.amdhsa_user_sgpr_queue_ptr 0
		.amdhsa_user_sgpr_kernarg_segment_ptr 1
		.amdhsa_user_sgpr_dispatch_id 0
		.amdhsa_user_sgpr_flat_scratch_init 0
		.amdhsa_user_sgpr_private_segment_size 0
		.amdhsa_uses_dynamic_stack 0
		.amdhsa_system_sgpr_private_segment_wavefront_offset 0
		.amdhsa_system_sgpr_workgroup_id_x 1
		.amdhsa_system_sgpr_workgroup_id_y 0
		.amdhsa_system_sgpr_workgroup_id_z 0
		.amdhsa_system_sgpr_workgroup_info 0
		.amdhsa_system_vgpr_workitem_id 0
		.amdhsa_next_free_vgpr 26
		.amdhsa_next_free_sgpr 65
		.amdhsa_reserve_vcc 1
		.amdhsa_reserve_flat_scratch 0
		.amdhsa_float_round_mode_32 0
		.amdhsa_float_round_mode_16_64 0
		.amdhsa_float_denorm_mode_32 3
		.amdhsa_float_denorm_mode_16_64 3
		.amdhsa_dx10_clamp 1
		.amdhsa_ieee_mode 1
		.amdhsa_fp16_overflow 0
		.amdhsa_exception_fp_ieee_invalid_op 0
		.amdhsa_exception_fp_denorm_src 0
		.amdhsa_exception_fp_ieee_div_zero 0
		.amdhsa_exception_fp_ieee_overflow 0
		.amdhsa_exception_fp_ieee_underflow 0
		.amdhsa_exception_fp_ieee_inexact 0
		.amdhsa_exception_int_div_zero 0
	.end_amdhsa_kernel
	.section	.text._ZN2at6native32elementwise_kernel_manual_unrollILi128ELi8EZNS0_22gpu_kernel_impl_nocastINS0_13BUnaryFunctorIsssZZZNS0_18lshift_kernel_cudaERNS_18TensorIteratorBaseEENKUlvE_clEvENKUlvE3_clEvEUlssE_EEEEvS5_RKT_EUlibE_EEviT1_,"axG",@progbits,_ZN2at6native32elementwise_kernel_manual_unrollILi128ELi8EZNS0_22gpu_kernel_impl_nocastINS0_13BUnaryFunctorIsssZZZNS0_18lshift_kernel_cudaERNS_18TensorIteratorBaseEENKUlvE_clEvENKUlvE3_clEvEUlssE_EEEEvS5_RKT_EUlibE_EEviT1_,comdat
.Lfunc_end109:
	.size	_ZN2at6native32elementwise_kernel_manual_unrollILi128ELi8EZNS0_22gpu_kernel_impl_nocastINS0_13BUnaryFunctorIsssZZZNS0_18lshift_kernel_cudaERNS_18TensorIteratorBaseEENKUlvE_clEvENKUlvE3_clEvEUlssE_EEEEvS5_RKT_EUlibE_EEviT1_, .Lfunc_end109-_ZN2at6native32elementwise_kernel_manual_unrollILi128ELi8EZNS0_22gpu_kernel_impl_nocastINS0_13BUnaryFunctorIsssZZZNS0_18lshift_kernel_cudaERNS_18TensorIteratorBaseEENKUlvE_clEvENKUlvE3_clEvEUlssE_EEEEvS5_RKT_EUlibE_EEviT1_
                                        ; -- End function
	.set _ZN2at6native32elementwise_kernel_manual_unrollILi128ELi8EZNS0_22gpu_kernel_impl_nocastINS0_13BUnaryFunctorIsssZZZNS0_18lshift_kernel_cudaERNS_18TensorIteratorBaseEENKUlvE_clEvENKUlvE3_clEvEUlssE_EEEEvS5_RKT_EUlibE_EEviT1_.num_vgpr, 26
	.set _ZN2at6native32elementwise_kernel_manual_unrollILi128ELi8EZNS0_22gpu_kernel_impl_nocastINS0_13BUnaryFunctorIsssZZZNS0_18lshift_kernel_cudaERNS_18TensorIteratorBaseEENKUlvE_clEvENKUlvE3_clEvEUlssE_EEEEvS5_RKT_EUlibE_EEviT1_.num_agpr, 0
	.set _ZN2at6native32elementwise_kernel_manual_unrollILi128ELi8EZNS0_22gpu_kernel_impl_nocastINS0_13BUnaryFunctorIsssZZZNS0_18lshift_kernel_cudaERNS_18TensorIteratorBaseEENKUlvE_clEvENKUlvE3_clEvEUlssE_EEEEvS5_RKT_EUlibE_EEviT1_.numbered_sgpr, 65
	.set _ZN2at6native32elementwise_kernel_manual_unrollILi128ELi8EZNS0_22gpu_kernel_impl_nocastINS0_13BUnaryFunctorIsssZZZNS0_18lshift_kernel_cudaERNS_18TensorIteratorBaseEENKUlvE_clEvENKUlvE3_clEvEUlssE_EEEEvS5_RKT_EUlibE_EEviT1_.num_named_barrier, 0
	.set _ZN2at6native32elementwise_kernel_manual_unrollILi128ELi8EZNS0_22gpu_kernel_impl_nocastINS0_13BUnaryFunctorIsssZZZNS0_18lshift_kernel_cudaERNS_18TensorIteratorBaseEENKUlvE_clEvENKUlvE3_clEvEUlssE_EEEEvS5_RKT_EUlibE_EEviT1_.private_seg_size, 0
	.set _ZN2at6native32elementwise_kernel_manual_unrollILi128ELi8EZNS0_22gpu_kernel_impl_nocastINS0_13BUnaryFunctorIsssZZZNS0_18lshift_kernel_cudaERNS_18TensorIteratorBaseEENKUlvE_clEvENKUlvE3_clEvEUlssE_EEEEvS5_RKT_EUlibE_EEviT1_.uses_vcc, 1
	.set _ZN2at6native32elementwise_kernel_manual_unrollILi128ELi8EZNS0_22gpu_kernel_impl_nocastINS0_13BUnaryFunctorIsssZZZNS0_18lshift_kernel_cudaERNS_18TensorIteratorBaseEENKUlvE_clEvENKUlvE3_clEvEUlssE_EEEEvS5_RKT_EUlibE_EEviT1_.uses_flat_scratch, 0
	.set _ZN2at6native32elementwise_kernel_manual_unrollILi128ELi8EZNS0_22gpu_kernel_impl_nocastINS0_13BUnaryFunctorIsssZZZNS0_18lshift_kernel_cudaERNS_18TensorIteratorBaseEENKUlvE_clEvENKUlvE3_clEvEUlssE_EEEEvS5_RKT_EUlibE_EEviT1_.has_dyn_sized_stack, 0
	.set _ZN2at6native32elementwise_kernel_manual_unrollILi128ELi8EZNS0_22gpu_kernel_impl_nocastINS0_13BUnaryFunctorIsssZZZNS0_18lshift_kernel_cudaERNS_18TensorIteratorBaseEENKUlvE_clEvENKUlvE3_clEvEUlssE_EEEEvS5_RKT_EUlibE_EEviT1_.has_recursion, 0
	.set _ZN2at6native32elementwise_kernel_manual_unrollILi128ELi8EZNS0_22gpu_kernel_impl_nocastINS0_13BUnaryFunctorIsssZZZNS0_18lshift_kernel_cudaERNS_18TensorIteratorBaseEENKUlvE_clEvENKUlvE3_clEvEUlssE_EEEEvS5_RKT_EUlibE_EEviT1_.has_indirect_call, 0
	.section	.AMDGPU.csdata,"",@progbits
; Kernel info:
; codeLenInByte = 11340
; TotalNumSgprs: 69
; NumVgprs: 26
; ScratchSize: 0
; MemoryBound: 0
; FloatMode: 240
; IeeeMode: 1
; LDSByteSize: 0 bytes/workgroup (compile time only)
; SGPRBlocks: 8
; VGPRBlocks: 6
; NumSGPRsForWavesPerEU: 69
; NumVGPRsForWavesPerEU: 26
; Occupancy: 9
; WaveLimiterHint : 1
; COMPUTE_PGM_RSRC2:SCRATCH_EN: 0
; COMPUTE_PGM_RSRC2:USER_SGPR: 6
; COMPUTE_PGM_RSRC2:TRAP_HANDLER: 0
; COMPUTE_PGM_RSRC2:TGID_X_EN: 1
; COMPUTE_PGM_RSRC2:TGID_Y_EN: 0
; COMPUTE_PGM_RSRC2:TGID_Z_EN: 0
; COMPUTE_PGM_RSRC2:TIDIG_COMP_CNT: 0
	.section	.text._ZN2at6native32elementwise_kernel_manual_unrollILi128ELi4EZNS0_15gpu_kernel_implINS0_13BUnaryFunctorIsssZZZNS0_18lshift_kernel_cudaERNS_18TensorIteratorBaseEENKUlvE_clEvENKUlvE3_clEvEUlssE_EEEEvS5_RKT_EUlibE_EEviT1_,"axG",@progbits,_ZN2at6native32elementwise_kernel_manual_unrollILi128ELi4EZNS0_15gpu_kernel_implINS0_13BUnaryFunctorIsssZZZNS0_18lshift_kernel_cudaERNS_18TensorIteratorBaseEENKUlvE_clEvENKUlvE3_clEvEUlssE_EEEEvS5_RKT_EUlibE_EEviT1_,comdat
	.globl	_ZN2at6native32elementwise_kernel_manual_unrollILi128ELi4EZNS0_15gpu_kernel_implINS0_13BUnaryFunctorIsssZZZNS0_18lshift_kernel_cudaERNS_18TensorIteratorBaseEENKUlvE_clEvENKUlvE3_clEvEUlssE_EEEEvS5_RKT_EUlibE_EEviT1_ ; -- Begin function _ZN2at6native32elementwise_kernel_manual_unrollILi128ELi4EZNS0_15gpu_kernel_implINS0_13BUnaryFunctorIsssZZZNS0_18lshift_kernel_cudaERNS_18TensorIteratorBaseEENKUlvE_clEvENKUlvE3_clEvEUlssE_EEEEvS5_RKT_EUlibE_EEviT1_
	.p2align	8
	.type	_ZN2at6native32elementwise_kernel_manual_unrollILi128ELi4EZNS0_15gpu_kernel_implINS0_13BUnaryFunctorIsssZZZNS0_18lshift_kernel_cudaERNS_18TensorIteratorBaseEENKUlvE_clEvENKUlvE3_clEvEUlssE_EEEEvS5_RKT_EUlibE_EEviT1_,@function
_ZN2at6native32elementwise_kernel_manual_unrollILi128ELi4EZNS0_15gpu_kernel_implINS0_13BUnaryFunctorIsssZZZNS0_18lshift_kernel_cudaERNS_18TensorIteratorBaseEENKUlvE_clEvENKUlvE3_clEvEUlssE_EEEEvS5_RKT_EUlibE_EEviT1_: ; @_ZN2at6native32elementwise_kernel_manual_unrollILi128ELi4EZNS0_15gpu_kernel_implINS0_13BUnaryFunctorIsssZZZNS0_18lshift_kernel_cudaERNS_18TensorIteratorBaseEENKUlvE_clEvENKUlvE3_clEvEUlssE_EEEEvS5_RKT_EUlibE_EEviT1_
; %bb.0:
	s_load_dwordx8 s[8:15], s[4:5], 0x8
	s_load_dword s42, s[4:5], 0x0
	v_lshl_or_b32 v9, s6, 9, v0
	v_or_b32_e32 v0, 0x180, v9
	s_mov_b64 s[2:3], 0
	s_waitcnt lgkmcnt(0)
	s_lshr_b32 s14, s14, 16
	s_bfe_u32 s33, s15, 0x80008
	v_cmp_le_i32_e32 vcc, s42, v0
	s_mov_b64 s[6:7], 0
	s_and_saveexec_b64 s[0:1], vcc
	s_xor_b64 s[4:5], exec, s[0:1]
	s_cbranch_execz .LBB110_1011
; %bb.1:
	s_and_b32 s46, 0xffff, s14
	s_cmp_gt_u32 s46, 15
	s_cselect_b64 s[6:7], -1, 0
	v_cmp_gt_i32_e32 vcc, s42, v9
	s_mov_b64 s[22:23], -1
	s_mov_b64 s[24:25], 0
	s_mov_b64 s[18:19], 0
	;; [unrolled: 1-line block ×3, first 2 shown]
	s_and_saveexec_b64 s[20:21], vcc
	s_cbranch_execz .LBB110_248
; %bb.2:
	v_mul_lo_u32 v0, v9, s13
	v_mov_b32_e32 v1, s11
	s_and_b32 s22, 0xffff, s33
	s_cmp_lt_i32 s22, 11
	v_ashrrev_i32_e32 v2, 31, v0
	v_add_co_u32_e32 v0, vcc, s10, v0
	v_addc_co_u32_e32 v1, vcc, v1, v2, vcc
	s_cbranch_scc1 .LBB110_9
; %bb.3:
	s_cmp_gt_i32 s22, 25
	s_cbranch_scc0 .LBB110_18
; %bb.4:
	s_cmp_gt_i32 s22, 28
	s_cbranch_scc0 .LBB110_22
	;; [unrolled: 3-line block ×4, first 2 shown]
; %bb.7:
	s_cmp_eq_u32 s22, 46
	s_cbranch_scc0 .LBB110_28
; %bb.8:
	global_load_dword v2, v[0:1], off
	s_mov_b64 s[0:1], -1
	s_waitcnt vmcnt(0)
	v_lshlrev_b32_e32 v2, 16, v2
	v_cvt_i32_f32_e32 v2, v2
	s_branch .LBB110_30
.LBB110_9:
                                        ; implicit-def: $vgpr2
	s_mov_b64 s[0:1], 0
	s_cbranch_execnz .LBB110_199
.LBB110_10:
	s_andn2_b64 vcc, exec, s[0:1]
	s_cbranch_vccnz .LBB110_246
.LBB110_11:
	v_mul_lo_u32 v0, v9, s12
	s_waitcnt vmcnt(0)
	v_lshlrev_b32_e32 v1, s46, v2
	v_mov_b32_e32 v2, s9
	v_cndmask_b32_e64 v4, v1, 0, s[6:7]
	v_ashrrev_i32_e32 v1, 31, v0
	s_and_b32 s28, s15, 0xff
	v_add_co_u32_e32 v0, vcc, s8, v0
	s_cmp_lt_i32 s28, 11
	v_addc_co_u32_e32 v1, vcc, v2, v1, vcc
	s_cbranch_scc1 .LBB110_19
; %bb.12:
	s_and_b32 s29, 0xffff, s28
	s_cmp_gt_i32 s29, 25
	s_cbranch_scc0 .LBB110_23
; %bb.13:
	s_cmp_gt_i32 s29, 28
	s_cbranch_scc0 .LBB110_25
; %bb.14:
	;; [unrolled: 3-line block ×4, first 2 shown]
	s_mov_b64 s[22:23], 0
	s_mov_b64 s[0:1], -1
	s_cmp_eq_u32 s29, 46
	s_mov_b64 s[16:17], 0
	s_cbranch_scc0 .LBB110_34
; %bb.17:
	v_cvt_f32_i32_sdwa v2, sext(v4) dst_sel:DWORD dst_unused:UNUSED_PAD src0_sel:WORD_0
	s_movk_i32 s0, 0x7fff
	s_mov_b64 s[16:17], -1
	v_bfe_u32 v3, v2, 16, 1
	v_add3_u32 v2, v2, v3, s0
	v_lshrrev_b32_e32 v2, 16, v2
	global_store_dword v[0:1], v2, off
	s_mov_b64 s[0:1], 0
	s_branch .LBB110_34
.LBB110_18:
	s_mov_b64 s[0:1], 0
                                        ; implicit-def: $vgpr2
	s_cbranch_execnz .LBB110_166
	s_branch .LBB110_198
.LBB110_19:
	s_mov_b64 s[0:1], 0
	s_mov_b64 s[16:17], 0
	s_cbranch_execnz .LBB110_103
.LBB110_20:
	s_andn2_b64 vcc, exec, s[16:17]
	s_cbranch_vccnz .LBB110_141
.LBB110_21:
	v_add_u32_e32 v9, 0x80, v9
	s_mov_b64 s[22:23], -1
	s_branch .LBB110_247
.LBB110_22:
	s_mov_b64 s[16:17], -1
	s_mov_b64 s[0:1], 0
                                        ; implicit-def: $vgpr2
	s_branch .LBB110_149
.LBB110_23:
	s_mov_b64 s[22:23], -1
	s_mov_b64 s[0:1], 0
	s_mov_b64 s[16:17], 0
	s_branch .LBB110_61
.LBB110_24:
	s_mov_b64 s[16:17], -1
	s_mov_b64 s[0:1], 0
                                        ; implicit-def: $vgpr2
	s_branch .LBB110_144
.LBB110_25:
	s_mov_b64 s[22:23], -1
	s_mov_b64 s[0:1], 0
	s_mov_b64 s[16:17], 0
	s_branch .LBB110_44
.LBB110_26:
	s_mov_b64 s[16:17], -1
	s_branch .LBB110_29
.LBB110_27:
	s_mov_b64 s[22:23], -1
	s_mov_b64 s[0:1], 0
	s_mov_b64 s[16:17], 0
	s_branch .LBB110_40
.LBB110_28:
	s_mov_b64 s[18:19], -1
.LBB110_29:
	s_mov_b64 s[0:1], 0
                                        ; implicit-def: $vgpr2
.LBB110_30:
	s_and_b64 vcc, exec, s[16:17]
	s_cbranch_vccz .LBB110_143
; %bb.31:
	s_cmp_eq_u32 s22, 44
	s_cbranch_scc0 .LBB110_142
; %bb.32:
	global_load_ubyte v2, v[0:1], off
	s_mov_b64 s[0:1], -1
	s_mov_b64 s[18:19], 0
	s_waitcnt vmcnt(0)
	v_lshlrev_b32_e32 v3, 23, v2
	v_cvt_i32_f32_e32 v3, v3
	v_cmp_ne_u32_e32 vcc, 0, v2
	v_cndmask_b32_e32 v2, 0, v3, vcc
	s_branch .LBB110_143
.LBB110_33:
	s_mov_b64 s[22:23], -1
	s_mov_b64 s[0:1], 0
	s_mov_b64 s[16:17], 0
.LBB110_34:
	s_and_b64 vcc, exec, s[22:23]
	s_cbranch_vccz .LBB110_39
; %bb.35:
	s_cmp_eq_u32 s29, 44
	s_mov_b64 s[0:1], -1
	s_cbranch_scc0 .LBB110_39
; %bb.36:
	v_cvt_f32_i32_sdwa v2, sext(v4) dst_sel:DWORD dst_unused:UNUSED_PAD src0_sel:WORD_0
	s_movk_i32 s0, 0xff
	v_mov_b32_e32 v5, 0xff
	v_bfe_u32 v3, v2, 23, 8
	v_cmp_ne_u32_e32 vcc, s0, v3
	s_and_saveexec_b64 s[16:17], vcc
; %bb.37:
	s_mov_b32 s0, 0x3fffff
	v_lshrrev_b32_e32 v5, 23, v2
	v_and_b32_e32 v6, 0x400000, v2
	v_and_or_b32 v2, v2, s0, v3
	v_cmp_ne_u32_e32 vcc, 0, v6
	v_cmp_ne_u32_e64 s[0:1], 0, v2
	s_and_b64 s[0:1], vcc, s[0:1]
	v_cndmask_b32_e64 v2, 0, 1, s[0:1]
	v_add_u32_e32 v5, v5, v2
; %bb.38:
	s_or_b64 exec, exec, s[16:17]
	s_mov_b64 s[16:17], -1
	s_mov_b64 s[0:1], 0
	global_store_byte v[0:1], v5, off
.LBB110_39:
	s_mov_b64 s[22:23], 0
.LBB110_40:
	s_and_b64 vcc, exec, s[22:23]
	s_cbranch_vccz .LBB110_43
; %bb.41:
	s_cmp_eq_u32 s29, 29
	s_mov_b64 s[0:1], -1
	s_cbranch_scc0 .LBB110_43
; %bb.42:
	v_bfe_i32 v2, v4, 0, 16
	v_ashrrev_i32_e32 v3, 31, v2
	global_store_dwordx2 v[0:1], v[2:3], off
	s_mov_b64 s[16:17], -1
	s_mov_b64 s[0:1], 0
.LBB110_43:
	s_mov_b64 s[22:23], 0
.LBB110_44:
	s_and_b64 vcc, exec, s[22:23]
	s_cbranch_vccz .LBB110_60
; %bb.45:
	s_cmp_lt_i32 s29, 27
	s_mov_b64 s[16:17], -1
	s_cbranch_scc1 .LBB110_51
; %bb.46:
	s_cmp_gt_i32 s29, 27
	s_cbranch_scc0 .LBB110_48
; %bb.47:
	v_bfe_i32 v2, v4, 0, 16
	s_mov_b64 s[16:17], 0
	global_store_dword v[0:1], v2, off
.LBB110_48:
	s_andn2_b64 vcc, exec, s[16:17]
	s_cbranch_vccnz .LBB110_50
; %bb.49:
	global_store_short v[0:1], v4, off
.LBB110_50:
	s_mov_b64 s[16:17], 0
.LBB110_51:
	s_andn2_b64 vcc, exec, s[16:17]
	s_cbranch_vccnz .LBB110_59
; %bb.52:
	v_cvt_f32_i32_sdwa v2, sext(v4) dst_sel:DWORD dst_unused:UNUSED_PAD src0_sel:WORD_0
	s_mov_b32 s16, 0x43800000
	v_mov_b32_e32 v5, 0x80
	v_and_b32_e32 v3, 0x7fffffff, v2
	v_cmp_gt_u32_e32 vcc, s16, v3
	s_and_saveexec_b64 s[16:17], vcc
	s_cbranch_execz .LBB110_58
; %bb.53:
	s_mov_b32 s22, 0x3bffffff
	v_cmp_lt_u32_e32 vcc, s22, v3
	s_mov_b64 s[22:23], 0
                                        ; implicit-def: $vgpr3
	s_and_saveexec_b64 s[26:27], vcc
	s_xor_b64 s[26:27], exec, s[26:27]
	s_cbranch_execz .LBB110_275
; %bb.54:
	v_bfe_u32 v3, v2, 20, 1
	s_mov_b32 s30, 0x487ffff
	v_add3_u32 v3, v2, v3, s30
	s_mov_b64 s[22:23], exec
	v_lshrrev_b32_e32 v3, 20, v3
	s_andn2_saveexec_b64 s[26:27], s[26:27]
	s_cbranch_execnz .LBB110_276
.LBB110_55:
	s_or_b64 exec, exec, s[26:27]
	v_mov_b32_e32 v5, 0
	s_and_saveexec_b64 s[26:27], s[22:23]
.LBB110_56:
	v_lshrrev_b32_e32 v2, 24, v2
	s_movk_i32 s22, 0x80
	v_and_or_b32 v5, v2, s22, v3
.LBB110_57:
	s_or_b64 exec, exec, s[26:27]
.LBB110_58:
	s_or_b64 exec, exec, s[16:17]
	global_store_byte v[0:1], v5, off
.LBB110_59:
	s_mov_b64 s[16:17], -1
.LBB110_60:
	s_mov_b64 s[22:23], 0
.LBB110_61:
	s_and_b64 vcc, exec, s[22:23]
	s_cbranch_vccz .LBB110_102
; %bb.62:
	s_cmp_gt_i32 s29, 22
	s_mov_b64 s[22:23], -1
	s_cbranch_scc0 .LBB110_94
; %bb.63:
	s_cmp_lt_i32 s29, 24
	s_mov_b64 s[16:17], -1
	s_cbranch_scc1 .LBB110_83
; %bb.64:
	s_cmp_gt_i32 s29, 24
	s_cbranch_scc0 .LBB110_72
; %bb.65:
	v_cvt_f32_i32_sdwa v2, sext(v4) dst_sel:DWORD dst_unused:UNUSED_PAD src0_sel:WORD_0
	s_mov_b32 s16, 0x47800000
	v_mov_b32_e32 v5, 0x80
	v_and_b32_e32 v3, 0x7fffffff, v2
	v_cmp_gt_u32_e32 vcc, s16, v3
	s_and_saveexec_b64 s[16:17], vcc
	s_cbranch_execz .LBB110_71
; %bb.66:
	s_mov_b32 s22, 0x37ffffff
	v_cmp_lt_u32_e32 vcc, s22, v3
	s_mov_b64 s[22:23], 0
                                        ; implicit-def: $vgpr3
	s_and_saveexec_b64 s[26:27], vcc
	s_xor_b64 s[26:27], exec, s[26:27]
	s_cbranch_execz .LBB110_279
; %bb.67:
	v_bfe_u32 v3, v2, 21, 1
	s_mov_b32 s30, 0x88fffff
	v_add3_u32 v3, v2, v3, s30
	s_mov_b64 s[22:23], exec
	v_lshrrev_b32_e32 v3, 21, v3
	s_andn2_saveexec_b64 s[26:27], s[26:27]
	s_cbranch_execnz .LBB110_280
.LBB110_68:
	s_or_b64 exec, exec, s[26:27]
	v_mov_b32_e32 v5, 0
	s_and_saveexec_b64 s[26:27], s[22:23]
.LBB110_69:
	v_lshrrev_b32_e32 v2, 24, v2
	s_movk_i32 s22, 0x80
	v_and_or_b32 v5, v2, s22, v3
.LBB110_70:
	s_or_b64 exec, exec, s[26:27]
.LBB110_71:
	s_or_b64 exec, exec, s[16:17]
	s_mov_b64 s[16:17], 0
	global_store_byte v[0:1], v5, off
.LBB110_72:
	s_and_b64 vcc, exec, s[16:17]
	s_cbranch_vccz .LBB110_82
; %bb.73:
	v_cvt_f32_i32_sdwa v2, sext(v4) dst_sel:DWORD dst_unused:UNUSED_PAD src0_sel:WORD_0
	s_mov_b32 s16, 0x43f00000
                                        ; implicit-def: $vgpr3
	v_and_b32_e32 v5, 0x7fffffff, v2
	v_cmp_gt_u32_e32 vcc, s16, v5
	s_and_saveexec_b64 s[16:17], vcc
	s_xor_b64 s[16:17], exec, s[16:17]
	s_cbranch_execz .LBB110_79
; %bb.74:
	s_mov_b32 s22, 0x3c7fffff
	v_cmp_lt_u32_e32 vcc, s22, v5
                                        ; implicit-def: $vgpr3
	s_and_saveexec_b64 s[22:23], vcc
	s_xor_b64 s[22:23], exec, s[22:23]
; %bb.75:
	v_bfe_u32 v3, v2, 20, 1
	s_mov_b32 s26, 0x407ffff
	v_add3_u32 v3, v2, v3, s26
	v_lshrrev_b32_e32 v5, 20, v3
	v_and_b32_e32 v3, 0xff00000, v3
	s_mov_b32 s26, 0x7f00000
	v_mov_b32_e32 v6, 0x7e
	v_cmp_ne_u32_e32 vcc, s26, v3
	v_cndmask_b32_e32 v3, v6, v5, vcc
; %bb.76:
	s_andn2_saveexec_b64 s[22:23], s[22:23]
; %bb.77:
	s_mov_b32 s26, 0x46800000
	v_add_f32_e64 v3, |v2|, s26
; %bb.78:
	s_or_b64 exec, exec, s[22:23]
                                        ; implicit-def: $vgpr5
.LBB110_79:
	s_andn2_saveexec_b64 s[16:17], s[16:17]
; %bb.80:
	s_mov_b32 s22, 0x7f800000
	v_mov_b32_e32 v3, 0x7e
	v_mov_b32_e32 v6, 0x7f
	v_cmp_lt_u32_e32 vcc, s22, v5
	v_cndmask_b32_e32 v3, v3, v6, vcc
; %bb.81:
	s_or_b64 exec, exec, s[16:17]
	v_lshrrev_b32_e32 v2, 24, v2
	s_movk_i32 s16, 0x80
	v_and_or_b32 v2, v2, s16, v3
	global_store_byte v[0:1], v2, off
.LBB110_82:
	s_mov_b64 s[16:17], 0
.LBB110_83:
	s_andn2_b64 vcc, exec, s[16:17]
	s_cbranch_vccnz .LBB110_93
; %bb.84:
	v_cvt_f32_i32_sdwa v2, sext(v4) dst_sel:DWORD dst_unused:UNUSED_PAD src0_sel:WORD_0
	s_mov_b32 s16, 0x47800000
                                        ; implicit-def: $vgpr3
	v_and_b32_e32 v5, 0x7fffffff, v2
	v_cmp_gt_u32_e32 vcc, s16, v5
	s_and_saveexec_b64 s[16:17], vcc
	s_xor_b64 s[16:17], exec, s[16:17]
	s_cbranch_execz .LBB110_90
; %bb.85:
	s_mov_b32 s22, 0x387fffff
	v_cmp_lt_u32_e32 vcc, s22, v5
                                        ; implicit-def: $vgpr3
	s_and_saveexec_b64 s[22:23], vcc
	s_xor_b64 s[22:23], exec, s[22:23]
; %bb.86:
	v_bfe_u32 v3, v2, 21, 1
	s_mov_b32 s26, 0x80fffff
	v_add3_u32 v3, v2, v3, s26
	v_lshrrev_b32_e32 v3, 21, v3
; %bb.87:
	s_andn2_saveexec_b64 s[22:23], s[22:23]
; %bb.88:
	s_mov_b32 s26, 0x43000000
	v_add_f32_e64 v3, |v2|, s26
; %bb.89:
	s_or_b64 exec, exec, s[22:23]
                                        ; implicit-def: $vgpr5
.LBB110_90:
	s_andn2_saveexec_b64 s[16:17], s[16:17]
; %bb.91:
	s_mov_b32 s22, 0x7f800000
	v_mov_b32_e32 v3, 0x7c
	v_mov_b32_e32 v6, 0x7f
	v_cmp_lt_u32_e32 vcc, s22, v5
	v_cndmask_b32_e32 v3, v3, v6, vcc
; %bb.92:
	s_or_b64 exec, exec, s[16:17]
	v_lshrrev_b32_e32 v2, 24, v2
	s_movk_i32 s16, 0x80
	v_and_or_b32 v2, v2, s16, v3
	global_store_byte v[0:1], v2, off
.LBB110_93:
	s_mov_b64 s[22:23], 0
	s_mov_b64 s[16:17], -1
.LBB110_94:
	s_andn2_b64 vcc, exec, s[22:23]
	s_cbranch_vccnz .LBB110_102
; %bb.95:
	s_cmp_gt_i32 s29, 14
	s_mov_b64 s[22:23], -1
	s_cbranch_scc0 .LBB110_99
; %bb.96:
	s_cmp_eq_u32 s29, 15
	s_mov_b64 s[0:1], -1
	s_cbranch_scc0 .LBB110_98
; %bb.97:
	v_cvt_f32_i32_sdwa v2, sext(v4) dst_sel:DWORD dst_unused:UNUSED_PAD src0_sel:WORD_0
	s_movk_i32 s0, 0x7fff
	s_mov_b64 s[16:17], -1
	v_bfe_u32 v3, v2, 16, 1
	v_add3_u32 v2, v2, v3, s0
	global_store_short_d16_hi v[0:1], v2, off
	s_mov_b64 s[0:1], 0
.LBB110_98:
	s_mov_b64 s[22:23], 0
.LBB110_99:
	s_and_b64 vcc, exec, s[22:23]
	s_cbranch_vccz .LBB110_102
; %bb.100:
	s_cmp_eq_u32 s29, 11
	s_mov_b64 s[0:1], -1
	s_cbranch_scc0 .LBB110_102
; %bb.101:
	v_cmp_ne_u16_e32 vcc, 0, v4
	v_cndmask_b32_e64 v2, 0, 1, vcc
	s_mov_b64 s[16:17], -1
	s_mov_b64 s[0:1], 0
	global_store_byte v[0:1], v2, off
.LBB110_102:
	s_branch .LBB110_20
.LBB110_103:
	s_and_b32 s22, 0xffff, s28
	s_cmp_lt_i32 s22, 5
	s_mov_b64 s[16:17], -1
	s_cbranch_scc1 .LBB110_124
; %bb.104:
	s_cmp_lt_i32 s22, 8
	s_cbranch_scc1 .LBB110_114
; %bb.105:
	s_cmp_lt_i32 s22, 9
	s_cbranch_scc1 .LBB110_111
; %bb.106:
	s_cmp_gt_i32 s22, 9
	s_cbranch_scc0 .LBB110_108
; %bb.107:
	v_bfe_i32 v2, v4, 0, 16
	v_cvt_f64_i32_e32 v[5:6], v2
	v_mov_b32_e32 v7, 0
	v_mov_b32_e32 v8, v7
	s_mov_b64 s[16:17], 0
	global_store_dwordx4 v[0:1], v[5:8], off
.LBB110_108:
	s_andn2_b64 vcc, exec, s[16:17]
	s_cbranch_vccnz .LBB110_110
; %bb.109:
	v_cvt_f32_i32_sdwa v2, sext(v4) dst_sel:DWORD dst_unused:UNUSED_PAD src0_sel:WORD_0
	v_mov_b32_e32 v3, 0
	global_store_dwordx2 v[0:1], v[2:3], off
.LBB110_110:
	s_mov_b64 s[16:17], 0
.LBB110_111:
	s_andn2_b64 vcc, exec, s[16:17]
	s_cbranch_vccnz .LBB110_113
; %bb.112:
	v_cvt_f16_i16_e32 v2, v4
	global_store_dword v[0:1], v2, off
.LBB110_113:
	s_mov_b64 s[16:17], 0
.LBB110_114:
	s_andn2_b64 vcc, exec, s[16:17]
	s_cbranch_vccnz .LBB110_123
; %bb.115:
	s_cmp_lt_i32 s22, 6
	s_mov_b64 s[16:17], -1
	s_cbranch_scc1 .LBB110_121
; %bb.116:
	s_cmp_gt_i32 s22, 6
	s_cbranch_scc0 .LBB110_118
; %bb.117:
	v_bfe_i32 v2, v4, 0, 16
	v_cvt_f64_i32_e32 v[2:3], v2
	s_mov_b64 s[16:17], 0
	global_store_dwordx2 v[0:1], v[2:3], off
.LBB110_118:
	s_andn2_b64 vcc, exec, s[16:17]
	s_cbranch_vccnz .LBB110_120
; %bb.119:
	v_cvt_f32_i32_sdwa v2, sext(v4) dst_sel:DWORD dst_unused:UNUSED_PAD src0_sel:WORD_0
	global_store_dword v[0:1], v2, off
.LBB110_120:
	s_mov_b64 s[16:17], 0
.LBB110_121:
	s_andn2_b64 vcc, exec, s[16:17]
	s_cbranch_vccnz .LBB110_123
; %bb.122:
	v_cvt_f16_i16_e32 v2, v4
	global_store_short v[0:1], v2, off
.LBB110_123:
	s_mov_b64 s[16:17], 0
.LBB110_124:
	s_andn2_b64 vcc, exec, s[16:17]
	s_cbranch_vccnz .LBB110_140
; %bb.125:
	s_cmp_lt_i32 s22, 2
	s_mov_b64 s[16:17], -1
	s_cbranch_scc1 .LBB110_135
; %bb.126:
	s_cmp_lt_i32 s22, 3
	s_cbranch_scc1 .LBB110_132
; %bb.127:
	s_cmp_gt_i32 s22, 3
	v_bfe_i32 v2, v4, 0, 16
	s_cbranch_scc0 .LBB110_129
; %bb.128:
	v_ashrrev_i32_e32 v3, 31, v2
	global_store_dwordx2 v[0:1], v[2:3], off
	s_mov_b64 s[16:17], 0
.LBB110_129:
	s_andn2_b64 vcc, exec, s[16:17]
	s_cbranch_vccnz .LBB110_131
; %bb.130:
	global_store_dword v[0:1], v2, off
.LBB110_131:
	s_mov_b64 s[16:17], 0
.LBB110_132:
	s_andn2_b64 vcc, exec, s[16:17]
	s_cbranch_vccnz .LBB110_134
; %bb.133:
	global_store_short v[0:1], v4, off
.LBB110_134:
	s_mov_b64 s[16:17], 0
.LBB110_135:
	s_andn2_b64 vcc, exec, s[16:17]
	s_cbranch_vccnz .LBB110_140
; %bb.136:
	s_cmp_gt_i32 s22, 0
	s_mov_b64 s[16:17], -1
	s_cbranch_scc0 .LBB110_138
; %bb.137:
	global_store_byte v[0:1], v4, off
	s_mov_b64 s[16:17], 0
.LBB110_138:
	s_andn2_b64 vcc, exec, s[16:17]
	s_cbranch_vccnz .LBB110_140
; %bb.139:
	global_store_byte v[0:1], v4, off
.LBB110_140:
	s_branch .LBB110_21
.LBB110_141:
	s_mov_b64 s[22:23], 0
                                        ; implicit-def: $vgpr9
	s_branch .LBB110_247
.LBB110_142:
	s_mov_b64 s[18:19], -1
                                        ; implicit-def: $vgpr2
.LBB110_143:
	s_mov_b64 s[16:17], 0
.LBB110_144:
	s_and_b64 vcc, exec, s[16:17]
	s_cbranch_vccz .LBB110_148
; %bb.145:
	s_cmp_eq_u32 s22, 29
	s_cbranch_scc0 .LBB110_147
; %bb.146:
	global_load_dwordx2 v[2:3], v[0:1], off
	s_mov_b64 s[0:1], -1
	s_mov_b64 s[18:19], 0
	s_branch .LBB110_148
.LBB110_147:
	s_mov_b64 s[18:19], -1
                                        ; implicit-def: $vgpr2
.LBB110_148:
	s_mov_b64 s[16:17], 0
.LBB110_149:
	s_and_b64 vcc, exec, s[16:17]
	s_cbranch_vccz .LBB110_165
; %bb.150:
	s_cmp_lt_i32 s22, 27
	s_cbranch_scc1 .LBB110_153
; %bb.151:
	s_cmp_gt_i32 s22, 27
	s_cbranch_scc0 .LBB110_154
; %bb.152:
	global_load_dword v2, v[0:1], off
	s_mov_b64 s[0:1], 0
	s_branch .LBB110_155
.LBB110_153:
	s_mov_b64 s[0:1], -1
                                        ; implicit-def: $vgpr2
	s_branch .LBB110_158
.LBB110_154:
	s_mov_b64 s[0:1], -1
                                        ; implicit-def: $vgpr2
.LBB110_155:
	s_andn2_b64 vcc, exec, s[0:1]
	s_cbranch_vccnz .LBB110_157
; %bb.156:
	global_load_ushort v2, v[0:1], off
.LBB110_157:
	s_mov_b64 s[0:1], 0
.LBB110_158:
	s_andn2_b64 vcc, exec, s[0:1]
	s_cbranch_vccnz .LBB110_164
; %bb.159:
	global_load_ubyte v3, v[0:1], off
	s_movk_i32 s0, 0x7f
	s_mov_b64 s[16:17], 0
	s_waitcnt vmcnt(0)
	v_cmp_lt_i16_e32 vcc, s0, v3
	s_and_saveexec_b64 s[0:1], vcc
	s_xor_b64 s[0:1], exec, s[0:1]
	s_cbranch_execz .LBB110_175
; %bb.160:
	s_movk_i32 s16, 0x80
	v_cmp_ne_u16_e32 vcc, s16, v3
	s_and_b64 s[16:17], vcc, exec
	s_andn2_saveexec_b64 s[0:1], s[0:1]
	s_cbranch_execnz .LBB110_176
.LBB110_161:
	s_or_b64 exec, exec, s[0:1]
	v_mov_b32_e32 v2, 0
	s_and_saveexec_b64 s[0:1], s[16:17]
	s_cbranch_execz .LBB110_163
.LBB110_162:
	v_lshlrev_b32_e32 v2, 24, v3
	v_and_b32_e32 v3, 0xffff, v3
	v_and_b32_e32 v4, 7, v3
	v_ffbh_u32_e32 v6, v4
	v_min_u32_e32 v6, 32, v6
	v_subrev_u32_e32 v7, 28, v6
	v_bfe_u32 v5, v3, 3, 4
	v_lshlrev_b32_e32 v3, v7, v3
	v_sub_u32_e32 v6, 29, v6
	v_and_b32_e32 v3, 7, v3
	v_cmp_eq_u32_e32 vcc, 0, v5
	v_cndmask_b32_e32 v5, v5, v6, vcc
	v_cndmask_b32_e32 v3, v4, v3, vcc
	v_mov_b32_e32 v4, 0x3b800000
	v_lshlrev_b32_e32 v3, 20, v3
	v_and_b32_e32 v2, 0x80000000, v2
	v_lshl_add_u32 v4, v5, 23, v4
	v_or3_b32 v2, v2, v4, v3
	v_cvt_i32_f32_e32 v2, v2
.LBB110_163:
	s_or_b64 exec, exec, s[0:1]
.LBB110_164:
	s_mov_b64 s[0:1], -1
.LBB110_165:
	s_branch .LBB110_198
.LBB110_166:
	s_cmp_gt_i32 s22, 22
	s_cbranch_scc0 .LBB110_174
; %bb.167:
	s_cmp_lt_i32 s22, 24
	s_cbranch_scc1 .LBB110_177
; %bb.168:
	s_cmp_gt_i32 s22, 24
	s_cbranch_scc0 .LBB110_178
; %bb.169:
	global_load_ubyte v3, v[0:1], off
	s_movk_i32 s0, 0x7f
	s_mov_b64 s[16:17], 0
	s_waitcnt vmcnt(0)
	v_cmp_lt_i16_e32 vcc, s0, v3
	s_and_saveexec_b64 s[0:1], vcc
	s_xor_b64 s[0:1], exec, s[0:1]
	s_cbranch_execz .LBB110_190
; %bb.170:
	s_movk_i32 s16, 0x80
	v_cmp_ne_u16_e32 vcc, s16, v3
	s_and_b64 s[16:17], vcc, exec
	s_andn2_saveexec_b64 s[0:1], s[0:1]
	s_cbranch_execnz .LBB110_191
.LBB110_171:
	s_or_b64 exec, exec, s[0:1]
	v_mov_b32_e32 v2, 0
	s_and_saveexec_b64 s[0:1], s[16:17]
	s_cbranch_execz .LBB110_173
.LBB110_172:
	v_lshlrev_b32_e32 v2, 24, v3
	v_and_b32_e32 v3, 0xffff, v3
	v_and_b32_e32 v4, 3, v3
	v_ffbh_u32_e32 v6, v4
	v_min_u32_e32 v6, 32, v6
	v_subrev_u32_e32 v7, 29, v6
	v_bfe_u32 v5, v3, 2, 5
	v_lshlrev_b32_e32 v3, v7, v3
	v_sub_u32_e32 v6, 30, v6
	v_and_b32_e32 v3, 3, v3
	v_cmp_eq_u32_e32 vcc, 0, v5
	v_cndmask_b32_e32 v5, v5, v6, vcc
	v_cndmask_b32_e32 v3, v4, v3, vcc
	v_mov_b32_e32 v4, 0x37800000
	v_lshlrev_b32_e32 v3, 21, v3
	v_and_b32_e32 v2, 0x80000000, v2
	v_lshl_add_u32 v4, v5, 23, v4
	v_or3_b32 v2, v2, v4, v3
	v_cvt_i32_f32_e32 v2, v2
.LBB110_173:
	s_or_b64 exec, exec, s[0:1]
	s_mov_b64 s[0:1], 0
	s_branch .LBB110_179
.LBB110_174:
	s_mov_b64 s[16:17], -1
                                        ; implicit-def: $vgpr2
	s_branch .LBB110_185
.LBB110_175:
	s_andn2_saveexec_b64 s[0:1], s[0:1]
	s_cbranch_execz .LBB110_161
.LBB110_176:
	v_cmp_ne_u16_e32 vcc, 0, v3
	s_andn2_b64 s[16:17], s[16:17], exec
	s_and_b64 s[26:27], vcc, exec
	s_or_b64 s[16:17], s[16:17], s[26:27]
	s_or_b64 exec, exec, s[0:1]
	v_mov_b32_e32 v2, 0
	s_and_saveexec_b64 s[0:1], s[16:17]
	s_cbranch_execnz .LBB110_162
	s_branch .LBB110_163
.LBB110_177:
	s_mov_b64 s[0:1], -1
                                        ; implicit-def: $vgpr2
	s_branch .LBB110_182
.LBB110_178:
	s_mov_b64 s[0:1], -1
                                        ; implicit-def: $vgpr2
.LBB110_179:
	s_and_b64 vcc, exec, s[0:1]
	s_cbranch_vccz .LBB110_181
; %bb.180:
	global_load_ubyte v2, v[0:1], off
	s_mov_b32 s0, 0x7f800000
	s_waitcnt vmcnt(0)
	v_lshlrev_b32_e32 v2, 24, v2
	v_and_b32_e32 v3, 0x7f000000, v2
	v_ffbh_u32_e32 v4, v3
	v_min_u32_e32 v4, 32, v4
	v_sub_u32_e64 v4, v4, 4 clamp
	v_lshlrev_b32_e32 v6, v4, v3
	v_lshlrev_b32_e32 v4, 23, v4
	v_lshrrev_b32_e32 v6, 4, v6
	v_add_u32_e32 v5, 0x1000000, v3
	v_sub_u32_e32 v4, v6, v4
	v_ashrrev_i32_e32 v5, 8, v5
	v_add_u32_e32 v4, 0x3c000000, v4
	v_and_or_b32 v4, v5, s0, v4
	v_cmp_ne_u32_e32 vcc, 0, v3
	v_cndmask_b32_e32 v3, 0, v4, vcc
	s_brev_b32 s0, 1
	v_and_or_b32 v2, v2, s0, v3
	v_cvt_i32_f32_e32 v2, v2
.LBB110_181:
	s_mov_b64 s[0:1], 0
.LBB110_182:
	s_andn2_b64 vcc, exec, s[0:1]
	s_cbranch_vccnz .LBB110_184
; %bb.183:
	global_load_ubyte v2, v[0:1], off
	s_movk_i32 s0, 0x7f00
	s_brev_b32 s1, 16
	s_waitcnt vmcnt(0)
	v_lshlrev_b16_e32 v3, 8, v2
	v_lshlrev_b32_e32 v2, 25, v2
	v_lshrrev_b32_e32 v4, 4, v2
	v_and_or_b32 v5, v3, s0, 0.5
	v_or_b32_e32 v4, 0x70000000, v4
	v_add_f32_e32 v5, -0.5, v5
	v_mul_f32_e32 v4, 0x7800000, v4
	v_cmp_gt_u32_e32 vcc, s1, v2
	v_bfe_i32 v3, v3, 0, 16
	v_cndmask_b32_e32 v2, v4, v5, vcc
	s_brev_b32 s0, 1
	v_and_or_b32 v2, v3, s0, v2
	v_cvt_i32_f32_e32 v2, v2
.LBB110_184:
	s_mov_b64 s[16:17], 0
	s_mov_b64 s[0:1], -1
.LBB110_185:
	s_andn2_b64 vcc, exec, s[16:17]
	s_cbranch_vccnz .LBB110_198
; %bb.186:
	s_cmp_gt_i32 s22, 14
	s_cbranch_scc0 .LBB110_189
; %bb.187:
	s_cmp_eq_u32 s22, 15
	s_cbranch_scc0 .LBB110_192
; %bb.188:
	global_load_ushort v2, v[0:1], off
	s_mov_b64 s[0:1], -1
	s_mov_b64 s[18:19], 0
	s_waitcnt vmcnt(0)
	v_lshlrev_b32_e32 v2, 16, v2
	v_cvt_i32_f32_e32 v2, v2
	s_branch .LBB110_193
.LBB110_189:
	s_mov_b64 s[16:17], -1
                                        ; implicit-def: $vgpr2
	s_branch .LBB110_194
.LBB110_190:
	s_andn2_saveexec_b64 s[0:1], s[0:1]
	s_cbranch_execz .LBB110_171
.LBB110_191:
	v_cmp_ne_u16_e32 vcc, 0, v3
	s_andn2_b64 s[16:17], s[16:17], exec
	s_and_b64 s[26:27], vcc, exec
	s_or_b64 s[16:17], s[16:17], s[26:27]
	s_or_b64 exec, exec, s[0:1]
	v_mov_b32_e32 v2, 0
	s_and_saveexec_b64 s[0:1], s[16:17]
	s_cbranch_execnz .LBB110_172
	s_branch .LBB110_173
.LBB110_192:
	s_mov_b64 s[18:19], -1
                                        ; implicit-def: $vgpr2
.LBB110_193:
	s_mov_b64 s[16:17], 0
.LBB110_194:
	s_and_b64 vcc, exec, s[16:17]
	s_cbranch_vccz .LBB110_198
; %bb.195:
	s_cmp_eq_u32 s22, 11
	s_cbranch_scc0 .LBB110_197
; %bb.196:
	global_load_ubyte v2, v[0:1], off
	s_mov_b64 s[0:1], -1
	s_mov_b64 s[18:19], 0
	s_waitcnt vmcnt(0)
	v_cmp_ne_u16_e32 vcc, 0, v2
	v_cndmask_b32_e64 v2, 0, 1, vcc
	s_branch .LBB110_198
.LBB110_197:
	s_mov_b64 s[18:19], -1
                                        ; implicit-def: $vgpr2
.LBB110_198:
	s_branch .LBB110_10
.LBB110_199:
	s_cmp_lt_i32 s22, 5
	s_cbranch_scc1 .LBB110_204
; %bb.200:
	s_cmp_lt_i32 s22, 8
	s_cbranch_scc1 .LBB110_205
; %bb.201:
	;; [unrolled: 3-line block ×3, first 2 shown]
	s_cmp_gt_i32 s22, 9
	s_cbranch_scc0 .LBB110_207
; %bb.203:
	global_load_dwordx2 v[2:3], v[0:1], off
	s_mov_b64 s[0:1], 0
	s_waitcnt vmcnt(0)
	v_cvt_i32_f64_e32 v2, v[2:3]
	s_branch .LBB110_208
.LBB110_204:
                                        ; implicit-def: $vgpr2
	s_branch .LBB110_226
.LBB110_205:
	s_mov_b64 s[0:1], -1
                                        ; implicit-def: $vgpr2
	s_branch .LBB110_214
.LBB110_206:
	s_mov_b64 s[0:1], -1
                                        ; implicit-def: $vgpr2
	s_branch .LBB110_211
.LBB110_207:
	s_mov_b64 s[0:1], -1
                                        ; implicit-def: $vgpr2
.LBB110_208:
	s_andn2_b64 vcc, exec, s[0:1]
	s_cbranch_vccnz .LBB110_210
; %bb.209:
	global_load_dword v2, v[0:1], off
	s_waitcnt vmcnt(0)
	v_cvt_i32_f32_e32 v2, v2
.LBB110_210:
	s_mov_b64 s[0:1], 0
.LBB110_211:
	s_andn2_b64 vcc, exec, s[0:1]
	s_cbranch_vccnz .LBB110_213
; %bb.212:
	global_load_dword v2, v[0:1], off
	s_waitcnt vmcnt(0)
	v_cvt_i16_f16_e32 v2, v2
.LBB110_213:
	s_mov_b64 s[0:1], 0
.LBB110_214:
	s_andn2_b64 vcc, exec, s[0:1]
	s_cbranch_vccnz .LBB110_225
; %bb.215:
	s_cmp_lt_i32 s22, 6
	s_cbranch_scc1 .LBB110_218
; %bb.216:
	s_cmp_gt_i32 s22, 6
	s_cbranch_scc0 .LBB110_219
; %bb.217:
	global_load_dwordx2 v[2:3], v[0:1], off
	s_mov_b64 s[0:1], 0
	s_waitcnt vmcnt(0)
	v_cvt_i32_f64_e32 v2, v[2:3]
	s_branch .LBB110_220
.LBB110_218:
	s_mov_b64 s[0:1], -1
                                        ; implicit-def: $vgpr2
	s_branch .LBB110_223
.LBB110_219:
	s_mov_b64 s[0:1], -1
                                        ; implicit-def: $vgpr2
.LBB110_220:
	s_andn2_b64 vcc, exec, s[0:1]
	s_cbranch_vccnz .LBB110_222
; %bb.221:
	global_load_dword v2, v[0:1], off
	s_waitcnt vmcnt(0)
	v_cvt_i32_f32_e32 v2, v2
.LBB110_222:
	s_mov_b64 s[0:1], 0
.LBB110_223:
	s_andn2_b64 vcc, exec, s[0:1]
	s_cbranch_vccnz .LBB110_225
; %bb.224:
	global_load_ushort v2, v[0:1], off
	s_waitcnt vmcnt(0)
	v_cvt_i16_f16_e32 v2, v2
.LBB110_225:
	s_cbranch_execnz .LBB110_245
.LBB110_226:
	s_cmp_lt_i32 s22, 2
	s_cbranch_scc1 .LBB110_230
; %bb.227:
	s_cmp_lt_i32 s22, 3
	s_cbranch_scc1 .LBB110_231
; %bb.228:
	s_cmp_gt_i32 s22, 3
	s_cbranch_scc0 .LBB110_232
; %bb.229:
	global_load_dwordx2 v[2:3], v[0:1], off
	s_mov_b64 s[0:1], 0
	s_branch .LBB110_233
.LBB110_230:
	s_mov_b64 s[0:1], -1
                                        ; implicit-def: $vgpr2
	s_branch .LBB110_239
.LBB110_231:
	s_mov_b64 s[0:1], -1
                                        ; implicit-def: $vgpr2
	s_branch .LBB110_236
.LBB110_232:
	s_mov_b64 s[0:1], -1
                                        ; implicit-def: $vgpr2
.LBB110_233:
	s_andn2_b64 vcc, exec, s[0:1]
	s_cbranch_vccnz .LBB110_235
; %bb.234:
	global_load_dword v2, v[0:1], off
.LBB110_235:
	s_mov_b64 s[0:1], 0
.LBB110_236:
	s_andn2_b64 vcc, exec, s[0:1]
	s_cbranch_vccnz .LBB110_238
; %bb.237:
	global_load_ushort v2, v[0:1], off
.LBB110_238:
	s_mov_b64 s[0:1], 0
.LBB110_239:
	s_andn2_b64 vcc, exec, s[0:1]
	s_cbranch_vccnz .LBB110_245
; %bb.240:
	s_cmp_gt_i32 s22, 0
	s_cbranch_scc0 .LBB110_242
; %bb.241:
	global_load_sbyte v2, v[0:1], off
	s_mov_b64 s[0:1], 0
	s_branch .LBB110_243
.LBB110_242:
	s_mov_b64 s[0:1], -1
                                        ; implicit-def: $vgpr2
.LBB110_243:
	s_andn2_b64 vcc, exec, s[0:1]
	s_cbranch_vccnz .LBB110_245
; %bb.244:
	global_load_ubyte v2, v[0:1], off
.LBB110_245:
	s_branch .LBB110_11
.LBB110_246:
	s_mov_b64 s[0:1], 0
                                        ; implicit-def: $vgpr9
	s_mov_b64 s[22:23], 0
.LBB110_247:
	s_and_b64 s[16:17], s[0:1], exec
	s_and_b64 s[18:19], s[18:19], exec
	s_orn2_b64 s[22:23], s[22:23], exec
.LBB110_248:
	s_or_b64 exec, exec, s[20:21]
	s_mov_b64 s[26:27], 0
	s_mov_b64 s[0:1], 0
                                        ; implicit-def: $vgpr0_vgpr1
                                        ; implicit-def: $vgpr2
	s_and_saveexec_b64 s[20:21], s[22:23]
	s_cbranch_execz .LBB110_257
; %bb.249:
	v_cmp_gt_i32_e32 vcc, s42, v9
	s_mov_b64 s[0:1], -1
	s_mov_b64 s[22:23], s[18:19]
	s_mov_b64 s[24:25], s[16:17]
	s_and_saveexec_b64 s[26:27], vcc
	s_cbranch_execz .LBB110_505
; %bb.250:
	v_mul_lo_u32 v0, v9, s13
	v_mov_b32_e32 v1, s11
	s_and_b32 s28, 0xffff, s33
	s_cmp_lt_i32 s28, 11
	s_waitcnt vmcnt(0)
	v_ashrrev_i32_e32 v2, 31, v0
	v_add_co_u32_e32 v0, vcc, s10, v0
	v_addc_co_u32_e32 v1, vcc, v1, v2, vcc
	s_cbranch_scc1 .LBB110_260
; %bb.251:
	s_cmp_gt_i32 s28, 25
	s_cbranch_scc0 .LBB110_269
; %bb.252:
	s_cmp_gt_i32 s28, 28
	s_cbranch_scc0 .LBB110_271
	;; [unrolled: 3-line block ×4, first 2 shown]
; %bb.255:
	s_cmp_eq_u32 s28, 46
	s_mov_b64 s[24:25], 0
	s_cbranch_scc0 .LBB110_281
; %bb.256:
	global_load_dword v2, v[0:1], off
	s_mov_b64 s[22:23], 0
	s_waitcnt vmcnt(0)
	v_lshlrev_b32_e32 v2, 16, v2
	v_cvt_i32_f32_e32 v2, v2
	s_branch .LBB110_282
.LBB110_257:
	s_or_b64 exec, exec, s[20:21]
	s_mov_b64 s[20:21], 0
	s_and_saveexec_b64 s[22:23], s[18:19]
	s_cbranch_execnz .LBB110_843
.LBB110_258:
	s_or_b64 exec, exec, s[22:23]
	s_and_saveexec_b64 s[18:19], s[24:25]
	s_xor_b64 s[18:19], exec, s[18:19]
	s_cbranch_execz .LBB110_844
.LBB110_259:
	global_load_ubyte v2, v[0:1], off
	s_or_b64 s[0:1], s[0:1], exec
	s_waitcnt vmcnt(0)
	v_cmp_ne_u16_e32 vcc, 0, v2
	v_cndmask_b32_e64 v2, 0, 1, vcc
	s_or_b64 exec, exec, s[18:19]
	s_and_saveexec_b64 s[18:19], s[26:27]
	s_cbranch_execz .LBB110_890
	s_branch .LBB110_845
.LBB110_260:
	s_mov_b64 s[0:1], 0
                                        ; implicit-def: $vgpr2
	s_mov_b64 s[22:23], s[18:19]
	s_cbranch_execnz .LBB110_455
.LBB110_261:
	s_andn2_b64 vcc, exec, s[0:1]
	s_cbranch_vccnz .LBB110_503
.LBB110_262:
	v_mul_lo_u32 v0, v9, s12
	s_waitcnt vmcnt(0)
	v_lshlrev_b32_e32 v1, s46, v2
	v_mov_b32_e32 v2, s9
	v_cndmask_b32_e64 v4, v1, 0, s[6:7]
	v_ashrrev_i32_e32 v1, 31, v0
	s_and_b32 s34, s15, 0xff
	v_add_co_u32_e32 v0, vcc, s8, v0
	s_cmp_lt_i32 s34, 11
	v_addc_co_u32_e32 v1, vcc, v2, v1, vcc
	s_cbranch_scc1 .LBB110_270
; %bb.263:
	s_and_b32 s35, 0xffff, s34
	s_cmp_gt_i32 s35, 25
	s_cbranch_scc0 .LBB110_272
; %bb.264:
	s_cmp_gt_i32 s35, 28
	s_cbranch_scc0 .LBB110_274
; %bb.265:
	;; [unrolled: 3-line block ×4, first 2 shown]
	s_mov_b64 s[28:29], 0
	s_mov_b64 s[0:1], -1
	s_cmp_eq_u32 s35, 46
	s_mov_b64 s[24:25], 0
	s_cbranch_scc0 .LBB110_286
; %bb.268:
	v_cvt_f32_i32_sdwa v2, sext(v4) dst_sel:DWORD dst_unused:UNUSED_PAD src0_sel:WORD_0
	s_movk_i32 s0, 0x7fff
	s_mov_b64 s[24:25], -1
	v_bfe_u32 v3, v2, 16, 1
	v_add3_u32 v2, v2, v3, s0
	v_lshrrev_b32_e32 v2, 16, v2
	global_store_dword v[0:1], v2, off
	s_mov_b64 s[0:1], 0
	s_branch .LBB110_286
.LBB110_269:
	s_mov_b64 s[24:25], -1
	s_mov_b64 s[0:1], 0
	s_mov_b64 s[22:23], s[18:19]
                                        ; implicit-def: $vgpr2
	s_branch .LBB110_421
.LBB110_270:
	s_mov_b64 s[28:29], -1
	s_mov_b64 s[24:25], 0
	s_mov_b64 s[0:1], s[16:17]
	s_branch .LBB110_355
.LBB110_271:
	s_mov_b64 s[24:25], -1
	s_mov_b64 s[0:1], 0
	s_mov_b64 s[22:23], s[18:19]
                                        ; implicit-def: $vgpr2
	s_branch .LBB110_404
.LBB110_272:
	s_mov_b64 s[28:29], -1
	s_mov_b64 s[24:25], 0
	s_mov_b64 s[0:1], s[16:17]
	s_branch .LBB110_313
.LBB110_273:
	s_mov_b64 s[24:25], -1
	s_mov_b64 s[0:1], 0
	s_mov_b64 s[22:23], s[18:19]
                                        ; implicit-def: $vgpr2
	s_branch .LBB110_399
.LBB110_274:
	s_mov_b64 s[28:29], -1
	s_mov_b64 s[24:25], 0
	s_mov_b64 s[0:1], s[16:17]
	s_branch .LBB110_296
.LBB110_275:
	s_andn2_saveexec_b64 s[26:27], s[26:27]
	s_cbranch_execz .LBB110_55
.LBB110_276:
	s_mov_b32 s30, 0x46000000
	v_add_f32_e64 v3, |v2|, s30
	v_and_b32_e32 v3, 0xff, v3
	v_cmp_ne_u32_e32 vcc, 0, v3
	s_andn2_b64 s[22:23], s[22:23], exec
	s_and_b64 s[30:31], vcc, exec
	s_or_b64 s[22:23], s[22:23], s[30:31]
	s_or_b64 exec, exec, s[26:27]
	v_mov_b32_e32 v5, 0
	s_and_saveexec_b64 s[26:27], s[22:23]
	s_cbranch_execnz .LBB110_56
	s_branch .LBB110_57
.LBB110_277:
	s_mov_b64 s[24:25], -1
	s_mov_b64 s[0:1], 0
	s_mov_b64 s[22:23], s[18:19]
                                        ; implicit-def: $vgpr2
	s_branch .LBB110_282
.LBB110_278:
	s_mov_b64 s[28:29], -1
	s_mov_b64 s[24:25], 0
	s_mov_b64 s[0:1], s[16:17]
	s_branch .LBB110_292
.LBB110_279:
	s_andn2_saveexec_b64 s[26:27], s[26:27]
	s_cbranch_execz .LBB110_68
.LBB110_280:
	s_mov_b32 s30, 0x42800000
	v_add_f32_e64 v3, |v2|, s30
	v_and_b32_e32 v3, 0xff, v3
	v_cmp_ne_u32_e32 vcc, 0, v3
	s_andn2_b64 s[22:23], s[22:23], exec
	s_and_b64 s[30:31], vcc, exec
	s_or_b64 s[22:23], s[22:23], s[30:31]
	s_or_b64 exec, exec, s[26:27]
	v_mov_b32_e32 v5, 0
	s_and_saveexec_b64 s[26:27], s[22:23]
	s_cbranch_execnz .LBB110_69
	s_branch .LBB110_70
.LBB110_281:
	s_mov_b64 s[22:23], -1
                                        ; implicit-def: $vgpr2
	s_mov_b64 s[0:1], 0
.LBB110_282:
	s_and_b64 vcc, exec, s[24:25]
	s_cbranch_vccz .LBB110_398
; %bb.283:
	s_cmp_eq_u32 s28, 44
	s_cbranch_scc0 .LBB110_397
; %bb.284:
	global_load_ubyte v2, v[0:1], off
	s_mov_b64 s[0:1], -1
	s_mov_b64 s[22:23], 0
	s_waitcnt vmcnt(0)
	v_lshlrev_b32_e32 v3, 23, v2
	v_cvt_i32_f32_e32 v3, v3
	v_cmp_ne_u32_e32 vcc, 0, v2
	v_cndmask_b32_e32 v2, 0, v3, vcc
	s_branch .LBB110_398
.LBB110_285:
	s_mov_b64 s[28:29], -1
	s_mov_b64 s[24:25], 0
	s_mov_b64 s[0:1], s[16:17]
.LBB110_286:
	s_and_b64 vcc, exec, s[28:29]
	s_cbranch_vccz .LBB110_291
; %bb.287:
	s_cmp_eq_u32 s35, 44
	s_mov_b64 s[0:1], -1
	s_cbranch_scc0 .LBB110_291
; %bb.288:
	v_cvt_f32_i32_sdwa v2, sext(v4) dst_sel:DWORD dst_unused:UNUSED_PAD src0_sel:WORD_0
	s_movk_i32 s0, 0xff
	v_mov_b32_e32 v5, 0xff
	v_bfe_u32 v3, v2, 23, 8
	v_cmp_ne_u32_e32 vcc, s0, v3
	s_and_saveexec_b64 s[24:25], vcc
; %bb.289:
	s_mov_b32 s0, 0x3fffff
	v_lshrrev_b32_e32 v5, 23, v2
	v_and_b32_e32 v6, 0x400000, v2
	v_and_or_b32 v2, v2, s0, v3
	v_cmp_ne_u32_e32 vcc, 0, v6
	v_cmp_ne_u32_e64 s[0:1], 0, v2
	s_and_b64 s[0:1], vcc, s[0:1]
	v_cndmask_b32_e64 v2, 0, 1, s[0:1]
	v_add_u32_e32 v5, v5, v2
; %bb.290:
	s_or_b64 exec, exec, s[24:25]
	s_mov_b64 s[24:25], -1
	s_mov_b64 s[0:1], 0
	global_store_byte v[0:1], v5, off
.LBB110_291:
	s_mov_b64 s[28:29], 0
.LBB110_292:
	s_and_b64 vcc, exec, s[28:29]
	s_cbranch_vccz .LBB110_295
; %bb.293:
	s_cmp_eq_u32 s35, 29
	s_mov_b64 s[0:1], -1
	s_cbranch_scc0 .LBB110_295
; %bb.294:
	v_bfe_i32 v2, v4, 0, 16
	v_ashrrev_i32_e32 v3, 31, v2
	global_store_dwordx2 v[0:1], v[2:3], off
	s_mov_b64 s[24:25], -1
	s_mov_b64 s[0:1], 0
.LBB110_295:
	s_mov_b64 s[28:29], 0
.LBB110_296:
	s_and_b64 vcc, exec, s[28:29]
	s_cbranch_vccz .LBB110_312
; %bb.297:
	s_cmp_lt_i32 s35, 27
	s_mov_b64 s[24:25], -1
	s_cbranch_scc1 .LBB110_303
; %bb.298:
	s_cmp_gt_i32 s35, 27
	s_cbranch_scc0 .LBB110_300
; %bb.299:
	v_bfe_i32 v2, v4, 0, 16
	s_mov_b64 s[24:25], 0
	global_store_dword v[0:1], v2, off
.LBB110_300:
	s_andn2_b64 vcc, exec, s[24:25]
	s_cbranch_vccnz .LBB110_302
; %bb.301:
	global_store_short v[0:1], v4, off
.LBB110_302:
	s_mov_b64 s[24:25], 0
.LBB110_303:
	s_andn2_b64 vcc, exec, s[24:25]
	s_cbranch_vccnz .LBB110_311
; %bb.304:
	v_cvt_f32_i32_sdwa v2, sext(v4) dst_sel:DWORD dst_unused:UNUSED_PAD src0_sel:WORD_0
	s_mov_b32 s24, 0x43800000
	v_mov_b32_e32 v5, 0x80
	v_and_b32_e32 v3, 0x7fffffff, v2
	v_cmp_gt_u32_e32 vcc, s24, v3
	s_and_saveexec_b64 s[24:25], vcc
	s_cbranch_execz .LBB110_310
; %bb.305:
	s_mov_b32 s28, 0x3bffffff
	v_cmp_lt_u32_e32 vcc, s28, v3
	s_mov_b64 s[28:29], 0
                                        ; implicit-def: $vgpr3
	s_and_saveexec_b64 s[30:31], vcc
	s_xor_b64 s[30:31], exec, s[30:31]
	s_cbranch_execz .LBB110_518
; %bb.306:
	v_bfe_u32 v3, v2, 20, 1
	s_mov_b32 s36, 0x487ffff
	v_add3_u32 v3, v2, v3, s36
	s_mov_b64 s[28:29], exec
	v_lshrrev_b32_e32 v3, 20, v3
	s_andn2_saveexec_b64 s[30:31], s[30:31]
	s_cbranch_execnz .LBB110_519
.LBB110_307:
	s_or_b64 exec, exec, s[30:31]
	v_mov_b32_e32 v5, 0
	s_and_saveexec_b64 s[30:31], s[28:29]
.LBB110_308:
	v_lshrrev_b32_e32 v2, 24, v2
	s_movk_i32 s28, 0x80
	v_and_or_b32 v5, v2, s28, v3
.LBB110_309:
	s_or_b64 exec, exec, s[30:31]
.LBB110_310:
	s_or_b64 exec, exec, s[24:25]
	global_store_byte v[0:1], v5, off
.LBB110_311:
	s_mov_b64 s[24:25], -1
.LBB110_312:
	s_mov_b64 s[28:29], 0
.LBB110_313:
	s_and_b64 vcc, exec, s[28:29]
	s_cbranch_vccz .LBB110_354
; %bb.314:
	s_cmp_gt_i32 s35, 22
	s_mov_b64 s[28:29], -1
	s_cbranch_scc0 .LBB110_346
; %bb.315:
	s_cmp_lt_i32 s35, 24
	s_mov_b64 s[24:25], -1
	s_cbranch_scc1 .LBB110_335
; %bb.316:
	s_cmp_gt_i32 s35, 24
	s_cbranch_scc0 .LBB110_324
; %bb.317:
	v_cvt_f32_i32_sdwa v2, sext(v4) dst_sel:DWORD dst_unused:UNUSED_PAD src0_sel:WORD_0
	s_mov_b32 s24, 0x47800000
	v_mov_b32_e32 v5, 0x80
	v_and_b32_e32 v3, 0x7fffffff, v2
	v_cmp_gt_u32_e32 vcc, s24, v3
	s_and_saveexec_b64 s[24:25], vcc
	s_cbranch_execz .LBB110_323
; %bb.318:
	s_mov_b32 s28, 0x37ffffff
	v_cmp_lt_u32_e32 vcc, s28, v3
	s_mov_b64 s[28:29], 0
                                        ; implicit-def: $vgpr3
	s_and_saveexec_b64 s[30:31], vcc
	s_xor_b64 s[30:31], exec, s[30:31]
	s_cbranch_execz .LBB110_521
; %bb.319:
	v_bfe_u32 v3, v2, 21, 1
	s_mov_b32 s36, 0x88fffff
	v_add3_u32 v3, v2, v3, s36
	s_mov_b64 s[28:29], exec
	v_lshrrev_b32_e32 v3, 21, v3
	s_andn2_saveexec_b64 s[30:31], s[30:31]
	s_cbranch_execnz .LBB110_522
.LBB110_320:
	s_or_b64 exec, exec, s[30:31]
	v_mov_b32_e32 v5, 0
	s_and_saveexec_b64 s[30:31], s[28:29]
.LBB110_321:
	v_lshrrev_b32_e32 v2, 24, v2
	s_movk_i32 s28, 0x80
	v_and_or_b32 v5, v2, s28, v3
.LBB110_322:
	s_or_b64 exec, exec, s[30:31]
.LBB110_323:
	s_or_b64 exec, exec, s[24:25]
	s_mov_b64 s[24:25], 0
	global_store_byte v[0:1], v5, off
.LBB110_324:
	s_and_b64 vcc, exec, s[24:25]
	s_cbranch_vccz .LBB110_334
; %bb.325:
	v_cvt_f32_i32_sdwa v2, sext(v4) dst_sel:DWORD dst_unused:UNUSED_PAD src0_sel:WORD_0
	s_mov_b32 s24, 0x43f00000
                                        ; implicit-def: $vgpr3
	v_and_b32_e32 v5, 0x7fffffff, v2
	v_cmp_gt_u32_e32 vcc, s24, v5
	s_and_saveexec_b64 s[24:25], vcc
	s_xor_b64 s[24:25], exec, s[24:25]
	s_cbranch_execz .LBB110_331
; %bb.326:
	s_mov_b32 s28, 0x3c7fffff
	v_cmp_lt_u32_e32 vcc, s28, v5
                                        ; implicit-def: $vgpr3
	s_and_saveexec_b64 s[28:29], vcc
	s_xor_b64 s[28:29], exec, s[28:29]
; %bb.327:
	v_bfe_u32 v3, v2, 20, 1
	s_mov_b32 s30, 0x407ffff
	v_add3_u32 v3, v2, v3, s30
	v_lshrrev_b32_e32 v5, 20, v3
	v_and_b32_e32 v3, 0xff00000, v3
	s_mov_b32 s30, 0x7f00000
	v_mov_b32_e32 v6, 0x7e
	v_cmp_ne_u32_e32 vcc, s30, v3
	v_cndmask_b32_e32 v3, v6, v5, vcc
; %bb.328:
	s_andn2_saveexec_b64 s[28:29], s[28:29]
; %bb.329:
	s_mov_b32 s30, 0x46800000
	v_add_f32_e64 v3, |v2|, s30
; %bb.330:
	s_or_b64 exec, exec, s[28:29]
                                        ; implicit-def: $vgpr5
.LBB110_331:
	s_andn2_saveexec_b64 s[24:25], s[24:25]
; %bb.332:
	s_mov_b32 s28, 0x7f800000
	v_mov_b32_e32 v3, 0x7e
	v_mov_b32_e32 v6, 0x7f
	v_cmp_lt_u32_e32 vcc, s28, v5
	v_cndmask_b32_e32 v3, v3, v6, vcc
; %bb.333:
	s_or_b64 exec, exec, s[24:25]
	v_lshrrev_b32_e32 v2, 24, v2
	s_movk_i32 s24, 0x80
	v_and_or_b32 v2, v2, s24, v3
	global_store_byte v[0:1], v2, off
.LBB110_334:
	s_mov_b64 s[24:25], 0
.LBB110_335:
	s_andn2_b64 vcc, exec, s[24:25]
	s_cbranch_vccnz .LBB110_345
; %bb.336:
	v_cvt_f32_i32_sdwa v2, sext(v4) dst_sel:DWORD dst_unused:UNUSED_PAD src0_sel:WORD_0
	s_mov_b32 s24, 0x47800000
                                        ; implicit-def: $vgpr3
	v_and_b32_e32 v5, 0x7fffffff, v2
	v_cmp_gt_u32_e32 vcc, s24, v5
	s_and_saveexec_b64 s[24:25], vcc
	s_xor_b64 s[24:25], exec, s[24:25]
	s_cbranch_execz .LBB110_342
; %bb.337:
	s_mov_b32 s28, 0x387fffff
	v_cmp_lt_u32_e32 vcc, s28, v5
                                        ; implicit-def: $vgpr3
	s_and_saveexec_b64 s[28:29], vcc
	s_xor_b64 s[28:29], exec, s[28:29]
; %bb.338:
	v_bfe_u32 v3, v2, 21, 1
	s_mov_b32 s30, 0x80fffff
	v_add3_u32 v3, v2, v3, s30
	v_lshrrev_b32_e32 v3, 21, v3
; %bb.339:
	s_andn2_saveexec_b64 s[28:29], s[28:29]
; %bb.340:
	s_mov_b32 s30, 0x43000000
	v_add_f32_e64 v3, |v2|, s30
; %bb.341:
	s_or_b64 exec, exec, s[28:29]
                                        ; implicit-def: $vgpr5
.LBB110_342:
	s_andn2_saveexec_b64 s[24:25], s[24:25]
; %bb.343:
	s_mov_b32 s28, 0x7f800000
	v_mov_b32_e32 v3, 0x7c
	v_mov_b32_e32 v6, 0x7f
	v_cmp_lt_u32_e32 vcc, s28, v5
	v_cndmask_b32_e32 v3, v3, v6, vcc
; %bb.344:
	s_or_b64 exec, exec, s[24:25]
	v_lshrrev_b32_e32 v2, 24, v2
	s_movk_i32 s24, 0x80
	v_and_or_b32 v2, v2, s24, v3
	global_store_byte v[0:1], v2, off
.LBB110_345:
	s_mov_b64 s[28:29], 0
	s_mov_b64 s[24:25], -1
.LBB110_346:
	s_andn2_b64 vcc, exec, s[28:29]
	s_cbranch_vccnz .LBB110_354
; %bb.347:
	s_cmp_gt_i32 s35, 14
	s_mov_b64 s[28:29], -1
	s_cbranch_scc0 .LBB110_351
; %bb.348:
	s_cmp_eq_u32 s35, 15
	s_mov_b64 s[0:1], -1
	s_cbranch_scc0 .LBB110_350
; %bb.349:
	v_cvt_f32_i32_sdwa v2, sext(v4) dst_sel:DWORD dst_unused:UNUSED_PAD src0_sel:WORD_0
	s_movk_i32 s0, 0x7fff
	s_mov_b64 s[24:25], -1
	v_bfe_u32 v3, v2, 16, 1
	v_add3_u32 v2, v2, v3, s0
	global_store_short_d16_hi v[0:1], v2, off
	s_mov_b64 s[0:1], 0
.LBB110_350:
	s_mov_b64 s[28:29], 0
.LBB110_351:
	s_and_b64 vcc, exec, s[28:29]
	s_cbranch_vccz .LBB110_354
; %bb.352:
	s_cmp_eq_u32 s35, 11
	s_mov_b64 s[0:1], -1
	s_cbranch_scc0 .LBB110_354
; %bb.353:
	v_cmp_ne_u16_e32 vcc, 0, v4
	v_cndmask_b32_e64 v2, 0, 1, vcc
	s_mov_b64 s[24:25], -1
	s_mov_b64 s[0:1], 0
	global_store_byte v[0:1], v2, off
.LBB110_354:
	s_mov_b64 s[28:29], 0
.LBB110_355:
	s_and_b64 vcc, exec, s[28:29]
	s_cbranch_vccz .LBB110_394
; %bb.356:
	s_and_b32 s28, 0xffff, s34
	s_cmp_lt_i32 s28, 5
	s_mov_b64 s[24:25], -1
	s_cbranch_scc1 .LBB110_377
; %bb.357:
	s_cmp_lt_i32 s28, 8
	s_cbranch_scc1 .LBB110_367
; %bb.358:
	s_cmp_lt_i32 s28, 9
	s_cbranch_scc1 .LBB110_364
; %bb.359:
	s_cmp_gt_i32 s28, 9
	s_cbranch_scc0 .LBB110_361
; %bb.360:
	v_bfe_i32 v2, v4, 0, 16
	v_cvt_f64_i32_e32 v[5:6], v2
	v_mov_b32_e32 v7, 0
	v_mov_b32_e32 v8, v7
	s_mov_b64 s[24:25], 0
	global_store_dwordx4 v[0:1], v[5:8], off
.LBB110_361:
	s_andn2_b64 vcc, exec, s[24:25]
	s_cbranch_vccnz .LBB110_363
; %bb.362:
	v_cvt_f32_i32_sdwa v2, sext(v4) dst_sel:DWORD dst_unused:UNUSED_PAD src0_sel:WORD_0
	v_mov_b32_e32 v3, 0
	global_store_dwordx2 v[0:1], v[2:3], off
.LBB110_363:
	s_mov_b64 s[24:25], 0
.LBB110_364:
	s_andn2_b64 vcc, exec, s[24:25]
	s_cbranch_vccnz .LBB110_366
; %bb.365:
	v_cvt_f16_i16_e32 v2, v4
	global_store_dword v[0:1], v2, off
.LBB110_366:
	s_mov_b64 s[24:25], 0
.LBB110_367:
	s_andn2_b64 vcc, exec, s[24:25]
	s_cbranch_vccnz .LBB110_376
; %bb.368:
	s_cmp_lt_i32 s28, 6
	s_mov_b64 s[24:25], -1
	s_cbranch_scc1 .LBB110_374
; %bb.369:
	s_cmp_gt_i32 s28, 6
	s_cbranch_scc0 .LBB110_371
; %bb.370:
	v_bfe_i32 v2, v4, 0, 16
	v_cvt_f64_i32_e32 v[2:3], v2
	s_mov_b64 s[24:25], 0
	global_store_dwordx2 v[0:1], v[2:3], off
.LBB110_371:
	s_andn2_b64 vcc, exec, s[24:25]
	s_cbranch_vccnz .LBB110_373
; %bb.372:
	v_cvt_f32_i32_sdwa v2, sext(v4) dst_sel:DWORD dst_unused:UNUSED_PAD src0_sel:WORD_0
	global_store_dword v[0:1], v2, off
.LBB110_373:
	s_mov_b64 s[24:25], 0
.LBB110_374:
	s_andn2_b64 vcc, exec, s[24:25]
	s_cbranch_vccnz .LBB110_376
; %bb.375:
	v_cvt_f16_i16_e32 v2, v4
	global_store_short v[0:1], v2, off
.LBB110_376:
	s_mov_b64 s[24:25], 0
.LBB110_377:
	s_andn2_b64 vcc, exec, s[24:25]
	s_cbranch_vccnz .LBB110_393
; %bb.378:
	s_cmp_lt_i32 s28, 2
	s_mov_b64 s[24:25], -1
	s_cbranch_scc1 .LBB110_388
; %bb.379:
	s_cmp_lt_i32 s28, 3
	s_cbranch_scc1 .LBB110_385
; %bb.380:
	s_cmp_gt_i32 s28, 3
	v_bfe_i32 v2, v4, 0, 16
	s_cbranch_scc0 .LBB110_382
; %bb.381:
	v_ashrrev_i32_e32 v3, 31, v2
	s_mov_b64 s[24:25], 0
	global_store_dwordx2 v[0:1], v[2:3], off
.LBB110_382:
	s_andn2_b64 vcc, exec, s[24:25]
	s_cbranch_vccnz .LBB110_384
; %bb.383:
	global_store_dword v[0:1], v2, off
.LBB110_384:
	s_mov_b64 s[24:25], 0
.LBB110_385:
	s_andn2_b64 vcc, exec, s[24:25]
	s_cbranch_vccnz .LBB110_387
; %bb.386:
	global_store_short v[0:1], v4, off
.LBB110_387:
	s_mov_b64 s[24:25], 0
.LBB110_388:
	s_andn2_b64 vcc, exec, s[24:25]
	s_cbranch_vccnz .LBB110_393
; %bb.389:
	s_cmp_gt_i32 s28, 0
	s_mov_b64 s[24:25], -1
	s_cbranch_scc0 .LBB110_391
; %bb.390:
	s_mov_b64 s[24:25], 0
	global_store_byte v[0:1], v4, off
.LBB110_391:
	s_andn2_b64 vcc, exec, s[24:25]
	s_cbranch_vccnz .LBB110_393
; %bb.392:
	global_store_byte v[0:1], v4, off
.LBB110_393:
	s_mov_b64 s[24:25], -1
.LBB110_394:
	s_andn2_b64 vcc, exec, s[24:25]
	s_cbranch_vccnz .LBB110_396
; %bb.395:
	v_add_u32_e32 v9, 0x80, v9
	s_mov_b64 s[28:29], -1
	s_branch .LBB110_504
.LBB110_396:
	s_mov_b64 s[28:29], 0
                                        ; implicit-def: $vgpr9
	s_branch .LBB110_504
.LBB110_397:
	s_mov_b64 s[22:23], -1
                                        ; implicit-def: $vgpr2
.LBB110_398:
	s_mov_b64 s[24:25], 0
.LBB110_399:
	s_and_b64 vcc, exec, s[24:25]
	s_cbranch_vccz .LBB110_403
; %bb.400:
	s_cmp_eq_u32 s28, 29
	s_cbranch_scc0 .LBB110_402
; %bb.401:
	global_load_dwordx2 v[2:3], v[0:1], off
	s_mov_b64 s[0:1], -1
	s_mov_b64 s[22:23], 0
	s_branch .LBB110_403
.LBB110_402:
	s_mov_b64 s[22:23], -1
                                        ; implicit-def: $vgpr2
.LBB110_403:
	s_mov_b64 s[24:25], 0
.LBB110_404:
	s_and_b64 vcc, exec, s[24:25]
	s_cbranch_vccz .LBB110_420
; %bb.405:
	s_cmp_lt_i32 s28, 27
	s_cbranch_scc1 .LBB110_408
; %bb.406:
	s_cmp_gt_i32 s28, 27
	s_cbranch_scc0 .LBB110_409
; %bb.407:
	global_load_dword v2, v[0:1], off
	s_mov_b64 s[0:1], 0
	s_branch .LBB110_410
.LBB110_408:
	s_mov_b64 s[0:1], -1
                                        ; implicit-def: $vgpr2
	s_branch .LBB110_413
.LBB110_409:
	s_mov_b64 s[0:1], -1
                                        ; implicit-def: $vgpr2
.LBB110_410:
	s_andn2_b64 vcc, exec, s[0:1]
	s_cbranch_vccnz .LBB110_412
; %bb.411:
	global_load_ushort v2, v[0:1], off
.LBB110_412:
	s_mov_b64 s[0:1], 0
.LBB110_413:
	s_andn2_b64 vcc, exec, s[0:1]
	s_cbranch_vccnz .LBB110_419
; %bb.414:
	global_load_ubyte v3, v[0:1], off
	s_movk_i32 s0, 0x7f
	s_mov_b64 s[24:25], 0
	s_waitcnt vmcnt(0)
	v_cmp_lt_i16_e32 vcc, s0, v3
	s_and_saveexec_b64 s[0:1], vcc
	s_xor_b64 s[0:1], exec, s[0:1]
	s_cbranch_execz .LBB110_431
; %bb.415:
	s_movk_i32 s24, 0x80
	v_cmp_ne_u16_e32 vcc, s24, v3
	s_and_b64 s[24:25], vcc, exec
	s_andn2_saveexec_b64 s[0:1], s[0:1]
	s_cbranch_execnz .LBB110_432
.LBB110_416:
	s_or_b64 exec, exec, s[0:1]
	v_mov_b32_e32 v2, 0
	s_and_saveexec_b64 s[0:1], s[24:25]
	s_cbranch_execz .LBB110_418
.LBB110_417:
	v_lshlrev_b32_e32 v2, 24, v3
	v_and_b32_e32 v3, 0xffff, v3
	v_and_b32_e32 v4, 7, v3
	v_ffbh_u32_e32 v6, v4
	v_min_u32_e32 v6, 32, v6
	v_subrev_u32_e32 v7, 28, v6
	v_bfe_u32 v5, v3, 3, 4
	v_lshlrev_b32_e32 v3, v7, v3
	v_sub_u32_e32 v6, 29, v6
	v_and_b32_e32 v3, 7, v3
	v_cmp_eq_u32_e32 vcc, 0, v5
	v_cndmask_b32_e32 v5, v5, v6, vcc
	v_cndmask_b32_e32 v3, v4, v3, vcc
	v_mov_b32_e32 v4, 0x3b800000
	v_lshlrev_b32_e32 v3, 20, v3
	v_and_b32_e32 v2, 0x80000000, v2
	v_lshl_add_u32 v4, v5, 23, v4
	v_or3_b32 v2, v2, v4, v3
	v_cvt_i32_f32_e32 v2, v2
.LBB110_418:
	s_or_b64 exec, exec, s[0:1]
.LBB110_419:
	s_mov_b64 s[0:1], -1
.LBB110_420:
	s_mov_b64 s[24:25], 0
.LBB110_421:
	s_and_b64 vcc, exec, s[24:25]
	s_cbranch_vccz .LBB110_454
; %bb.422:
	s_cmp_gt_i32 s28, 22
	s_cbranch_scc0 .LBB110_430
; %bb.423:
	s_cmp_lt_i32 s28, 24
	s_cbranch_scc1 .LBB110_433
; %bb.424:
	s_cmp_gt_i32 s28, 24
	s_cbranch_scc0 .LBB110_434
; %bb.425:
	global_load_ubyte v3, v[0:1], off
	s_movk_i32 s0, 0x7f
	s_mov_b64 s[24:25], 0
	s_waitcnt vmcnt(0)
	v_cmp_lt_i16_e32 vcc, s0, v3
	s_and_saveexec_b64 s[0:1], vcc
	s_xor_b64 s[0:1], exec, s[0:1]
	s_cbranch_execz .LBB110_446
; %bb.426:
	s_movk_i32 s24, 0x80
	v_cmp_ne_u16_e32 vcc, s24, v3
	s_and_b64 s[24:25], vcc, exec
	s_andn2_saveexec_b64 s[0:1], s[0:1]
	s_cbranch_execnz .LBB110_447
.LBB110_427:
	s_or_b64 exec, exec, s[0:1]
	v_mov_b32_e32 v2, 0
	s_and_saveexec_b64 s[0:1], s[24:25]
	s_cbranch_execz .LBB110_429
.LBB110_428:
	v_lshlrev_b32_e32 v2, 24, v3
	v_and_b32_e32 v3, 0xffff, v3
	v_and_b32_e32 v4, 3, v3
	v_ffbh_u32_e32 v6, v4
	v_min_u32_e32 v6, 32, v6
	v_subrev_u32_e32 v7, 29, v6
	v_bfe_u32 v5, v3, 2, 5
	v_lshlrev_b32_e32 v3, v7, v3
	v_sub_u32_e32 v6, 30, v6
	v_and_b32_e32 v3, 3, v3
	v_cmp_eq_u32_e32 vcc, 0, v5
	v_cndmask_b32_e32 v5, v5, v6, vcc
	v_cndmask_b32_e32 v3, v4, v3, vcc
	v_mov_b32_e32 v4, 0x37800000
	v_lshlrev_b32_e32 v3, 21, v3
	v_and_b32_e32 v2, 0x80000000, v2
	v_lshl_add_u32 v4, v5, 23, v4
	v_or3_b32 v2, v2, v4, v3
	v_cvt_i32_f32_e32 v2, v2
.LBB110_429:
	s_or_b64 exec, exec, s[0:1]
	s_mov_b64 s[0:1], 0
	s_branch .LBB110_435
.LBB110_430:
	s_mov_b64 s[24:25], -1
                                        ; implicit-def: $vgpr2
	s_branch .LBB110_441
.LBB110_431:
	s_andn2_saveexec_b64 s[0:1], s[0:1]
	s_cbranch_execz .LBB110_416
.LBB110_432:
	v_cmp_ne_u16_e32 vcc, 0, v3
	s_andn2_b64 s[24:25], s[24:25], exec
	s_and_b64 s[30:31], vcc, exec
	s_or_b64 s[24:25], s[24:25], s[30:31]
	s_or_b64 exec, exec, s[0:1]
	v_mov_b32_e32 v2, 0
	s_and_saveexec_b64 s[0:1], s[24:25]
	s_cbranch_execnz .LBB110_417
	s_branch .LBB110_418
.LBB110_433:
	s_mov_b64 s[0:1], -1
                                        ; implicit-def: $vgpr2
	s_branch .LBB110_438
.LBB110_434:
	s_mov_b64 s[0:1], -1
                                        ; implicit-def: $vgpr2
.LBB110_435:
	s_and_b64 vcc, exec, s[0:1]
	s_cbranch_vccz .LBB110_437
; %bb.436:
	global_load_ubyte v2, v[0:1], off
	s_mov_b32 s0, 0x7f800000
	s_waitcnt vmcnt(0)
	v_lshlrev_b32_e32 v2, 24, v2
	v_and_b32_e32 v3, 0x7f000000, v2
	v_ffbh_u32_e32 v4, v3
	v_min_u32_e32 v4, 32, v4
	v_sub_u32_e64 v4, v4, 4 clamp
	v_lshlrev_b32_e32 v6, v4, v3
	v_lshlrev_b32_e32 v4, 23, v4
	v_lshrrev_b32_e32 v6, 4, v6
	v_add_u32_e32 v5, 0x1000000, v3
	v_sub_u32_e32 v4, v6, v4
	v_ashrrev_i32_e32 v5, 8, v5
	v_add_u32_e32 v4, 0x3c000000, v4
	v_and_or_b32 v4, v5, s0, v4
	v_cmp_ne_u32_e32 vcc, 0, v3
	v_cndmask_b32_e32 v3, 0, v4, vcc
	s_brev_b32 s0, 1
	v_and_or_b32 v2, v2, s0, v3
	v_cvt_i32_f32_e32 v2, v2
.LBB110_437:
	s_mov_b64 s[0:1], 0
.LBB110_438:
	s_andn2_b64 vcc, exec, s[0:1]
	s_cbranch_vccnz .LBB110_440
; %bb.439:
	global_load_ubyte v2, v[0:1], off
	s_movk_i32 s0, 0x7f00
	s_brev_b32 s1, 16
	s_waitcnt vmcnt(0)
	v_lshlrev_b16_e32 v3, 8, v2
	v_lshlrev_b32_e32 v2, 25, v2
	v_lshrrev_b32_e32 v4, 4, v2
	v_and_or_b32 v5, v3, s0, 0.5
	v_or_b32_e32 v4, 0x70000000, v4
	v_add_f32_e32 v5, -0.5, v5
	v_mul_f32_e32 v4, 0x7800000, v4
	v_cmp_gt_u32_e32 vcc, s1, v2
	v_bfe_i32 v3, v3, 0, 16
	v_cndmask_b32_e32 v2, v4, v5, vcc
	s_brev_b32 s0, 1
	v_and_or_b32 v2, v3, s0, v2
	v_cvt_i32_f32_e32 v2, v2
.LBB110_440:
	s_mov_b64 s[24:25], 0
	s_mov_b64 s[0:1], -1
.LBB110_441:
	s_andn2_b64 vcc, exec, s[24:25]
	s_cbranch_vccnz .LBB110_454
; %bb.442:
	s_cmp_gt_i32 s28, 14
	s_cbranch_scc0 .LBB110_445
; %bb.443:
	s_cmp_eq_u32 s28, 15
	s_cbranch_scc0 .LBB110_448
; %bb.444:
	global_load_ushort v2, v[0:1], off
	s_mov_b64 s[0:1], -1
	s_mov_b64 s[22:23], 0
	s_waitcnt vmcnt(0)
	v_lshlrev_b32_e32 v2, 16, v2
	v_cvt_i32_f32_e32 v2, v2
	s_branch .LBB110_449
.LBB110_445:
	s_mov_b64 s[24:25], -1
                                        ; implicit-def: $vgpr2
	s_branch .LBB110_450
.LBB110_446:
	s_andn2_saveexec_b64 s[0:1], s[0:1]
	s_cbranch_execz .LBB110_427
.LBB110_447:
	v_cmp_ne_u16_e32 vcc, 0, v3
	s_andn2_b64 s[24:25], s[24:25], exec
	s_and_b64 s[30:31], vcc, exec
	s_or_b64 s[24:25], s[24:25], s[30:31]
	s_or_b64 exec, exec, s[0:1]
	v_mov_b32_e32 v2, 0
	s_and_saveexec_b64 s[0:1], s[24:25]
	s_cbranch_execnz .LBB110_428
	s_branch .LBB110_429
.LBB110_448:
	s_mov_b64 s[22:23], -1
                                        ; implicit-def: $vgpr2
.LBB110_449:
	s_mov_b64 s[24:25], 0
.LBB110_450:
	s_and_b64 vcc, exec, s[24:25]
	s_cbranch_vccz .LBB110_454
; %bb.451:
	s_cmp_eq_u32 s28, 11
	s_cbranch_scc0 .LBB110_453
; %bb.452:
	global_load_ubyte v2, v[0:1], off
	s_mov_b64 s[0:1], -1
	s_mov_b64 s[22:23], 0
	s_waitcnt vmcnt(0)
	v_cmp_ne_u16_e32 vcc, 0, v2
	v_cndmask_b32_e64 v2, 0, 1, vcc
	s_branch .LBB110_454
.LBB110_453:
	s_mov_b64 s[22:23], -1
                                        ; implicit-def: $vgpr2
.LBB110_454:
	s_branch .LBB110_261
.LBB110_455:
	s_cmp_lt_i32 s28, 5
	s_cbranch_scc1 .LBB110_460
; %bb.456:
	s_cmp_lt_i32 s28, 8
	s_cbranch_scc1 .LBB110_461
; %bb.457:
	s_cmp_lt_i32 s28, 9
	s_cbranch_scc1 .LBB110_462
; %bb.458:
	s_cmp_gt_i32 s28, 9
	s_cbranch_scc0 .LBB110_463
; %bb.459:
	global_load_dwordx2 v[2:3], v[0:1], off
	s_mov_b64 s[0:1], 0
	s_waitcnt vmcnt(0)
	v_cvt_i32_f64_e32 v2, v[2:3]
	s_branch .LBB110_464
.LBB110_460:
	s_mov_b64 s[0:1], -1
                                        ; implicit-def: $vgpr2
	s_branch .LBB110_482
.LBB110_461:
	s_mov_b64 s[0:1], -1
                                        ; implicit-def: $vgpr2
	s_branch .LBB110_470
.LBB110_462:
	s_mov_b64 s[0:1], -1
                                        ; implicit-def: $vgpr2
	s_branch .LBB110_467
.LBB110_463:
	s_mov_b64 s[0:1], -1
                                        ; implicit-def: $vgpr2
.LBB110_464:
	s_andn2_b64 vcc, exec, s[0:1]
	s_cbranch_vccnz .LBB110_466
; %bb.465:
	global_load_dword v2, v[0:1], off
	s_waitcnt vmcnt(0)
	v_cvt_i32_f32_e32 v2, v2
.LBB110_466:
	s_mov_b64 s[0:1], 0
.LBB110_467:
	s_andn2_b64 vcc, exec, s[0:1]
	s_cbranch_vccnz .LBB110_469
; %bb.468:
	global_load_dword v2, v[0:1], off
	s_waitcnt vmcnt(0)
	v_cvt_i16_f16_e32 v2, v2
.LBB110_469:
	s_mov_b64 s[0:1], 0
.LBB110_470:
	s_andn2_b64 vcc, exec, s[0:1]
	s_cbranch_vccnz .LBB110_481
; %bb.471:
	s_cmp_lt_i32 s28, 6
	s_cbranch_scc1 .LBB110_474
; %bb.472:
	s_cmp_gt_i32 s28, 6
	s_cbranch_scc0 .LBB110_475
; %bb.473:
	global_load_dwordx2 v[2:3], v[0:1], off
	s_mov_b64 s[0:1], 0
	s_waitcnt vmcnt(0)
	v_cvt_i32_f64_e32 v2, v[2:3]
	s_branch .LBB110_476
.LBB110_474:
	s_mov_b64 s[0:1], -1
                                        ; implicit-def: $vgpr2
	s_branch .LBB110_479
.LBB110_475:
	s_mov_b64 s[0:1], -1
                                        ; implicit-def: $vgpr2
.LBB110_476:
	s_andn2_b64 vcc, exec, s[0:1]
	s_cbranch_vccnz .LBB110_478
; %bb.477:
	global_load_dword v2, v[0:1], off
	s_waitcnt vmcnt(0)
	v_cvt_i32_f32_e32 v2, v2
.LBB110_478:
	s_mov_b64 s[0:1], 0
.LBB110_479:
	s_andn2_b64 vcc, exec, s[0:1]
	s_cbranch_vccnz .LBB110_481
; %bb.480:
	global_load_ushort v2, v[0:1], off
	s_waitcnt vmcnt(0)
	v_cvt_i16_f16_e32 v2, v2
.LBB110_481:
	s_mov_b64 s[0:1], 0
.LBB110_482:
	s_andn2_b64 vcc, exec, s[0:1]
	s_cbranch_vccnz .LBB110_502
; %bb.483:
	s_cmp_lt_i32 s28, 2
	s_cbranch_scc1 .LBB110_487
; %bb.484:
	s_cmp_lt_i32 s28, 3
	s_cbranch_scc1 .LBB110_488
; %bb.485:
	s_cmp_gt_i32 s28, 3
	s_cbranch_scc0 .LBB110_489
; %bb.486:
	global_load_dwordx2 v[2:3], v[0:1], off
	s_mov_b64 s[0:1], 0
	s_branch .LBB110_490
.LBB110_487:
	s_mov_b64 s[0:1], -1
                                        ; implicit-def: $vgpr2
	s_branch .LBB110_496
.LBB110_488:
	s_mov_b64 s[0:1], -1
                                        ; implicit-def: $vgpr2
	s_branch .LBB110_493
.LBB110_489:
	s_mov_b64 s[0:1], -1
                                        ; implicit-def: $vgpr2
.LBB110_490:
	s_andn2_b64 vcc, exec, s[0:1]
	s_cbranch_vccnz .LBB110_492
; %bb.491:
	global_load_dword v2, v[0:1], off
.LBB110_492:
	s_mov_b64 s[0:1], 0
.LBB110_493:
	s_andn2_b64 vcc, exec, s[0:1]
	s_cbranch_vccnz .LBB110_495
; %bb.494:
	global_load_ushort v2, v[0:1], off
.LBB110_495:
	s_mov_b64 s[0:1], 0
.LBB110_496:
	s_andn2_b64 vcc, exec, s[0:1]
	s_cbranch_vccnz .LBB110_502
; %bb.497:
	s_cmp_gt_i32 s28, 0
	s_cbranch_scc0 .LBB110_499
; %bb.498:
	global_load_sbyte v2, v[0:1], off
	s_mov_b64 s[0:1], 0
	s_branch .LBB110_500
.LBB110_499:
	s_mov_b64 s[0:1], -1
                                        ; implicit-def: $vgpr2
.LBB110_500:
	s_andn2_b64 vcc, exec, s[0:1]
	s_cbranch_vccnz .LBB110_502
; %bb.501:
	global_load_ubyte v2, v[0:1], off
.LBB110_502:
	s_branch .LBB110_262
.LBB110_503:
	s_mov_b64 s[28:29], 0
                                        ; implicit-def: $vgpr9
	s_mov_b64 s[0:1], s[16:17]
.LBB110_504:
	s_andn2_b64 s[24:25], s[16:17], exec
	s_and_b64 s[0:1], s[0:1], exec
	s_or_b64 s[24:25], s[24:25], s[0:1]
	s_andn2_b64 s[0:1], s[18:19], exec
	s_and_b64 s[22:23], s[22:23], exec
	s_or_b64 s[22:23], s[0:1], s[22:23]
	s_orn2_b64 s[0:1], s[28:29], exec
.LBB110_505:
	s_or_b64 exec, exec, s[26:27]
	s_mov_b64 s[28:29], 0
	s_mov_b64 s[30:31], 0
	;; [unrolled: 1-line block ×3, first 2 shown]
                                        ; implicit-def: $vgpr0_vgpr1
                                        ; implicit-def: $vgpr2
	s_and_saveexec_b64 s[26:27], s[0:1]
	s_cbranch_execz .LBB110_842
; %bb.506:
	v_cmp_gt_i32_e32 vcc, s42, v9
	s_mov_b64 s[38:39], -1
	s_mov_b64 s[0:1], s[22:23]
	s_mov_b64 s[34:35], s[24:25]
	s_and_saveexec_b64 s[28:29], vcc
	s_cbranch_execz .LBB110_760
; %bb.507:
	v_mul_lo_u32 v0, v9, s13
	v_mov_b32_e32 v1, s11
	s_and_b32 s36, 0xffff, s33
	s_cmp_lt_i32 s36, 11
	s_waitcnt vmcnt(0)
	v_ashrrev_i32_e32 v2, 31, v0
	v_add_co_u32_e32 v0, vcc, s10, v0
	v_addc_co_u32_e32 v1, vcc, v1, v2, vcc
	s_cbranch_scc1 .LBB110_514
; %bb.508:
	s_cmp_gt_i32 s36, 25
	s_cbranch_scc0 .LBB110_515
; %bb.509:
	s_cmp_gt_i32 s36, 28
	s_cbranch_scc0 .LBB110_516
	;; [unrolled: 3-line block ×4, first 2 shown]
; %bb.512:
	s_cmp_eq_u32 s36, 46
	s_mov_b64 s[34:35], 0
	s_cbranch_scc0 .LBB110_523
; %bb.513:
	global_load_dword v2, v[0:1], off
	s_mov_b64 s[0:1], -1
	s_waitcnt vmcnt(0)
	v_lshlrev_b32_e32 v2, 16, v2
	v_cvt_i32_f32_e32 v2, v2
	s_branch .LBB110_524
.LBB110_514:
	s_mov_b64 s[34:35], -1
	s_mov_b64 s[0:1], 0
                                        ; implicit-def: $vgpr2
	s_mov_b64 s[30:31], s[22:23]
	s_branch .LBB110_585
.LBB110_515:
	s_mov_b64 s[34:35], -1
	s_mov_b64 s[0:1], 0
	s_mov_b64 s[30:31], s[22:23]
                                        ; implicit-def: $vgpr2
	s_branch .LBB110_551
.LBB110_516:
	s_mov_b64 s[34:35], -1
	s_mov_b64 s[0:1], 0
	s_mov_b64 s[30:31], s[22:23]
                                        ; implicit-def: $vgpr2
	s_branch .LBB110_534
.LBB110_517:
	s_mov_b64 s[34:35], -1
	s_mov_b64 s[0:1], 0
	s_mov_b64 s[30:31], s[22:23]
                                        ; implicit-def: $vgpr2
	s_branch .LBB110_529
.LBB110_518:
	s_andn2_saveexec_b64 s[30:31], s[30:31]
	s_cbranch_execz .LBB110_307
.LBB110_519:
	s_mov_b32 s36, 0x46000000
	v_add_f32_e64 v3, |v2|, s36
	v_and_b32_e32 v3, 0xff, v3
	v_cmp_ne_u32_e32 vcc, 0, v3
	s_andn2_b64 s[28:29], s[28:29], exec
	s_and_b64 s[36:37], vcc, exec
	s_or_b64 s[28:29], s[28:29], s[36:37]
	s_or_b64 exec, exec, s[30:31]
	v_mov_b32_e32 v5, 0
	s_and_saveexec_b64 s[30:31], s[28:29]
	s_cbranch_execnz .LBB110_308
	s_branch .LBB110_309
.LBB110_520:
	s_mov_b64 s[34:35], -1
	s_mov_b64 s[0:1], 0
	s_mov_b64 s[30:31], s[22:23]
                                        ; implicit-def: $vgpr2
	s_branch .LBB110_524
.LBB110_521:
	s_andn2_saveexec_b64 s[30:31], s[30:31]
	s_cbranch_execz .LBB110_320
.LBB110_522:
	s_mov_b32 s36, 0x42800000
	v_add_f32_e64 v3, |v2|, s36
	v_and_b32_e32 v3, 0xff, v3
	v_cmp_ne_u32_e32 vcc, 0, v3
	s_andn2_b64 s[28:29], s[28:29], exec
	s_and_b64 s[36:37], vcc, exec
	s_or_b64 s[28:29], s[28:29], s[36:37]
	s_or_b64 exec, exec, s[30:31]
	v_mov_b32_e32 v5, 0
	s_and_saveexec_b64 s[30:31], s[28:29]
	s_cbranch_execnz .LBB110_321
	s_branch .LBB110_322
.LBB110_523:
	s_mov_b64 s[30:31], -1
                                        ; implicit-def: $vgpr2
	s_mov_b64 s[0:1], 0
.LBB110_524:
	s_and_b64 vcc, exec, s[34:35]
	s_cbranch_vccz .LBB110_528
; %bb.525:
	s_cmp_eq_u32 s36, 44
	s_cbranch_scc0 .LBB110_527
; %bb.526:
	global_load_ubyte v2, v[0:1], off
	s_mov_b64 s[0:1], -1
	s_mov_b64 s[30:31], 0
	s_waitcnt vmcnt(0)
	v_lshlrev_b32_e32 v3, 23, v2
	v_cvt_i32_f32_e32 v3, v3
	v_cmp_ne_u32_e32 vcc, 0, v2
	v_cndmask_b32_e32 v2, 0, v3, vcc
	s_branch .LBB110_528
.LBB110_527:
	s_mov_b64 s[30:31], -1
                                        ; implicit-def: $vgpr2
.LBB110_528:
	s_mov_b64 s[34:35], 0
.LBB110_529:
	s_and_b64 vcc, exec, s[34:35]
	s_cbranch_vccz .LBB110_533
; %bb.530:
	s_cmp_eq_u32 s36, 29
	s_cbranch_scc0 .LBB110_532
; %bb.531:
	global_load_dwordx2 v[2:3], v[0:1], off
	s_mov_b64 s[0:1], -1
	s_mov_b64 s[30:31], 0
	s_branch .LBB110_533
.LBB110_532:
	s_mov_b64 s[30:31], -1
                                        ; implicit-def: $vgpr2
.LBB110_533:
	s_mov_b64 s[34:35], 0
.LBB110_534:
	s_and_b64 vcc, exec, s[34:35]
	s_cbranch_vccz .LBB110_550
; %bb.535:
	s_cmp_lt_i32 s36, 27
	s_cbranch_scc1 .LBB110_538
; %bb.536:
	s_cmp_gt_i32 s36, 27
	s_cbranch_scc0 .LBB110_539
; %bb.537:
	global_load_dword v2, v[0:1], off
	s_mov_b64 s[0:1], 0
	s_branch .LBB110_540
.LBB110_538:
	s_mov_b64 s[0:1], -1
                                        ; implicit-def: $vgpr2
	s_branch .LBB110_543
.LBB110_539:
	s_mov_b64 s[0:1], -1
                                        ; implicit-def: $vgpr2
.LBB110_540:
	s_andn2_b64 vcc, exec, s[0:1]
	s_cbranch_vccnz .LBB110_542
; %bb.541:
	global_load_ushort v2, v[0:1], off
.LBB110_542:
	s_mov_b64 s[0:1], 0
.LBB110_543:
	s_andn2_b64 vcc, exec, s[0:1]
	s_cbranch_vccnz .LBB110_549
; %bb.544:
	global_load_ubyte v3, v[0:1], off
	s_movk_i32 s0, 0x7f
	s_mov_b64 s[34:35], 0
	s_waitcnt vmcnt(0)
	v_cmp_lt_i16_e32 vcc, s0, v3
	s_and_saveexec_b64 s[0:1], vcc
	s_xor_b64 s[0:1], exec, s[0:1]
	s_cbranch_execz .LBB110_561
; %bb.545:
	s_movk_i32 s34, 0x80
	v_cmp_ne_u16_e32 vcc, s34, v3
	s_and_b64 s[34:35], vcc, exec
	s_andn2_saveexec_b64 s[0:1], s[0:1]
	s_cbranch_execnz .LBB110_562
.LBB110_546:
	s_or_b64 exec, exec, s[0:1]
	v_mov_b32_e32 v2, 0
	s_and_saveexec_b64 s[0:1], s[34:35]
	s_cbranch_execz .LBB110_548
.LBB110_547:
	v_lshlrev_b32_e32 v2, 24, v3
	v_and_b32_e32 v3, 0xffff, v3
	v_and_b32_e32 v4, 7, v3
	v_ffbh_u32_e32 v6, v4
	v_min_u32_e32 v6, 32, v6
	v_subrev_u32_e32 v7, 28, v6
	v_bfe_u32 v5, v3, 3, 4
	v_lshlrev_b32_e32 v3, v7, v3
	v_sub_u32_e32 v6, 29, v6
	v_and_b32_e32 v3, 7, v3
	v_cmp_eq_u32_e32 vcc, 0, v5
	v_cndmask_b32_e32 v5, v5, v6, vcc
	v_cndmask_b32_e32 v3, v4, v3, vcc
	v_mov_b32_e32 v4, 0x3b800000
	v_lshlrev_b32_e32 v3, 20, v3
	v_and_b32_e32 v2, 0x80000000, v2
	v_lshl_add_u32 v4, v5, 23, v4
	v_or3_b32 v2, v2, v4, v3
	v_cvt_i32_f32_e32 v2, v2
.LBB110_548:
	s_or_b64 exec, exec, s[0:1]
.LBB110_549:
	s_mov_b64 s[0:1], -1
.LBB110_550:
	s_mov_b64 s[34:35], 0
.LBB110_551:
	s_and_b64 vcc, exec, s[34:35]
	s_cbranch_vccz .LBB110_584
; %bb.552:
	s_cmp_gt_i32 s36, 22
	s_cbranch_scc0 .LBB110_560
; %bb.553:
	s_cmp_lt_i32 s36, 24
	s_cbranch_scc1 .LBB110_563
; %bb.554:
	s_cmp_gt_i32 s36, 24
	s_cbranch_scc0 .LBB110_564
; %bb.555:
	global_load_ubyte v3, v[0:1], off
	s_movk_i32 s0, 0x7f
	s_mov_b64 s[34:35], 0
	s_waitcnt vmcnt(0)
	v_cmp_lt_i16_e32 vcc, s0, v3
	s_and_saveexec_b64 s[0:1], vcc
	s_xor_b64 s[0:1], exec, s[0:1]
	s_cbranch_execz .LBB110_576
; %bb.556:
	s_movk_i32 s34, 0x80
	v_cmp_ne_u16_e32 vcc, s34, v3
	s_and_b64 s[34:35], vcc, exec
	s_andn2_saveexec_b64 s[0:1], s[0:1]
	s_cbranch_execnz .LBB110_577
.LBB110_557:
	s_or_b64 exec, exec, s[0:1]
	v_mov_b32_e32 v2, 0
	s_and_saveexec_b64 s[0:1], s[34:35]
	s_cbranch_execz .LBB110_559
.LBB110_558:
	v_lshlrev_b32_e32 v2, 24, v3
	v_and_b32_e32 v3, 0xffff, v3
	v_and_b32_e32 v4, 3, v3
	v_ffbh_u32_e32 v6, v4
	v_min_u32_e32 v6, 32, v6
	v_subrev_u32_e32 v7, 29, v6
	v_bfe_u32 v5, v3, 2, 5
	v_lshlrev_b32_e32 v3, v7, v3
	v_sub_u32_e32 v6, 30, v6
	v_and_b32_e32 v3, 3, v3
	v_cmp_eq_u32_e32 vcc, 0, v5
	v_cndmask_b32_e32 v5, v5, v6, vcc
	v_cndmask_b32_e32 v3, v4, v3, vcc
	v_mov_b32_e32 v4, 0x37800000
	v_lshlrev_b32_e32 v3, 21, v3
	v_and_b32_e32 v2, 0x80000000, v2
	v_lshl_add_u32 v4, v5, 23, v4
	v_or3_b32 v2, v2, v4, v3
	v_cvt_i32_f32_e32 v2, v2
.LBB110_559:
	s_or_b64 exec, exec, s[0:1]
	s_mov_b64 s[0:1], 0
	s_branch .LBB110_565
.LBB110_560:
	s_mov_b64 s[34:35], -1
                                        ; implicit-def: $vgpr2
	s_branch .LBB110_571
.LBB110_561:
	s_andn2_saveexec_b64 s[0:1], s[0:1]
	s_cbranch_execz .LBB110_546
.LBB110_562:
	v_cmp_ne_u16_e32 vcc, 0, v3
	s_andn2_b64 s[34:35], s[34:35], exec
	s_and_b64 s[38:39], vcc, exec
	s_or_b64 s[34:35], s[34:35], s[38:39]
	s_or_b64 exec, exec, s[0:1]
	v_mov_b32_e32 v2, 0
	s_and_saveexec_b64 s[0:1], s[34:35]
	s_cbranch_execnz .LBB110_547
	s_branch .LBB110_548
.LBB110_563:
	s_mov_b64 s[0:1], -1
                                        ; implicit-def: $vgpr2
	s_branch .LBB110_568
.LBB110_564:
	s_mov_b64 s[0:1], -1
                                        ; implicit-def: $vgpr2
.LBB110_565:
	s_and_b64 vcc, exec, s[0:1]
	s_cbranch_vccz .LBB110_567
; %bb.566:
	global_load_ubyte v2, v[0:1], off
	s_mov_b32 s0, 0x7f800000
	s_waitcnt vmcnt(0)
	v_lshlrev_b32_e32 v2, 24, v2
	v_and_b32_e32 v3, 0x7f000000, v2
	v_ffbh_u32_e32 v4, v3
	v_min_u32_e32 v4, 32, v4
	v_sub_u32_e64 v4, v4, 4 clamp
	v_lshlrev_b32_e32 v6, v4, v3
	v_lshlrev_b32_e32 v4, 23, v4
	v_lshrrev_b32_e32 v6, 4, v6
	v_add_u32_e32 v5, 0x1000000, v3
	v_sub_u32_e32 v4, v6, v4
	v_ashrrev_i32_e32 v5, 8, v5
	v_add_u32_e32 v4, 0x3c000000, v4
	v_and_or_b32 v4, v5, s0, v4
	v_cmp_ne_u32_e32 vcc, 0, v3
	v_cndmask_b32_e32 v3, 0, v4, vcc
	s_brev_b32 s0, 1
	v_and_or_b32 v2, v2, s0, v3
	v_cvt_i32_f32_e32 v2, v2
.LBB110_567:
	s_mov_b64 s[0:1], 0
.LBB110_568:
	s_andn2_b64 vcc, exec, s[0:1]
	s_cbranch_vccnz .LBB110_570
; %bb.569:
	global_load_ubyte v2, v[0:1], off
	s_movk_i32 s0, 0x7f00
	s_brev_b32 s1, 16
	s_waitcnt vmcnt(0)
	v_lshlrev_b16_e32 v3, 8, v2
	v_lshlrev_b32_e32 v2, 25, v2
	v_lshrrev_b32_e32 v4, 4, v2
	v_and_or_b32 v5, v3, s0, 0.5
	v_or_b32_e32 v4, 0x70000000, v4
	v_add_f32_e32 v5, -0.5, v5
	v_mul_f32_e32 v4, 0x7800000, v4
	v_cmp_gt_u32_e32 vcc, s1, v2
	v_bfe_i32 v3, v3, 0, 16
	v_cndmask_b32_e32 v2, v4, v5, vcc
	s_brev_b32 s0, 1
	v_and_or_b32 v2, v3, s0, v2
	v_cvt_i32_f32_e32 v2, v2
.LBB110_570:
	s_mov_b64 s[34:35], 0
	s_mov_b64 s[0:1], -1
.LBB110_571:
	s_andn2_b64 vcc, exec, s[34:35]
	s_cbranch_vccnz .LBB110_584
; %bb.572:
	s_cmp_gt_i32 s36, 14
	s_cbranch_scc0 .LBB110_575
; %bb.573:
	s_cmp_eq_u32 s36, 15
	s_cbranch_scc0 .LBB110_578
; %bb.574:
	global_load_ushort v2, v[0:1], off
	s_mov_b64 s[0:1], -1
	s_mov_b64 s[30:31], 0
	s_waitcnt vmcnt(0)
	v_lshlrev_b32_e32 v2, 16, v2
	v_cvt_i32_f32_e32 v2, v2
	s_branch .LBB110_579
.LBB110_575:
	s_mov_b64 s[34:35], -1
                                        ; implicit-def: $vgpr2
	s_branch .LBB110_580
.LBB110_576:
	s_andn2_saveexec_b64 s[0:1], s[0:1]
	s_cbranch_execz .LBB110_557
.LBB110_577:
	v_cmp_ne_u16_e32 vcc, 0, v3
	s_andn2_b64 s[34:35], s[34:35], exec
	s_and_b64 s[38:39], vcc, exec
	s_or_b64 s[34:35], s[34:35], s[38:39]
	s_or_b64 exec, exec, s[0:1]
	v_mov_b32_e32 v2, 0
	s_and_saveexec_b64 s[0:1], s[34:35]
	s_cbranch_execnz .LBB110_558
	s_branch .LBB110_559
.LBB110_578:
	s_mov_b64 s[30:31], -1
                                        ; implicit-def: $vgpr2
.LBB110_579:
	s_mov_b64 s[34:35], 0
.LBB110_580:
	s_and_b64 vcc, exec, s[34:35]
	s_cbranch_vccz .LBB110_584
; %bb.581:
	s_cmp_eq_u32 s36, 11
	s_cbranch_scc0 .LBB110_583
; %bb.582:
	global_load_ubyte v2, v[0:1], off
	s_mov_b64 s[0:1], -1
	s_mov_b64 s[30:31], 0
	s_waitcnt vmcnt(0)
	v_cmp_ne_u16_e32 vcc, 0, v2
	v_cndmask_b32_e64 v2, 0, 1, vcc
	s_branch .LBB110_584
.LBB110_583:
	s_mov_b64 s[30:31], -1
                                        ; implicit-def: $vgpr2
.LBB110_584:
	s_mov_b64 s[34:35], 0
.LBB110_585:
	s_and_b64 vcc, exec, s[34:35]
	s_cbranch_vccz .LBB110_634
; %bb.586:
	s_cmp_lt_i32 s36, 5
	s_cbranch_scc1 .LBB110_591
; %bb.587:
	s_cmp_lt_i32 s36, 8
	s_cbranch_scc1 .LBB110_592
; %bb.588:
	s_cmp_lt_i32 s36, 9
	s_cbranch_scc1 .LBB110_593
; %bb.589:
	s_cmp_gt_i32 s36, 9
	s_cbranch_scc0 .LBB110_594
; %bb.590:
	global_load_dwordx2 v[2:3], v[0:1], off
	s_mov_b64 s[0:1], 0
	s_waitcnt vmcnt(0)
	v_cvt_i32_f64_e32 v2, v[2:3]
	s_branch .LBB110_595
.LBB110_591:
	s_mov_b64 s[0:1], -1
                                        ; implicit-def: $vgpr2
	s_branch .LBB110_613
.LBB110_592:
	s_mov_b64 s[0:1], -1
                                        ; implicit-def: $vgpr2
	s_branch .LBB110_601
.LBB110_593:
	s_mov_b64 s[0:1], -1
                                        ; implicit-def: $vgpr2
	s_branch .LBB110_598
.LBB110_594:
	s_mov_b64 s[0:1], -1
                                        ; implicit-def: $vgpr2
.LBB110_595:
	s_andn2_b64 vcc, exec, s[0:1]
	s_cbranch_vccnz .LBB110_597
; %bb.596:
	global_load_dword v2, v[0:1], off
	s_waitcnt vmcnt(0)
	v_cvt_i32_f32_e32 v2, v2
.LBB110_597:
	s_mov_b64 s[0:1], 0
.LBB110_598:
	s_andn2_b64 vcc, exec, s[0:1]
	s_cbranch_vccnz .LBB110_600
; %bb.599:
	global_load_dword v2, v[0:1], off
	s_waitcnt vmcnt(0)
	v_cvt_i16_f16_e32 v2, v2
.LBB110_600:
	s_mov_b64 s[0:1], 0
.LBB110_601:
	s_andn2_b64 vcc, exec, s[0:1]
	s_cbranch_vccnz .LBB110_612
; %bb.602:
	s_cmp_lt_i32 s36, 6
	s_cbranch_scc1 .LBB110_605
; %bb.603:
	s_cmp_gt_i32 s36, 6
	s_cbranch_scc0 .LBB110_606
; %bb.604:
	global_load_dwordx2 v[2:3], v[0:1], off
	s_mov_b64 s[0:1], 0
	s_waitcnt vmcnt(0)
	v_cvt_i32_f64_e32 v2, v[2:3]
	s_branch .LBB110_607
.LBB110_605:
	s_mov_b64 s[0:1], -1
                                        ; implicit-def: $vgpr2
	s_branch .LBB110_610
.LBB110_606:
	s_mov_b64 s[0:1], -1
                                        ; implicit-def: $vgpr2
.LBB110_607:
	s_andn2_b64 vcc, exec, s[0:1]
	s_cbranch_vccnz .LBB110_609
; %bb.608:
	global_load_dword v2, v[0:1], off
	s_waitcnt vmcnt(0)
	v_cvt_i32_f32_e32 v2, v2
.LBB110_609:
	s_mov_b64 s[0:1], 0
.LBB110_610:
	s_andn2_b64 vcc, exec, s[0:1]
	s_cbranch_vccnz .LBB110_612
; %bb.611:
	global_load_ushort v2, v[0:1], off
	s_waitcnt vmcnt(0)
	v_cvt_i16_f16_e32 v2, v2
.LBB110_612:
	s_mov_b64 s[0:1], 0
.LBB110_613:
	s_andn2_b64 vcc, exec, s[0:1]
	s_cbranch_vccnz .LBB110_633
; %bb.614:
	s_cmp_lt_i32 s36, 2
	s_cbranch_scc1 .LBB110_618
; %bb.615:
	s_cmp_lt_i32 s36, 3
	s_cbranch_scc1 .LBB110_619
; %bb.616:
	s_cmp_gt_i32 s36, 3
	s_cbranch_scc0 .LBB110_620
; %bb.617:
	global_load_dwordx2 v[2:3], v[0:1], off
	s_mov_b64 s[0:1], 0
	s_branch .LBB110_621
.LBB110_618:
	s_mov_b64 s[0:1], -1
                                        ; implicit-def: $vgpr2
	s_branch .LBB110_627
.LBB110_619:
	s_mov_b64 s[0:1], -1
                                        ; implicit-def: $vgpr2
	s_branch .LBB110_624
.LBB110_620:
	s_mov_b64 s[0:1], -1
                                        ; implicit-def: $vgpr2
.LBB110_621:
	s_andn2_b64 vcc, exec, s[0:1]
	s_cbranch_vccnz .LBB110_623
; %bb.622:
	global_load_dword v2, v[0:1], off
.LBB110_623:
	s_mov_b64 s[0:1], 0
.LBB110_624:
	s_andn2_b64 vcc, exec, s[0:1]
	s_cbranch_vccnz .LBB110_626
; %bb.625:
	global_load_ushort v2, v[0:1], off
.LBB110_626:
	s_mov_b64 s[0:1], 0
.LBB110_627:
	s_andn2_b64 vcc, exec, s[0:1]
	s_cbranch_vccnz .LBB110_633
; %bb.628:
	s_cmp_gt_i32 s36, 0
	s_cbranch_scc0 .LBB110_630
; %bb.629:
	global_load_sbyte v2, v[0:1], off
	s_mov_b64 s[0:1], 0
	s_branch .LBB110_631
.LBB110_630:
	s_mov_b64 s[0:1], -1
                                        ; implicit-def: $vgpr2
.LBB110_631:
	s_andn2_b64 vcc, exec, s[0:1]
	s_cbranch_vccnz .LBB110_633
; %bb.632:
	global_load_ubyte v2, v[0:1], off
.LBB110_633:
	s_mov_b64 s[0:1], -1
.LBB110_634:
	s_andn2_b64 vcc, exec, s[0:1]
	s_cbranch_vccnz .LBB110_642
; %bb.635:
	v_mul_lo_u32 v0, v9, s12
	s_waitcnt vmcnt(0)
	v_lshlrev_b32_e32 v1, s46, v2
	v_mov_b32_e32 v2, s9
	v_cndmask_b32_e64 v4, v1, 0, s[6:7]
	v_ashrrev_i32_e32 v1, 31, v0
	s_and_b32 s40, s15, 0xff
	v_add_co_u32_e32 v0, vcc, s8, v0
	s_cmp_lt_i32 s40, 11
	v_addc_co_u32_e32 v1, vcc, v2, v1, vcc
	s_cbranch_scc1 .LBB110_643
; %bb.636:
	s_and_b32 s41, 0xffff, s40
	s_cmp_gt_i32 s41, 25
	s_cbranch_scc0 .LBB110_644
; %bb.637:
	s_cmp_gt_i32 s41, 28
	s_cbranch_scc0 .LBB110_645
; %bb.638:
	;; [unrolled: 3-line block ×4, first 2 shown]
	s_mov_b64 s[36:37], 0
	s_mov_b64 s[0:1], -1
	s_cmp_eq_u32 s41, 46
	s_mov_b64 s[34:35], 0
	s_cbranch_scc0 .LBB110_648
; %bb.641:
	v_cvt_f32_i32_sdwa v2, sext(v4) dst_sel:DWORD dst_unused:UNUSED_PAD src0_sel:WORD_0
	s_movk_i32 s0, 0x7fff
	s_mov_b64 s[34:35], -1
	v_bfe_u32 v3, v2, 16, 1
	v_add3_u32 v2, v2, v3, s0
	v_lshrrev_b32_e32 v2, 16, v2
	global_store_dword v[0:1], v2, off
	s_mov_b64 s[0:1], 0
	s_branch .LBB110_648
.LBB110_642:
	s_mov_b64 s[36:37], 0
                                        ; implicit-def: $vgpr9
	s_mov_b64 s[0:1], s[24:25]
	s_branch .LBB110_759
.LBB110_643:
	s_mov_b64 s[36:37], -1
	s_mov_b64 s[34:35], 0
	s_mov_b64 s[0:1], s[24:25]
	s_branch .LBB110_717
.LBB110_644:
	s_mov_b64 s[36:37], -1
	s_mov_b64 s[34:35], 0
	s_mov_b64 s[0:1], s[24:25]
	s_branch .LBB110_675
.LBB110_645:
	s_mov_b64 s[36:37], -1
	s_mov_b64 s[34:35], 0
	s_mov_b64 s[0:1], s[24:25]
	s_branch .LBB110_658
.LBB110_646:
	s_mov_b64 s[36:37], -1
	s_mov_b64 s[34:35], 0
	s_mov_b64 s[0:1], s[24:25]
	s_branch .LBB110_654
.LBB110_647:
	s_mov_b64 s[36:37], -1
	s_mov_b64 s[34:35], 0
	s_mov_b64 s[0:1], s[24:25]
.LBB110_648:
	s_and_b64 vcc, exec, s[36:37]
	s_cbranch_vccz .LBB110_653
; %bb.649:
	s_cmp_eq_u32 s41, 44
	s_mov_b64 s[0:1], -1
	s_cbranch_scc0 .LBB110_653
; %bb.650:
	v_cvt_f32_i32_sdwa v2, sext(v4) dst_sel:DWORD dst_unused:UNUSED_PAD src0_sel:WORD_0
	s_movk_i32 s0, 0xff
	v_mov_b32_e32 v5, 0xff
	v_bfe_u32 v3, v2, 23, 8
	v_cmp_ne_u32_e32 vcc, s0, v3
	s_and_saveexec_b64 s[34:35], vcc
; %bb.651:
	s_mov_b32 s0, 0x3fffff
	v_lshrrev_b32_e32 v5, 23, v2
	v_and_b32_e32 v6, 0x400000, v2
	v_and_or_b32 v2, v2, s0, v3
	v_cmp_ne_u32_e32 vcc, 0, v6
	v_cmp_ne_u32_e64 s[0:1], 0, v2
	s_and_b64 s[0:1], vcc, s[0:1]
	v_cndmask_b32_e64 v2, 0, 1, s[0:1]
	v_add_u32_e32 v5, v5, v2
; %bb.652:
	s_or_b64 exec, exec, s[34:35]
	s_mov_b64 s[34:35], -1
	s_mov_b64 s[0:1], 0
	global_store_byte v[0:1], v5, off
.LBB110_653:
	s_mov_b64 s[36:37], 0
.LBB110_654:
	s_and_b64 vcc, exec, s[36:37]
	s_cbranch_vccz .LBB110_657
; %bb.655:
	s_cmp_eq_u32 s41, 29
	s_mov_b64 s[0:1], -1
	s_cbranch_scc0 .LBB110_657
; %bb.656:
	v_bfe_i32 v2, v4, 0, 16
	v_ashrrev_i32_e32 v3, 31, v2
	global_store_dwordx2 v[0:1], v[2:3], off
	s_mov_b64 s[34:35], -1
	s_mov_b64 s[0:1], 0
.LBB110_657:
	s_mov_b64 s[36:37], 0
.LBB110_658:
	s_and_b64 vcc, exec, s[36:37]
	s_cbranch_vccz .LBB110_674
; %bb.659:
	s_cmp_lt_i32 s41, 27
	s_mov_b64 s[34:35], -1
	s_cbranch_scc1 .LBB110_665
; %bb.660:
	s_cmp_gt_i32 s41, 27
	s_cbranch_scc0 .LBB110_662
; %bb.661:
	v_bfe_i32 v2, v4, 0, 16
	s_mov_b64 s[34:35], 0
	global_store_dword v[0:1], v2, off
.LBB110_662:
	s_andn2_b64 vcc, exec, s[34:35]
	s_cbranch_vccnz .LBB110_664
; %bb.663:
	global_store_short v[0:1], v4, off
.LBB110_664:
	s_mov_b64 s[34:35], 0
.LBB110_665:
	s_andn2_b64 vcc, exec, s[34:35]
	s_cbranch_vccnz .LBB110_673
; %bb.666:
	v_cvt_f32_i32_sdwa v2, sext(v4) dst_sel:DWORD dst_unused:UNUSED_PAD src0_sel:WORD_0
	s_mov_b32 s34, 0x43800000
	v_mov_b32_e32 v5, 0x80
	v_and_b32_e32 v3, 0x7fffffff, v2
	v_cmp_gt_u32_e32 vcc, s34, v3
	s_and_saveexec_b64 s[34:35], vcc
	s_cbranch_execz .LBB110_672
; %bb.667:
	s_mov_b32 s36, 0x3bffffff
	v_cmp_lt_u32_e32 vcc, s36, v3
	s_mov_b64 s[36:37], 0
                                        ; implicit-def: $vgpr3
	s_and_saveexec_b64 s[38:39], vcc
	s_xor_b64 s[38:39], exec, s[38:39]
	s_cbranch_execz .LBB110_773
; %bb.668:
	v_bfe_u32 v3, v2, 20, 1
	s_mov_b32 s43, 0x487ffff
	v_add3_u32 v3, v2, v3, s43
	s_mov_b64 s[36:37], exec
	v_lshrrev_b32_e32 v3, 20, v3
	s_andn2_saveexec_b64 s[38:39], s[38:39]
	s_cbranch_execnz .LBB110_774
.LBB110_669:
	s_or_b64 exec, exec, s[38:39]
	v_mov_b32_e32 v5, 0
	s_and_saveexec_b64 s[38:39], s[36:37]
.LBB110_670:
	v_lshrrev_b32_e32 v2, 24, v2
	s_movk_i32 s36, 0x80
	v_and_or_b32 v5, v2, s36, v3
.LBB110_671:
	s_or_b64 exec, exec, s[38:39]
.LBB110_672:
	s_or_b64 exec, exec, s[34:35]
	global_store_byte v[0:1], v5, off
.LBB110_673:
	s_mov_b64 s[34:35], -1
.LBB110_674:
	s_mov_b64 s[36:37], 0
.LBB110_675:
	s_and_b64 vcc, exec, s[36:37]
	s_cbranch_vccz .LBB110_716
; %bb.676:
	s_cmp_gt_i32 s41, 22
	s_mov_b64 s[36:37], -1
	s_cbranch_scc0 .LBB110_708
; %bb.677:
	s_cmp_lt_i32 s41, 24
	s_mov_b64 s[34:35], -1
	s_cbranch_scc1 .LBB110_697
; %bb.678:
	s_cmp_gt_i32 s41, 24
	s_cbranch_scc0 .LBB110_686
; %bb.679:
	v_cvt_f32_i32_sdwa v2, sext(v4) dst_sel:DWORD dst_unused:UNUSED_PAD src0_sel:WORD_0
	s_mov_b32 s34, 0x47800000
	v_mov_b32_e32 v5, 0x80
	v_and_b32_e32 v3, 0x7fffffff, v2
	v_cmp_gt_u32_e32 vcc, s34, v3
	s_and_saveexec_b64 s[34:35], vcc
	s_cbranch_execz .LBB110_685
; %bb.680:
	s_mov_b32 s36, 0x37ffffff
	v_cmp_lt_u32_e32 vcc, s36, v3
	s_mov_b64 s[36:37], 0
                                        ; implicit-def: $vgpr3
	s_and_saveexec_b64 s[38:39], vcc
	s_xor_b64 s[38:39], exec, s[38:39]
	s_cbranch_execz .LBB110_776
; %bb.681:
	v_bfe_u32 v3, v2, 21, 1
	s_mov_b32 s43, 0x88fffff
	v_add3_u32 v3, v2, v3, s43
	s_mov_b64 s[36:37], exec
	v_lshrrev_b32_e32 v3, 21, v3
	s_andn2_saveexec_b64 s[38:39], s[38:39]
	s_cbranch_execnz .LBB110_777
.LBB110_682:
	s_or_b64 exec, exec, s[38:39]
	v_mov_b32_e32 v5, 0
	s_and_saveexec_b64 s[38:39], s[36:37]
.LBB110_683:
	v_lshrrev_b32_e32 v2, 24, v2
	s_movk_i32 s36, 0x80
	v_and_or_b32 v5, v2, s36, v3
.LBB110_684:
	s_or_b64 exec, exec, s[38:39]
.LBB110_685:
	s_or_b64 exec, exec, s[34:35]
	s_mov_b64 s[34:35], 0
	global_store_byte v[0:1], v5, off
.LBB110_686:
	s_and_b64 vcc, exec, s[34:35]
	s_cbranch_vccz .LBB110_696
; %bb.687:
	v_cvt_f32_i32_sdwa v2, sext(v4) dst_sel:DWORD dst_unused:UNUSED_PAD src0_sel:WORD_0
	s_mov_b32 s34, 0x43f00000
                                        ; implicit-def: $vgpr3
	v_and_b32_e32 v5, 0x7fffffff, v2
	v_cmp_gt_u32_e32 vcc, s34, v5
	s_and_saveexec_b64 s[34:35], vcc
	s_xor_b64 s[34:35], exec, s[34:35]
	s_cbranch_execz .LBB110_693
; %bb.688:
	s_mov_b32 s36, 0x3c7fffff
	v_cmp_lt_u32_e32 vcc, s36, v5
                                        ; implicit-def: $vgpr3
	s_and_saveexec_b64 s[36:37], vcc
	s_xor_b64 s[36:37], exec, s[36:37]
; %bb.689:
	v_bfe_u32 v3, v2, 20, 1
	s_mov_b32 s38, 0x407ffff
	v_add3_u32 v3, v2, v3, s38
	v_lshrrev_b32_e32 v5, 20, v3
	v_and_b32_e32 v3, 0xff00000, v3
	s_mov_b32 s38, 0x7f00000
	v_mov_b32_e32 v6, 0x7e
	v_cmp_ne_u32_e32 vcc, s38, v3
	v_cndmask_b32_e32 v3, v6, v5, vcc
; %bb.690:
	s_andn2_saveexec_b64 s[36:37], s[36:37]
; %bb.691:
	s_mov_b32 s38, 0x46800000
	v_add_f32_e64 v3, |v2|, s38
; %bb.692:
	s_or_b64 exec, exec, s[36:37]
                                        ; implicit-def: $vgpr5
.LBB110_693:
	s_andn2_saveexec_b64 s[34:35], s[34:35]
; %bb.694:
	s_mov_b32 s36, 0x7f800000
	v_mov_b32_e32 v3, 0x7e
	v_mov_b32_e32 v6, 0x7f
	v_cmp_lt_u32_e32 vcc, s36, v5
	v_cndmask_b32_e32 v3, v3, v6, vcc
; %bb.695:
	s_or_b64 exec, exec, s[34:35]
	v_lshrrev_b32_e32 v2, 24, v2
	s_movk_i32 s34, 0x80
	v_and_or_b32 v2, v2, s34, v3
	global_store_byte v[0:1], v2, off
.LBB110_696:
	s_mov_b64 s[34:35], 0
.LBB110_697:
	s_andn2_b64 vcc, exec, s[34:35]
	s_cbranch_vccnz .LBB110_707
; %bb.698:
	v_cvt_f32_i32_sdwa v2, sext(v4) dst_sel:DWORD dst_unused:UNUSED_PAD src0_sel:WORD_0
	s_mov_b32 s34, 0x47800000
                                        ; implicit-def: $vgpr3
	v_and_b32_e32 v5, 0x7fffffff, v2
	v_cmp_gt_u32_e32 vcc, s34, v5
	s_and_saveexec_b64 s[34:35], vcc
	s_xor_b64 s[34:35], exec, s[34:35]
	s_cbranch_execz .LBB110_704
; %bb.699:
	s_mov_b32 s36, 0x387fffff
	v_cmp_lt_u32_e32 vcc, s36, v5
                                        ; implicit-def: $vgpr3
	s_and_saveexec_b64 s[36:37], vcc
	s_xor_b64 s[36:37], exec, s[36:37]
; %bb.700:
	v_bfe_u32 v3, v2, 21, 1
	s_mov_b32 s38, 0x80fffff
	v_add3_u32 v3, v2, v3, s38
	v_lshrrev_b32_e32 v3, 21, v3
; %bb.701:
	s_andn2_saveexec_b64 s[36:37], s[36:37]
; %bb.702:
	s_mov_b32 s38, 0x43000000
	v_add_f32_e64 v3, |v2|, s38
; %bb.703:
	s_or_b64 exec, exec, s[36:37]
                                        ; implicit-def: $vgpr5
.LBB110_704:
	s_andn2_saveexec_b64 s[34:35], s[34:35]
; %bb.705:
	s_mov_b32 s36, 0x7f800000
	v_mov_b32_e32 v3, 0x7c
	v_mov_b32_e32 v6, 0x7f
	v_cmp_lt_u32_e32 vcc, s36, v5
	v_cndmask_b32_e32 v3, v3, v6, vcc
; %bb.706:
	s_or_b64 exec, exec, s[34:35]
	v_lshrrev_b32_e32 v2, 24, v2
	s_movk_i32 s34, 0x80
	v_and_or_b32 v2, v2, s34, v3
	global_store_byte v[0:1], v2, off
.LBB110_707:
	s_mov_b64 s[36:37], 0
	s_mov_b64 s[34:35], -1
.LBB110_708:
	s_andn2_b64 vcc, exec, s[36:37]
	s_cbranch_vccnz .LBB110_716
; %bb.709:
	s_cmp_gt_i32 s41, 14
	s_mov_b64 s[36:37], -1
	s_cbranch_scc0 .LBB110_713
; %bb.710:
	s_cmp_eq_u32 s41, 15
	s_mov_b64 s[0:1], -1
	s_cbranch_scc0 .LBB110_712
; %bb.711:
	v_cvt_f32_i32_sdwa v2, sext(v4) dst_sel:DWORD dst_unused:UNUSED_PAD src0_sel:WORD_0
	s_movk_i32 s0, 0x7fff
	s_mov_b64 s[34:35], -1
	v_bfe_u32 v3, v2, 16, 1
	v_add3_u32 v2, v2, v3, s0
	global_store_short_d16_hi v[0:1], v2, off
	s_mov_b64 s[0:1], 0
.LBB110_712:
	s_mov_b64 s[36:37], 0
.LBB110_713:
	s_and_b64 vcc, exec, s[36:37]
	s_cbranch_vccz .LBB110_716
; %bb.714:
	s_cmp_eq_u32 s41, 11
	s_mov_b64 s[0:1], -1
	s_cbranch_scc0 .LBB110_716
; %bb.715:
	v_cmp_ne_u16_e32 vcc, 0, v4
	v_cndmask_b32_e64 v2, 0, 1, vcc
	s_mov_b64 s[34:35], -1
	s_mov_b64 s[0:1], 0
	global_store_byte v[0:1], v2, off
.LBB110_716:
	s_mov_b64 s[36:37], 0
.LBB110_717:
	s_and_b64 vcc, exec, s[36:37]
	s_cbranch_vccz .LBB110_756
; %bb.718:
	s_and_b32 s36, 0xffff, s40
	s_cmp_lt_i32 s36, 5
	s_mov_b64 s[34:35], -1
	s_cbranch_scc1 .LBB110_739
; %bb.719:
	s_cmp_lt_i32 s36, 8
	s_cbranch_scc1 .LBB110_729
; %bb.720:
	s_cmp_lt_i32 s36, 9
	s_cbranch_scc1 .LBB110_726
; %bb.721:
	s_cmp_gt_i32 s36, 9
	s_cbranch_scc0 .LBB110_723
; %bb.722:
	v_bfe_i32 v2, v4, 0, 16
	v_cvt_f64_i32_e32 v[5:6], v2
	v_mov_b32_e32 v7, 0
	v_mov_b32_e32 v8, v7
	s_mov_b64 s[34:35], 0
	global_store_dwordx4 v[0:1], v[5:8], off
.LBB110_723:
	s_andn2_b64 vcc, exec, s[34:35]
	s_cbranch_vccnz .LBB110_725
; %bb.724:
	v_cvt_f32_i32_sdwa v2, sext(v4) dst_sel:DWORD dst_unused:UNUSED_PAD src0_sel:WORD_0
	v_mov_b32_e32 v3, 0
	global_store_dwordx2 v[0:1], v[2:3], off
.LBB110_725:
	s_mov_b64 s[34:35], 0
.LBB110_726:
	s_andn2_b64 vcc, exec, s[34:35]
	s_cbranch_vccnz .LBB110_728
; %bb.727:
	v_cvt_f16_i16_e32 v2, v4
	global_store_dword v[0:1], v2, off
.LBB110_728:
	s_mov_b64 s[34:35], 0
.LBB110_729:
	s_andn2_b64 vcc, exec, s[34:35]
	s_cbranch_vccnz .LBB110_738
; %bb.730:
	s_cmp_lt_i32 s36, 6
	s_mov_b64 s[34:35], -1
	s_cbranch_scc1 .LBB110_736
; %bb.731:
	s_cmp_gt_i32 s36, 6
	s_cbranch_scc0 .LBB110_733
; %bb.732:
	v_bfe_i32 v2, v4, 0, 16
	v_cvt_f64_i32_e32 v[2:3], v2
	s_mov_b64 s[34:35], 0
	global_store_dwordx2 v[0:1], v[2:3], off
.LBB110_733:
	s_andn2_b64 vcc, exec, s[34:35]
	s_cbranch_vccnz .LBB110_735
; %bb.734:
	v_cvt_f32_i32_sdwa v2, sext(v4) dst_sel:DWORD dst_unused:UNUSED_PAD src0_sel:WORD_0
	global_store_dword v[0:1], v2, off
.LBB110_735:
	s_mov_b64 s[34:35], 0
.LBB110_736:
	s_andn2_b64 vcc, exec, s[34:35]
	s_cbranch_vccnz .LBB110_738
; %bb.737:
	v_cvt_f16_i16_e32 v2, v4
	global_store_short v[0:1], v2, off
.LBB110_738:
	s_mov_b64 s[34:35], 0
.LBB110_739:
	s_andn2_b64 vcc, exec, s[34:35]
	s_cbranch_vccnz .LBB110_755
; %bb.740:
	s_cmp_lt_i32 s36, 2
	s_mov_b64 s[34:35], -1
	s_cbranch_scc1 .LBB110_750
; %bb.741:
	s_cmp_lt_i32 s36, 3
	s_cbranch_scc1 .LBB110_747
; %bb.742:
	s_cmp_gt_i32 s36, 3
	v_bfe_i32 v2, v4, 0, 16
	s_cbranch_scc0 .LBB110_744
; %bb.743:
	v_ashrrev_i32_e32 v3, 31, v2
	s_mov_b64 s[34:35], 0
	global_store_dwordx2 v[0:1], v[2:3], off
.LBB110_744:
	s_andn2_b64 vcc, exec, s[34:35]
	s_cbranch_vccnz .LBB110_746
; %bb.745:
	global_store_dword v[0:1], v2, off
.LBB110_746:
	s_mov_b64 s[34:35], 0
.LBB110_747:
	s_andn2_b64 vcc, exec, s[34:35]
	s_cbranch_vccnz .LBB110_749
; %bb.748:
	global_store_short v[0:1], v4, off
.LBB110_749:
	s_mov_b64 s[34:35], 0
.LBB110_750:
	s_andn2_b64 vcc, exec, s[34:35]
	s_cbranch_vccnz .LBB110_755
; %bb.751:
	s_cmp_gt_i32 s36, 0
	s_mov_b64 s[34:35], -1
	s_cbranch_scc0 .LBB110_753
; %bb.752:
	s_mov_b64 s[34:35], 0
	global_store_byte v[0:1], v4, off
.LBB110_753:
	s_andn2_b64 vcc, exec, s[34:35]
	s_cbranch_vccnz .LBB110_755
; %bb.754:
	global_store_byte v[0:1], v4, off
.LBB110_755:
	s_mov_b64 s[34:35], -1
.LBB110_756:
	s_andn2_b64 vcc, exec, s[34:35]
	s_cbranch_vccnz .LBB110_758
; %bb.757:
	v_add_u32_e32 v9, 0x80, v9
	s_mov_b64 s[36:37], -1
	s_branch .LBB110_759
.LBB110_758:
	s_mov_b64 s[36:37], 0
                                        ; implicit-def: $vgpr9
.LBB110_759:
	s_andn2_b64 s[34:35], s[24:25], exec
	s_and_b64 s[0:1], s[0:1], exec
	s_or_b64 s[34:35], s[34:35], s[0:1]
	s_andn2_b64 s[0:1], s[22:23], exec
	s_and_b64 s[30:31], s[30:31], exec
	s_or_b64 s[0:1], s[0:1], s[30:31]
	s_orn2_b64 s[38:39], s[36:37], exec
.LBB110_760:
	s_or_b64 exec, exec, s[28:29]
	s_mov_b64 s[36:37], 0
	s_mov_b64 s[30:31], 0
	;; [unrolled: 1-line block ×3, first 2 shown]
                                        ; implicit-def: $vgpr0_vgpr1
                                        ; implicit-def: $vgpr2
	s_and_saveexec_b64 s[28:29], s[38:39]
	s_cbranch_execz .LBB110_841
; %bb.761:
	v_cmp_gt_i32_e32 vcc, s42, v9
	s_mov_b64 s[38:39], 0
	s_mov_b64 s[42:43], s[0:1]
	;; [unrolled: 1-line block ×3, first 2 shown]
                                        ; implicit-def: $vgpr0_vgpr1
                                        ; implicit-def: $vgpr2
	s_and_saveexec_b64 s[30:31], vcc
	s_cbranch_execz .LBB110_840
; %bb.762:
	v_mul_lo_u32 v0, v9, s13
	v_mov_b32_e32 v1, s11
	s_and_b32 s44, 0xffff, s33
	s_cmp_lt_i32 s44, 11
	s_waitcnt vmcnt(0)
	v_ashrrev_i32_e32 v2, 31, v0
	v_add_co_u32_e32 v0, vcc, s10, v0
	v_addc_co_u32_e32 v1, vcc, v1, v2, vcc
	s_cbranch_scc1 .LBB110_769
; %bb.763:
	s_cmp_gt_i32 s44, 25
	s_cbranch_scc0 .LBB110_770
; %bb.764:
	s_cmp_gt_i32 s44, 28
	s_cbranch_scc0 .LBB110_771
	;; [unrolled: 3-line block ×4, first 2 shown]
; %bb.767:
	s_cmp_eq_u32 s44, 46
	s_mov_b64 s[42:43], 0
	s_cbranch_scc0 .LBB110_778
; %bb.768:
	global_load_dword v2, v[0:1], off
	s_mov_b64 s[40:41], -1
	s_waitcnt vmcnt(0)
	v_lshlrev_b32_e32 v2, 16, v2
	v_cvt_i32_f32_e32 v2, v2
	s_branch .LBB110_780
.LBB110_769:
	s_mov_b64 s[42:43], -1
                                        ; implicit-def: $vgpr2
	s_mov_b64 s[36:37], s[0:1]
	s_branch .LBB110_839
.LBB110_770:
	s_mov_b64 s[42:43], -1
	s_mov_b64 s[36:37], s[0:1]
                                        ; implicit-def: $vgpr2
	s_branch .LBB110_807
.LBB110_771:
	s_mov_b64 s[42:43], -1
	s_mov_b64 s[36:37], s[0:1]
                                        ; implicit-def: $vgpr2
	s_branch .LBB110_790
.LBB110_772:
	s_mov_b64 s[42:43], -1
	s_mov_b64 s[36:37], s[0:1]
                                        ; implicit-def: $vgpr2
	s_branch .LBB110_785
.LBB110_773:
	s_andn2_saveexec_b64 s[38:39], s[38:39]
	s_cbranch_execz .LBB110_669
.LBB110_774:
	s_mov_b32 s43, 0x46000000
	v_add_f32_e64 v3, |v2|, s43
	v_and_b32_e32 v3, 0xff, v3
	v_cmp_ne_u32_e32 vcc, 0, v3
	s_andn2_b64 s[36:37], s[36:37], exec
	s_and_b64 s[44:45], vcc, exec
	s_or_b64 s[36:37], s[36:37], s[44:45]
	s_or_b64 exec, exec, s[38:39]
	v_mov_b32_e32 v5, 0
	s_and_saveexec_b64 s[38:39], s[36:37]
	s_cbranch_execnz .LBB110_670
	s_branch .LBB110_671
.LBB110_775:
	s_mov_b64 s[42:43], -1
	s_mov_b64 s[36:37], s[0:1]
	s_branch .LBB110_779
.LBB110_776:
	s_andn2_saveexec_b64 s[38:39], s[38:39]
	s_cbranch_execz .LBB110_682
.LBB110_777:
	s_mov_b32 s43, 0x42800000
	v_add_f32_e64 v3, |v2|, s43
	v_and_b32_e32 v3, 0xff, v3
	v_cmp_ne_u32_e32 vcc, 0, v3
	s_andn2_b64 s[36:37], s[36:37], exec
	s_and_b64 s[44:45], vcc, exec
	s_or_b64 s[36:37], s[36:37], s[44:45]
	s_or_b64 exec, exec, s[38:39]
	v_mov_b32_e32 v5, 0
	s_and_saveexec_b64 s[38:39], s[36:37]
	s_cbranch_execnz .LBB110_683
	s_branch .LBB110_684
.LBB110_778:
	s_mov_b64 s[36:37], -1
.LBB110_779:
                                        ; implicit-def: $vgpr2
.LBB110_780:
	s_and_b64 vcc, exec, s[42:43]
	s_cbranch_vccz .LBB110_784
; %bb.781:
	s_cmp_eq_u32 s44, 44
	s_cbranch_scc0 .LBB110_783
; %bb.782:
	global_load_ubyte v2, v[0:1], off
	s_mov_b64 s[36:37], 0
	s_mov_b64 s[40:41], -1
	s_waitcnt vmcnt(0)
	v_lshlrev_b32_e32 v3, 23, v2
	v_cvt_i32_f32_e32 v3, v3
	v_cmp_ne_u32_e32 vcc, 0, v2
	v_cndmask_b32_e32 v2, 0, v3, vcc
	s_branch .LBB110_784
.LBB110_783:
	s_mov_b64 s[36:37], -1
                                        ; implicit-def: $vgpr2
.LBB110_784:
	s_mov_b64 s[42:43], 0
.LBB110_785:
	s_and_b64 vcc, exec, s[42:43]
	s_cbranch_vccz .LBB110_789
; %bb.786:
	s_cmp_eq_u32 s44, 29
	s_cbranch_scc0 .LBB110_788
; %bb.787:
	global_load_dwordx2 v[2:3], v[0:1], off
	s_mov_b64 s[36:37], 0
	s_mov_b64 s[40:41], -1
	s_branch .LBB110_789
.LBB110_788:
	s_mov_b64 s[36:37], -1
                                        ; implicit-def: $vgpr2
.LBB110_789:
	s_mov_b64 s[42:43], 0
.LBB110_790:
	s_and_b64 vcc, exec, s[42:43]
	s_cbranch_vccz .LBB110_806
; %bb.791:
	s_cmp_lt_i32 s44, 27
	s_cbranch_scc1 .LBB110_794
; %bb.792:
	s_cmp_gt_i32 s44, 27
	s_cbranch_scc0 .LBB110_795
; %bb.793:
	global_load_dword v2, v[0:1], off
	s_mov_b64 s[40:41], 0
	s_branch .LBB110_796
.LBB110_794:
	s_mov_b64 s[40:41], -1
                                        ; implicit-def: $vgpr2
	s_branch .LBB110_799
.LBB110_795:
	s_mov_b64 s[40:41], -1
                                        ; implicit-def: $vgpr2
.LBB110_796:
	s_andn2_b64 vcc, exec, s[40:41]
	s_cbranch_vccnz .LBB110_798
; %bb.797:
	global_load_ushort v2, v[0:1], off
.LBB110_798:
	s_mov_b64 s[40:41], 0
.LBB110_799:
	s_andn2_b64 vcc, exec, s[40:41]
	s_cbranch_vccnz .LBB110_805
; %bb.800:
	global_load_ubyte v3, v[0:1], off
	s_movk_i32 s40, 0x7f
	s_mov_b64 s[42:43], 0
	s_waitcnt vmcnt(0)
	v_cmp_lt_i16_e32 vcc, s40, v3
	s_and_saveexec_b64 s[40:41], vcc
	s_xor_b64 s[40:41], exec, s[40:41]
	s_cbranch_execz .LBB110_817
; %bb.801:
	s_movk_i32 s42, 0x80
	v_cmp_ne_u16_e32 vcc, s42, v3
	s_and_b64 s[42:43], vcc, exec
	s_andn2_saveexec_b64 s[40:41], s[40:41]
	s_cbranch_execnz .LBB110_818
.LBB110_802:
	s_or_b64 exec, exec, s[40:41]
	v_mov_b32_e32 v2, 0
	s_and_saveexec_b64 s[40:41], s[42:43]
	s_cbranch_execz .LBB110_804
.LBB110_803:
	v_lshlrev_b32_e32 v2, 24, v3
	v_and_b32_e32 v3, 0xffff, v3
	v_and_b32_e32 v4, 7, v3
	v_ffbh_u32_e32 v6, v4
	v_min_u32_e32 v6, 32, v6
	v_subrev_u32_e32 v7, 28, v6
	v_bfe_u32 v5, v3, 3, 4
	v_lshlrev_b32_e32 v3, v7, v3
	v_sub_u32_e32 v6, 29, v6
	v_and_b32_e32 v3, 7, v3
	v_cmp_eq_u32_e32 vcc, 0, v5
	v_cndmask_b32_e32 v5, v5, v6, vcc
	v_cndmask_b32_e32 v3, v4, v3, vcc
	v_mov_b32_e32 v4, 0x3b800000
	v_lshlrev_b32_e32 v3, 20, v3
	v_and_b32_e32 v2, 0x80000000, v2
	v_lshl_add_u32 v4, v5, 23, v4
	v_or3_b32 v2, v2, v4, v3
	v_cvt_i32_f32_e32 v2, v2
.LBB110_804:
	s_or_b64 exec, exec, s[40:41]
.LBB110_805:
	s_mov_b64 s[40:41], -1
.LBB110_806:
	s_mov_b64 s[42:43], 0
.LBB110_807:
	s_and_b64 vcc, exec, s[42:43]
	s_cbranch_vccz .LBB110_838
; %bb.808:
	s_cmp_gt_i32 s44, 22
	s_cbranch_scc0 .LBB110_816
; %bb.809:
	s_cmp_lt_i32 s44, 24
	s_cbranch_scc1 .LBB110_819
; %bb.810:
	s_cmp_gt_i32 s44, 24
	s_cbranch_scc0 .LBB110_820
; %bb.811:
	global_load_ubyte v3, v[0:1], off
	s_movk_i32 s38, 0x7f
	s_mov_b64 s[40:41], 0
	s_waitcnt vmcnt(0)
	v_cmp_lt_i16_e32 vcc, s38, v3
	s_and_saveexec_b64 s[38:39], vcc
	s_xor_b64 s[38:39], exec, s[38:39]
	s_cbranch_execz .LBB110_832
; %bb.812:
	s_movk_i32 s40, 0x80
	v_cmp_ne_u16_e32 vcc, s40, v3
	s_and_b64 s[40:41], vcc, exec
	s_andn2_saveexec_b64 s[38:39], s[38:39]
	s_cbranch_execnz .LBB110_833
.LBB110_813:
	s_or_b64 exec, exec, s[38:39]
	v_mov_b32_e32 v2, 0
	s_and_saveexec_b64 s[38:39], s[40:41]
	s_cbranch_execz .LBB110_815
.LBB110_814:
	v_lshlrev_b32_e32 v2, 24, v3
	v_and_b32_e32 v3, 0xffff, v3
	v_and_b32_e32 v4, 3, v3
	v_ffbh_u32_e32 v6, v4
	v_min_u32_e32 v6, 32, v6
	v_subrev_u32_e32 v7, 29, v6
	v_bfe_u32 v5, v3, 2, 5
	v_lshlrev_b32_e32 v3, v7, v3
	v_sub_u32_e32 v6, 30, v6
	v_and_b32_e32 v3, 3, v3
	v_cmp_eq_u32_e32 vcc, 0, v5
	v_cndmask_b32_e32 v5, v5, v6, vcc
	v_cndmask_b32_e32 v3, v4, v3, vcc
	v_mov_b32_e32 v4, 0x37800000
	v_lshlrev_b32_e32 v3, 21, v3
	v_and_b32_e32 v2, 0x80000000, v2
	v_lshl_add_u32 v4, v5, 23, v4
	v_or3_b32 v2, v2, v4, v3
	v_cvt_i32_f32_e32 v2, v2
.LBB110_815:
	s_or_b64 exec, exec, s[38:39]
	s_mov_b64 s[38:39], 0
	s_branch .LBB110_821
.LBB110_816:
	s_mov_b64 s[38:39], -1
                                        ; implicit-def: $vgpr2
	s_branch .LBB110_827
.LBB110_817:
	s_andn2_saveexec_b64 s[40:41], s[40:41]
	s_cbranch_execz .LBB110_802
.LBB110_818:
	v_cmp_ne_u16_e32 vcc, 0, v3
	s_andn2_b64 s[42:43], s[42:43], exec
	s_and_b64 s[48:49], vcc, exec
	s_or_b64 s[42:43], s[42:43], s[48:49]
	s_or_b64 exec, exec, s[40:41]
	v_mov_b32_e32 v2, 0
	s_and_saveexec_b64 s[40:41], s[42:43]
	s_cbranch_execnz .LBB110_803
	s_branch .LBB110_804
.LBB110_819:
	s_mov_b64 s[38:39], -1
                                        ; implicit-def: $vgpr2
	s_branch .LBB110_824
.LBB110_820:
	s_mov_b64 s[38:39], -1
                                        ; implicit-def: $vgpr2
.LBB110_821:
	s_and_b64 vcc, exec, s[38:39]
	s_cbranch_vccz .LBB110_823
; %bb.822:
	global_load_ubyte v2, v[0:1], off
	s_mov_b32 s38, 0x7f800000
	s_waitcnt vmcnt(0)
	v_lshlrev_b32_e32 v2, 24, v2
	v_and_b32_e32 v3, 0x7f000000, v2
	v_ffbh_u32_e32 v4, v3
	v_min_u32_e32 v4, 32, v4
	v_sub_u32_e64 v4, v4, 4 clamp
	v_lshlrev_b32_e32 v6, v4, v3
	v_lshlrev_b32_e32 v4, 23, v4
	v_lshrrev_b32_e32 v6, 4, v6
	v_add_u32_e32 v5, 0x1000000, v3
	v_sub_u32_e32 v4, v6, v4
	v_ashrrev_i32_e32 v5, 8, v5
	v_add_u32_e32 v4, 0x3c000000, v4
	v_and_or_b32 v4, v5, s38, v4
	v_cmp_ne_u32_e32 vcc, 0, v3
	v_cndmask_b32_e32 v3, 0, v4, vcc
	s_brev_b32 s38, 1
	v_and_or_b32 v2, v2, s38, v3
	v_cvt_i32_f32_e32 v2, v2
.LBB110_823:
	s_mov_b64 s[38:39], 0
.LBB110_824:
	s_andn2_b64 vcc, exec, s[38:39]
	s_cbranch_vccnz .LBB110_826
; %bb.825:
	global_load_ubyte v2, v[0:1], off
	s_movk_i32 s38, 0x7f00
	s_brev_b32 s39, 16
	s_waitcnt vmcnt(0)
	v_lshlrev_b16_e32 v3, 8, v2
	v_lshlrev_b32_e32 v2, 25, v2
	v_lshrrev_b32_e32 v4, 4, v2
	v_and_or_b32 v5, v3, s38, 0.5
	v_or_b32_e32 v4, 0x70000000, v4
	v_add_f32_e32 v5, -0.5, v5
	v_mul_f32_e32 v4, 0x7800000, v4
	v_cmp_gt_u32_e32 vcc, s39, v2
	v_bfe_i32 v3, v3, 0, 16
	v_cndmask_b32_e32 v2, v4, v5, vcc
	s_brev_b32 s38, 1
	v_and_or_b32 v2, v3, s38, v2
	v_cvt_i32_f32_e32 v2, v2
.LBB110_826:
	s_mov_b64 s[38:39], 0
	s_mov_b64 s[40:41], -1
.LBB110_827:
	s_andn2_b64 vcc, exec, s[38:39]
	s_mov_b64 s[38:39], 0
	s_cbranch_vccnz .LBB110_838
; %bb.828:
	s_cmp_gt_i32 s44, 14
	s_cbranch_scc0 .LBB110_831
; %bb.829:
	s_cmp_eq_u32 s44, 15
	s_cbranch_scc0 .LBB110_834
; %bb.830:
	global_load_ushort v2, v[0:1], off
	s_mov_b64 s[36:37], 0
	s_mov_b64 s[40:41], -1
	s_waitcnt vmcnt(0)
	v_lshlrev_b32_e32 v2, 16, v2
	v_cvt_i32_f32_e32 v2, v2
	s_branch .LBB110_835
.LBB110_831:
	s_mov_b64 s[42:43], -1
                                        ; implicit-def: $vgpr2
	s_branch .LBB110_836
.LBB110_832:
	s_andn2_saveexec_b64 s[38:39], s[38:39]
	s_cbranch_execz .LBB110_813
.LBB110_833:
	v_cmp_ne_u16_e32 vcc, 0, v3
	s_andn2_b64 s[40:41], s[40:41], exec
	s_and_b64 s[42:43], vcc, exec
	s_or_b64 s[40:41], s[40:41], s[42:43]
	s_or_b64 exec, exec, s[38:39]
	v_mov_b32_e32 v2, 0
	s_and_saveexec_b64 s[38:39], s[40:41]
	s_cbranch_execnz .LBB110_814
	s_branch .LBB110_815
.LBB110_834:
	s_mov_b64 s[36:37], -1
                                        ; implicit-def: $vgpr2
.LBB110_835:
	s_mov_b64 s[42:43], 0
.LBB110_836:
	s_and_b64 vcc, exec, s[42:43]
	s_cbranch_vccz .LBB110_838
; %bb.837:
	s_cmp_lg_u32 s44, 11
	s_cselect_b64 s[42:43], -1, 0
	s_andn2_b64 s[36:37], s[36:37], exec
	s_and_b64 s[42:43], s[42:43], exec
	s_mov_b64 s[38:39], -1
	s_or_b64 s[36:37], s[36:37], s[42:43]
.LBB110_838:
	s_mov_b64 s[42:43], 0
.LBB110_839:
	s_and_b64 s[44:45], s[42:43], exec
	s_andn2_b64 s[42:43], s[0:1], exec
	s_and_b64 s[36:37], s[36:37], exec
	s_and_b64 s[40:41], s[40:41], exec
	;; [unrolled: 1-line block ×3, first 2 shown]
	s_or_b64 s[42:43], s[42:43], s[36:37]
.LBB110_840:
	s_or_b64 exec, exec, s[30:31]
	s_and_b64 s[36:37], s[38:39], exec
	s_andn2_b64 s[0:1], s[0:1], exec
	s_and_b64 s[38:39], s[42:43], exec
	s_and_b64 s[40:41], s[40:41], exec
	;; [unrolled: 1-line block ×3, first 2 shown]
	s_or_b64 s[0:1], s[0:1], s[38:39]
.LBB110_841:
	s_or_b64 exec, exec, s[28:29]
	s_andn2_b64 s[24:25], s[24:25], exec
	s_and_b64 s[28:29], s[34:35], exec
	s_andn2_b64 s[22:23], s[22:23], exec
	s_and_b64 s[0:1], s[0:1], exec
	s_or_b64 s[24:25], s[24:25], s[28:29]
	s_and_b64 s[34:35], s[40:41], exec
	s_and_b64 s[30:31], s[30:31], exec
	;; [unrolled: 1-line block ×3, first 2 shown]
	s_or_b64 s[22:23], s[22:23], s[0:1]
.LBB110_842:
	s_or_b64 exec, exec, s[26:27]
	s_andn2_b64 s[0:1], s[16:17], exec
	s_and_b64 s[16:17], s[24:25], exec
	s_andn2_b64 s[18:19], s[18:19], exec
	s_and_b64 s[22:23], s[22:23], exec
	s_or_b64 s[16:17], s[0:1], s[16:17]
	s_and_b64 s[0:1], s[34:35], exec
	s_and_b64 s[26:27], s[30:31], exec
	;; [unrolled: 1-line block ×3, first 2 shown]
	s_or_b64 s[18:19], s[18:19], s[22:23]
	s_or_b64 exec, exec, s[20:21]
	s_mov_b64 s[20:21], 0
	s_and_saveexec_b64 s[22:23], s[18:19]
	s_cbranch_execz .LBB110_258
.LBB110_843:
	s_mov_b64 s[20:21], exec
	s_andn2_b64 s[24:25], s[24:25], exec
	s_trap 2
	s_or_b64 exec, exec, s[22:23]
	s_and_saveexec_b64 s[18:19], s[24:25]
	s_xor_b64 s[18:19], exec, s[18:19]
	s_cbranch_execnz .LBB110_259
.LBB110_844:
	s_or_b64 exec, exec, s[18:19]
	s_and_saveexec_b64 s[18:19], s[26:27]
	s_cbranch_execz .LBB110_890
.LBB110_845:
	s_sext_i32_i16 s22, s33
	s_cmp_lt_i32 s22, 5
	s_cbranch_scc1 .LBB110_850
; %bb.846:
	s_cmp_lt_i32 s22, 8
	s_cbranch_scc1 .LBB110_851
; %bb.847:
	;; [unrolled: 3-line block ×3, first 2 shown]
	s_cmp_gt_i32 s22, 9
	s_cbranch_scc0 .LBB110_853
; %bb.849:
	global_load_dwordx2 v[2:3], v[0:1], off
	s_mov_b64 s[22:23], 0
	s_waitcnt vmcnt(0)
	v_cvt_i32_f64_e32 v2, v[2:3]
	s_branch .LBB110_854
.LBB110_850:
                                        ; implicit-def: $vgpr2
	s_branch .LBB110_871
.LBB110_851:
                                        ; implicit-def: $vgpr2
	s_branch .LBB110_860
.LBB110_852:
	s_mov_b64 s[22:23], -1
                                        ; implicit-def: $vgpr2
	s_branch .LBB110_857
.LBB110_853:
	s_mov_b64 s[22:23], -1
                                        ; implicit-def: $vgpr2
.LBB110_854:
	s_andn2_b64 vcc, exec, s[22:23]
	s_cbranch_vccnz .LBB110_856
; %bb.855:
	global_load_dword v2, v[0:1], off
	s_waitcnt vmcnt(0)
	v_cvt_i32_f32_e32 v2, v2
.LBB110_856:
	s_mov_b64 s[22:23], 0
.LBB110_857:
	s_andn2_b64 vcc, exec, s[22:23]
	s_cbranch_vccnz .LBB110_859
; %bb.858:
	global_load_dword v2, v[0:1], off
	s_waitcnt vmcnt(0)
	v_cvt_i16_f16_e32 v2, v2
.LBB110_859:
	s_cbranch_execnz .LBB110_870
.LBB110_860:
	s_sext_i32_i16 s22, s33
	s_cmp_lt_i32 s22, 6
	s_cbranch_scc1 .LBB110_863
; %bb.861:
	s_cmp_gt_i32 s22, 6
	s_cbranch_scc0 .LBB110_864
; %bb.862:
	global_load_dwordx2 v[2:3], v[0:1], off
	s_mov_b64 s[22:23], 0
	s_waitcnt vmcnt(0)
	v_cvt_i32_f64_e32 v2, v[2:3]
	s_branch .LBB110_865
.LBB110_863:
	s_mov_b64 s[22:23], -1
                                        ; implicit-def: $vgpr2
	s_branch .LBB110_868
.LBB110_864:
	s_mov_b64 s[22:23], -1
                                        ; implicit-def: $vgpr2
.LBB110_865:
	s_andn2_b64 vcc, exec, s[22:23]
	s_cbranch_vccnz .LBB110_867
; %bb.866:
	global_load_dword v2, v[0:1], off
	s_waitcnt vmcnt(0)
	v_cvt_i32_f32_e32 v2, v2
.LBB110_867:
	s_mov_b64 s[22:23], 0
.LBB110_868:
	s_andn2_b64 vcc, exec, s[22:23]
	s_cbranch_vccnz .LBB110_870
; %bb.869:
	global_load_ushort v2, v[0:1], off
	s_waitcnt vmcnt(0)
	v_cvt_i16_f16_e32 v2, v2
.LBB110_870:
	s_cbranch_execnz .LBB110_889
.LBB110_871:
	s_sext_i32_i16 s22, s33
	s_cmp_lt_i32 s22, 2
	s_cbranch_scc1 .LBB110_875
; %bb.872:
	s_cmp_lt_i32 s22, 3
	s_cbranch_scc1 .LBB110_876
; %bb.873:
	s_cmp_gt_i32 s22, 3
	s_cbranch_scc0 .LBB110_877
; %bb.874:
	global_load_dwordx2 v[2:3], v[0:1], off
	s_mov_b64 s[22:23], 0
	s_branch .LBB110_878
.LBB110_875:
                                        ; implicit-def: $vgpr2
	s_branch .LBB110_884
.LBB110_876:
	s_mov_b64 s[22:23], -1
                                        ; implicit-def: $vgpr2
	s_branch .LBB110_881
.LBB110_877:
	s_mov_b64 s[22:23], -1
                                        ; implicit-def: $vgpr2
.LBB110_878:
	s_andn2_b64 vcc, exec, s[22:23]
	s_cbranch_vccnz .LBB110_880
; %bb.879:
	global_load_dword v2, v[0:1], off
.LBB110_880:
	s_mov_b64 s[22:23], 0
.LBB110_881:
	s_andn2_b64 vcc, exec, s[22:23]
	s_cbranch_vccnz .LBB110_883
; %bb.882:
	global_load_ushort v2, v[0:1], off
.LBB110_883:
	s_cbranch_execnz .LBB110_889
.LBB110_884:
	s_sext_i32_i16 s22, s33
	s_cmp_gt_i32 s22, 0
	s_cbranch_scc0 .LBB110_886
; %bb.885:
	global_load_sbyte v2, v[0:1], off
	s_mov_b64 s[22:23], 0
	s_branch .LBB110_887
.LBB110_886:
	s_mov_b64 s[22:23], -1
                                        ; implicit-def: $vgpr2
.LBB110_887:
	s_andn2_b64 vcc, exec, s[22:23]
	s_cbranch_vccnz .LBB110_889
; %bb.888:
	global_load_ubyte v2, v[0:1], off
.LBB110_889:
	s_or_b64 s[0:1], s[0:1], exec
.LBB110_890:
	s_or_b64 exec, exec, s[18:19]
	s_mov_b64 s[24:25], 0
	s_mov_b64 s[22:23], 0
                                        ; implicit-def: $sgpr28
                                        ; implicit-def: $vgpr0_vgpr1
                                        ; implicit-def: $vgpr4
	s_and_saveexec_b64 s[18:19], s[0:1]
	s_cbranch_execz .LBB110_898
; %bb.891:
	v_mul_lo_u32 v0, v9, s12
	s_waitcnt vmcnt(0)
	v_lshlrev_b32_e32 v1, s46, v2
	v_mov_b32_e32 v2, s9
	v_cndmask_b32_e64 v4, v1, 0, s[6:7]
	v_ashrrev_i32_e32 v1, 31, v0
	s_and_b32 s28, s15, 0xff
	v_add_co_u32_e32 v0, vcc, s8, v0
	s_cmp_lt_i32 s28, 11
	v_addc_co_u32_e32 v1, vcc, v2, v1, vcc
	s_cbranch_scc1 .LBB110_901
; %bb.892:
	s_and_b32 s29, 0xffff, s28
	s_mov_b64 s[22:23], -1
	s_cmp_gt_i32 s29, 25
	s_mov_b64 s[0:1], s[16:17]
	s_cbranch_scc0 .LBB110_929
; %bb.893:
	s_mov_b64 s[6:7], -1
	s_cmp_gt_i32 s29, 28
	s_mov_b64 s[0:1], s[16:17]
	s_cbranch_scc0 .LBB110_913
; %bb.894:
	s_cmp_gt_i32 s29, 43
	s_mov_b64 s[0:1], s[16:17]
	s_cbranch_scc0 .LBB110_909
; %bb.895:
	;; [unrolled: 4-line block ×3, first 2 shown]
	s_cmp_eq_u32 s29, 46
	s_mov_b64 s[0:1], -1
	s_cbranch_scc0 .LBB110_902
; %bb.897:
	v_cvt_f32_i32_sdwa v2, sext(v4) dst_sel:DWORD dst_unused:UNUSED_PAD src0_sel:WORD_0
	s_movk_i32 s0, 0x7fff
	s_mov_b64 s[6:7], 0
	v_bfe_u32 v3, v2, 16, 1
	v_add3_u32 v2, v2, v3, s0
	v_lshrrev_b32_e32 v2, 16, v2
	global_store_dword v[0:1], v2, off
	s_mov_b64 s[0:1], 0
	s_branch .LBB110_903
.LBB110_898:
	s_or_b64 exec, exec, s[18:19]
	s_and_saveexec_b64 s[0:1], s[16:17]
	s_cbranch_execnz .LBB110_971
.LBB110_899:
	s_or_b64 exec, exec, s[0:1]
	s_and_saveexec_b64 s[0:1], s[24:25]
	s_xor_b64 s[0:1], exec, s[0:1]
	s_cbranch_execz .LBB110_972
.LBB110_900:
	v_cmp_ne_u16_e32 vcc, 0, v4
	s_waitcnt vmcnt(0)
	v_cndmask_b32_e64 v2, 0, 1, vcc
	global_store_byte v[0:1], v2, off
	s_or_b64 exec, exec, s[0:1]
	s_and_saveexec_b64 s[0:1], s[22:23]
	s_xor_b64 s[0:1], exec, s[0:1]
	s_cbranch_execz .LBB110_1010
	s_branch .LBB110_973
.LBB110_901:
	s_mov_b64 s[6:7], -1
	s_mov_b64 s[0:1], s[16:17]
	s_branch .LBB110_970
.LBB110_902:
	s_mov_b64 s[6:7], 0
.LBB110_903:
	s_and_b64 vcc, exec, s[6:7]
	s_cbranch_vccz .LBB110_908
; %bb.904:
	s_cmp_eq_u32 s29, 44
	s_mov_b64 s[0:1], -1
	s_cbranch_scc0 .LBB110_908
; %bb.905:
	v_cvt_f32_i32_sdwa v2, sext(v4) dst_sel:DWORD dst_unused:UNUSED_PAD src0_sel:WORD_0
	s_movk_i32 s0, 0xff
	v_mov_b32_e32 v5, 0xff
	v_bfe_u32 v3, v2, 23, 8
	v_cmp_ne_u32_e32 vcc, s0, v3
	s_and_saveexec_b64 s[6:7], vcc
; %bb.906:
	s_mov_b32 s0, 0x3fffff
	v_lshrrev_b32_e32 v5, 23, v2
	v_and_b32_e32 v6, 0x400000, v2
	v_and_or_b32 v2, v2, s0, v3
	v_cmp_ne_u32_e32 vcc, 0, v6
	v_cmp_ne_u32_e64 s[0:1], 0, v2
	s_and_b64 s[0:1], vcc, s[0:1]
	v_cndmask_b32_e64 v2, 0, 1, s[0:1]
	v_add_u32_e32 v5, v5, v2
; %bb.907:
	s_or_b64 exec, exec, s[6:7]
	s_mov_b64 s[0:1], 0
	global_store_byte v[0:1], v5, off
.LBB110_908:
	s_mov_b64 s[6:7], 0
.LBB110_909:
	s_and_b64 vcc, exec, s[6:7]
	s_cbranch_vccz .LBB110_912
; %bb.910:
	s_cmp_eq_u32 s29, 29
	s_mov_b64 s[0:1], -1
	s_cbranch_scc0 .LBB110_912
; %bb.911:
	v_bfe_i32 v2, v4, 0, 16
	v_ashrrev_i32_e32 v3, 31, v2
	global_store_dwordx2 v[0:1], v[2:3], off
	s_mov_b64 s[0:1], 0
.LBB110_912:
	s_mov_b64 s[6:7], 0
.LBB110_913:
	s_and_b64 vcc, exec, s[6:7]
	s_cbranch_vccz .LBB110_928
; %bb.914:
	s_cmp_lt_i32 s29, 27
	s_mov_b64 s[6:7], -1
	s_cbranch_scc1 .LBB110_920
; %bb.915:
	s_cmp_gt_i32 s29, 27
	s_cbranch_scc0 .LBB110_917
; %bb.916:
	v_bfe_i32 v2, v4, 0, 16
	s_mov_b64 s[6:7], 0
	global_store_dword v[0:1], v2, off
.LBB110_917:
	s_andn2_b64 vcc, exec, s[6:7]
	s_cbranch_vccnz .LBB110_919
; %bb.918:
	global_store_short v[0:1], v4, off
.LBB110_919:
	s_mov_b64 s[6:7], 0
.LBB110_920:
	s_andn2_b64 vcc, exec, s[6:7]
	s_cbranch_vccnz .LBB110_928
; %bb.921:
	v_cvt_f32_i32_sdwa v2, sext(v4) dst_sel:DWORD dst_unused:UNUSED_PAD src0_sel:WORD_0
	s_mov_b32 s6, 0x43800000
	v_mov_b32_e32 v5, 0x80
	v_and_b32_e32 v3, 0x7fffffff, v2
	v_cmp_gt_u32_e32 vcc, s6, v3
	s_and_saveexec_b64 s[6:7], vcc
	s_cbranch_execz .LBB110_927
; %bb.922:
	s_mov_b32 s22, 0x3bffffff
	v_cmp_lt_u32_e32 vcc, s22, v3
	s_mov_b64 s[22:23], 0
                                        ; implicit-def: $vgpr3
	s_and_saveexec_b64 s[24:25], vcc
	s_xor_b64 s[24:25], exec, s[24:25]
	s_cbranch_execz .LBB110_1025
; %bb.923:
	v_bfe_u32 v3, v2, 20, 1
	s_mov_b32 s26, 0x487ffff
	v_add3_u32 v3, v2, v3, s26
	s_mov_b64 s[22:23], exec
	v_lshrrev_b32_e32 v3, 20, v3
	s_andn2_saveexec_b64 s[24:25], s[24:25]
	s_cbranch_execnz .LBB110_1026
.LBB110_924:
	s_or_b64 exec, exec, s[24:25]
	v_mov_b32_e32 v5, 0
	s_and_saveexec_b64 s[24:25], s[22:23]
.LBB110_925:
	v_lshrrev_b32_e32 v2, 24, v2
	s_movk_i32 s22, 0x80
	v_and_or_b32 v5, v2, s22, v3
.LBB110_926:
	s_or_b64 exec, exec, s[24:25]
.LBB110_927:
	s_or_b64 exec, exec, s[6:7]
	global_store_byte v[0:1], v5, off
.LBB110_928:
	s_mov_b64 s[22:23], 0
.LBB110_929:
	s_mov_b64 s[6:7], 0
	s_and_b64 vcc, exec, s[22:23]
	s_cbranch_vccz .LBB110_969
; %bb.930:
	s_cmp_gt_i32 s29, 22
	s_mov_b64 s[22:23], -1
	s_cbranch_scc0 .LBB110_962
; %bb.931:
	s_cmp_lt_i32 s29, 24
	s_cbranch_scc1 .LBB110_951
; %bb.932:
	s_cmp_gt_i32 s29, 24
	s_cbranch_scc0 .LBB110_940
; %bb.933:
	v_cvt_f32_i32_sdwa v2, sext(v4) dst_sel:DWORD dst_unused:UNUSED_PAD src0_sel:WORD_0
	s_mov_b32 s22, 0x47800000
	v_mov_b32_e32 v5, 0x80
	v_and_b32_e32 v3, 0x7fffffff, v2
	v_cmp_gt_u32_e32 vcc, s22, v3
	s_and_saveexec_b64 s[22:23], vcc
	s_cbranch_execz .LBB110_939
; %bb.934:
	s_mov_b32 s24, 0x37ffffff
	v_cmp_lt_u32_e32 vcc, s24, v3
	s_mov_b64 s[24:25], 0
                                        ; implicit-def: $vgpr3
	s_and_saveexec_b64 s[26:27], vcc
	s_xor_b64 s[26:27], exec, s[26:27]
	s_cbranch_execz .LBB110_1145
; %bb.935:
	v_bfe_u32 v3, v2, 21, 1
	s_mov_b32 s30, 0x88fffff
	v_add3_u32 v3, v2, v3, s30
	s_mov_b64 s[24:25], exec
	v_lshrrev_b32_e32 v3, 21, v3
	s_andn2_saveexec_b64 s[26:27], s[26:27]
	s_cbranch_execnz .LBB110_1146
.LBB110_936:
	s_or_b64 exec, exec, s[26:27]
	v_mov_b32_e32 v5, 0
	s_and_saveexec_b64 s[26:27], s[24:25]
.LBB110_937:
	v_lshrrev_b32_e32 v2, 24, v2
	s_movk_i32 s24, 0x80
	v_and_or_b32 v5, v2, s24, v3
.LBB110_938:
	s_or_b64 exec, exec, s[26:27]
.LBB110_939:
	s_or_b64 exec, exec, s[22:23]
	s_mov_b64 s[22:23], 0
	global_store_byte v[0:1], v5, off
.LBB110_940:
	s_and_b64 vcc, exec, s[22:23]
	s_cbranch_vccz .LBB110_950
; %bb.941:
	v_cvt_f32_i32_sdwa v2, sext(v4) dst_sel:DWORD dst_unused:UNUSED_PAD src0_sel:WORD_0
	s_mov_b32 s22, 0x43f00000
                                        ; implicit-def: $vgpr3
	v_and_b32_e32 v5, 0x7fffffff, v2
	v_cmp_gt_u32_e32 vcc, s22, v5
	s_and_saveexec_b64 s[22:23], vcc
	s_xor_b64 s[22:23], exec, s[22:23]
	s_cbranch_execz .LBB110_947
; %bb.942:
	s_mov_b32 s24, 0x3c7fffff
	v_cmp_lt_u32_e32 vcc, s24, v5
                                        ; implicit-def: $vgpr3
	s_and_saveexec_b64 s[24:25], vcc
	s_xor_b64 s[24:25], exec, s[24:25]
; %bb.943:
	v_bfe_u32 v3, v2, 20, 1
	s_mov_b32 s26, 0x407ffff
	v_add3_u32 v3, v2, v3, s26
	v_lshrrev_b32_e32 v5, 20, v3
	v_and_b32_e32 v3, 0xff00000, v3
	s_mov_b32 s26, 0x7f00000
	v_mov_b32_e32 v6, 0x7e
	v_cmp_ne_u32_e32 vcc, s26, v3
	v_cndmask_b32_e32 v3, v6, v5, vcc
; %bb.944:
	s_andn2_saveexec_b64 s[24:25], s[24:25]
; %bb.945:
	s_mov_b32 s26, 0x46800000
	v_add_f32_e64 v3, |v2|, s26
; %bb.946:
	s_or_b64 exec, exec, s[24:25]
                                        ; implicit-def: $vgpr5
.LBB110_947:
	s_andn2_saveexec_b64 s[22:23], s[22:23]
; %bb.948:
	s_mov_b32 s24, 0x7f800000
	v_mov_b32_e32 v3, 0x7e
	v_mov_b32_e32 v6, 0x7f
	v_cmp_lt_u32_e32 vcc, s24, v5
	v_cndmask_b32_e32 v3, v3, v6, vcc
; %bb.949:
	s_or_b64 exec, exec, s[22:23]
	v_lshrrev_b32_e32 v2, 24, v2
	s_movk_i32 s22, 0x80
	v_and_or_b32 v2, v2, s22, v3
	global_store_byte v[0:1], v2, off
.LBB110_950:
	s_mov_b64 s[22:23], 0
.LBB110_951:
	s_andn2_b64 vcc, exec, s[22:23]
	s_cbranch_vccnz .LBB110_961
; %bb.952:
	v_cvt_f32_i32_sdwa v2, sext(v4) dst_sel:DWORD dst_unused:UNUSED_PAD src0_sel:WORD_0
	s_mov_b32 s22, 0x47800000
                                        ; implicit-def: $vgpr3
	v_and_b32_e32 v5, 0x7fffffff, v2
	v_cmp_gt_u32_e32 vcc, s22, v5
	s_and_saveexec_b64 s[22:23], vcc
	s_xor_b64 s[22:23], exec, s[22:23]
	s_cbranch_execz .LBB110_958
; %bb.953:
	s_mov_b32 s24, 0x387fffff
	v_cmp_lt_u32_e32 vcc, s24, v5
                                        ; implicit-def: $vgpr3
	s_and_saveexec_b64 s[24:25], vcc
	s_xor_b64 s[24:25], exec, s[24:25]
; %bb.954:
	v_bfe_u32 v3, v2, 21, 1
	s_mov_b32 s26, 0x80fffff
	v_add3_u32 v3, v2, v3, s26
	v_lshrrev_b32_e32 v3, 21, v3
; %bb.955:
	s_andn2_saveexec_b64 s[24:25], s[24:25]
; %bb.956:
	s_mov_b32 s26, 0x43000000
	v_add_f32_e64 v3, |v2|, s26
; %bb.957:
	s_or_b64 exec, exec, s[24:25]
                                        ; implicit-def: $vgpr5
.LBB110_958:
	s_andn2_saveexec_b64 s[22:23], s[22:23]
; %bb.959:
	s_mov_b32 s24, 0x7f800000
	v_mov_b32_e32 v3, 0x7c
	v_mov_b32_e32 v6, 0x7f
	v_cmp_lt_u32_e32 vcc, s24, v5
	v_cndmask_b32_e32 v3, v3, v6, vcc
; %bb.960:
	s_or_b64 exec, exec, s[22:23]
	v_lshrrev_b32_e32 v2, 24, v2
	s_movk_i32 s22, 0x80
	v_and_or_b32 v2, v2, s22, v3
	global_store_byte v[0:1], v2, off
.LBB110_961:
	s_mov_b64 s[22:23], 0
.LBB110_962:
	s_andn2_b64 vcc, exec, s[22:23]
	s_mov_b64 s[24:25], 0
	s_cbranch_vccnz .LBB110_970
; %bb.963:
	s_cmp_gt_i32 s29, 14
	s_mov_b64 s[22:23], -1
	s_cbranch_scc0 .LBB110_967
; %bb.964:
	s_cmp_eq_u32 s29, 15
	s_mov_b64 s[0:1], -1
	s_cbranch_scc0 .LBB110_966
; %bb.965:
	v_cvt_f32_i32_sdwa v2, sext(v4) dst_sel:DWORD dst_unused:UNUSED_PAD src0_sel:WORD_0
	s_movk_i32 s0, 0x7fff
	v_bfe_u32 v3, v2, 16, 1
	v_add3_u32 v2, v2, v3, s0
	global_store_short_d16_hi v[0:1], v2, off
	s_mov_b64 s[0:1], 0
.LBB110_966:
	s_mov_b64 s[22:23], 0
.LBB110_967:
	s_and_b64 vcc, exec, s[22:23]
	s_cbranch_vccz .LBB110_970
; %bb.968:
	s_cmp_lg_u32 s29, 11
	s_cselect_b64 s[22:23], -1, 0
	s_andn2_b64 s[0:1], s[0:1], exec
	s_and_b64 s[22:23], s[22:23], exec
	s_mov_b64 s[24:25], -1
	s_or_b64 s[0:1], s[0:1], s[22:23]
	s_branch .LBB110_970
.LBB110_969:
	s_mov_b64 s[24:25], 0
.LBB110_970:
	s_and_b64 s[22:23], s[6:7], exec
	s_andn2_b64 s[6:7], s[16:17], exec
	s_and_b64 s[0:1], s[0:1], exec
	s_and_b64 s[24:25], s[24:25], exec
	s_or_b64 s[16:17], s[6:7], s[0:1]
	s_or_b64 exec, exec, s[18:19]
	s_and_saveexec_b64 s[0:1], s[16:17]
	s_cbranch_execz .LBB110_899
.LBB110_971:
	s_or_b64 s[20:21], s[20:21], exec
	s_andn2_b64 s[24:25], s[24:25], exec
	s_trap 2
	s_or_b64 exec, exec, s[0:1]
	s_and_saveexec_b64 s[0:1], s[24:25]
	s_xor_b64 s[0:1], exec, s[0:1]
	s_cbranch_execnz .LBB110_900
.LBB110_972:
	s_or_b64 exec, exec, s[0:1]
	s_and_saveexec_b64 s[0:1], s[22:23]
	s_xor_b64 s[0:1], exec, s[0:1]
	s_cbranch_execz .LBB110_1010
.LBB110_973:
	s_sext_i32_i16 s16, s28
	s_cmp_lt_i32 s16, 5
	s_mov_b64 s[6:7], -1
	s_cbranch_scc1 .LBB110_994
; %bb.974:
	s_cmp_lt_i32 s16, 8
	s_cbranch_scc1 .LBB110_984
; %bb.975:
	s_cmp_lt_i32 s16, 9
	s_cbranch_scc1 .LBB110_981
; %bb.976:
	s_cmp_gt_i32 s16, 9
	s_cbranch_scc0 .LBB110_978
; %bb.977:
	s_waitcnt vmcnt(0)
	v_bfe_i32 v2, v4, 0, 16
	v_cvt_f64_i32_e32 v[5:6], v2
	v_mov_b32_e32 v7, 0
	v_mov_b32_e32 v8, v7
	s_mov_b64 s[6:7], 0
	global_store_dwordx4 v[0:1], v[5:8], off
.LBB110_978:
	s_andn2_b64 vcc, exec, s[6:7]
	s_cbranch_vccnz .LBB110_980
; %bb.979:
	s_waitcnt vmcnt(0)
	v_cvt_f32_i32_sdwa v2, sext(v4) dst_sel:DWORD dst_unused:UNUSED_PAD src0_sel:WORD_0
	v_mov_b32_e32 v3, 0
	global_store_dwordx2 v[0:1], v[2:3], off
.LBB110_980:
	s_mov_b64 s[6:7], 0
.LBB110_981:
	s_andn2_b64 vcc, exec, s[6:7]
	s_cbranch_vccnz .LBB110_983
; %bb.982:
	s_waitcnt vmcnt(0)
	v_cvt_f16_i16_e32 v2, v4
	global_store_dword v[0:1], v2, off
.LBB110_983:
	s_mov_b64 s[6:7], 0
.LBB110_984:
	s_andn2_b64 vcc, exec, s[6:7]
	s_cbranch_vccnz .LBB110_993
; %bb.985:
	s_sext_i32_i16 s16, s28
	s_cmp_lt_i32 s16, 6
	s_mov_b64 s[6:7], -1
	s_cbranch_scc1 .LBB110_991
; %bb.986:
	s_cmp_gt_i32 s16, 6
	s_cbranch_scc0 .LBB110_988
; %bb.987:
	s_waitcnt vmcnt(0)
	v_bfe_i32 v2, v4, 0, 16
	v_cvt_f64_i32_e32 v[2:3], v2
	s_mov_b64 s[6:7], 0
	global_store_dwordx2 v[0:1], v[2:3], off
.LBB110_988:
	s_andn2_b64 vcc, exec, s[6:7]
	s_cbranch_vccnz .LBB110_990
; %bb.989:
	s_waitcnt vmcnt(0)
	v_cvt_f32_i32_sdwa v2, sext(v4) dst_sel:DWORD dst_unused:UNUSED_PAD src0_sel:WORD_0
	global_store_dword v[0:1], v2, off
.LBB110_990:
	s_mov_b64 s[6:7], 0
.LBB110_991:
	s_andn2_b64 vcc, exec, s[6:7]
	s_cbranch_vccnz .LBB110_993
; %bb.992:
	s_waitcnt vmcnt(0)
	v_cvt_f16_i16_e32 v2, v4
	global_store_short v[0:1], v2, off
.LBB110_993:
	s_mov_b64 s[6:7], 0
.LBB110_994:
	s_andn2_b64 vcc, exec, s[6:7]
	s_cbranch_vccnz .LBB110_1010
; %bb.995:
	s_sext_i32_i16 s16, s28
	s_cmp_lt_i32 s16, 2
	s_mov_b64 s[6:7], -1
	s_cbranch_scc1 .LBB110_1005
; %bb.996:
	s_cmp_lt_i32 s16, 3
	s_cbranch_scc1 .LBB110_1002
; %bb.997:
	s_cmp_gt_i32 s16, 3
	s_waitcnt vmcnt(0)
	v_bfe_i32 v2, v4, 0, 16
	s_cbranch_scc0 .LBB110_999
; %bb.998:
	v_ashrrev_i32_e32 v3, 31, v2
	s_mov_b64 s[6:7], 0
	global_store_dwordx2 v[0:1], v[2:3], off
.LBB110_999:
	s_andn2_b64 vcc, exec, s[6:7]
	s_cbranch_vccnz .LBB110_1001
; %bb.1000:
	global_store_dword v[0:1], v2, off
.LBB110_1001:
	s_mov_b64 s[6:7], 0
.LBB110_1002:
	s_andn2_b64 vcc, exec, s[6:7]
	s_cbranch_vccnz .LBB110_1004
; %bb.1003:
	global_store_short v[0:1], v4, off
.LBB110_1004:
	s_mov_b64 s[6:7], 0
.LBB110_1005:
	s_andn2_b64 vcc, exec, s[6:7]
	s_cbranch_vccnz .LBB110_1010
; %bb.1006:
	s_sext_i32_i16 s6, s28
	s_cmp_gt_i32 s6, 0
	s_mov_b64 s[6:7], -1
	s_cbranch_scc0 .LBB110_1008
; %bb.1007:
	s_mov_b64 s[6:7], 0
	global_store_byte v[0:1], v4, off
.LBB110_1008:
	s_andn2_b64 vcc, exec, s[6:7]
	s_cbranch_vccnz .LBB110_1010
; %bb.1009:
	global_store_byte v[0:1], v4, off
.LBB110_1010:
	s_or_b64 exec, exec, s[0:1]
	s_and_b64 s[6:7], s[20:21], exec
                                        ; implicit-def: $vgpr9
.LBB110_1011:
	s_or_saveexec_b64 s[4:5], s[4:5]
	s_mov_b64 s[0:1], 0
                                        ; implicit-def: $sgpr22
                                        ; implicit-def: $vgpr0_vgpr1
                                        ; implicit-def: $vgpr4
	s_xor_b64 exec, exec, s[4:5]
	s_cbranch_execz .LBB110_1942
; %bb.1012:
	s_waitcnt vmcnt(0)
	v_mul_lo_u32 v2, s13, v9
	v_mov_b32_e32 v1, s11
	s_and_b32 s22, 0xffff, s33
	s_cmp_lt_i32 s22, 11
	v_ashrrev_i32_e32 v3, 31, v2
	v_add_co_u32_e32 v0, vcc, s10, v2
	v_addc_co_u32_e32 v1, vcc, v1, v3, vcc
	s_cbranch_scc1 .LBB110_1019
; %bb.1013:
	s_cmp_gt_i32 s22, 25
	s_cbranch_scc0 .LBB110_1021
; %bb.1014:
	s_cmp_gt_i32 s22, 28
	s_cbranch_scc0 .LBB110_1022
	;; [unrolled: 3-line block ×4, first 2 shown]
; %bb.1017:
	s_cmp_eq_u32 s22, 46
	s_mov_b64 s[16:17], 0
	s_cbranch_scc0 .LBB110_1027
; %bb.1018:
	global_load_dword v3, v[0:1], off
	s_mov_b64 s[18:19], -1
	s_waitcnt vmcnt(0)
	v_lshlrev_b32_e32 v3, 16, v3
	v_cvt_i32_f32_e32 v6, v3
	s_branch .LBB110_1028
.LBB110_1019:
	s_mov_b64 s[18:19], 0
                                        ; implicit-def: $vgpr6
	s_mov_b64 s[16:17], s[6:7]
	s_cbranch_execnz .LBB110_1086
.LBB110_1020:
	s_andn2_b64 vcc, exec, s[18:19]
	s_cbranch_vccz .LBB110_1131
	s_branch .LBB110_1940
.LBB110_1021:
	s_mov_b64 s[18:19], 0
                                        ; implicit-def: $vgpr6
	s_cbranch_execnz .LBB110_1053
	s_branch .LBB110_1082
.LBB110_1022:
	s_mov_b64 s[18:19], 0
                                        ; implicit-def: $vgpr6
	s_cbranch_execz .LBB110_1052
	s_branch .LBB110_1037
.LBB110_1023:
	s_mov_b64 s[18:19], 0
                                        ; implicit-def: $vgpr6
	s_cbranch_execnz .LBB110_1033
	s_branch .LBB110_1036
.LBB110_1024:
	s_mov_b64 s[16:17], -1
	s_mov_b64 s[18:19], 0
                                        ; implicit-def: $vgpr6
	s_branch .LBB110_1028
.LBB110_1025:
	s_andn2_saveexec_b64 s[24:25], s[24:25]
	s_cbranch_execz .LBB110_924
.LBB110_1026:
	s_mov_b32 s26, 0x46000000
	v_add_f32_e64 v3, |v2|, s26
	v_and_b32_e32 v3, 0xff, v3
	v_cmp_ne_u32_e32 vcc, 0, v3
	s_andn2_b64 s[22:23], s[22:23], exec
	s_and_b64 s[26:27], vcc, exec
	s_or_b64 s[22:23], s[22:23], s[26:27]
	s_or_b64 exec, exec, s[24:25]
	v_mov_b32_e32 v5, 0
	s_and_saveexec_b64 s[24:25], s[22:23]
	s_cbranch_execnz .LBB110_925
	s_branch .LBB110_926
.LBB110_1027:
	s_mov_b64 s[0:1], -1
                                        ; implicit-def: $vgpr6
	s_mov_b64 s[18:19], 0
.LBB110_1028:
	s_and_b64 vcc, exec, s[16:17]
	s_cbranch_vccz .LBB110_1031
; %bb.1029:
	s_cmp_eq_u32 s22, 44
	s_cbranch_scc0 .LBB110_1032
; %bb.1030:
	global_load_ubyte v3, v[0:1], off
	s_mov_b64 s[0:1], 0
	s_mov_b64 s[18:19], -1
	s_waitcnt vmcnt(0)
	v_lshlrev_b32_e32 v4, 23, v3
	v_cvt_i32_f32_e32 v4, v4
	v_cmp_ne_u32_e32 vcc, 0, v3
	v_cndmask_b32_e32 v6, 0, v4, vcc
.LBB110_1031:
	s_branch .LBB110_1036
.LBB110_1032:
	s_mov_b64 s[0:1], -1
                                        ; implicit-def: $vgpr6
	s_branch .LBB110_1036
.LBB110_1033:
	s_cmp_eq_u32 s22, 29
	s_cbranch_scc0 .LBB110_1035
; %bb.1034:
	global_load_dwordx2 v[6:7], v[0:1], off
	s_mov_b64 s[0:1], 0
	s_mov_b64 s[18:19], -1
	s_branch .LBB110_1036
.LBB110_1035:
	s_mov_b64 s[0:1], -1
                                        ; implicit-def: $vgpr6
.LBB110_1036:
	s_branch .LBB110_1052
.LBB110_1037:
	s_cmp_lt_i32 s22, 27
	s_cbranch_scc1 .LBB110_1040
; %bb.1038:
	s_cmp_gt_i32 s22, 27
	s_cbranch_scc0 .LBB110_1041
; %bb.1039:
	global_load_dword v6, v[0:1], off
	s_mov_b64 s[16:17], 0
	s_branch .LBB110_1042
.LBB110_1040:
	s_mov_b64 s[16:17], -1
                                        ; implicit-def: $vgpr6
	s_branch .LBB110_1045
.LBB110_1041:
	s_mov_b64 s[16:17], -1
                                        ; implicit-def: $vgpr6
.LBB110_1042:
	s_andn2_b64 vcc, exec, s[16:17]
	s_cbranch_vccnz .LBB110_1044
; %bb.1043:
	global_load_ushort v6, v[0:1], off
.LBB110_1044:
	s_mov_b64 s[16:17], 0
.LBB110_1045:
	s_andn2_b64 vcc, exec, s[16:17]
	s_cbranch_vccnz .LBB110_1051
; %bb.1046:
	global_load_ubyte v3, v[0:1], off
	s_movk_i32 s16, 0x7f
	s_mov_b64 s[18:19], 0
	s_waitcnt vmcnt(0)
	v_cmp_lt_i16_e32 vcc, s16, v3
	s_and_saveexec_b64 s[16:17], vcc
	s_xor_b64 s[16:17], exec, s[16:17]
	s_cbranch_execz .LBB110_1062
; %bb.1047:
	s_movk_i32 s18, 0x80
	v_cmp_ne_u16_e32 vcc, s18, v3
	s_and_b64 s[18:19], vcc, exec
	s_andn2_saveexec_b64 s[16:17], s[16:17]
	s_cbranch_execnz .LBB110_1063
.LBB110_1048:
	s_or_b64 exec, exec, s[16:17]
	v_mov_b32_e32 v6, 0
	s_and_saveexec_b64 s[16:17], s[18:19]
	s_cbranch_execz .LBB110_1050
.LBB110_1049:
	v_lshlrev_b32_e32 v4, 24, v3
	v_and_b32_e32 v3, 0xffff, v3
	v_and_b32_e32 v5, 7, v3
	v_ffbh_u32_e32 v7, v5
	v_min_u32_e32 v7, 32, v7
	v_subrev_u32_e32 v8, 28, v7
	v_bfe_u32 v6, v3, 3, 4
	v_lshlrev_b32_e32 v3, v8, v3
	v_sub_u32_e32 v7, 29, v7
	v_and_b32_e32 v3, 7, v3
	v_cmp_eq_u32_e32 vcc, 0, v6
	v_cndmask_b32_e32 v6, v6, v7, vcc
	v_cndmask_b32_e32 v3, v5, v3, vcc
	v_mov_b32_e32 v5, 0x3b800000
	v_lshlrev_b32_e32 v3, 20, v3
	v_and_b32_e32 v4, 0x80000000, v4
	v_lshl_add_u32 v5, v6, 23, v5
	v_or3_b32 v3, v4, v5, v3
	v_cvt_i32_f32_e32 v6, v3
.LBB110_1050:
	s_or_b64 exec, exec, s[16:17]
.LBB110_1051:
	s_mov_b64 s[18:19], -1
.LBB110_1052:
	s_branch .LBB110_1082
.LBB110_1053:
	s_cmp_gt_i32 s22, 22
	s_cbranch_scc0 .LBB110_1061
; %bb.1054:
	s_cmp_lt_i32 s22, 24
	s_cbranch_scc1 .LBB110_1064
; %bb.1055:
	s_cmp_gt_i32 s22, 24
	s_cbranch_scc0 .LBB110_1065
; %bb.1056:
	global_load_ubyte v3, v[0:1], off
	s_movk_i32 s2, 0x7f
	s_mov_b64 s[16:17], 0
	s_waitcnt vmcnt(0)
	v_cmp_lt_i16_e32 vcc, s2, v3
	s_and_saveexec_b64 s[2:3], vcc
	s_xor_b64 s[2:3], exec, s[2:3]
	s_cbranch_execz .LBB110_1076
; %bb.1057:
	s_movk_i32 s16, 0x80
	v_cmp_ne_u16_e32 vcc, s16, v3
	s_and_b64 s[16:17], vcc, exec
	s_andn2_saveexec_b64 s[2:3], s[2:3]
	s_cbranch_execnz .LBB110_1077
.LBB110_1058:
	s_or_b64 exec, exec, s[2:3]
	v_mov_b32_e32 v6, 0
	s_and_saveexec_b64 s[2:3], s[16:17]
	s_cbranch_execz .LBB110_1060
.LBB110_1059:
	v_lshlrev_b32_e32 v4, 24, v3
	v_and_b32_e32 v3, 0xffff, v3
	v_and_b32_e32 v5, 3, v3
	v_ffbh_u32_e32 v7, v5
	v_min_u32_e32 v7, 32, v7
	v_subrev_u32_e32 v8, 29, v7
	v_bfe_u32 v6, v3, 2, 5
	v_lshlrev_b32_e32 v3, v8, v3
	v_sub_u32_e32 v7, 30, v7
	v_and_b32_e32 v3, 3, v3
	v_cmp_eq_u32_e32 vcc, 0, v6
	v_cndmask_b32_e32 v6, v6, v7, vcc
	v_cndmask_b32_e32 v3, v5, v3, vcc
	v_mov_b32_e32 v5, 0x37800000
	v_lshlrev_b32_e32 v3, 21, v3
	v_and_b32_e32 v4, 0x80000000, v4
	v_lshl_add_u32 v5, v6, 23, v5
	v_or3_b32 v3, v4, v5, v3
	v_cvt_i32_f32_e32 v6, v3
.LBB110_1060:
	s_or_b64 exec, exec, s[2:3]
	s_mov_b64 s[2:3], 0
	s_branch .LBB110_1066
.LBB110_1061:
                                        ; implicit-def: $vgpr6
	s_mov_b64 s[2:3], 0
	s_branch .LBB110_1072
.LBB110_1062:
	s_andn2_saveexec_b64 s[16:17], s[16:17]
	s_cbranch_execz .LBB110_1048
.LBB110_1063:
	v_cmp_ne_u16_e32 vcc, 0, v3
	s_andn2_b64 s[18:19], s[18:19], exec
	s_and_b64 s[20:21], vcc, exec
	s_or_b64 s[18:19], s[18:19], s[20:21]
	s_or_b64 exec, exec, s[16:17]
	v_mov_b32_e32 v6, 0
	s_and_saveexec_b64 s[16:17], s[18:19]
	s_cbranch_execnz .LBB110_1049
	s_branch .LBB110_1050
.LBB110_1064:
	s_mov_b64 s[2:3], -1
                                        ; implicit-def: $vgpr6
	s_branch .LBB110_1069
.LBB110_1065:
	s_mov_b64 s[2:3], -1
                                        ; implicit-def: $vgpr6
.LBB110_1066:
	s_and_b64 vcc, exec, s[2:3]
	s_cbranch_vccz .LBB110_1068
; %bb.1067:
	global_load_ubyte v3, v[0:1], off
	s_mov_b32 s2, 0x7f800000
	s_waitcnt vmcnt(0)
	v_lshlrev_b32_e32 v3, 24, v3
	v_and_b32_e32 v4, 0x7f000000, v3
	v_ffbh_u32_e32 v5, v4
	v_min_u32_e32 v5, 32, v5
	v_sub_u32_e64 v5, v5, 4 clamp
	v_lshlrev_b32_e32 v7, v5, v4
	v_lshlrev_b32_e32 v5, 23, v5
	v_lshrrev_b32_e32 v7, 4, v7
	v_add_u32_e32 v6, 0x1000000, v4
	v_sub_u32_e32 v5, v7, v5
	v_ashrrev_i32_e32 v6, 8, v6
	v_add_u32_e32 v5, 0x3c000000, v5
	v_and_or_b32 v5, v6, s2, v5
	v_cmp_ne_u32_e32 vcc, 0, v4
	v_cndmask_b32_e32 v4, 0, v5, vcc
	s_brev_b32 s2, 1
	v_and_or_b32 v3, v3, s2, v4
	v_cvt_i32_f32_e32 v6, v3
.LBB110_1068:
	s_mov_b64 s[2:3], 0
.LBB110_1069:
	s_andn2_b64 vcc, exec, s[2:3]
	s_cbranch_vccnz .LBB110_1071
; %bb.1070:
	global_load_ubyte v3, v[0:1], off
	s_movk_i32 s2, 0x7f00
	s_brev_b32 s3, 16
	s_waitcnt vmcnt(0)
	v_lshlrev_b16_e32 v4, 8, v3
	v_lshlrev_b32_e32 v3, 25, v3
	v_lshrrev_b32_e32 v5, 4, v3
	v_and_or_b32 v6, v4, s2, 0.5
	v_or_b32_e32 v5, 0x70000000, v5
	v_add_f32_e32 v6, -0.5, v6
	v_mul_f32_e32 v5, 0x7800000, v5
	v_cmp_gt_u32_e32 vcc, s3, v3
	v_bfe_i32 v4, v4, 0, 16
	v_cndmask_b32_e32 v3, v5, v6, vcc
	s_brev_b32 s2, 1
	v_and_or_b32 v3, v4, s2, v3
	v_cvt_i32_f32_e32 v6, v3
.LBB110_1071:
	s_mov_b64 s[18:19], -1
	s_mov_b64 s[2:3], 0
	s_cbranch_execnz .LBB110_1082
.LBB110_1072:
	s_cmp_gt_i32 s22, 14
	s_cbranch_scc0 .LBB110_1075
; %bb.1073:
	s_cmp_eq_u32 s22, 15
	s_cbranch_scc0 .LBB110_1078
; %bb.1074:
	global_load_ushort v3, v[0:1], off
	s_mov_b64 s[0:1], 0
	s_mov_b64 s[18:19], -1
	s_waitcnt vmcnt(0)
	v_lshlrev_b32_e32 v3, 16, v3
	v_cvt_i32_f32_e32 v6, v3
	s_branch .LBB110_1079
.LBB110_1075:
	s_mov_b64 s[16:17], -1
                                        ; implicit-def: $vgpr6
	s_branch .LBB110_1080
.LBB110_1076:
	s_andn2_saveexec_b64 s[2:3], s[2:3]
	s_cbranch_execz .LBB110_1058
.LBB110_1077:
	v_cmp_ne_u16_e32 vcc, 0, v3
	s_andn2_b64 s[16:17], s[16:17], exec
	s_and_b64 s[18:19], vcc, exec
	s_or_b64 s[16:17], s[16:17], s[18:19]
	s_or_b64 exec, exec, s[2:3]
	v_mov_b32_e32 v6, 0
	s_and_saveexec_b64 s[2:3], s[16:17]
	s_cbranch_execnz .LBB110_1059
	s_branch .LBB110_1060
.LBB110_1078:
	s_mov_b64 s[0:1], -1
                                        ; implicit-def: $vgpr6
.LBB110_1079:
	s_mov_b64 s[16:17], 0
.LBB110_1080:
	s_and_b64 vcc, exec, s[16:17]
	s_cbranch_vccz .LBB110_1082
; %bb.1081:
	s_cmp_lg_u32 s22, 11
	s_mov_b64 s[2:3], -1
	s_cselect_b64 s[0:1], -1, 0
.LBB110_1082:
	s_and_b64 vcc, exec, s[0:1]
	s_mov_b64 s[16:17], s[6:7]
	s_cbranch_vccnz .LBB110_1143
; %bb.1083:
	s_andn2_b64 vcc, exec, s[2:3]
	s_cbranch_vccnz .LBB110_1085
.LBB110_1084:
	global_load_ubyte v3, v[0:1], off
	s_mov_b64 s[18:19], -1
	s_waitcnt vmcnt(0)
	v_cmp_ne_u16_e32 vcc, 0, v3
	v_cndmask_b32_e64 v6, 0, 1, vcc
.LBB110_1085:
	s_branch .LBB110_1020
.LBB110_1086:
	s_cmp_lt_i32 s22, 5
	s_cbranch_scc1 .LBB110_1091
; %bb.1087:
	s_cmp_lt_i32 s22, 8
	s_cbranch_scc1 .LBB110_1092
; %bb.1088:
	;; [unrolled: 3-line block ×3, first 2 shown]
	s_cmp_gt_i32 s22, 9
	s_cbranch_scc0 .LBB110_1094
; %bb.1090:
	global_load_dwordx2 v[3:4], v[0:1], off
	s_mov_b64 s[0:1], 0
	s_waitcnt vmcnt(0)
	v_cvt_i32_f64_e32 v6, v[3:4]
	s_branch .LBB110_1095
.LBB110_1091:
                                        ; implicit-def: $vgpr6
	s_branch .LBB110_1112
.LBB110_1092:
                                        ; implicit-def: $vgpr6
	s_branch .LBB110_1101
.LBB110_1093:
	s_mov_b64 s[0:1], -1
                                        ; implicit-def: $vgpr6
	s_branch .LBB110_1098
.LBB110_1094:
	s_mov_b64 s[0:1], -1
                                        ; implicit-def: $vgpr6
.LBB110_1095:
	s_andn2_b64 vcc, exec, s[0:1]
	s_cbranch_vccnz .LBB110_1097
; %bb.1096:
	global_load_dword v3, v[0:1], off
	s_waitcnt vmcnt(0)
	v_cvt_i32_f32_e32 v6, v3
.LBB110_1097:
	s_mov_b64 s[0:1], 0
.LBB110_1098:
	s_andn2_b64 vcc, exec, s[0:1]
	s_cbranch_vccnz .LBB110_1100
; %bb.1099:
	global_load_dword v3, v[0:1], off
	s_waitcnt vmcnt(0)
	v_cvt_i16_f16_e32 v6, v3
.LBB110_1100:
	s_cbranch_execnz .LBB110_1111
.LBB110_1101:
	s_cmp_lt_i32 s22, 6
	s_cbranch_scc1 .LBB110_1104
; %bb.1102:
	s_cmp_gt_i32 s22, 6
	s_cbranch_scc0 .LBB110_1105
; %bb.1103:
	global_load_dwordx2 v[3:4], v[0:1], off
	s_mov_b64 s[0:1], 0
	s_waitcnt vmcnt(0)
	v_cvt_i32_f64_e32 v6, v[3:4]
	s_branch .LBB110_1106
.LBB110_1104:
	s_mov_b64 s[0:1], -1
                                        ; implicit-def: $vgpr6
	s_branch .LBB110_1109
.LBB110_1105:
	s_mov_b64 s[0:1], -1
                                        ; implicit-def: $vgpr6
.LBB110_1106:
	s_andn2_b64 vcc, exec, s[0:1]
	s_cbranch_vccnz .LBB110_1108
; %bb.1107:
	global_load_dword v3, v[0:1], off
	s_waitcnt vmcnt(0)
	v_cvt_i32_f32_e32 v6, v3
.LBB110_1108:
	s_mov_b64 s[0:1], 0
.LBB110_1109:
	s_andn2_b64 vcc, exec, s[0:1]
	s_cbranch_vccnz .LBB110_1111
; %bb.1110:
	global_load_ushort v3, v[0:1], off
	s_waitcnt vmcnt(0)
	v_cvt_i16_f16_e32 v6, v3
.LBB110_1111:
	s_cbranch_execnz .LBB110_1130
.LBB110_1112:
	s_cmp_lt_i32 s22, 2
	s_cbranch_scc1 .LBB110_1116
; %bb.1113:
	s_cmp_lt_i32 s22, 3
	s_cbranch_scc1 .LBB110_1117
; %bb.1114:
	s_cmp_gt_i32 s22, 3
	s_cbranch_scc0 .LBB110_1118
; %bb.1115:
	global_load_dwordx2 v[6:7], v[0:1], off
	s_mov_b64 s[0:1], 0
	s_branch .LBB110_1119
.LBB110_1116:
                                        ; implicit-def: $vgpr6
	s_branch .LBB110_1125
.LBB110_1117:
	s_mov_b64 s[0:1], -1
                                        ; implicit-def: $vgpr6
	s_branch .LBB110_1122
.LBB110_1118:
	s_mov_b64 s[0:1], -1
                                        ; implicit-def: $vgpr6
.LBB110_1119:
	s_andn2_b64 vcc, exec, s[0:1]
	s_cbranch_vccnz .LBB110_1121
; %bb.1120:
	global_load_dword v6, v[0:1], off
.LBB110_1121:
	s_mov_b64 s[0:1], 0
.LBB110_1122:
	s_andn2_b64 vcc, exec, s[0:1]
	s_cbranch_vccnz .LBB110_1124
; %bb.1123:
	global_load_ushort v6, v[0:1], off
.LBB110_1124:
	s_cbranch_execnz .LBB110_1130
.LBB110_1125:
	s_cmp_gt_i32 s22, 0
	s_cbranch_scc0 .LBB110_1127
; %bb.1126:
	global_load_sbyte v6, v[0:1], off
	s_mov_b64 s[0:1], 0
	s_branch .LBB110_1128
.LBB110_1127:
	s_mov_b64 s[0:1], -1
                                        ; implicit-def: $vgpr6
.LBB110_1128:
	s_andn2_b64 vcc, exec, s[0:1]
	s_cbranch_vccnz .LBB110_1130
; %bb.1129:
	global_load_ubyte v6, v[0:1], off
.LBB110_1130:
.LBB110_1131:
	s_lshl_b32 s13, s13, 7
	v_add_u32_e32 v2, s13, v2
	v_ashrrev_i32_e32 v1, 31, v2
	v_mov_b32_e32 v3, s11
	v_add_co_u32_e32 v0, vcc, s10, v2
	s_cmp_lt_i32 s22, 11
	v_addc_co_u32_e32 v1, vcc, v3, v1, vcc
	s_cbranch_scc1 .LBB110_1138
; %bb.1132:
	s_cmp_gt_i32 s22, 25
	s_mov_b64 s[2:3], 0
	s_cbranch_scc0 .LBB110_1140
; %bb.1133:
	s_cmp_gt_i32 s22, 28
	s_cbranch_scc0 .LBB110_1141
; %bb.1134:
	s_cmp_gt_i32 s22, 43
	;; [unrolled: 3-line block ×3, first 2 shown]
	s_cbranch_scc0 .LBB110_1144
; %bb.1136:
	s_cmp_eq_u32 s22, 46
	s_mov_b64 s[20:21], 0
	s_cbranch_scc0 .LBB110_1147
; %bb.1137:
	global_load_dword v3, v[0:1], off
	s_mov_b64 s[0:1], 0
	s_mov_b64 s[18:19], -1
	s_waitcnt vmcnt(0)
	v_lshlrev_b32_e32 v3, 16, v3
	v_cvt_i32_f32_e32 v4, v3
	s_branch .LBB110_1148
.LBB110_1138:
	s_mov_b64 s[18:19], 0
                                        ; implicit-def: $vgpr4
	s_cbranch_execnz .LBB110_1209
.LBB110_1139:
	s_andn2_b64 vcc, exec, s[18:19]
	s_cbranch_vccnz .LBB110_1940
	s_branch .LBB110_1256
.LBB110_1140:
	s_mov_b64 s[18:19], 0
	s_mov_b64 s[0:1], 0
                                        ; implicit-def: $vgpr4
	s_cbranch_execnz .LBB110_1175
	s_branch .LBB110_1205
.LBB110_1141:
	s_mov_b64 s[20:21], -1
	s_mov_b64 s[18:19], 0
	s_mov_b64 s[0:1], 0
                                        ; implicit-def: $vgpr4
	s_branch .LBB110_1158
.LBB110_1142:
	s_mov_b64 s[20:21], -1
	s_mov_b64 s[18:19], 0
	s_mov_b64 s[0:1], 0
                                        ; implicit-def: $vgpr4
	s_branch .LBB110_1153
.LBB110_1143:
	s_or_b64 s[16:17], s[6:7], exec
	s_trap 2
	s_cbranch_execz .LBB110_1084
	s_branch .LBB110_1085
.LBB110_1144:
	s_mov_b64 s[20:21], -1
	s_mov_b64 s[18:19], 0
	s_mov_b64 s[0:1], 0
                                        ; implicit-def: $vgpr4
	s_branch .LBB110_1148
.LBB110_1145:
	s_andn2_saveexec_b64 s[26:27], s[26:27]
	s_cbranch_execz .LBB110_936
.LBB110_1146:
	s_mov_b32 s30, 0x42800000
	v_add_f32_e64 v3, |v2|, s30
	v_and_b32_e32 v3, 0xff, v3
	v_cmp_ne_u32_e32 vcc, 0, v3
	s_andn2_b64 s[24:25], s[24:25], exec
	s_and_b64 s[30:31], vcc, exec
	s_or_b64 s[24:25], s[24:25], s[30:31]
	s_or_b64 exec, exec, s[26:27]
	v_mov_b32_e32 v5, 0
	s_and_saveexec_b64 s[26:27], s[24:25]
	s_cbranch_execnz .LBB110_937
	s_branch .LBB110_938
.LBB110_1147:
	s_mov_b64 s[0:1], -1
                                        ; implicit-def: $vgpr4
	s_mov_b64 s[18:19], 0
.LBB110_1148:
	s_and_b64 vcc, exec, s[20:21]
	s_cbranch_vccz .LBB110_1152
; %bb.1149:
	s_cmp_eq_u32 s22, 44
	s_cbranch_scc0 .LBB110_1151
; %bb.1150:
	global_load_ubyte v3, v[0:1], off
	s_mov_b64 s[0:1], 0
	s_mov_b64 s[18:19], -1
	s_waitcnt vmcnt(0)
	v_lshlrev_b32_e32 v4, 23, v3
	v_cvt_i32_f32_e32 v4, v4
	v_cmp_ne_u32_e32 vcc, 0, v3
	v_cndmask_b32_e32 v4, 0, v4, vcc
	s_branch .LBB110_1152
.LBB110_1151:
	s_mov_b64 s[0:1], -1
                                        ; implicit-def: $vgpr4
.LBB110_1152:
	s_mov_b64 s[20:21], 0
.LBB110_1153:
	s_and_b64 vcc, exec, s[20:21]
	s_cbranch_vccz .LBB110_1157
; %bb.1154:
	s_cmp_eq_u32 s22, 29
	s_cbranch_scc0 .LBB110_1156
; %bb.1155:
	global_load_dwordx2 v[4:5], v[0:1], off
	s_mov_b64 s[0:1], 0
	s_mov_b64 s[18:19], -1
	s_branch .LBB110_1157
.LBB110_1156:
	s_mov_b64 s[0:1], -1
                                        ; implicit-def: $vgpr4
.LBB110_1157:
	s_mov_b64 s[20:21], 0
.LBB110_1158:
	s_and_b64 vcc, exec, s[20:21]
	s_cbranch_vccz .LBB110_1174
; %bb.1159:
	s_cmp_lt_i32 s22, 27
	s_cbranch_scc1 .LBB110_1162
; %bb.1160:
	s_cmp_gt_i32 s22, 27
	s_cbranch_scc0 .LBB110_1163
; %bb.1161:
	global_load_dword v4, v[0:1], off
	s_mov_b64 s[18:19], 0
	s_branch .LBB110_1164
.LBB110_1162:
	s_mov_b64 s[18:19], -1
                                        ; implicit-def: $vgpr4
	s_branch .LBB110_1167
.LBB110_1163:
	s_mov_b64 s[18:19], -1
                                        ; implicit-def: $vgpr4
.LBB110_1164:
	s_andn2_b64 vcc, exec, s[18:19]
	s_cbranch_vccnz .LBB110_1166
; %bb.1165:
	global_load_ushort v4, v[0:1], off
.LBB110_1166:
	s_mov_b64 s[18:19], 0
.LBB110_1167:
	s_andn2_b64 vcc, exec, s[18:19]
	s_cbranch_vccnz .LBB110_1173
; %bb.1168:
	global_load_ubyte v3, v[0:1], off
	s_movk_i32 s18, 0x7f
	s_mov_b64 s[20:21], 0
	s_waitcnt vmcnt(0)
	v_cmp_lt_i16_e32 vcc, s18, v3
	s_and_saveexec_b64 s[18:19], vcc
	s_xor_b64 s[18:19], exec, s[18:19]
	s_cbranch_execz .LBB110_1184
; %bb.1169:
	s_movk_i32 s20, 0x80
	v_cmp_ne_u16_e32 vcc, s20, v3
	s_and_b64 s[20:21], vcc, exec
	s_andn2_saveexec_b64 s[18:19], s[18:19]
	s_cbranch_execnz .LBB110_1185
.LBB110_1170:
	s_or_b64 exec, exec, s[18:19]
	v_mov_b32_e32 v4, 0
	s_and_saveexec_b64 s[18:19], s[20:21]
	s_cbranch_execz .LBB110_1172
.LBB110_1171:
	v_lshlrev_b32_e32 v4, 24, v3
	v_and_b32_e32 v3, 0xffff, v3
	v_and_b32_e32 v5, 7, v3
	v_ffbh_u32_e32 v8, v5
	v_min_u32_e32 v8, 32, v8
	v_subrev_u32_e32 v10, 28, v8
	v_bfe_u32 v7, v3, 3, 4
	v_lshlrev_b32_e32 v3, v10, v3
	v_sub_u32_e32 v8, 29, v8
	v_and_b32_e32 v3, 7, v3
	v_cmp_eq_u32_e32 vcc, 0, v7
	v_cndmask_b32_e32 v7, v7, v8, vcc
	v_cndmask_b32_e32 v3, v5, v3, vcc
	v_mov_b32_e32 v5, 0x3b800000
	v_lshlrev_b32_e32 v3, 20, v3
	v_and_b32_e32 v4, 0x80000000, v4
	v_lshl_add_u32 v5, v7, 23, v5
	v_or3_b32 v3, v4, v5, v3
	v_cvt_i32_f32_e32 v4, v3
.LBB110_1172:
	s_or_b64 exec, exec, s[18:19]
.LBB110_1173:
	s_mov_b64 s[18:19], -1
.LBB110_1174:
	s_branch .LBB110_1205
.LBB110_1175:
	s_cmp_gt_i32 s22, 22
	s_cbranch_scc0 .LBB110_1183
; %bb.1176:
	s_cmp_lt_i32 s22, 24
	s_cbranch_scc1 .LBB110_1186
; %bb.1177:
	s_cmp_gt_i32 s22, 24
	s_cbranch_scc0 .LBB110_1187
; %bb.1178:
	global_load_ubyte v3, v[0:1], off
	s_movk_i32 s2, 0x7f
	s_mov_b64 s[18:19], 0
	s_waitcnt vmcnt(0)
	v_cmp_lt_i16_e32 vcc, s2, v3
	s_and_saveexec_b64 s[2:3], vcc
	s_xor_b64 s[2:3], exec, s[2:3]
	s_cbranch_execz .LBB110_1199
; %bb.1179:
	s_movk_i32 s18, 0x80
	v_cmp_ne_u16_e32 vcc, s18, v3
	s_and_b64 s[18:19], vcc, exec
	s_andn2_saveexec_b64 s[2:3], s[2:3]
	s_cbranch_execnz .LBB110_1200
.LBB110_1180:
	s_or_b64 exec, exec, s[2:3]
	v_mov_b32_e32 v4, 0
	s_and_saveexec_b64 s[2:3], s[18:19]
	s_cbranch_execz .LBB110_1182
.LBB110_1181:
	v_lshlrev_b32_e32 v4, 24, v3
	v_and_b32_e32 v3, 0xffff, v3
	v_and_b32_e32 v5, 3, v3
	v_ffbh_u32_e32 v8, v5
	v_min_u32_e32 v8, 32, v8
	v_subrev_u32_e32 v10, 29, v8
	v_bfe_u32 v7, v3, 2, 5
	v_lshlrev_b32_e32 v3, v10, v3
	v_sub_u32_e32 v8, 30, v8
	v_and_b32_e32 v3, 3, v3
	v_cmp_eq_u32_e32 vcc, 0, v7
	v_cndmask_b32_e32 v7, v7, v8, vcc
	v_cndmask_b32_e32 v3, v5, v3, vcc
	v_mov_b32_e32 v5, 0x37800000
	v_lshlrev_b32_e32 v3, 21, v3
	v_and_b32_e32 v4, 0x80000000, v4
	v_lshl_add_u32 v5, v7, 23, v5
	v_or3_b32 v3, v4, v5, v3
	v_cvt_i32_f32_e32 v4, v3
.LBB110_1182:
	s_or_b64 exec, exec, s[2:3]
	s_mov_b64 s[2:3], 0
	s_branch .LBB110_1188
.LBB110_1183:
	s_mov_b64 s[2:3], -1
                                        ; implicit-def: $vgpr4
	s_branch .LBB110_1194
.LBB110_1184:
	s_andn2_saveexec_b64 s[18:19], s[18:19]
	s_cbranch_execz .LBB110_1170
.LBB110_1185:
	v_cmp_ne_u16_e32 vcc, 0, v3
	s_andn2_b64 s[20:21], s[20:21], exec
	s_and_b64 s[24:25], vcc, exec
	s_or_b64 s[20:21], s[20:21], s[24:25]
	s_or_b64 exec, exec, s[18:19]
	v_mov_b32_e32 v4, 0
	s_and_saveexec_b64 s[18:19], s[20:21]
	s_cbranch_execnz .LBB110_1171
	s_branch .LBB110_1172
.LBB110_1186:
	s_mov_b64 s[2:3], -1
                                        ; implicit-def: $vgpr4
	s_branch .LBB110_1191
.LBB110_1187:
	s_mov_b64 s[2:3], -1
                                        ; implicit-def: $vgpr4
.LBB110_1188:
	s_and_b64 vcc, exec, s[2:3]
	s_cbranch_vccz .LBB110_1190
; %bb.1189:
	global_load_ubyte v3, v[0:1], off
	s_mov_b32 s2, 0x7f800000
	s_waitcnt vmcnt(0)
	v_lshlrev_b32_e32 v3, 24, v3
	v_and_b32_e32 v4, 0x7f000000, v3
	v_ffbh_u32_e32 v5, v4
	v_min_u32_e32 v5, 32, v5
	v_sub_u32_e64 v5, v5, 4 clamp
	v_lshlrev_b32_e32 v8, v5, v4
	v_lshlrev_b32_e32 v5, 23, v5
	v_lshrrev_b32_e32 v8, 4, v8
	v_add_u32_e32 v7, 0x1000000, v4
	v_sub_u32_e32 v5, v8, v5
	v_ashrrev_i32_e32 v7, 8, v7
	v_add_u32_e32 v5, 0x3c000000, v5
	v_and_or_b32 v5, v7, s2, v5
	v_cmp_ne_u32_e32 vcc, 0, v4
	v_cndmask_b32_e32 v4, 0, v5, vcc
	s_brev_b32 s2, 1
	v_and_or_b32 v3, v3, s2, v4
	v_cvt_i32_f32_e32 v4, v3
.LBB110_1190:
	s_mov_b64 s[2:3], 0
.LBB110_1191:
	s_andn2_b64 vcc, exec, s[2:3]
	s_cbranch_vccnz .LBB110_1193
; %bb.1192:
	global_load_ubyte v3, v[0:1], off
	s_movk_i32 s2, 0x7f00
	s_brev_b32 s3, 16
	s_waitcnt vmcnt(0)
	v_lshlrev_b16_e32 v4, 8, v3
	v_lshlrev_b32_e32 v3, 25, v3
	v_lshrrev_b32_e32 v5, 4, v3
	v_and_or_b32 v7, v4, s2, 0.5
	v_or_b32_e32 v5, 0x70000000, v5
	v_add_f32_e32 v7, -0.5, v7
	v_mul_f32_e32 v5, 0x7800000, v5
	v_cmp_gt_u32_e32 vcc, s3, v3
	v_bfe_i32 v4, v4, 0, 16
	v_cndmask_b32_e32 v3, v5, v7, vcc
	s_brev_b32 s2, 1
	v_and_or_b32 v3, v4, s2, v3
	v_cvt_i32_f32_e32 v4, v3
.LBB110_1193:
	s_mov_b64 s[2:3], 0
	s_mov_b64 s[18:19], -1
.LBB110_1194:
	s_andn2_b64 vcc, exec, s[2:3]
	s_mov_b64 s[2:3], 0
	s_cbranch_vccnz .LBB110_1205
; %bb.1195:
	s_cmp_gt_i32 s22, 14
	s_cbranch_scc0 .LBB110_1198
; %bb.1196:
	s_cmp_eq_u32 s22, 15
	s_cbranch_scc0 .LBB110_1201
; %bb.1197:
	global_load_ushort v3, v[0:1], off
	s_mov_b64 s[0:1], 0
	s_mov_b64 s[18:19], -1
	s_waitcnt vmcnt(0)
	v_lshlrev_b32_e32 v3, 16, v3
	v_cvt_i32_f32_e32 v4, v3
	s_branch .LBB110_1202
.LBB110_1198:
	s_mov_b64 s[20:21], -1
                                        ; implicit-def: $vgpr4
	s_branch .LBB110_1203
.LBB110_1199:
	s_andn2_saveexec_b64 s[2:3], s[2:3]
	s_cbranch_execz .LBB110_1180
.LBB110_1200:
	v_cmp_ne_u16_e32 vcc, 0, v3
	s_andn2_b64 s[18:19], s[18:19], exec
	s_and_b64 s[20:21], vcc, exec
	s_or_b64 s[18:19], s[18:19], s[20:21]
	s_or_b64 exec, exec, s[2:3]
	v_mov_b32_e32 v4, 0
	s_and_saveexec_b64 s[2:3], s[18:19]
	s_cbranch_execnz .LBB110_1181
	s_branch .LBB110_1182
.LBB110_1201:
	s_mov_b64 s[0:1], -1
                                        ; implicit-def: $vgpr4
.LBB110_1202:
	s_mov_b64 s[20:21], 0
.LBB110_1203:
	s_and_b64 vcc, exec, s[20:21]
	s_cbranch_vccz .LBB110_1205
; %bb.1204:
	s_cmp_lg_u32 s22, 11
	s_mov_b64 s[2:3], -1
	s_cselect_b64 s[0:1], -1, 0
.LBB110_1205:
	s_and_b64 vcc, exec, s[0:1]
	s_cbranch_vccnz .LBB110_1268
; %bb.1206:
	s_andn2_b64 vcc, exec, s[2:3]
	s_cbranch_vccnz .LBB110_1208
.LBB110_1207:
	global_load_ubyte v3, v[0:1], off
	s_mov_b64 s[18:19], -1
	s_waitcnt vmcnt(0)
	v_cmp_ne_u16_e32 vcc, 0, v3
	v_cndmask_b32_e64 v4, 0, 1, vcc
.LBB110_1208:
	s_branch .LBB110_1139
.LBB110_1209:
	s_cmp_lt_i32 s22, 5
	s_cbranch_scc1 .LBB110_1214
; %bb.1210:
	s_cmp_lt_i32 s22, 8
	s_cbranch_scc1 .LBB110_1215
; %bb.1211:
	;; [unrolled: 3-line block ×3, first 2 shown]
	s_cmp_gt_i32 s22, 9
	s_cbranch_scc0 .LBB110_1217
; %bb.1213:
	global_load_dwordx2 v[3:4], v[0:1], off
	s_mov_b64 s[0:1], 0
	s_waitcnt vmcnt(0)
	v_cvt_i32_f64_e32 v4, v[3:4]
	s_branch .LBB110_1218
.LBB110_1214:
                                        ; implicit-def: $vgpr4
	s_branch .LBB110_1236
.LBB110_1215:
	s_mov_b64 s[0:1], -1
                                        ; implicit-def: $vgpr4
	s_branch .LBB110_1224
.LBB110_1216:
	s_mov_b64 s[0:1], -1
                                        ; implicit-def: $vgpr4
	s_branch .LBB110_1221
.LBB110_1217:
	s_mov_b64 s[0:1], -1
                                        ; implicit-def: $vgpr4
.LBB110_1218:
	s_andn2_b64 vcc, exec, s[0:1]
	s_cbranch_vccnz .LBB110_1220
; %bb.1219:
	global_load_dword v3, v[0:1], off
	s_waitcnt vmcnt(0)
	v_cvt_i32_f32_e32 v4, v3
.LBB110_1220:
	s_mov_b64 s[0:1], 0
.LBB110_1221:
	s_andn2_b64 vcc, exec, s[0:1]
	s_cbranch_vccnz .LBB110_1223
; %bb.1222:
	global_load_dword v3, v[0:1], off
	s_waitcnt vmcnt(0)
	v_cvt_i16_f16_e32 v4, v3
.LBB110_1223:
	s_mov_b64 s[0:1], 0
.LBB110_1224:
	s_andn2_b64 vcc, exec, s[0:1]
	s_cbranch_vccnz .LBB110_1235
; %bb.1225:
	s_cmp_lt_i32 s22, 6
	s_cbranch_scc1 .LBB110_1228
; %bb.1226:
	s_cmp_gt_i32 s22, 6
	s_cbranch_scc0 .LBB110_1229
; %bb.1227:
	global_load_dwordx2 v[3:4], v[0:1], off
	s_mov_b64 s[0:1], 0
	s_waitcnt vmcnt(0)
	v_cvt_i32_f64_e32 v4, v[3:4]
	s_branch .LBB110_1230
.LBB110_1228:
	s_mov_b64 s[0:1], -1
                                        ; implicit-def: $vgpr4
	s_branch .LBB110_1233
.LBB110_1229:
	s_mov_b64 s[0:1], -1
                                        ; implicit-def: $vgpr4
.LBB110_1230:
	s_andn2_b64 vcc, exec, s[0:1]
	s_cbranch_vccnz .LBB110_1232
; %bb.1231:
	global_load_dword v3, v[0:1], off
	s_waitcnt vmcnt(0)
	v_cvt_i32_f32_e32 v4, v3
.LBB110_1232:
	s_mov_b64 s[0:1], 0
.LBB110_1233:
	s_andn2_b64 vcc, exec, s[0:1]
	s_cbranch_vccnz .LBB110_1235
; %bb.1234:
	global_load_ushort v3, v[0:1], off
	s_waitcnt vmcnt(0)
	v_cvt_i16_f16_e32 v4, v3
.LBB110_1235:
	s_cbranch_execnz .LBB110_1255
.LBB110_1236:
	s_cmp_lt_i32 s22, 2
	s_cbranch_scc1 .LBB110_1240
; %bb.1237:
	s_cmp_lt_i32 s22, 3
	s_cbranch_scc1 .LBB110_1241
; %bb.1238:
	s_cmp_gt_i32 s22, 3
	s_cbranch_scc0 .LBB110_1242
; %bb.1239:
	global_load_dwordx2 v[4:5], v[0:1], off
	s_mov_b64 s[0:1], 0
	s_branch .LBB110_1243
.LBB110_1240:
	s_mov_b64 s[0:1], -1
                                        ; implicit-def: $vgpr4
	s_branch .LBB110_1249
.LBB110_1241:
	s_mov_b64 s[0:1], -1
                                        ; implicit-def: $vgpr4
	s_branch .LBB110_1246
.LBB110_1242:
	s_mov_b64 s[0:1], -1
                                        ; implicit-def: $vgpr4
.LBB110_1243:
	s_andn2_b64 vcc, exec, s[0:1]
	s_cbranch_vccnz .LBB110_1245
; %bb.1244:
	global_load_dword v4, v[0:1], off
.LBB110_1245:
	s_mov_b64 s[0:1], 0
.LBB110_1246:
	s_andn2_b64 vcc, exec, s[0:1]
	s_cbranch_vccnz .LBB110_1248
; %bb.1247:
	global_load_ushort v4, v[0:1], off
.LBB110_1248:
	s_mov_b64 s[0:1], 0
.LBB110_1249:
	s_andn2_b64 vcc, exec, s[0:1]
	s_cbranch_vccnz .LBB110_1255
; %bb.1250:
	s_cmp_gt_i32 s22, 0
	s_cbranch_scc0 .LBB110_1252
; %bb.1251:
	global_load_sbyte v4, v[0:1], off
	s_mov_b64 s[0:1], 0
	s_branch .LBB110_1253
.LBB110_1252:
	s_mov_b64 s[0:1], -1
                                        ; implicit-def: $vgpr4
.LBB110_1253:
	s_andn2_b64 vcc, exec, s[0:1]
	s_cbranch_vccnz .LBB110_1255
; %bb.1254:
	global_load_ubyte v4, v[0:1], off
.LBB110_1255:
.LBB110_1256:
	s_waitcnt vmcnt(0)
	v_add_u32_e32 v5, s13, v2
	v_ashrrev_i32_e32 v1, 31, v5
	v_mov_b32_e32 v2, s11
	v_add_co_u32_e32 v0, vcc, s10, v5
	s_cmp_lt_i32 s22, 11
	v_addc_co_u32_e32 v1, vcc, v2, v1, vcc
	s_cbranch_scc1 .LBB110_1263
; %bb.1257:
	s_cmp_gt_i32 s22, 25
	s_mov_b64 s[2:3], 0
	s_cbranch_scc0 .LBB110_1265
; %bb.1258:
	s_cmp_gt_i32 s22, 28
	s_cbranch_scc0 .LBB110_1266
; %bb.1259:
	s_cmp_gt_i32 s22, 43
	;; [unrolled: 3-line block ×3, first 2 shown]
	s_cbranch_scc0 .LBB110_1269
; %bb.1261:
	s_cmp_eq_u32 s22, 46
	s_mov_b64 s[20:21], 0
	s_cbranch_scc0 .LBB110_1270
; %bb.1262:
	global_load_dword v2, v[0:1], off
	s_mov_b64 s[0:1], 0
	s_mov_b64 s[18:19], -1
	s_waitcnt vmcnt(0)
	v_lshlrev_b32_e32 v2, 16, v2
	v_cvt_i32_f32_e32 v2, v2
	s_branch .LBB110_1271
.LBB110_1263:
	s_mov_b64 s[18:19], 0
                                        ; implicit-def: $vgpr2
	s_cbranch_execnz .LBB110_1333
.LBB110_1264:
	s_andn2_b64 vcc, exec, s[18:19]
	s_cbranch_vccnz .LBB110_1940
	s_branch .LBB110_1381
.LBB110_1265:
	s_mov_b64 s[20:21], -1
	s_mov_b64 s[18:19], 0
	s_mov_b64 s[0:1], 0
                                        ; implicit-def: $vgpr2
	s_branch .LBB110_1298
.LBB110_1266:
	s_mov_b64 s[20:21], -1
	s_mov_b64 s[18:19], 0
	s_mov_b64 s[0:1], 0
                                        ; implicit-def: $vgpr2
	s_branch .LBB110_1281
.LBB110_1267:
	s_mov_b64 s[20:21], -1
	s_mov_b64 s[18:19], 0
	s_mov_b64 s[0:1], 0
                                        ; implicit-def: $vgpr2
	s_branch .LBB110_1276
.LBB110_1268:
	s_trap 2
	s_or_b64 s[16:17], s[16:17], exec
	s_cbranch_execz .LBB110_1207
	s_branch .LBB110_1208
.LBB110_1269:
	s_mov_b64 s[20:21], -1
	s_mov_b64 s[18:19], 0
	s_mov_b64 s[0:1], 0
                                        ; implicit-def: $vgpr2
	s_branch .LBB110_1271
.LBB110_1270:
	s_mov_b64 s[0:1], -1
                                        ; implicit-def: $vgpr2
	s_mov_b64 s[18:19], 0
.LBB110_1271:
	s_and_b64 vcc, exec, s[20:21]
	s_cbranch_vccz .LBB110_1275
; %bb.1272:
	s_cmp_eq_u32 s22, 44
	s_cbranch_scc0 .LBB110_1274
; %bb.1273:
	global_load_ubyte v2, v[0:1], off
	s_mov_b64 s[0:1], 0
	s_mov_b64 s[18:19], -1
	s_waitcnt vmcnt(0)
	v_lshlrev_b32_e32 v3, 23, v2
	v_cvt_i32_f32_e32 v3, v3
	v_cmp_ne_u32_e32 vcc, 0, v2
	v_cndmask_b32_e32 v2, 0, v3, vcc
	s_branch .LBB110_1275
.LBB110_1274:
	s_mov_b64 s[0:1], -1
                                        ; implicit-def: $vgpr2
.LBB110_1275:
	s_mov_b64 s[20:21], 0
.LBB110_1276:
	s_and_b64 vcc, exec, s[20:21]
	s_cbranch_vccz .LBB110_1280
; %bb.1277:
	s_cmp_eq_u32 s22, 29
	s_cbranch_scc0 .LBB110_1279
; %bb.1278:
	global_load_dwordx2 v[2:3], v[0:1], off
	s_mov_b64 s[0:1], 0
	s_mov_b64 s[18:19], -1
	s_branch .LBB110_1280
.LBB110_1279:
	s_mov_b64 s[0:1], -1
                                        ; implicit-def: $vgpr2
.LBB110_1280:
	s_mov_b64 s[20:21], 0
.LBB110_1281:
	s_and_b64 vcc, exec, s[20:21]
	s_cbranch_vccz .LBB110_1297
; %bb.1282:
	s_cmp_lt_i32 s22, 27
	s_cbranch_scc1 .LBB110_1285
; %bb.1283:
	s_cmp_gt_i32 s22, 27
	s_cbranch_scc0 .LBB110_1286
; %bb.1284:
	global_load_dword v2, v[0:1], off
	s_mov_b64 s[18:19], 0
	s_branch .LBB110_1287
.LBB110_1285:
	s_mov_b64 s[18:19], -1
                                        ; implicit-def: $vgpr2
	s_branch .LBB110_1290
.LBB110_1286:
	s_mov_b64 s[18:19], -1
                                        ; implicit-def: $vgpr2
.LBB110_1287:
	s_andn2_b64 vcc, exec, s[18:19]
	s_cbranch_vccnz .LBB110_1289
; %bb.1288:
	global_load_ushort v2, v[0:1], off
.LBB110_1289:
	s_mov_b64 s[18:19], 0
.LBB110_1290:
	s_andn2_b64 vcc, exec, s[18:19]
	s_cbranch_vccnz .LBB110_1296
; %bb.1291:
	global_load_ubyte v3, v[0:1], off
	s_movk_i32 s18, 0x7f
	s_mov_b64 s[20:21], 0
	s_waitcnt vmcnt(0)
	v_cmp_lt_i16_e32 vcc, s18, v3
	s_and_saveexec_b64 s[18:19], vcc
	s_xor_b64 s[18:19], exec, s[18:19]
	s_cbranch_execz .LBB110_1308
; %bb.1292:
	s_movk_i32 s20, 0x80
	v_cmp_ne_u16_e32 vcc, s20, v3
	s_and_b64 s[20:21], vcc, exec
	s_andn2_saveexec_b64 s[18:19], s[18:19]
	s_cbranch_execnz .LBB110_1309
.LBB110_1293:
	s_or_b64 exec, exec, s[18:19]
	v_mov_b32_e32 v2, 0
	s_and_saveexec_b64 s[18:19], s[20:21]
	s_cbranch_execz .LBB110_1295
.LBB110_1294:
	v_lshlrev_b32_e32 v2, 24, v3
	v_and_b32_e32 v3, 0xffff, v3
	v_and_b32_e32 v7, 7, v3
	v_ffbh_u32_e32 v10, v7
	v_min_u32_e32 v10, 32, v10
	v_subrev_u32_e32 v11, 28, v10
	v_bfe_u32 v8, v3, 3, 4
	v_lshlrev_b32_e32 v3, v11, v3
	v_sub_u32_e32 v10, 29, v10
	v_and_b32_e32 v3, 7, v3
	v_cmp_eq_u32_e32 vcc, 0, v8
	v_cndmask_b32_e32 v8, v8, v10, vcc
	v_cndmask_b32_e32 v3, v7, v3, vcc
	v_mov_b32_e32 v7, 0x3b800000
	v_lshlrev_b32_e32 v3, 20, v3
	v_and_b32_e32 v2, 0x80000000, v2
	v_lshl_add_u32 v7, v8, 23, v7
	v_or3_b32 v2, v2, v7, v3
	v_cvt_i32_f32_e32 v2, v2
.LBB110_1295:
	s_or_b64 exec, exec, s[18:19]
.LBB110_1296:
	s_mov_b64 s[18:19], -1
.LBB110_1297:
	s_mov_b64 s[20:21], 0
.LBB110_1298:
	s_and_b64 vcc, exec, s[20:21]
	s_cbranch_vccz .LBB110_1329
; %bb.1299:
	s_cmp_gt_i32 s22, 22
	s_cbranch_scc0 .LBB110_1307
; %bb.1300:
	s_cmp_lt_i32 s22, 24
	s_cbranch_scc1 .LBB110_1310
; %bb.1301:
	s_cmp_gt_i32 s22, 24
	s_cbranch_scc0 .LBB110_1311
; %bb.1302:
	global_load_ubyte v3, v[0:1], off
	s_movk_i32 s2, 0x7f
	s_mov_b64 s[18:19], 0
	s_waitcnt vmcnt(0)
	v_cmp_lt_i16_e32 vcc, s2, v3
	s_and_saveexec_b64 s[2:3], vcc
	s_xor_b64 s[2:3], exec, s[2:3]
	s_cbranch_execz .LBB110_1323
; %bb.1303:
	s_movk_i32 s18, 0x80
	v_cmp_ne_u16_e32 vcc, s18, v3
	s_and_b64 s[18:19], vcc, exec
	s_andn2_saveexec_b64 s[2:3], s[2:3]
	s_cbranch_execnz .LBB110_1324
.LBB110_1304:
	s_or_b64 exec, exec, s[2:3]
	v_mov_b32_e32 v2, 0
	s_and_saveexec_b64 s[2:3], s[18:19]
	s_cbranch_execz .LBB110_1306
.LBB110_1305:
	v_lshlrev_b32_e32 v2, 24, v3
	v_and_b32_e32 v3, 0xffff, v3
	v_and_b32_e32 v7, 3, v3
	v_ffbh_u32_e32 v10, v7
	v_min_u32_e32 v10, 32, v10
	v_subrev_u32_e32 v11, 29, v10
	v_bfe_u32 v8, v3, 2, 5
	v_lshlrev_b32_e32 v3, v11, v3
	v_sub_u32_e32 v10, 30, v10
	v_and_b32_e32 v3, 3, v3
	v_cmp_eq_u32_e32 vcc, 0, v8
	v_cndmask_b32_e32 v8, v8, v10, vcc
	v_cndmask_b32_e32 v3, v7, v3, vcc
	v_mov_b32_e32 v7, 0x37800000
	v_lshlrev_b32_e32 v3, 21, v3
	v_and_b32_e32 v2, 0x80000000, v2
	v_lshl_add_u32 v7, v8, 23, v7
	v_or3_b32 v2, v2, v7, v3
	v_cvt_i32_f32_e32 v2, v2
.LBB110_1306:
	s_or_b64 exec, exec, s[2:3]
	s_mov_b64 s[2:3], 0
	s_branch .LBB110_1312
.LBB110_1307:
	s_mov_b64 s[2:3], -1
                                        ; implicit-def: $vgpr2
	s_branch .LBB110_1318
.LBB110_1308:
	s_andn2_saveexec_b64 s[18:19], s[18:19]
	s_cbranch_execz .LBB110_1293
.LBB110_1309:
	v_cmp_ne_u16_e32 vcc, 0, v3
	s_andn2_b64 s[20:21], s[20:21], exec
	s_and_b64 s[24:25], vcc, exec
	s_or_b64 s[20:21], s[20:21], s[24:25]
	s_or_b64 exec, exec, s[18:19]
	v_mov_b32_e32 v2, 0
	s_and_saveexec_b64 s[18:19], s[20:21]
	s_cbranch_execnz .LBB110_1294
	s_branch .LBB110_1295
.LBB110_1310:
	s_mov_b64 s[2:3], -1
                                        ; implicit-def: $vgpr2
	s_branch .LBB110_1315
.LBB110_1311:
	s_mov_b64 s[2:3], -1
                                        ; implicit-def: $vgpr2
.LBB110_1312:
	s_and_b64 vcc, exec, s[2:3]
	s_cbranch_vccz .LBB110_1314
; %bb.1313:
	global_load_ubyte v2, v[0:1], off
	s_mov_b32 s2, 0x7f800000
	s_waitcnt vmcnt(0)
	v_lshlrev_b32_e32 v2, 24, v2
	v_and_b32_e32 v3, 0x7f000000, v2
	v_ffbh_u32_e32 v7, v3
	v_min_u32_e32 v7, 32, v7
	v_sub_u32_e64 v7, v7, 4 clamp
	v_lshlrev_b32_e32 v10, v7, v3
	v_lshlrev_b32_e32 v7, 23, v7
	v_lshrrev_b32_e32 v10, 4, v10
	v_add_u32_e32 v8, 0x1000000, v3
	v_sub_u32_e32 v7, v10, v7
	v_ashrrev_i32_e32 v8, 8, v8
	v_add_u32_e32 v7, 0x3c000000, v7
	v_and_or_b32 v7, v8, s2, v7
	v_cmp_ne_u32_e32 vcc, 0, v3
	v_cndmask_b32_e32 v3, 0, v7, vcc
	s_brev_b32 s2, 1
	v_and_or_b32 v2, v2, s2, v3
	v_cvt_i32_f32_e32 v2, v2
.LBB110_1314:
	s_mov_b64 s[2:3], 0
.LBB110_1315:
	s_andn2_b64 vcc, exec, s[2:3]
	s_cbranch_vccnz .LBB110_1317
; %bb.1316:
	global_load_ubyte v2, v[0:1], off
	s_movk_i32 s2, 0x7f00
	s_brev_b32 s3, 16
	s_waitcnt vmcnt(0)
	v_lshlrev_b16_e32 v3, 8, v2
	v_lshlrev_b32_e32 v2, 25, v2
	v_lshrrev_b32_e32 v7, 4, v2
	v_and_or_b32 v8, v3, s2, 0.5
	v_or_b32_e32 v7, 0x70000000, v7
	v_add_f32_e32 v8, -0.5, v8
	v_mul_f32_e32 v7, 0x7800000, v7
	v_cmp_gt_u32_e32 vcc, s3, v2
	v_bfe_i32 v3, v3, 0, 16
	v_cndmask_b32_e32 v2, v7, v8, vcc
	s_brev_b32 s2, 1
	v_and_or_b32 v2, v3, s2, v2
	v_cvt_i32_f32_e32 v2, v2
.LBB110_1317:
	s_mov_b64 s[2:3], 0
	s_mov_b64 s[18:19], -1
.LBB110_1318:
	s_andn2_b64 vcc, exec, s[2:3]
	s_mov_b64 s[2:3], 0
	s_cbranch_vccnz .LBB110_1329
; %bb.1319:
	s_cmp_gt_i32 s22, 14
	s_cbranch_scc0 .LBB110_1322
; %bb.1320:
	s_cmp_eq_u32 s22, 15
	s_cbranch_scc0 .LBB110_1325
; %bb.1321:
	global_load_ushort v2, v[0:1], off
	s_mov_b64 s[0:1], 0
	s_mov_b64 s[18:19], -1
	s_waitcnt vmcnt(0)
	v_lshlrev_b32_e32 v2, 16, v2
	v_cvt_i32_f32_e32 v2, v2
	s_branch .LBB110_1326
.LBB110_1322:
	s_mov_b64 s[20:21], -1
                                        ; implicit-def: $vgpr2
	s_branch .LBB110_1327
.LBB110_1323:
	s_andn2_saveexec_b64 s[2:3], s[2:3]
	s_cbranch_execz .LBB110_1304
.LBB110_1324:
	v_cmp_ne_u16_e32 vcc, 0, v3
	s_andn2_b64 s[18:19], s[18:19], exec
	s_and_b64 s[20:21], vcc, exec
	s_or_b64 s[18:19], s[18:19], s[20:21]
	s_or_b64 exec, exec, s[2:3]
	v_mov_b32_e32 v2, 0
	s_and_saveexec_b64 s[2:3], s[18:19]
	s_cbranch_execnz .LBB110_1305
	s_branch .LBB110_1306
.LBB110_1325:
	s_mov_b64 s[0:1], -1
                                        ; implicit-def: $vgpr2
.LBB110_1326:
	s_mov_b64 s[20:21], 0
.LBB110_1327:
	s_and_b64 vcc, exec, s[20:21]
	s_cbranch_vccz .LBB110_1329
; %bb.1328:
	s_cmp_lg_u32 s22, 11
	s_mov_b64 s[2:3], -1
	s_cselect_b64 s[0:1], -1, 0
.LBB110_1329:
	s_and_b64 vcc, exec, s[0:1]
	s_cbranch_vccnz .LBB110_1392
; %bb.1330:
	s_andn2_b64 vcc, exec, s[2:3]
	s_cbranch_vccnz .LBB110_1332
.LBB110_1331:
	global_load_ubyte v2, v[0:1], off
	s_mov_b64 s[18:19], -1
	s_waitcnt vmcnt(0)
	v_cmp_ne_u16_e32 vcc, 0, v2
	v_cndmask_b32_e64 v2, 0, 1, vcc
.LBB110_1332:
	s_branch .LBB110_1264
.LBB110_1333:
	s_cmp_lt_i32 s22, 5
	s_cbranch_scc1 .LBB110_1338
; %bb.1334:
	s_cmp_lt_i32 s22, 8
	s_cbranch_scc1 .LBB110_1339
; %bb.1335:
	;; [unrolled: 3-line block ×3, first 2 shown]
	s_cmp_gt_i32 s22, 9
	s_cbranch_scc0 .LBB110_1341
; %bb.1337:
	global_load_dwordx2 v[2:3], v[0:1], off
	s_mov_b64 s[0:1], 0
	s_waitcnt vmcnt(0)
	v_cvt_i32_f64_e32 v2, v[2:3]
	s_branch .LBB110_1342
.LBB110_1338:
	s_mov_b64 s[0:1], -1
                                        ; implicit-def: $vgpr2
	s_branch .LBB110_1360
.LBB110_1339:
	s_mov_b64 s[0:1], -1
                                        ; implicit-def: $vgpr2
	s_branch .LBB110_1348
.LBB110_1340:
	s_mov_b64 s[0:1], -1
                                        ; implicit-def: $vgpr2
	s_branch .LBB110_1345
.LBB110_1341:
	s_mov_b64 s[0:1], -1
                                        ; implicit-def: $vgpr2
.LBB110_1342:
	s_andn2_b64 vcc, exec, s[0:1]
	s_cbranch_vccnz .LBB110_1344
; %bb.1343:
	global_load_dword v2, v[0:1], off
	s_waitcnt vmcnt(0)
	v_cvt_i32_f32_e32 v2, v2
.LBB110_1344:
	s_mov_b64 s[0:1], 0
.LBB110_1345:
	s_andn2_b64 vcc, exec, s[0:1]
	s_cbranch_vccnz .LBB110_1347
; %bb.1346:
	global_load_dword v2, v[0:1], off
	s_waitcnt vmcnt(0)
	v_cvt_i16_f16_e32 v2, v2
.LBB110_1347:
	s_mov_b64 s[0:1], 0
.LBB110_1348:
	s_andn2_b64 vcc, exec, s[0:1]
	s_cbranch_vccnz .LBB110_1359
; %bb.1349:
	s_cmp_lt_i32 s22, 6
	s_cbranch_scc1 .LBB110_1352
; %bb.1350:
	s_cmp_gt_i32 s22, 6
	s_cbranch_scc0 .LBB110_1353
; %bb.1351:
	global_load_dwordx2 v[2:3], v[0:1], off
	s_mov_b64 s[0:1], 0
	s_waitcnt vmcnt(0)
	v_cvt_i32_f64_e32 v2, v[2:3]
	s_branch .LBB110_1354
.LBB110_1352:
	s_mov_b64 s[0:1], -1
                                        ; implicit-def: $vgpr2
	s_branch .LBB110_1357
.LBB110_1353:
	s_mov_b64 s[0:1], -1
                                        ; implicit-def: $vgpr2
.LBB110_1354:
	s_andn2_b64 vcc, exec, s[0:1]
	s_cbranch_vccnz .LBB110_1356
; %bb.1355:
	global_load_dword v2, v[0:1], off
	s_waitcnt vmcnt(0)
	v_cvt_i32_f32_e32 v2, v2
.LBB110_1356:
	s_mov_b64 s[0:1], 0
.LBB110_1357:
	s_andn2_b64 vcc, exec, s[0:1]
	s_cbranch_vccnz .LBB110_1359
; %bb.1358:
	global_load_ushort v2, v[0:1], off
	s_waitcnt vmcnt(0)
	v_cvt_i16_f16_e32 v2, v2
.LBB110_1359:
	s_mov_b64 s[0:1], 0
.LBB110_1360:
	s_andn2_b64 vcc, exec, s[0:1]
	s_cbranch_vccnz .LBB110_1380
; %bb.1361:
	s_cmp_lt_i32 s22, 2
	s_cbranch_scc1 .LBB110_1365
; %bb.1362:
	s_cmp_lt_i32 s22, 3
	s_cbranch_scc1 .LBB110_1366
; %bb.1363:
	s_cmp_gt_i32 s22, 3
	s_cbranch_scc0 .LBB110_1367
; %bb.1364:
	global_load_dwordx2 v[2:3], v[0:1], off
	s_mov_b64 s[0:1], 0
	s_branch .LBB110_1368
.LBB110_1365:
	s_mov_b64 s[0:1], -1
                                        ; implicit-def: $vgpr2
	s_branch .LBB110_1374
.LBB110_1366:
	s_mov_b64 s[0:1], -1
                                        ; implicit-def: $vgpr2
	s_branch .LBB110_1371
.LBB110_1367:
	s_mov_b64 s[0:1], -1
                                        ; implicit-def: $vgpr2
.LBB110_1368:
	s_andn2_b64 vcc, exec, s[0:1]
	s_cbranch_vccnz .LBB110_1370
; %bb.1369:
	global_load_dword v2, v[0:1], off
.LBB110_1370:
	s_mov_b64 s[0:1], 0
.LBB110_1371:
	s_andn2_b64 vcc, exec, s[0:1]
	s_cbranch_vccnz .LBB110_1373
; %bb.1372:
	global_load_ushort v2, v[0:1], off
.LBB110_1373:
	s_mov_b64 s[0:1], 0
.LBB110_1374:
	s_andn2_b64 vcc, exec, s[0:1]
	s_cbranch_vccnz .LBB110_1380
; %bb.1375:
	s_cmp_gt_i32 s22, 0
	s_cbranch_scc0 .LBB110_1377
; %bb.1376:
	global_load_sbyte v2, v[0:1], off
	s_mov_b64 s[0:1], 0
	s_branch .LBB110_1378
.LBB110_1377:
	s_mov_b64 s[0:1], -1
                                        ; implicit-def: $vgpr2
.LBB110_1378:
	s_andn2_b64 vcc, exec, s[0:1]
	s_cbranch_vccnz .LBB110_1380
; %bb.1379:
	global_load_ubyte v2, v[0:1], off
.LBB110_1380:
.LBB110_1381:
	v_add_u32_e32 v0, s13, v5
	v_ashrrev_i32_e32 v1, 31, v0
	s_waitcnt vmcnt(0)
	v_mov_b32_e32 v3, s11
	v_add_co_u32_e32 v7, vcc, s10, v0
	s_cmp_lt_i32 s22, 11
	v_addc_co_u32_e32 v8, vcc, v3, v1, vcc
	s_cbranch_scc1 .LBB110_1388
; %bb.1382:
	s_cmp_gt_i32 s22, 25
	s_mov_b64 s[2:3], 0
	s_cbranch_scc0 .LBB110_1389
; %bb.1383:
	s_cmp_gt_i32 s22, 28
	s_cbranch_scc0 .LBB110_1390
; %bb.1384:
	s_cmp_gt_i32 s22, 43
	;; [unrolled: 3-line block ×3, first 2 shown]
	s_cbranch_scc0 .LBB110_1393
; %bb.1386:
	s_cmp_eq_u32 s22, 46
	s_mov_b64 s[18:19], 0
	s_cbranch_scc0 .LBB110_1394
; %bb.1387:
	global_load_dword v0, v[7:8], off
	s_mov_b64 s[0:1], 0
	s_mov_b64 s[10:11], -1
	s_waitcnt vmcnt(0)
	v_lshlrev_b32_e32 v0, 16, v0
	v_cvt_i32_f32_e32 v0, v0
	s_branch .LBB110_1395
.LBB110_1388:
	s_mov_b64 s[0:1], -1
	s_mov_b64 s[10:11], 0
                                        ; implicit-def: $vgpr0
	s_branch .LBB110_1457
.LBB110_1389:
	s_mov_b64 s[18:19], -1
	s_mov_b64 s[10:11], 0
	s_mov_b64 s[0:1], 0
                                        ; implicit-def: $vgpr0
	s_branch .LBB110_1422
.LBB110_1390:
	s_mov_b64 s[18:19], -1
	s_mov_b64 s[10:11], 0
	s_mov_b64 s[0:1], 0
                                        ; implicit-def: $vgpr0
	s_branch .LBB110_1405
.LBB110_1391:
	s_mov_b64 s[18:19], -1
	s_mov_b64 s[10:11], 0
	s_mov_b64 s[0:1], 0
                                        ; implicit-def: $vgpr0
	s_branch .LBB110_1400
.LBB110_1392:
	s_trap 2
	s_or_b64 s[16:17], s[16:17], exec
	s_cbranch_execz .LBB110_1331
	s_branch .LBB110_1332
.LBB110_1393:
	s_mov_b64 s[18:19], -1
	s_mov_b64 s[10:11], 0
	s_mov_b64 s[0:1], 0
                                        ; implicit-def: $vgpr0
	s_branch .LBB110_1395
.LBB110_1394:
	s_mov_b64 s[0:1], -1
                                        ; implicit-def: $vgpr0
	s_mov_b64 s[10:11], 0
.LBB110_1395:
	s_and_b64 vcc, exec, s[18:19]
	s_cbranch_vccz .LBB110_1399
; %bb.1396:
	s_cmp_eq_u32 s22, 44
	s_cbranch_scc0 .LBB110_1398
; %bb.1397:
	global_load_ubyte v0, v[7:8], off
	s_mov_b64 s[0:1], 0
	s_mov_b64 s[10:11], -1
	s_waitcnt vmcnt(0)
	v_lshlrev_b32_e32 v1, 23, v0
	v_cvt_i32_f32_e32 v1, v1
	v_cmp_ne_u32_e32 vcc, 0, v0
	v_cndmask_b32_e32 v0, 0, v1, vcc
	s_branch .LBB110_1399
.LBB110_1398:
	s_mov_b64 s[0:1], -1
                                        ; implicit-def: $vgpr0
.LBB110_1399:
	s_mov_b64 s[18:19], 0
.LBB110_1400:
	s_and_b64 vcc, exec, s[18:19]
	s_cbranch_vccz .LBB110_1404
; %bb.1401:
	s_cmp_eq_u32 s22, 29
	s_cbranch_scc0 .LBB110_1403
; %bb.1402:
	global_load_dwordx2 v[0:1], v[7:8], off
	s_mov_b64 s[0:1], 0
	s_mov_b64 s[10:11], -1
	s_branch .LBB110_1404
.LBB110_1403:
	s_mov_b64 s[0:1], -1
                                        ; implicit-def: $vgpr0
.LBB110_1404:
	s_mov_b64 s[18:19], 0
.LBB110_1405:
	s_and_b64 vcc, exec, s[18:19]
	s_cbranch_vccz .LBB110_1421
; %bb.1406:
	s_cmp_lt_i32 s22, 27
	s_cbranch_scc1 .LBB110_1409
; %bb.1407:
	s_cmp_gt_i32 s22, 27
	s_cbranch_scc0 .LBB110_1410
; %bb.1408:
	global_load_dword v0, v[7:8], off
	s_mov_b64 s[10:11], 0
	s_branch .LBB110_1411
.LBB110_1409:
	s_mov_b64 s[10:11], -1
                                        ; implicit-def: $vgpr0
	s_branch .LBB110_1414
.LBB110_1410:
	s_mov_b64 s[10:11], -1
                                        ; implicit-def: $vgpr0
.LBB110_1411:
	s_andn2_b64 vcc, exec, s[10:11]
	s_cbranch_vccnz .LBB110_1413
; %bb.1412:
	global_load_ushort v0, v[7:8], off
.LBB110_1413:
	s_mov_b64 s[10:11], 0
.LBB110_1414:
	s_andn2_b64 vcc, exec, s[10:11]
	s_cbranch_vccnz .LBB110_1420
; %bb.1415:
	global_load_ubyte v1, v[7:8], off
	s_movk_i32 s10, 0x7f
	s_mov_b64 s[18:19], 0
	s_waitcnt vmcnt(0)
	v_cmp_lt_i16_e32 vcc, s10, v1
	s_and_saveexec_b64 s[10:11], vcc
	s_xor_b64 s[10:11], exec, s[10:11]
	s_cbranch_execz .LBB110_1432
; %bb.1416:
	s_movk_i32 s13, 0x80
	v_cmp_ne_u16_e32 vcc, s13, v1
	s_and_b64 s[18:19], vcc, exec
	s_andn2_saveexec_b64 s[10:11], s[10:11]
	s_cbranch_execnz .LBB110_1433
.LBB110_1417:
	s_or_b64 exec, exec, s[10:11]
	v_mov_b32_e32 v0, 0
	s_and_saveexec_b64 s[10:11], s[18:19]
	s_cbranch_execz .LBB110_1419
.LBB110_1418:
	v_lshlrev_b32_e32 v0, 24, v1
	v_and_b32_e32 v1, 0xffff, v1
	v_and_b32_e32 v3, 7, v1
	v_ffbh_u32_e32 v10, v3
	v_min_u32_e32 v10, 32, v10
	v_subrev_u32_e32 v11, 28, v10
	v_bfe_u32 v5, v1, 3, 4
	v_lshlrev_b32_e32 v1, v11, v1
	v_sub_u32_e32 v10, 29, v10
	v_and_b32_e32 v1, 7, v1
	v_cmp_eq_u32_e32 vcc, 0, v5
	v_cndmask_b32_e32 v5, v5, v10, vcc
	v_cndmask_b32_e32 v1, v3, v1, vcc
	v_mov_b32_e32 v3, 0x3b800000
	v_lshlrev_b32_e32 v1, 20, v1
	v_and_b32_e32 v0, 0x80000000, v0
	v_lshl_add_u32 v3, v5, 23, v3
	v_or3_b32 v0, v0, v3, v1
	v_cvt_i32_f32_e32 v0, v0
.LBB110_1419:
	s_or_b64 exec, exec, s[10:11]
.LBB110_1420:
	s_mov_b64 s[10:11], -1
.LBB110_1421:
	s_mov_b64 s[18:19], 0
.LBB110_1422:
	s_and_b64 vcc, exec, s[18:19]
	s_cbranch_vccz .LBB110_1453
; %bb.1423:
	s_cmp_gt_i32 s22, 22
	s_cbranch_scc0 .LBB110_1431
; %bb.1424:
	s_cmp_lt_i32 s22, 24
	s_cbranch_scc1 .LBB110_1434
; %bb.1425:
	s_cmp_gt_i32 s22, 24
	s_cbranch_scc0 .LBB110_1435
; %bb.1426:
	global_load_ubyte v1, v[7:8], off
	s_movk_i32 s2, 0x7f
	s_mov_b64 s[10:11], 0
	s_waitcnt vmcnt(0)
	v_cmp_lt_i16_e32 vcc, s2, v1
	s_and_saveexec_b64 s[2:3], vcc
	s_xor_b64 s[2:3], exec, s[2:3]
	s_cbranch_execz .LBB110_1447
; %bb.1427:
	s_movk_i32 s10, 0x80
	v_cmp_ne_u16_e32 vcc, s10, v1
	s_and_b64 s[10:11], vcc, exec
	s_andn2_saveexec_b64 s[2:3], s[2:3]
	s_cbranch_execnz .LBB110_1448
.LBB110_1428:
	s_or_b64 exec, exec, s[2:3]
	v_mov_b32_e32 v0, 0
	s_and_saveexec_b64 s[2:3], s[10:11]
	s_cbranch_execz .LBB110_1430
.LBB110_1429:
	v_lshlrev_b32_e32 v0, 24, v1
	v_and_b32_e32 v1, 0xffff, v1
	v_and_b32_e32 v3, 3, v1
	v_ffbh_u32_e32 v10, v3
	v_min_u32_e32 v10, 32, v10
	v_subrev_u32_e32 v11, 29, v10
	v_bfe_u32 v5, v1, 2, 5
	v_lshlrev_b32_e32 v1, v11, v1
	v_sub_u32_e32 v10, 30, v10
	v_and_b32_e32 v1, 3, v1
	v_cmp_eq_u32_e32 vcc, 0, v5
	v_cndmask_b32_e32 v5, v5, v10, vcc
	v_cndmask_b32_e32 v1, v3, v1, vcc
	v_mov_b32_e32 v3, 0x37800000
	v_lshlrev_b32_e32 v1, 21, v1
	v_and_b32_e32 v0, 0x80000000, v0
	v_lshl_add_u32 v3, v5, 23, v3
	v_or3_b32 v0, v0, v3, v1
	v_cvt_i32_f32_e32 v0, v0
.LBB110_1430:
	s_or_b64 exec, exec, s[2:3]
	s_mov_b64 s[2:3], 0
	s_branch .LBB110_1436
.LBB110_1431:
	s_mov_b64 s[2:3], -1
                                        ; implicit-def: $vgpr0
	s_branch .LBB110_1442
.LBB110_1432:
	s_andn2_saveexec_b64 s[10:11], s[10:11]
	s_cbranch_execz .LBB110_1417
.LBB110_1433:
	v_cmp_ne_u16_e32 vcc, 0, v1
	s_andn2_b64 s[18:19], s[18:19], exec
	s_and_b64 s[20:21], vcc, exec
	s_or_b64 s[18:19], s[18:19], s[20:21]
	s_or_b64 exec, exec, s[10:11]
	v_mov_b32_e32 v0, 0
	s_and_saveexec_b64 s[10:11], s[18:19]
	s_cbranch_execnz .LBB110_1418
	s_branch .LBB110_1419
.LBB110_1434:
	s_mov_b64 s[2:3], -1
                                        ; implicit-def: $vgpr0
	s_branch .LBB110_1439
.LBB110_1435:
	s_mov_b64 s[2:3], -1
                                        ; implicit-def: $vgpr0
.LBB110_1436:
	s_and_b64 vcc, exec, s[2:3]
	s_cbranch_vccz .LBB110_1438
; %bb.1437:
	global_load_ubyte v0, v[7:8], off
	s_mov_b32 s2, 0x7f800000
	s_waitcnt vmcnt(0)
	v_lshlrev_b32_e32 v0, 24, v0
	v_and_b32_e32 v1, 0x7f000000, v0
	v_ffbh_u32_e32 v3, v1
	v_min_u32_e32 v3, 32, v3
	v_sub_u32_e64 v3, v3, 4 clamp
	v_lshlrev_b32_e32 v10, v3, v1
	v_lshlrev_b32_e32 v3, 23, v3
	v_lshrrev_b32_e32 v10, 4, v10
	v_add_u32_e32 v5, 0x1000000, v1
	v_sub_u32_e32 v3, v10, v3
	v_ashrrev_i32_e32 v5, 8, v5
	v_add_u32_e32 v3, 0x3c000000, v3
	v_and_or_b32 v3, v5, s2, v3
	v_cmp_ne_u32_e32 vcc, 0, v1
	v_cndmask_b32_e32 v1, 0, v3, vcc
	s_brev_b32 s2, 1
	v_and_or_b32 v0, v0, s2, v1
	v_cvt_i32_f32_e32 v0, v0
.LBB110_1438:
	s_mov_b64 s[2:3], 0
.LBB110_1439:
	s_andn2_b64 vcc, exec, s[2:3]
	s_cbranch_vccnz .LBB110_1441
; %bb.1440:
	global_load_ubyte v0, v[7:8], off
	s_movk_i32 s2, 0x7f00
	s_brev_b32 s3, 16
	s_waitcnt vmcnt(0)
	v_lshlrev_b16_e32 v1, 8, v0
	v_lshlrev_b32_e32 v0, 25, v0
	v_lshrrev_b32_e32 v3, 4, v0
	v_and_or_b32 v5, v1, s2, 0.5
	v_or_b32_e32 v3, 0x70000000, v3
	v_add_f32_e32 v5, -0.5, v5
	v_mul_f32_e32 v3, 0x7800000, v3
	v_cmp_gt_u32_e32 vcc, s3, v0
	v_bfe_i32 v1, v1, 0, 16
	v_cndmask_b32_e32 v0, v3, v5, vcc
	s_brev_b32 s2, 1
	v_and_or_b32 v0, v1, s2, v0
	v_cvt_i32_f32_e32 v0, v0
.LBB110_1441:
	s_mov_b64 s[2:3], 0
	s_mov_b64 s[10:11], -1
.LBB110_1442:
	s_andn2_b64 vcc, exec, s[2:3]
	s_mov_b64 s[2:3], 0
	s_cbranch_vccnz .LBB110_1453
; %bb.1443:
	s_cmp_gt_i32 s22, 14
	s_cbranch_scc0 .LBB110_1446
; %bb.1444:
	s_cmp_eq_u32 s22, 15
	s_cbranch_scc0 .LBB110_1449
; %bb.1445:
	global_load_ushort v0, v[7:8], off
	s_mov_b64 s[0:1], 0
	s_mov_b64 s[10:11], -1
	s_waitcnt vmcnt(0)
	v_lshlrev_b32_e32 v0, 16, v0
	v_cvt_i32_f32_e32 v0, v0
	s_branch .LBB110_1450
.LBB110_1446:
	s_mov_b64 s[18:19], -1
                                        ; implicit-def: $vgpr0
	s_branch .LBB110_1451
.LBB110_1447:
	s_andn2_saveexec_b64 s[2:3], s[2:3]
	s_cbranch_execz .LBB110_1428
.LBB110_1448:
	v_cmp_ne_u16_e32 vcc, 0, v1
	s_andn2_b64 s[10:11], s[10:11], exec
	s_and_b64 s[18:19], vcc, exec
	s_or_b64 s[10:11], s[10:11], s[18:19]
	s_or_b64 exec, exec, s[2:3]
	v_mov_b32_e32 v0, 0
	s_and_saveexec_b64 s[2:3], s[10:11]
	s_cbranch_execnz .LBB110_1429
	s_branch .LBB110_1430
.LBB110_1449:
	s_mov_b64 s[0:1], -1
                                        ; implicit-def: $vgpr0
.LBB110_1450:
	s_mov_b64 s[18:19], 0
.LBB110_1451:
	s_and_b64 vcc, exec, s[18:19]
	s_cbranch_vccz .LBB110_1453
; %bb.1452:
	s_cmp_lg_u32 s22, 11
	s_mov_b64 s[2:3], -1
	s_cselect_b64 s[0:1], -1, 0
.LBB110_1453:
	s_and_b64 vcc, exec, s[0:1]
	s_cbranch_vccnz .LBB110_1986
; %bb.1454:
	s_andn2_b64 vcc, exec, s[2:3]
	s_cbranch_vccnz .LBB110_1456
.LBB110_1455:
	global_load_ubyte v0, v[7:8], off
	s_mov_b64 s[10:11], -1
	s_waitcnt vmcnt(0)
	v_cmp_ne_u16_e32 vcc, 0, v0
	v_cndmask_b32_e64 v0, 0, 1, vcc
.LBB110_1456:
	s_mov_b64 s[0:1], 0
.LBB110_1457:
	s_and_b64 vcc, exec, s[0:1]
	s_cbranch_vccz .LBB110_1506
; %bb.1458:
	s_cmp_lt_i32 s22, 5
	s_cbranch_scc1 .LBB110_1463
; %bb.1459:
	s_cmp_lt_i32 s22, 8
	s_cbranch_scc1 .LBB110_1464
	;; [unrolled: 3-line block ×3, first 2 shown]
; %bb.1461:
	s_cmp_gt_i32 s22, 9
	s_cbranch_scc0 .LBB110_1466
; %bb.1462:
	global_load_dwordx2 v[0:1], v[7:8], off
	s_mov_b64 s[0:1], 0
	s_waitcnt vmcnt(0)
	v_cvt_i32_f64_e32 v0, v[0:1]
	s_branch .LBB110_1467
.LBB110_1463:
	s_mov_b64 s[0:1], -1
                                        ; implicit-def: $vgpr0
	s_branch .LBB110_1485
.LBB110_1464:
	s_mov_b64 s[0:1], -1
                                        ; implicit-def: $vgpr0
	s_branch .LBB110_1473
.LBB110_1465:
	s_mov_b64 s[0:1], -1
                                        ; implicit-def: $vgpr0
	s_branch .LBB110_1470
.LBB110_1466:
	s_mov_b64 s[0:1], -1
                                        ; implicit-def: $vgpr0
.LBB110_1467:
	s_andn2_b64 vcc, exec, s[0:1]
	s_cbranch_vccnz .LBB110_1469
; %bb.1468:
	global_load_dword v0, v[7:8], off
	s_waitcnt vmcnt(0)
	v_cvt_i32_f32_e32 v0, v0
.LBB110_1469:
	s_mov_b64 s[0:1], 0
.LBB110_1470:
	s_andn2_b64 vcc, exec, s[0:1]
	s_cbranch_vccnz .LBB110_1472
; %bb.1471:
	global_load_dword v0, v[7:8], off
	s_waitcnt vmcnt(0)
	v_cvt_i16_f16_e32 v0, v0
.LBB110_1472:
	s_mov_b64 s[0:1], 0
.LBB110_1473:
	s_andn2_b64 vcc, exec, s[0:1]
	s_cbranch_vccnz .LBB110_1484
; %bb.1474:
	s_cmp_lt_i32 s22, 6
	s_cbranch_scc1 .LBB110_1477
; %bb.1475:
	s_cmp_gt_i32 s22, 6
	s_cbranch_scc0 .LBB110_1478
; %bb.1476:
	global_load_dwordx2 v[0:1], v[7:8], off
	s_mov_b64 s[0:1], 0
	s_waitcnt vmcnt(0)
	v_cvt_i32_f64_e32 v0, v[0:1]
	s_branch .LBB110_1479
.LBB110_1477:
	s_mov_b64 s[0:1], -1
                                        ; implicit-def: $vgpr0
	s_branch .LBB110_1482
.LBB110_1478:
	s_mov_b64 s[0:1], -1
                                        ; implicit-def: $vgpr0
.LBB110_1479:
	s_andn2_b64 vcc, exec, s[0:1]
	s_cbranch_vccnz .LBB110_1481
; %bb.1480:
	global_load_dword v0, v[7:8], off
	s_waitcnt vmcnt(0)
	v_cvt_i32_f32_e32 v0, v0
.LBB110_1481:
	s_mov_b64 s[0:1], 0
.LBB110_1482:
	s_andn2_b64 vcc, exec, s[0:1]
	s_cbranch_vccnz .LBB110_1484
; %bb.1483:
	global_load_ushort v0, v[7:8], off
	s_waitcnt vmcnt(0)
	v_cvt_i16_f16_e32 v0, v0
.LBB110_1484:
	s_mov_b64 s[0:1], 0
.LBB110_1485:
	s_andn2_b64 vcc, exec, s[0:1]
	s_cbranch_vccnz .LBB110_1505
; %bb.1486:
	s_cmp_lt_i32 s22, 2
	s_cbranch_scc1 .LBB110_1490
; %bb.1487:
	s_cmp_lt_i32 s22, 3
	s_cbranch_scc1 .LBB110_1491
; %bb.1488:
	s_cmp_gt_i32 s22, 3
	s_cbranch_scc0 .LBB110_1492
; %bb.1489:
	global_load_dwordx2 v[0:1], v[7:8], off
	s_mov_b64 s[0:1], 0
	s_branch .LBB110_1493
.LBB110_1490:
	s_mov_b64 s[0:1], -1
                                        ; implicit-def: $vgpr0
	s_branch .LBB110_1499
.LBB110_1491:
	s_mov_b64 s[0:1], -1
                                        ; implicit-def: $vgpr0
	s_branch .LBB110_1496
.LBB110_1492:
	s_mov_b64 s[0:1], -1
                                        ; implicit-def: $vgpr0
.LBB110_1493:
	s_andn2_b64 vcc, exec, s[0:1]
	s_cbranch_vccnz .LBB110_1495
; %bb.1494:
	global_load_dword v0, v[7:8], off
.LBB110_1495:
	s_mov_b64 s[0:1], 0
.LBB110_1496:
	s_andn2_b64 vcc, exec, s[0:1]
	s_cbranch_vccnz .LBB110_1498
; %bb.1497:
	global_load_ushort v0, v[7:8], off
.LBB110_1498:
	s_mov_b64 s[0:1], 0
.LBB110_1499:
	s_andn2_b64 vcc, exec, s[0:1]
	s_cbranch_vccnz .LBB110_1505
; %bb.1500:
	s_cmp_gt_i32 s22, 0
	s_cbranch_scc0 .LBB110_1502
; %bb.1501:
	global_load_sbyte v0, v[7:8], off
	s_mov_b64 s[0:1], 0
	s_branch .LBB110_1503
.LBB110_1502:
	s_mov_b64 s[0:1], -1
                                        ; implicit-def: $vgpr0
.LBB110_1503:
	s_andn2_b64 vcc, exec, s[0:1]
	s_cbranch_vccnz .LBB110_1505
; %bb.1504:
	global_load_ubyte v0, v[7:8], off
.LBB110_1505:
	s_mov_b64 s[10:11], -1
.LBB110_1506:
	s_andn2_b64 vcc, exec, s[10:11]
	s_cbranch_vccnz .LBB110_1940
; %bb.1507:
	s_waitcnt vmcnt(0)
	v_mul_lo_u32 v1, s12, v9
	s_and_b32 s23, 0xffff, s14
	s_cmp_gt_u32 s23, 15
	v_lshlrev_b32_e32 v3, s23, v6
	s_cselect_b64 s[2:3], -1, 0
	v_ashrrev_i32_e32 v6, 31, v1
	v_mov_b32_e32 v7, s9
	s_and_b32 s22, s15, 0xff
	v_add_co_u32_e32 v5, vcc, s8, v1
	v_cndmask_b32_e64 v3, v3, 0, s[2:3]
	s_cmp_lt_i32 s22, 11
	v_addc_co_u32_e32 v6, vcc, v7, v6, vcc
	s_cbranch_scc1 .LBB110_1585
; %bb.1508:
	s_and_b32 s13, 0xffff, s22
	s_mov_b64 s[18:19], -1
	s_mov_b64 s[10:11], 0
	s_cmp_gt_i32 s13, 25
	s_mov_b64 s[14:15], 0
	s_mov_b64 s[0:1], 0
	s_cbranch_scc0 .LBB110_1541
; %bb.1509:
	s_cmp_gt_i32 s13, 28
	s_cbranch_scc0 .LBB110_1524
; %bb.1510:
	s_cmp_gt_i32 s13, 43
	;; [unrolled: 3-line block ×3, first 2 shown]
	s_cbranch_scc0 .LBB110_1514
; %bb.1512:
	s_mov_b64 s[0:1], -1
	s_mov_b64 s[18:19], 0
	s_cmp_eq_u32 s13, 46
	s_cbranch_scc0 .LBB110_1514
; %bb.1513:
	v_cvt_f32_i32_sdwa v7, sext(v3) dst_sel:DWORD dst_unused:UNUSED_PAD src0_sel:WORD_0
	s_movk_i32 s14, 0x7fff
	s_mov_b64 s[0:1], 0
	v_bfe_u32 v8, v7, 16, 1
	v_add3_u32 v7, v7, v8, s14
	v_lshrrev_b32_e32 v7, 16, v7
	global_store_dword v[5:6], v7, off
	s_mov_b64 s[14:15], -1
.LBB110_1514:
	s_and_b64 vcc, exec, s[18:19]
	s_cbranch_vccz .LBB110_1519
; %bb.1515:
	s_cmp_eq_u32 s13, 44
	s_mov_b64 s[0:1], -1
	s_cbranch_scc0 .LBB110_1519
; %bb.1516:
	v_cvt_f32_i32_sdwa v7, sext(v3) dst_sel:DWORD dst_unused:UNUSED_PAD src0_sel:WORD_0
	s_movk_i32 s0, 0xff
	v_mov_b32_e32 v9, 0xff
	v_bfe_u32 v8, v7, 23, 8
	v_cmp_ne_u32_e32 vcc, s0, v8
	s_and_saveexec_b64 s[14:15], vcc
; %bb.1517:
	s_mov_b32 s0, 0x3fffff
	v_lshrrev_b32_e32 v9, 23, v7
	v_and_b32_e32 v10, 0x400000, v7
	v_and_or_b32 v7, v7, s0, v8
	v_cmp_ne_u32_e32 vcc, 0, v10
	v_cmp_ne_u32_e64 s[0:1], 0, v7
	s_and_b64 s[0:1], vcc, s[0:1]
	v_cndmask_b32_e64 v7, 0, 1, s[0:1]
	v_add_u32_e32 v9, v9, v7
; %bb.1518:
	s_or_b64 exec, exec, s[14:15]
	s_mov_b64 s[0:1], 0
	s_mov_b64 s[14:15], -1
	global_store_byte v[5:6], v9, off
.LBB110_1519:
	s_mov_b64 s[18:19], 0
.LBB110_1520:
	s_and_b64 vcc, exec, s[18:19]
	s_cbranch_vccz .LBB110_1523
; %bb.1521:
	s_cmp_eq_u32 s13, 29
	s_mov_b64 s[0:1], -1
	s_cbranch_scc0 .LBB110_1523
; %bb.1522:
	v_bfe_i32 v7, v3, 0, 16
	v_ashrrev_i32_e32 v8, 31, v7
	global_store_dwordx2 v[5:6], v[7:8], off
	s_mov_b64 s[0:1], 0
	s_mov_b64 s[14:15], -1
.LBB110_1523:
	s_mov_b64 s[18:19], 0
.LBB110_1524:
	s_and_b64 vcc, exec, s[18:19]
	s_cbranch_vccz .LBB110_1540
; %bb.1525:
	s_cmp_lt_i32 s13, 27
	s_mov_b64 s[14:15], -1
	s_cbranch_scc1 .LBB110_1531
; %bb.1526:
	s_cmp_gt_i32 s13, 27
	s_cbranch_scc0 .LBB110_1528
; %bb.1527:
	v_bfe_i32 v7, v3, 0, 16
	s_mov_b64 s[14:15], 0
	global_store_dword v[5:6], v7, off
.LBB110_1528:
	s_andn2_b64 vcc, exec, s[14:15]
	s_cbranch_vccnz .LBB110_1530
; %bb.1529:
	global_store_short v[5:6], v3, off
.LBB110_1530:
	s_mov_b64 s[14:15], 0
.LBB110_1531:
	s_andn2_b64 vcc, exec, s[14:15]
	s_cbranch_vccnz .LBB110_1539
; %bb.1532:
	v_cvt_f32_i32_sdwa v7, sext(v3) dst_sel:DWORD dst_unused:UNUSED_PAD src0_sel:WORD_0
	s_mov_b32 s14, 0x43800000
	v_mov_b32_e32 v9, 0x80
	v_and_b32_e32 v8, 0x7fffffff, v7
	v_cmp_gt_u32_e32 vcc, s14, v8
	s_and_saveexec_b64 s[14:15], vcc
	s_cbranch_execz .LBB110_1538
; %bb.1533:
	s_mov_b32 s18, 0x3bffffff
	v_cmp_lt_u32_e32 vcc, s18, v8
	s_mov_b64 s[18:19], 0
                                        ; implicit-def: $vgpr8
	s_and_saveexec_b64 s[20:21], vcc
	s_xor_b64 s[20:21], exec, s[20:21]
	s_cbranch_execz .LBB110_1987
; %bb.1534:
	v_bfe_u32 v8, v7, 20, 1
	s_mov_b32 s24, 0x487ffff
	v_add3_u32 v8, v7, v8, s24
	s_mov_b64 s[18:19], exec
	v_lshrrev_b32_e32 v8, 20, v8
	s_andn2_saveexec_b64 s[20:21], s[20:21]
	s_cbranch_execnz .LBB110_1988
.LBB110_1535:
	s_or_b64 exec, exec, s[20:21]
	v_mov_b32_e32 v9, 0
	s_and_saveexec_b64 s[20:21], s[18:19]
.LBB110_1536:
	v_lshrrev_b32_e32 v7, 24, v7
	s_movk_i32 s18, 0x80
	v_and_or_b32 v9, v7, s18, v8
.LBB110_1537:
	s_or_b64 exec, exec, s[20:21]
.LBB110_1538:
	s_or_b64 exec, exec, s[14:15]
	global_store_byte v[5:6], v9, off
.LBB110_1539:
	s_mov_b64 s[14:15], -1
.LBB110_1540:
	s_mov_b64 s[18:19], 0
.LBB110_1541:
	s_and_b64 vcc, exec, s[18:19]
	s_cbranch_vccz .LBB110_1581
; %bb.1542:
	s_cmp_gt_i32 s13, 22
	s_mov_b64 s[10:11], -1
	s_cbranch_scc0 .LBB110_1574
; %bb.1543:
	s_cmp_lt_i32 s13, 24
	s_cbranch_scc1 .LBB110_1563
; %bb.1544:
	s_cmp_gt_i32 s13, 24
	s_cbranch_scc0 .LBB110_1552
; %bb.1545:
	v_cvt_f32_i32_sdwa v7, sext(v3) dst_sel:DWORD dst_unused:UNUSED_PAD src0_sel:WORD_0
	s_mov_b32 s10, 0x47800000
	v_mov_b32_e32 v9, 0x80
	v_and_b32_e32 v8, 0x7fffffff, v7
	v_cmp_gt_u32_e32 vcc, s10, v8
	s_and_saveexec_b64 s[10:11], vcc
	s_cbranch_execz .LBB110_1551
; %bb.1546:
	s_mov_b32 s14, 0x37ffffff
	v_cmp_lt_u32_e32 vcc, s14, v8
	s_mov_b64 s[14:15], 0
                                        ; implicit-def: $vgpr8
	s_and_saveexec_b64 s[18:19], vcc
	s_xor_b64 s[18:19], exec, s[18:19]
	s_cbranch_execz .LBB110_1990
; %bb.1547:
	v_bfe_u32 v8, v7, 21, 1
	s_mov_b32 s20, 0x88fffff
	v_add3_u32 v8, v7, v8, s20
	s_mov_b64 s[14:15], exec
	v_lshrrev_b32_e32 v8, 21, v8
	s_andn2_saveexec_b64 s[18:19], s[18:19]
	s_cbranch_execnz .LBB110_1991
.LBB110_1548:
	s_or_b64 exec, exec, s[18:19]
	v_mov_b32_e32 v9, 0
	s_and_saveexec_b64 s[18:19], s[14:15]
.LBB110_1549:
	v_lshrrev_b32_e32 v7, 24, v7
	s_movk_i32 s14, 0x80
	v_and_or_b32 v9, v7, s14, v8
.LBB110_1550:
	s_or_b64 exec, exec, s[18:19]
.LBB110_1551:
	s_or_b64 exec, exec, s[10:11]
	s_mov_b64 s[10:11], 0
	global_store_byte v[5:6], v9, off
.LBB110_1552:
	s_and_b64 vcc, exec, s[10:11]
	s_cbranch_vccz .LBB110_1562
; %bb.1553:
	v_cvt_f32_i32_sdwa v7, sext(v3) dst_sel:DWORD dst_unused:UNUSED_PAD src0_sel:WORD_0
	s_mov_b32 s10, 0x43f00000
                                        ; implicit-def: $vgpr8
	v_and_b32_e32 v9, 0x7fffffff, v7
	v_cmp_gt_u32_e32 vcc, s10, v9
	s_and_saveexec_b64 s[10:11], vcc
	s_xor_b64 s[10:11], exec, s[10:11]
	s_cbranch_execz .LBB110_1559
; %bb.1554:
	s_mov_b32 s14, 0x3c7fffff
	v_cmp_lt_u32_e32 vcc, s14, v9
                                        ; implicit-def: $vgpr8
	s_and_saveexec_b64 s[14:15], vcc
	s_xor_b64 s[14:15], exec, s[14:15]
; %bb.1555:
	v_bfe_u32 v8, v7, 20, 1
	s_mov_b32 s18, 0x407ffff
	v_add3_u32 v8, v7, v8, s18
	v_lshrrev_b32_e32 v9, 20, v8
	v_and_b32_e32 v8, 0xff00000, v8
	s_mov_b32 s18, 0x7f00000
	v_mov_b32_e32 v10, 0x7e
	v_cmp_ne_u32_e32 vcc, s18, v8
	v_cndmask_b32_e32 v8, v10, v9, vcc
; %bb.1556:
	s_andn2_saveexec_b64 s[14:15], s[14:15]
; %bb.1557:
	s_mov_b32 s18, 0x46800000
	v_add_f32_e64 v8, |v7|, s18
; %bb.1558:
	s_or_b64 exec, exec, s[14:15]
                                        ; implicit-def: $vgpr9
.LBB110_1559:
	s_andn2_saveexec_b64 s[10:11], s[10:11]
; %bb.1560:
	s_mov_b32 s14, 0x7f800000
	v_mov_b32_e32 v8, 0x7e
	v_mov_b32_e32 v10, 0x7f
	v_cmp_lt_u32_e32 vcc, s14, v9
	v_cndmask_b32_e32 v8, v8, v10, vcc
; %bb.1561:
	s_or_b64 exec, exec, s[10:11]
	v_lshrrev_b32_e32 v7, 24, v7
	s_movk_i32 s10, 0x80
	v_and_or_b32 v7, v7, s10, v8
	global_store_byte v[5:6], v7, off
.LBB110_1562:
	s_mov_b64 s[10:11], 0
.LBB110_1563:
	s_andn2_b64 vcc, exec, s[10:11]
	s_cbranch_vccnz .LBB110_1573
; %bb.1564:
	v_cvt_f32_i32_sdwa v7, sext(v3) dst_sel:DWORD dst_unused:UNUSED_PAD src0_sel:WORD_0
	s_mov_b32 s10, 0x47800000
                                        ; implicit-def: $vgpr8
	v_and_b32_e32 v9, 0x7fffffff, v7
	v_cmp_gt_u32_e32 vcc, s10, v9
	s_and_saveexec_b64 s[10:11], vcc
	s_xor_b64 s[10:11], exec, s[10:11]
	s_cbranch_execz .LBB110_1570
; %bb.1565:
	s_mov_b32 s14, 0x387fffff
	v_cmp_lt_u32_e32 vcc, s14, v9
                                        ; implicit-def: $vgpr8
	s_and_saveexec_b64 s[14:15], vcc
	s_xor_b64 s[14:15], exec, s[14:15]
; %bb.1566:
	v_bfe_u32 v8, v7, 21, 1
	s_mov_b32 s18, 0x80fffff
	v_add3_u32 v8, v7, v8, s18
	v_lshrrev_b32_e32 v8, 21, v8
; %bb.1567:
	s_andn2_saveexec_b64 s[14:15], s[14:15]
; %bb.1568:
	s_mov_b32 s18, 0x43000000
	v_add_f32_e64 v8, |v7|, s18
; %bb.1569:
	s_or_b64 exec, exec, s[14:15]
                                        ; implicit-def: $vgpr9
.LBB110_1570:
	s_andn2_saveexec_b64 s[10:11], s[10:11]
; %bb.1571:
	s_mov_b32 s14, 0x7f800000
	v_mov_b32_e32 v8, 0x7c
	v_mov_b32_e32 v10, 0x7f
	v_cmp_lt_u32_e32 vcc, s14, v9
	v_cndmask_b32_e32 v8, v8, v10, vcc
; %bb.1572:
	s_or_b64 exec, exec, s[10:11]
	v_lshrrev_b32_e32 v7, 24, v7
	s_movk_i32 s10, 0x80
	v_and_or_b32 v7, v7, s10, v8
	global_store_byte v[5:6], v7, off
.LBB110_1573:
	s_mov_b64 s[10:11], 0
	s_mov_b64 s[14:15], -1
.LBB110_1574:
	s_andn2_b64 vcc, exec, s[10:11]
	s_mov_b64 s[10:11], 0
	s_cbranch_vccnz .LBB110_1581
; %bb.1575:
	s_cmp_gt_i32 s13, 14
	s_mov_b64 s[18:19], -1
	s_cbranch_scc0 .LBB110_1579
; %bb.1576:
	s_cmp_eq_u32 s13, 15
	s_mov_b64 s[0:1], -1
	s_cbranch_scc0 .LBB110_1578
; %bb.1577:
	v_cvt_f32_i32_sdwa v7, sext(v3) dst_sel:DWORD dst_unused:UNUSED_PAD src0_sel:WORD_0
	s_movk_i32 s10, 0x7fff
	s_mov_b64 s[0:1], 0
	s_mov_b64 s[14:15], -1
	v_bfe_u32 v8, v7, 16, 1
	v_add3_u32 v7, v7, v8, s10
	global_store_short_d16_hi v[5:6], v7, off
.LBB110_1578:
	s_mov_b64 s[18:19], 0
.LBB110_1579:
	s_mov_b64 s[10:11], 0
	s_and_b64 vcc, exec, s[18:19]
	s_cbranch_vccz .LBB110_1581
; %bb.1580:
	s_cmp_lg_u32 s13, 11
	s_mov_b64 s[10:11], -1
	s_cselect_b64 s[0:1], -1, 0
.LBB110_1581:
	s_and_b64 vcc, exec, s[0:1]
	s_cbranch_vccnz .LBB110_1989
; %bb.1582:
	s_andn2_b64 vcc, exec, s[10:11]
	s_cbranch_vccnz .LBB110_1584
.LBB110_1583:
	v_cmp_ne_u16_e32 vcc, 0, v3
	v_cndmask_b32_e64 v7, 0, 1, vcc
	s_mov_b64 s[14:15], -1
	global_store_byte v[5:6], v7, off
.LBB110_1584:
	s_mov_b64 s[0:1], 0
	s_branch .LBB110_1586
.LBB110_1585:
	s_mov_b64 s[0:1], -1
	s_mov_b64 s[14:15], 0
.LBB110_1586:
	s_and_b64 vcc, exec, s[0:1]
	s_cbranch_vccz .LBB110_1625
; %bb.1587:
	s_and_b32 s10, 0xffff, s22
	s_cmp_lt_i32 s10, 5
	s_mov_b64 s[0:1], -1
	s_cbranch_scc1 .LBB110_1608
; %bb.1588:
	s_cmp_lt_i32 s10, 8
	s_cbranch_scc1 .LBB110_1598
; %bb.1589:
	s_cmp_lt_i32 s10, 9
	s_cbranch_scc1 .LBB110_1595
; %bb.1590:
	s_cmp_gt_i32 s10, 9
	s_cbranch_scc0 .LBB110_1592
; %bb.1591:
	v_bfe_i32 v7, v3, 0, 16
	v_cvt_f64_i32_e32 v[7:8], v7
	v_mov_b32_e32 v9, 0
	v_mov_b32_e32 v10, v9
	s_mov_b64 s[0:1], 0
	global_store_dwordx4 v[5:6], v[7:10], off
.LBB110_1592:
	s_andn2_b64 vcc, exec, s[0:1]
	s_cbranch_vccnz .LBB110_1594
; %bb.1593:
	v_cvt_f32_i32_sdwa v7, sext(v3) dst_sel:DWORD dst_unused:UNUSED_PAD src0_sel:WORD_0
	v_mov_b32_e32 v8, 0
	global_store_dwordx2 v[5:6], v[7:8], off
.LBB110_1594:
	s_mov_b64 s[0:1], 0
.LBB110_1595:
	s_andn2_b64 vcc, exec, s[0:1]
	s_cbranch_vccnz .LBB110_1597
; %bb.1596:
	v_cvt_f16_i16_e32 v7, v3
	global_store_dword v[5:6], v7, off
.LBB110_1597:
	s_mov_b64 s[0:1], 0
.LBB110_1598:
	s_andn2_b64 vcc, exec, s[0:1]
	s_cbranch_vccnz .LBB110_1607
; %bb.1599:
	s_cmp_lt_i32 s10, 6
	s_mov_b64 s[0:1], -1
	s_cbranch_scc1 .LBB110_1605
; %bb.1600:
	s_cmp_gt_i32 s10, 6
	s_cbranch_scc0 .LBB110_1602
; %bb.1601:
	v_bfe_i32 v7, v3, 0, 16
	v_cvt_f64_i32_e32 v[7:8], v7
	s_mov_b64 s[0:1], 0
	global_store_dwordx2 v[5:6], v[7:8], off
.LBB110_1602:
	s_andn2_b64 vcc, exec, s[0:1]
	s_cbranch_vccnz .LBB110_1604
; %bb.1603:
	v_cvt_f32_i32_sdwa v7, sext(v3) dst_sel:DWORD dst_unused:UNUSED_PAD src0_sel:WORD_0
	global_store_dword v[5:6], v7, off
.LBB110_1604:
	s_mov_b64 s[0:1], 0
.LBB110_1605:
	s_andn2_b64 vcc, exec, s[0:1]
	s_cbranch_vccnz .LBB110_1607
; %bb.1606:
	v_cvt_f16_i16_e32 v7, v3
	global_store_short v[5:6], v7, off
.LBB110_1607:
	s_mov_b64 s[0:1], 0
.LBB110_1608:
	s_andn2_b64 vcc, exec, s[0:1]
	s_cbranch_vccnz .LBB110_1624
; %bb.1609:
	s_cmp_lt_i32 s10, 2
	s_mov_b64 s[0:1], -1
	s_cbranch_scc1 .LBB110_1619
; %bb.1610:
	s_cmp_lt_i32 s10, 3
	s_cbranch_scc1 .LBB110_1616
; %bb.1611:
	s_cmp_gt_i32 s10, 3
	v_bfe_i32 v7, v3, 0, 16
	s_cbranch_scc0 .LBB110_1613
; %bb.1612:
	v_ashrrev_i32_e32 v8, 31, v7
	global_store_dwordx2 v[5:6], v[7:8], off
	s_mov_b64 s[0:1], 0
.LBB110_1613:
	s_andn2_b64 vcc, exec, s[0:1]
	s_cbranch_vccnz .LBB110_1615
; %bb.1614:
	global_store_dword v[5:6], v7, off
.LBB110_1615:
	s_mov_b64 s[0:1], 0
.LBB110_1616:
	s_andn2_b64 vcc, exec, s[0:1]
	s_cbranch_vccnz .LBB110_1618
; %bb.1617:
	global_store_short v[5:6], v3, off
.LBB110_1618:
	s_mov_b64 s[0:1], 0
.LBB110_1619:
	s_andn2_b64 vcc, exec, s[0:1]
	s_cbranch_vccnz .LBB110_1624
; %bb.1620:
	s_cmp_gt_i32 s10, 0
	s_mov_b64 s[0:1], -1
	s_cbranch_scc0 .LBB110_1622
; %bb.1621:
	global_store_byte v[5:6], v3, off
	s_mov_b64 s[0:1], 0
.LBB110_1622:
	s_andn2_b64 vcc, exec, s[0:1]
	s_cbranch_vccnz .LBB110_1624
; %bb.1623:
	global_store_byte v[5:6], v3, off
.LBB110_1624:
	s_mov_b64 s[14:15], -1
.LBB110_1625:
	s_andn2_b64 vcc, exec, s[14:15]
	s_cbranch_vccnz .LBB110_1940
; %bb.1626:
	s_lshl_b32 s20, s12, 7
	v_lshlrev_b32_e32 v3, s23, v4
	v_add_u32_e32 v1, s20, v1
	v_cndmask_b32_e64 v7, v3, 0, s[2:3]
	v_ashrrev_i32_e32 v4, 31, v1
	v_mov_b32_e32 v5, s9
	v_add_co_u32_e32 v3, vcc, s8, v1
	s_cmp_lt_i32 s22, 11
	v_addc_co_u32_e32 v4, vcc, v5, v4, vcc
	s_cbranch_scc1 .LBB110_1704
; %bb.1627:
	s_and_b32 s21, 0xffff, s22
	s_mov_b64 s[14:15], -1
	s_mov_b64 s[10:11], 0
	s_cmp_gt_i32 s21, 25
	s_mov_b64 s[12:13], 0
	s_mov_b64 s[0:1], 0
	s_cbranch_scc0 .LBB110_1660
; %bb.1628:
	s_cmp_gt_i32 s21, 28
	s_cbranch_scc0 .LBB110_1643
; %bb.1629:
	s_cmp_gt_i32 s21, 43
	;; [unrolled: 3-line block ×3, first 2 shown]
	s_cbranch_scc0 .LBB110_1633
; %bb.1631:
	s_mov_b64 s[0:1], -1
	s_mov_b64 s[14:15], 0
	s_cmp_eq_u32 s21, 46
	s_cbranch_scc0 .LBB110_1633
; %bb.1632:
	v_cvt_f32_i32_sdwa v5, sext(v7) dst_sel:DWORD dst_unused:UNUSED_PAD src0_sel:WORD_0
	s_movk_i32 s12, 0x7fff
	s_mov_b64 s[0:1], 0
	v_bfe_u32 v6, v5, 16, 1
	v_add3_u32 v5, v5, v6, s12
	v_lshrrev_b32_e32 v5, 16, v5
	global_store_dword v[3:4], v5, off
	s_mov_b64 s[12:13], -1
.LBB110_1633:
	s_and_b64 vcc, exec, s[14:15]
	s_cbranch_vccz .LBB110_1638
; %bb.1634:
	s_cmp_eq_u32 s21, 44
	s_mov_b64 s[0:1], -1
	s_cbranch_scc0 .LBB110_1638
; %bb.1635:
	v_cvt_f32_i32_sdwa v5, sext(v7) dst_sel:DWORD dst_unused:UNUSED_PAD src0_sel:WORD_0
	s_movk_i32 s0, 0xff
	v_mov_b32_e32 v8, 0xff
	v_bfe_u32 v6, v5, 23, 8
	v_cmp_ne_u32_e32 vcc, s0, v6
	s_and_saveexec_b64 s[12:13], vcc
; %bb.1636:
	s_mov_b32 s0, 0x3fffff
	v_lshrrev_b32_e32 v8, 23, v5
	v_and_b32_e32 v9, 0x400000, v5
	v_and_or_b32 v5, v5, s0, v6
	v_cmp_ne_u32_e32 vcc, 0, v9
	v_cmp_ne_u32_e64 s[0:1], 0, v5
	s_and_b64 s[0:1], vcc, s[0:1]
	v_cndmask_b32_e64 v5, 0, 1, s[0:1]
	v_add_u32_e32 v8, v8, v5
; %bb.1637:
	s_or_b64 exec, exec, s[12:13]
	s_mov_b64 s[0:1], 0
	s_mov_b64 s[12:13], -1
	global_store_byte v[3:4], v8, off
.LBB110_1638:
	s_mov_b64 s[14:15], 0
.LBB110_1639:
	s_and_b64 vcc, exec, s[14:15]
	s_cbranch_vccz .LBB110_1642
; %bb.1640:
	s_cmp_eq_u32 s21, 29
	s_mov_b64 s[0:1], -1
	s_cbranch_scc0 .LBB110_1642
; %bb.1641:
	v_bfe_i32 v5, v7, 0, 16
	v_ashrrev_i32_e32 v6, 31, v5
	global_store_dwordx2 v[3:4], v[5:6], off
	s_mov_b64 s[0:1], 0
	s_mov_b64 s[12:13], -1
.LBB110_1642:
	s_mov_b64 s[14:15], 0
.LBB110_1643:
	s_and_b64 vcc, exec, s[14:15]
	s_cbranch_vccz .LBB110_1659
; %bb.1644:
	s_cmp_lt_i32 s21, 27
	s_mov_b64 s[12:13], -1
	s_cbranch_scc1 .LBB110_1650
; %bb.1645:
	s_cmp_gt_i32 s21, 27
	s_cbranch_scc0 .LBB110_1647
; %bb.1646:
	v_bfe_i32 v5, v7, 0, 16
	s_mov_b64 s[12:13], 0
	global_store_dword v[3:4], v5, off
.LBB110_1647:
	s_andn2_b64 vcc, exec, s[12:13]
	s_cbranch_vccnz .LBB110_1649
; %bb.1648:
	global_store_short v[3:4], v7, off
.LBB110_1649:
	s_mov_b64 s[12:13], 0
.LBB110_1650:
	s_andn2_b64 vcc, exec, s[12:13]
	s_cbranch_vccnz .LBB110_1658
; %bb.1651:
	v_cvt_f32_i32_sdwa v5, sext(v7) dst_sel:DWORD dst_unused:UNUSED_PAD src0_sel:WORD_0
	s_mov_b32 s12, 0x43800000
	v_mov_b32_e32 v8, 0x80
	v_and_b32_e32 v6, 0x7fffffff, v5
	v_cmp_gt_u32_e32 vcc, s12, v6
	s_and_saveexec_b64 s[12:13], vcc
	s_cbranch_execz .LBB110_1657
; %bb.1652:
	s_mov_b32 s14, 0x3bffffff
	v_cmp_lt_u32_e32 vcc, s14, v6
	s_mov_b64 s[14:15], 0
                                        ; implicit-def: $vgpr6
	s_and_saveexec_b64 s[18:19], vcc
	s_xor_b64 s[18:19], exec, s[18:19]
	s_cbranch_execz .LBB110_1992
; %bb.1653:
	v_bfe_u32 v6, v5, 20, 1
	s_mov_b32 s24, 0x487ffff
	v_add3_u32 v6, v5, v6, s24
	s_mov_b64 s[14:15], exec
	v_lshrrev_b32_e32 v6, 20, v6
	s_andn2_saveexec_b64 s[18:19], s[18:19]
	s_cbranch_execnz .LBB110_1993
.LBB110_1654:
	s_or_b64 exec, exec, s[18:19]
	v_mov_b32_e32 v8, 0
	s_and_saveexec_b64 s[18:19], s[14:15]
.LBB110_1655:
	v_lshrrev_b32_e32 v5, 24, v5
	s_movk_i32 s14, 0x80
	v_and_or_b32 v8, v5, s14, v6
.LBB110_1656:
	s_or_b64 exec, exec, s[18:19]
.LBB110_1657:
	s_or_b64 exec, exec, s[12:13]
	global_store_byte v[3:4], v8, off
.LBB110_1658:
	s_mov_b64 s[12:13], -1
.LBB110_1659:
	s_mov_b64 s[14:15], 0
.LBB110_1660:
	s_and_b64 vcc, exec, s[14:15]
	s_cbranch_vccz .LBB110_1700
; %bb.1661:
	s_cmp_gt_i32 s21, 22
	s_mov_b64 s[10:11], -1
	s_cbranch_scc0 .LBB110_1693
; %bb.1662:
	s_cmp_lt_i32 s21, 24
	s_cbranch_scc1 .LBB110_1682
; %bb.1663:
	s_cmp_gt_i32 s21, 24
	s_cbranch_scc0 .LBB110_1671
; %bb.1664:
	v_cvt_f32_i32_sdwa v5, sext(v7) dst_sel:DWORD dst_unused:UNUSED_PAD src0_sel:WORD_0
	s_mov_b32 s10, 0x47800000
	v_mov_b32_e32 v8, 0x80
	v_and_b32_e32 v6, 0x7fffffff, v5
	v_cmp_gt_u32_e32 vcc, s10, v6
	s_and_saveexec_b64 s[10:11], vcc
	s_cbranch_execz .LBB110_1670
; %bb.1665:
	s_mov_b32 s12, 0x37ffffff
	v_cmp_lt_u32_e32 vcc, s12, v6
	s_mov_b64 s[12:13], 0
                                        ; implicit-def: $vgpr6
	s_and_saveexec_b64 s[14:15], vcc
	s_xor_b64 s[14:15], exec, s[14:15]
	s_cbranch_execz .LBB110_1995
; %bb.1666:
	v_bfe_u32 v6, v5, 21, 1
	s_mov_b32 s18, 0x88fffff
	v_add3_u32 v6, v5, v6, s18
	s_mov_b64 s[12:13], exec
	v_lshrrev_b32_e32 v6, 21, v6
	s_andn2_saveexec_b64 s[14:15], s[14:15]
	s_cbranch_execnz .LBB110_1996
.LBB110_1667:
	s_or_b64 exec, exec, s[14:15]
	v_mov_b32_e32 v8, 0
	s_and_saveexec_b64 s[14:15], s[12:13]
.LBB110_1668:
	v_lshrrev_b32_e32 v5, 24, v5
	s_movk_i32 s12, 0x80
	v_and_or_b32 v8, v5, s12, v6
.LBB110_1669:
	s_or_b64 exec, exec, s[14:15]
.LBB110_1670:
	s_or_b64 exec, exec, s[10:11]
	s_mov_b64 s[10:11], 0
	global_store_byte v[3:4], v8, off
.LBB110_1671:
	s_and_b64 vcc, exec, s[10:11]
	s_cbranch_vccz .LBB110_1681
; %bb.1672:
	v_cvt_f32_i32_sdwa v5, sext(v7) dst_sel:DWORD dst_unused:UNUSED_PAD src0_sel:WORD_0
	s_mov_b32 s10, 0x43f00000
                                        ; implicit-def: $vgpr6
	v_and_b32_e32 v8, 0x7fffffff, v5
	v_cmp_gt_u32_e32 vcc, s10, v8
	s_and_saveexec_b64 s[10:11], vcc
	s_xor_b64 s[10:11], exec, s[10:11]
	s_cbranch_execz .LBB110_1678
; %bb.1673:
	s_mov_b32 s12, 0x3c7fffff
	v_cmp_lt_u32_e32 vcc, s12, v8
                                        ; implicit-def: $vgpr6
	s_and_saveexec_b64 s[12:13], vcc
	s_xor_b64 s[12:13], exec, s[12:13]
; %bb.1674:
	v_bfe_u32 v6, v5, 20, 1
	s_mov_b32 s14, 0x407ffff
	v_add3_u32 v6, v5, v6, s14
	v_lshrrev_b32_e32 v8, 20, v6
	v_and_b32_e32 v6, 0xff00000, v6
	s_mov_b32 s14, 0x7f00000
	v_mov_b32_e32 v9, 0x7e
	v_cmp_ne_u32_e32 vcc, s14, v6
	v_cndmask_b32_e32 v6, v9, v8, vcc
; %bb.1675:
	s_andn2_saveexec_b64 s[12:13], s[12:13]
; %bb.1676:
	s_mov_b32 s14, 0x46800000
	v_add_f32_e64 v6, |v5|, s14
; %bb.1677:
	s_or_b64 exec, exec, s[12:13]
                                        ; implicit-def: $vgpr8
.LBB110_1678:
	s_andn2_saveexec_b64 s[10:11], s[10:11]
; %bb.1679:
	s_mov_b32 s12, 0x7f800000
	v_mov_b32_e32 v6, 0x7e
	v_mov_b32_e32 v9, 0x7f
	v_cmp_lt_u32_e32 vcc, s12, v8
	v_cndmask_b32_e32 v6, v6, v9, vcc
; %bb.1680:
	s_or_b64 exec, exec, s[10:11]
	v_lshrrev_b32_e32 v5, 24, v5
	s_movk_i32 s10, 0x80
	v_and_or_b32 v5, v5, s10, v6
	global_store_byte v[3:4], v5, off
.LBB110_1681:
	s_mov_b64 s[10:11], 0
.LBB110_1682:
	s_andn2_b64 vcc, exec, s[10:11]
	s_cbranch_vccnz .LBB110_1692
; %bb.1683:
	v_cvt_f32_i32_sdwa v5, sext(v7) dst_sel:DWORD dst_unused:UNUSED_PAD src0_sel:WORD_0
	s_mov_b32 s10, 0x47800000
                                        ; implicit-def: $vgpr6
	v_and_b32_e32 v8, 0x7fffffff, v5
	v_cmp_gt_u32_e32 vcc, s10, v8
	s_and_saveexec_b64 s[10:11], vcc
	s_xor_b64 s[10:11], exec, s[10:11]
	s_cbranch_execz .LBB110_1689
; %bb.1684:
	s_mov_b32 s12, 0x387fffff
	v_cmp_lt_u32_e32 vcc, s12, v8
                                        ; implicit-def: $vgpr6
	s_and_saveexec_b64 s[12:13], vcc
	s_xor_b64 s[12:13], exec, s[12:13]
; %bb.1685:
	v_bfe_u32 v6, v5, 21, 1
	s_mov_b32 s14, 0x80fffff
	v_add3_u32 v6, v5, v6, s14
	v_lshrrev_b32_e32 v6, 21, v6
; %bb.1686:
	s_andn2_saveexec_b64 s[12:13], s[12:13]
; %bb.1687:
	s_mov_b32 s14, 0x43000000
	v_add_f32_e64 v6, |v5|, s14
; %bb.1688:
	s_or_b64 exec, exec, s[12:13]
                                        ; implicit-def: $vgpr8
.LBB110_1689:
	s_andn2_saveexec_b64 s[10:11], s[10:11]
; %bb.1690:
	s_mov_b32 s12, 0x7f800000
	v_mov_b32_e32 v6, 0x7c
	v_mov_b32_e32 v9, 0x7f
	v_cmp_lt_u32_e32 vcc, s12, v8
	v_cndmask_b32_e32 v6, v6, v9, vcc
; %bb.1691:
	s_or_b64 exec, exec, s[10:11]
	v_lshrrev_b32_e32 v5, 24, v5
	s_movk_i32 s10, 0x80
	v_and_or_b32 v5, v5, s10, v6
	global_store_byte v[3:4], v5, off
.LBB110_1692:
	s_mov_b64 s[10:11], 0
	s_mov_b64 s[12:13], -1
.LBB110_1693:
	s_andn2_b64 vcc, exec, s[10:11]
	s_mov_b64 s[10:11], 0
	s_cbranch_vccnz .LBB110_1700
; %bb.1694:
	s_cmp_gt_i32 s21, 14
	s_mov_b64 s[14:15], -1
	s_cbranch_scc0 .LBB110_1698
; %bb.1695:
	s_cmp_eq_u32 s21, 15
	s_mov_b64 s[0:1], -1
	s_cbranch_scc0 .LBB110_1697
; %bb.1696:
	v_cvt_f32_i32_sdwa v5, sext(v7) dst_sel:DWORD dst_unused:UNUSED_PAD src0_sel:WORD_0
	s_movk_i32 s10, 0x7fff
	s_mov_b64 s[0:1], 0
	s_mov_b64 s[12:13], -1
	v_bfe_u32 v6, v5, 16, 1
	v_add3_u32 v5, v5, v6, s10
	global_store_short_d16_hi v[3:4], v5, off
.LBB110_1697:
	s_mov_b64 s[14:15], 0
.LBB110_1698:
	s_mov_b64 s[10:11], 0
	s_and_b64 vcc, exec, s[14:15]
	s_cbranch_vccz .LBB110_1700
; %bb.1699:
	s_cmp_lg_u32 s21, 11
	s_mov_b64 s[10:11], -1
	s_cselect_b64 s[0:1], -1, 0
.LBB110_1700:
	s_and_b64 vcc, exec, s[0:1]
	s_cbranch_vccnz .LBB110_1994
; %bb.1701:
	s_andn2_b64 vcc, exec, s[10:11]
	s_cbranch_vccnz .LBB110_1703
.LBB110_1702:
	v_cmp_ne_u16_e32 vcc, 0, v7
	v_cndmask_b32_e64 v5, 0, 1, vcc
	s_mov_b64 s[12:13], -1
	global_store_byte v[3:4], v5, off
.LBB110_1703:
	s_mov_b64 s[0:1], 0
	s_branch .LBB110_1705
.LBB110_1704:
	s_mov_b64 s[0:1], -1
	s_mov_b64 s[12:13], 0
.LBB110_1705:
	s_and_b64 vcc, exec, s[0:1]
	s_cbranch_vccz .LBB110_1744
; %bb.1706:
	s_and_b32 s10, 0xffff, s22
	s_cmp_lt_i32 s10, 5
	s_mov_b64 s[0:1], -1
	s_cbranch_scc1 .LBB110_1727
; %bb.1707:
	s_cmp_lt_i32 s10, 8
	s_cbranch_scc1 .LBB110_1717
; %bb.1708:
	s_cmp_lt_i32 s10, 9
	s_cbranch_scc1 .LBB110_1714
; %bb.1709:
	s_cmp_gt_i32 s10, 9
	s_cbranch_scc0 .LBB110_1711
; %bb.1710:
	v_bfe_i32 v5, v7, 0, 16
	v_cvt_f64_i32_e32 v[8:9], v5
	v_mov_b32_e32 v10, 0
	v_mov_b32_e32 v11, v10
	s_mov_b64 s[0:1], 0
	global_store_dwordx4 v[3:4], v[8:11], off
.LBB110_1711:
	s_andn2_b64 vcc, exec, s[0:1]
	s_cbranch_vccnz .LBB110_1713
; %bb.1712:
	v_cvt_f32_i32_sdwa v5, sext(v7) dst_sel:DWORD dst_unused:UNUSED_PAD src0_sel:WORD_0
	v_mov_b32_e32 v6, 0
	global_store_dwordx2 v[3:4], v[5:6], off
.LBB110_1713:
	s_mov_b64 s[0:1], 0
.LBB110_1714:
	s_andn2_b64 vcc, exec, s[0:1]
	s_cbranch_vccnz .LBB110_1716
; %bb.1715:
	v_cvt_f16_i16_e32 v5, v7
	global_store_dword v[3:4], v5, off
.LBB110_1716:
	s_mov_b64 s[0:1], 0
.LBB110_1717:
	s_andn2_b64 vcc, exec, s[0:1]
	s_cbranch_vccnz .LBB110_1726
; %bb.1718:
	s_cmp_lt_i32 s10, 6
	s_mov_b64 s[0:1], -1
	s_cbranch_scc1 .LBB110_1724
; %bb.1719:
	s_cmp_gt_i32 s10, 6
	s_cbranch_scc0 .LBB110_1721
; %bb.1720:
	v_bfe_i32 v5, v7, 0, 16
	v_cvt_f64_i32_e32 v[5:6], v5
	s_mov_b64 s[0:1], 0
	global_store_dwordx2 v[3:4], v[5:6], off
.LBB110_1721:
	s_andn2_b64 vcc, exec, s[0:1]
	s_cbranch_vccnz .LBB110_1723
; %bb.1722:
	v_cvt_f32_i32_sdwa v5, sext(v7) dst_sel:DWORD dst_unused:UNUSED_PAD src0_sel:WORD_0
	global_store_dword v[3:4], v5, off
.LBB110_1723:
	s_mov_b64 s[0:1], 0
.LBB110_1724:
	s_andn2_b64 vcc, exec, s[0:1]
	s_cbranch_vccnz .LBB110_1726
; %bb.1725:
	v_cvt_f16_i16_e32 v5, v7
	global_store_short v[3:4], v5, off
.LBB110_1726:
	s_mov_b64 s[0:1], 0
.LBB110_1727:
	s_andn2_b64 vcc, exec, s[0:1]
	s_cbranch_vccnz .LBB110_1743
; %bb.1728:
	s_cmp_lt_i32 s10, 2
	s_mov_b64 s[0:1], -1
	s_cbranch_scc1 .LBB110_1738
; %bb.1729:
	s_cmp_lt_i32 s10, 3
	s_cbranch_scc1 .LBB110_1735
; %bb.1730:
	s_cmp_gt_i32 s10, 3
	v_bfe_i32 v5, v7, 0, 16
	s_cbranch_scc0 .LBB110_1732
; %bb.1731:
	v_ashrrev_i32_e32 v6, 31, v5
	global_store_dwordx2 v[3:4], v[5:6], off
	s_mov_b64 s[0:1], 0
.LBB110_1732:
	s_andn2_b64 vcc, exec, s[0:1]
	s_cbranch_vccnz .LBB110_1734
; %bb.1733:
	global_store_dword v[3:4], v5, off
.LBB110_1734:
	s_mov_b64 s[0:1], 0
.LBB110_1735:
	s_andn2_b64 vcc, exec, s[0:1]
	s_cbranch_vccnz .LBB110_1737
; %bb.1736:
	global_store_short v[3:4], v7, off
.LBB110_1737:
	s_mov_b64 s[0:1], 0
.LBB110_1738:
	s_andn2_b64 vcc, exec, s[0:1]
	s_cbranch_vccnz .LBB110_1743
; %bb.1739:
	s_cmp_gt_i32 s10, 0
	s_mov_b64 s[0:1], -1
	s_cbranch_scc0 .LBB110_1741
; %bb.1740:
	global_store_byte v[3:4], v7, off
	s_mov_b64 s[0:1], 0
.LBB110_1741:
	s_andn2_b64 vcc, exec, s[0:1]
	s_cbranch_vccnz .LBB110_1743
; %bb.1742:
	global_store_byte v[3:4], v7, off
.LBB110_1743:
	s_mov_b64 s[12:13], -1
.LBB110_1744:
	s_andn2_b64 vcc, exec, s[12:13]
	s_cbranch_vccnz .LBB110_1940
; %bb.1745:
	v_lshlrev_b32_e32 v2, s23, v2
	v_add_u32_e32 v5, s20, v1
	v_cndmask_b32_e64 v6, v2, 0, s[2:3]
	v_ashrrev_i32_e32 v2, 31, v5
	v_mov_b32_e32 v3, s9
	v_add_co_u32_e32 v1, vcc, s8, v5
	s_cmp_lt_i32 s22, 11
	v_addc_co_u32_e32 v2, vcc, v3, v2, vcc
	s_cbranch_scc1 .LBB110_1823
; %bb.1746:
	s_and_b32 s21, 0xffff, s22
	s_mov_b64 s[14:15], -1
	s_mov_b64 s[10:11], 0
	s_cmp_gt_i32 s21, 25
	s_mov_b64 s[12:13], 0
	s_mov_b64 s[0:1], 0
	s_cbranch_scc0 .LBB110_1779
; %bb.1747:
	s_cmp_gt_i32 s21, 28
	s_cbranch_scc0 .LBB110_1762
; %bb.1748:
	s_cmp_gt_i32 s21, 43
	;; [unrolled: 3-line block ×3, first 2 shown]
	s_cbranch_scc0 .LBB110_1752
; %bb.1750:
	s_mov_b64 s[0:1], -1
	s_mov_b64 s[14:15], 0
	s_cmp_eq_u32 s21, 46
	s_cbranch_scc0 .LBB110_1752
; %bb.1751:
	v_cvt_f32_i32_sdwa v3, sext(v6) dst_sel:DWORD dst_unused:UNUSED_PAD src0_sel:WORD_0
	s_movk_i32 s12, 0x7fff
	s_mov_b64 s[0:1], 0
	v_bfe_u32 v4, v3, 16, 1
	v_add3_u32 v3, v3, v4, s12
	v_lshrrev_b32_e32 v3, 16, v3
	global_store_dword v[1:2], v3, off
	s_mov_b64 s[12:13], -1
.LBB110_1752:
	s_and_b64 vcc, exec, s[14:15]
	s_cbranch_vccz .LBB110_1757
; %bb.1753:
	s_cmp_eq_u32 s21, 44
	s_mov_b64 s[0:1], -1
	s_cbranch_scc0 .LBB110_1757
; %bb.1754:
	v_cvt_f32_i32_sdwa v3, sext(v6) dst_sel:DWORD dst_unused:UNUSED_PAD src0_sel:WORD_0
	s_movk_i32 s0, 0xff
	v_mov_b32_e32 v7, 0xff
	v_bfe_u32 v4, v3, 23, 8
	v_cmp_ne_u32_e32 vcc, s0, v4
	s_and_saveexec_b64 s[12:13], vcc
; %bb.1755:
	s_mov_b32 s0, 0x3fffff
	v_lshrrev_b32_e32 v7, 23, v3
	v_and_b32_e32 v8, 0x400000, v3
	v_and_or_b32 v3, v3, s0, v4
	v_cmp_ne_u32_e32 vcc, 0, v8
	v_cmp_ne_u32_e64 s[0:1], 0, v3
	s_and_b64 s[0:1], vcc, s[0:1]
	v_cndmask_b32_e64 v3, 0, 1, s[0:1]
	v_add_u32_e32 v7, v7, v3
; %bb.1756:
	s_or_b64 exec, exec, s[12:13]
	s_mov_b64 s[0:1], 0
	s_mov_b64 s[12:13], -1
	global_store_byte v[1:2], v7, off
.LBB110_1757:
	s_mov_b64 s[14:15], 0
.LBB110_1758:
	s_and_b64 vcc, exec, s[14:15]
	s_cbranch_vccz .LBB110_1761
; %bb.1759:
	s_cmp_eq_u32 s21, 29
	s_mov_b64 s[0:1], -1
	s_cbranch_scc0 .LBB110_1761
; %bb.1760:
	v_bfe_i32 v3, v6, 0, 16
	v_ashrrev_i32_e32 v4, 31, v3
	global_store_dwordx2 v[1:2], v[3:4], off
	s_mov_b64 s[0:1], 0
	s_mov_b64 s[12:13], -1
.LBB110_1761:
	s_mov_b64 s[14:15], 0
.LBB110_1762:
	s_and_b64 vcc, exec, s[14:15]
	s_cbranch_vccz .LBB110_1778
; %bb.1763:
	s_cmp_lt_i32 s21, 27
	s_mov_b64 s[12:13], -1
	s_cbranch_scc1 .LBB110_1769
; %bb.1764:
	s_cmp_gt_i32 s21, 27
	s_cbranch_scc0 .LBB110_1766
; %bb.1765:
	v_bfe_i32 v3, v6, 0, 16
	s_mov_b64 s[12:13], 0
	global_store_dword v[1:2], v3, off
.LBB110_1766:
	s_andn2_b64 vcc, exec, s[12:13]
	s_cbranch_vccnz .LBB110_1768
; %bb.1767:
	global_store_short v[1:2], v6, off
.LBB110_1768:
	s_mov_b64 s[12:13], 0
.LBB110_1769:
	s_andn2_b64 vcc, exec, s[12:13]
	s_cbranch_vccnz .LBB110_1777
; %bb.1770:
	v_cvt_f32_i32_sdwa v3, sext(v6) dst_sel:DWORD dst_unused:UNUSED_PAD src0_sel:WORD_0
	s_mov_b32 s12, 0x43800000
	v_mov_b32_e32 v7, 0x80
	v_and_b32_e32 v4, 0x7fffffff, v3
	v_cmp_gt_u32_e32 vcc, s12, v4
	s_and_saveexec_b64 s[12:13], vcc
	s_cbranch_execz .LBB110_1776
; %bb.1771:
	s_mov_b32 s14, 0x3bffffff
	v_cmp_lt_u32_e32 vcc, s14, v4
	s_mov_b64 s[14:15], 0
                                        ; implicit-def: $vgpr4
	s_and_saveexec_b64 s[18:19], vcc
	s_xor_b64 s[18:19], exec, s[18:19]
	s_cbranch_execz .LBB110_1997
; %bb.1772:
	v_bfe_u32 v4, v3, 20, 1
	s_mov_b32 s24, 0x487ffff
	v_add3_u32 v4, v3, v4, s24
	s_mov_b64 s[14:15], exec
	v_lshrrev_b32_e32 v4, 20, v4
	s_andn2_saveexec_b64 s[18:19], s[18:19]
	s_cbranch_execnz .LBB110_1998
.LBB110_1773:
	s_or_b64 exec, exec, s[18:19]
	v_mov_b32_e32 v7, 0
	s_and_saveexec_b64 s[18:19], s[14:15]
.LBB110_1774:
	v_lshrrev_b32_e32 v3, 24, v3
	s_movk_i32 s14, 0x80
	v_and_or_b32 v7, v3, s14, v4
.LBB110_1775:
	s_or_b64 exec, exec, s[18:19]
.LBB110_1776:
	s_or_b64 exec, exec, s[12:13]
	global_store_byte v[1:2], v7, off
.LBB110_1777:
	s_mov_b64 s[12:13], -1
.LBB110_1778:
	s_mov_b64 s[14:15], 0
.LBB110_1779:
	s_and_b64 vcc, exec, s[14:15]
	s_cbranch_vccz .LBB110_1819
; %bb.1780:
	s_cmp_gt_i32 s21, 22
	s_mov_b64 s[10:11], -1
	s_cbranch_scc0 .LBB110_1812
; %bb.1781:
	s_cmp_lt_i32 s21, 24
	s_cbranch_scc1 .LBB110_1801
; %bb.1782:
	s_cmp_gt_i32 s21, 24
	s_cbranch_scc0 .LBB110_1790
; %bb.1783:
	v_cvt_f32_i32_sdwa v3, sext(v6) dst_sel:DWORD dst_unused:UNUSED_PAD src0_sel:WORD_0
	s_mov_b32 s10, 0x47800000
	v_mov_b32_e32 v7, 0x80
	v_and_b32_e32 v4, 0x7fffffff, v3
	v_cmp_gt_u32_e32 vcc, s10, v4
	s_and_saveexec_b64 s[10:11], vcc
	s_cbranch_execz .LBB110_1789
; %bb.1784:
	s_mov_b32 s12, 0x37ffffff
	v_cmp_lt_u32_e32 vcc, s12, v4
	s_mov_b64 s[12:13], 0
                                        ; implicit-def: $vgpr4
	s_and_saveexec_b64 s[14:15], vcc
	s_xor_b64 s[14:15], exec, s[14:15]
	s_cbranch_execz .LBB110_2000
; %bb.1785:
	v_bfe_u32 v4, v3, 21, 1
	s_mov_b32 s18, 0x88fffff
	v_add3_u32 v4, v3, v4, s18
	s_mov_b64 s[12:13], exec
	v_lshrrev_b32_e32 v4, 21, v4
	s_andn2_saveexec_b64 s[14:15], s[14:15]
	s_cbranch_execnz .LBB110_2001
.LBB110_1786:
	s_or_b64 exec, exec, s[14:15]
	v_mov_b32_e32 v7, 0
	s_and_saveexec_b64 s[14:15], s[12:13]
.LBB110_1787:
	v_lshrrev_b32_e32 v3, 24, v3
	s_movk_i32 s12, 0x80
	v_and_or_b32 v7, v3, s12, v4
.LBB110_1788:
	s_or_b64 exec, exec, s[14:15]
.LBB110_1789:
	s_or_b64 exec, exec, s[10:11]
	s_mov_b64 s[10:11], 0
	global_store_byte v[1:2], v7, off
.LBB110_1790:
	s_and_b64 vcc, exec, s[10:11]
	s_cbranch_vccz .LBB110_1800
; %bb.1791:
	v_cvt_f32_i32_sdwa v3, sext(v6) dst_sel:DWORD dst_unused:UNUSED_PAD src0_sel:WORD_0
	s_mov_b32 s10, 0x43f00000
                                        ; implicit-def: $vgpr4
	v_and_b32_e32 v7, 0x7fffffff, v3
	v_cmp_gt_u32_e32 vcc, s10, v7
	s_and_saveexec_b64 s[10:11], vcc
	s_xor_b64 s[10:11], exec, s[10:11]
	s_cbranch_execz .LBB110_1797
; %bb.1792:
	s_mov_b32 s12, 0x3c7fffff
	v_cmp_lt_u32_e32 vcc, s12, v7
                                        ; implicit-def: $vgpr4
	s_and_saveexec_b64 s[12:13], vcc
	s_xor_b64 s[12:13], exec, s[12:13]
; %bb.1793:
	v_bfe_u32 v4, v3, 20, 1
	s_mov_b32 s14, 0x407ffff
	v_add3_u32 v4, v3, v4, s14
	v_lshrrev_b32_e32 v7, 20, v4
	v_and_b32_e32 v4, 0xff00000, v4
	s_mov_b32 s14, 0x7f00000
	v_mov_b32_e32 v8, 0x7e
	v_cmp_ne_u32_e32 vcc, s14, v4
	v_cndmask_b32_e32 v4, v8, v7, vcc
; %bb.1794:
	s_andn2_saveexec_b64 s[12:13], s[12:13]
; %bb.1795:
	s_mov_b32 s14, 0x46800000
	v_add_f32_e64 v4, |v3|, s14
; %bb.1796:
	s_or_b64 exec, exec, s[12:13]
                                        ; implicit-def: $vgpr7
.LBB110_1797:
	s_andn2_saveexec_b64 s[10:11], s[10:11]
; %bb.1798:
	s_mov_b32 s12, 0x7f800000
	v_mov_b32_e32 v4, 0x7e
	v_mov_b32_e32 v8, 0x7f
	v_cmp_lt_u32_e32 vcc, s12, v7
	v_cndmask_b32_e32 v4, v4, v8, vcc
; %bb.1799:
	s_or_b64 exec, exec, s[10:11]
	v_lshrrev_b32_e32 v3, 24, v3
	s_movk_i32 s10, 0x80
	v_and_or_b32 v3, v3, s10, v4
	global_store_byte v[1:2], v3, off
.LBB110_1800:
	s_mov_b64 s[10:11], 0
.LBB110_1801:
	s_andn2_b64 vcc, exec, s[10:11]
	s_cbranch_vccnz .LBB110_1811
; %bb.1802:
	v_cvt_f32_i32_sdwa v3, sext(v6) dst_sel:DWORD dst_unused:UNUSED_PAD src0_sel:WORD_0
	s_mov_b32 s10, 0x47800000
                                        ; implicit-def: $vgpr4
	v_and_b32_e32 v7, 0x7fffffff, v3
	v_cmp_gt_u32_e32 vcc, s10, v7
	s_and_saveexec_b64 s[10:11], vcc
	s_xor_b64 s[10:11], exec, s[10:11]
	s_cbranch_execz .LBB110_1808
; %bb.1803:
	s_mov_b32 s12, 0x387fffff
	v_cmp_lt_u32_e32 vcc, s12, v7
                                        ; implicit-def: $vgpr4
	s_and_saveexec_b64 s[12:13], vcc
	s_xor_b64 s[12:13], exec, s[12:13]
; %bb.1804:
	v_bfe_u32 v4, v3, 21, 1
	s_mov_b32 s14, 0x80fffff
	v_add3_u32 v4, v3, v4, s14
	v_lshrrev_b32_e32 v4, 21, v4
; %bb.1805:
	s_andn2_saveexec_b64 s[12:13], s[12:13]
; %bb.1806:
	s_mov_b32 s14, 0x43000000
	v_add_f32_e64 v4, |v3|, s14
; %bb.1807:
	s_or_b64 exec, exec, s[12:13]
                                        ; implicit-def: $vgpr7
.LBB110_1808:
	s_andn2_saveexec_b64 s[10:11], s[10:11]
; %bb.1809:
	s_mov_b32 s12, 0x7f800000
	v_mov_b32_e32 v4, 0x7c
	v_mov_b32_e32 v8, 0x7f
	v_cmp_lt_u32_e32 vcc, s12, v7
	v_cndmask_b32_e32 v4, v4, v8, vcc
; %bb.1810:
	s_or_b64 exec, exec, s[10:11]
	v_lshrrev_b32_e32 v3, 24, v3
	s_movk_i32 s10, 0x80
	v_and_or_b32 v3, v3, s10, v4
	global_store_byte v[1:2], v3, off
.LBB110_1811:
	s_mov_b64 s[10:11], 0
	s_mov_b64 s[12:13], -1
.LBB110_1812:
	s_andn2_b64 vcc, exec, s[10:11]
	s_mov_b64 s[10:11], 0
	s_cbranch_vccnz .LBB110_1819
; %bb.1813:
	s_cmp_gt_i32 s21, 14
	s_mov_b64 s[14:15], -1
	s_cbranch_scc0 .LBB110_1817
; %bb.1814:
	s_cmp_eq_u32 s21, 15
	s_mov_b64 s[0:1], -1
	s_cbranch_scc0 .LBB110_1816
; %bb.1815:
	v_cvt_f32_i32_sdwa v3, sext(v6) dst_sel:DWORD dst_unused:UNUSED_PAD src0_sel:WORD_0
	s_movk_i32 s10, 0x7fff
	s_mov_b64 s[0:1], 0
	s_mov_b64 s[12:13], -1
	v_bfe_u32 v4, v3, 16, 1
	v_add3_u32 v3, v3, v4, s10
	global_store_short_d16_hi v[1:2], v3, off
.LBB110_1816:
	s_mov_b64 s[14:15], 0
.LBB110_1817:
	s_mov_b64 s[10:11], 0
	s_and_b64 vcc, exec, s[14:15]
	s_cbranch_vccz .LBB110_1819
; %bb.1818:
	s_cmp_lg_u32 s21, 11
	s_mov_b64 s[10:11], -1
	s_cselect_b64 s[0:1], -1, 0
.LBB110_1819:
	s_and_b64 vcc, exec, s[0:1]
	s_cbranch_vccnz .LBB110_1999
; %bb.1820:
	s_andn2_b64 vcc, exec, s[10:11]
	s_cbranch_vccnz .LBB110_1822
.LBB110_1821:
	v_cmp_ne_u16_e32 vcc, 0, v6
	v_cndmask_b32_e64 v3, 0, 1, vcc
	s_mov_b64 s[12:13], -1
	global_store_byte v[1:2], v3, off
.LBB110_1822:
	s_mov_b64 s[0:1], 0
	s_branch .LBB110_1824
.LBB110_1823:
	s_mov_b64 s[0:1], -1
	s_mov_b64 s[12:13], 0
.LBB110_1824:
	s_and_b64 vcc, exec, s[0:1]
	s_cbranch_vccz .LBB110_1863
; %bb.1825:
	s_and_b32 s10, 0xffff, s22
	s_cmp_lt_i32 s10, 5
	s_mov_b64 s[0:1], -1
	s_cbranch_scc1 .LBB110_1846
; %bb.1826:
	s_cmp_lt_i32 s10, 8
	s_cbranch_scc1 .LBB110_1836
; %bb.1827:
	s_cmp_lt_i32 s10, 9
	s_cbranch_scc1 .LBB110_1833
; %bb.1828:
	s_cmp_gt_i32 s10, 9
	s_cbranch_scc0 .LBB110_1830
; %bb.1829:
	v_bfe_i32 v3, v6, 0, 16
	v_cvt_f64_i32_e32 v[7:8], v3
	v_mov_b32_e32 v9, 0
	v_mov_b32_e32 v10, v9
	s_mov_b64 s[0:1], 0
	global_store_dwordx4 v[1:2], v[7:10], off
.LBB110_1830:
	s_andn2_b64 vcc, exec, s[0:1]
	s_cbranch_vccnz .LBB110_1832
; %bb.1831:
	v_cvt_f32_i32_sdwa v3, sext(v6) dst_sel:DWORD dst_unused:UNUSED_PAD src0_sel:WORD_0
	v_mov_b32_e32 v4, 0
	global_store_dwordx2 v[1:2], v[3:4], off
.LBB110_1832:
	s_mov_b64 s[0:1], 0
.LBB110_1833:
	s_andn2_b64 vcc, exec, s[0:1]
	s_cbranch_vccnz .LBB110_1835
; %bb.1834:
	v_cvt_f16_i16_e32 v3, v6
	global_store_dword v[1:2], v3, off
.LBB110_1835:
	s_mov_b64 s[0:1], 0
.LBB110_1836:
	s_andn2_b64 vcc, exec, s[0:1]
	s_cbranch_vccnz .LBB110_1845
; %bb.1837:
	s_cmp_lt_i32 s10, 6
	s_mov_b64 s[0:1], -1
	s_cbranch_scc1 .LBB110_1843
; %bb.1838:
	s_cmp_gt_i32 s10, 6
	s_cbranch_scc0 .LBB110_1840
; %bb.1839:
	v_bfe_i32 v3, v6, 0, 16
	v_cvt_f64_i32_e32 v[3:4], v3
	s_mov_b64 s[0:1], 0
	global_store_dwordx2 v[1:2], v[3:4], off
.LBB110_1840:
	s_andn2_b64 vcc, exec, s[0:1]
	s_cbranch_vccnz .LBB110_1842
; %bb.1841:
	v_cvt_f32_i32_sdwa v3, sext(v6) dst_sel:DWORD dst_unused:UNUSED_PAD src0_sel:WORD_0
	global_store_dword v[1:2], v3, off
.LBB110_1842:
	s_mov_b64 s[0:1], 0
.LBB110_1843:
	s_andn2_b64 vcc, exec, s[0:1]
	s_cbranch_vccnz .LBB110_1845
; %bb.1844:
	v_cvt_f16_i16_e32 v3, v6
	global_store_short v[1:2], v3, off
.LBB110_1845:
	s_mov_b64 s[0:1], 0
.LBB110_1846:
	s_andn2_b64 vcc, exec, s[0:1]
	s_cbranch_vccnz .LBB110_1862
; %bb.1847:
	s_cmp_lt_i32 s10, 2
	s_mov_b64 s[0:1], -1
	s_cbranch_scc1 .LBB110_1857
; %bb.1848:
	s_cmp_lt_i32 s10, 3
	s_cbranch_scc1 .LBB110_1854
; %bb.1849:
	s_cmp_gt_i32 s10, 3
	v_bfe_i32 v3, v6, 0, 16
	s_cbranch_scc0 .LBB110_1851
; %bb.1850:
	v_ashrrev_i32_e32 v4, 31, v3
	global_store_dwordx2 v[1:2], v[3:4], off
	s_mov_b64 s[0:1], 0
.LBB110_1851:
	s_andn2_b64 vcc, exec, s[0:1]
	s_cbranch_vccnz .LBB110_1853
; %bb.1852:
	global_store_dword v[1:2], v3, off
.LBB110_1853:
	s_mov_b64 s[0:1], 0
.LBB110_1854:
	s_andn2_b64 vcc, exec, s[0:1]
	s_cbranch_vccnz .LBB110_1856
; %bb.1855:
	global_store_short v[1:2], v6, off
.LBB110_1856:
	s_mov_b64 s[0:1], 0
.LBB110_1857:
	s_andn2_b64 vcc, exec, s[0:1]
	s_cbranch_vccnz .LBB110_1862
; %bb.1858:
	s_cmp_gt_i32 s10, 0
	s_mov_b64 s[0:1], -1
	s_cbranch_scc0 .LBB110_1860
; %bb.1859:
	global_store_byte v[1:2], v6, off
	s_mov_b64 s[0:1], 0
.LBB110_1860:
	s_andn2_b64 vcc, exec, s[0:1]
	s_cbranch_vccnz .LBB110_1862
; %bb.1861:
	global_store_byte v[1:2], v6, off
.LBB110_1862:
	s_mov_b64 s[12:13], -1
.LBB110_1863:
	s_andn2_b64 vcc, exec, s[12:13]
	s_cbranch_vccnz .LBB110_1940
; %bb.1864:
	v_lshlrev_b32_e32 v0, s23, v0
	v_cndmask_b32_e64 v4, v0, 0, s[2:3]
	v_add_u32_e32 v0, s20, v5
	v_ashrrev_i32_e32 v1, 31, v0
	v_mov_b32_e32 v2, s9
	v_add_co_u32_e32 v0, vcc, s8, v0
	s_cmp_lt_i32 s22, 11
	v_addc_co_u32_e32 v1, vcc, v2, v1, vcc
	s_cbranch_scc1 .LBB110_1985
; %bb.1865:
	s_and_b32 s14, 0xffff, s22
	s_mov_b64 s[8:9], -1
	s_mov_b64 s[2:3], 0
	s_cmp_gt_i32 s14, 25
	s_mov_b64 s[0:1], 0
	s_cbranch_scc0 .LBB110_1898
; %bb.1866:
	s_cmp_gt_i32 s14, 28
	s_cbranch_scc0 .LBB110_1882
; %bb.1867:
	s_cmp_gt_i32 s14, 43
	;; [unrolled: 3-line block ×3, first 2 shown]
	s_cbranch_scc0 .LBB110_1872
; %bb.1869:
	s_cmp_eq_u32 s14, 46
	s_mov_b64 s[0:1], -1
	s_cbranch_scc0 .LBB110_1871
; %bb.1870:
	v_cvt_f32_i32_sdwa v2, sext(v4) dst_sel:DWORD dst_unused:UNUSED_PAD src0_sel:WORD_0
	s_movk_i32 s0, 0x7fff
	v_bfe_u32 v3, v2, 16, 1
	v_add3_u32 v2, v2, v3, s0
	v_lshrrev_b32_e32 v2, 16, v2
	global_store_dword v[0:1], v2, off
	s_mov_b64 s[0:1], 0
.LBB110_1871:
	s_mov_b64 s[8:9], 0
.LBB110_1872:
	s_and_b64 vcc, exec, s[8:9]
	s_cbranch_vccz .LBB110_1877
; %bb.1873:
	s_cmp_eq_u32 s14, 44
	s_mov_b64 s[0:1], -1
	s_cbranch_scc0 .LBB110_1877
; %bb.1874:
	v_cvt_f32_i32_sdwa v2, sext(v4) dst_sel:DWORD dst_unused:UNUSED_PAD src0_sel:WORD_0
	s_movk_i32 s0, 0xff
	v_mov_b32_e32 v5, 0xff
	v_bfe_u32 v3, v2, 23, 8
	v_cmp_ne_u32_e32 vcc, s0, v3
	s_and_saveexec_b64 s[8:9], vcc
; %bb.1875:
	s_mov_b32 s0, 0x3fffff
	v_lshrrev_b32_e32 v5, 23, v2
	v_and_b32_e32 v6, 0x400000, v2
	v_and_or_b32 v2, v2, s0, v3
	v_cmp_ne_u32_e32 vcc, 0, v6
	v_cmp_ne_u32_e64 s[0:1], 0, v2
	s_and_b64 s[0:1], vcc, s[0:1]
	v_cndmask_b32_e64 v2, 0, 1, s[0:1]
	v_add_u32_e32 v5, v5, v2
; %bb.1876:
	s_or_b64 exec, exec, s[8:9]
	s_mov_b64 s[0:1], 0
	global_store_byte v[0:1], v5, off
.LBB110_1877:
	s_mov_b64 s[8:9], 0
.LBB110_1878:
	s_and_b64 vcc, exec, s[8:9]
	s_cbranch_vccz .LBB110_1881
; %bb.1879:
	s_cmp_eq_u32 s14, 29
	s_mov_b64 s[0:1], -1
	s_cbranch_scc0 .LBB110_1881
; %bb.1880:
	v_bfe_i32 v2, v4, 0, 16
	v_ashrrev_i32_e32 v3, 31, v2
	global_store_dwordx2 v[0:1], v[2:3], off
	s_mov_b64 s[0:1], 0
.LBB110_1881:
	s_mov_b64 s[8:9], 0
.LBB110_1882:
	s_and_b64 vcc, exec, s[8:9]
	s_cbranch_vccz .LBB110_1897
; %bb.1883:
	s_cmp_lt_i32 s14, 27
	s_mov_b64 s[8:9], -1
	s_cbranch_scc1 .LBB110_1889
; %bb.1884:
	s_cmp_gt_i32 s14, 27
	s_cbranch_scc0 .LBB110_1886
; %bb.1885:
	v_bfe_i32 v2, v4, 0, 16
	global_store_dword v[0:1], v2, off
	s_mov_b64 s[8:9], 0
.LBB110_1886:
	s_andn2_b64 vcc, exec, s[8:9]
	s_cbranch_vccnz .LBB110_1888
; %bb.1887:
	global_store_short v[0:1], v4, off
.LBB110_1888:
	s_mov_b64 s[8:9], 0
.LBB110_1889:
	s_andn2_b64 vcc, exec, s[8:9]
	s_cbranch_vccnz .LBB110_1897
; %bb.1890:
	v_cvt_f32_i32_sdwa v2, sext(v4) dst_sel:DWORD dst_unused:UNUSED_PAD src0_sel:WORD_0
	s_mov_b32 s8, 0x43800000
	v_mov_b32_e32 v5, 0x80
	v_and_b32_e32 v3, 0x7fffffff, v2
	v_cmp_gt_u32_e32 vcc, s8, v3
	s_and_saveexec_b64 s[8:9], vcc
	s_cbranch_execz .LBB110_1896
; %bb.1891:
	s_mov_b32 s10, 0x3bffffff
	v_cmp_lt_u32_e32 vcc, s10, v3
	s_mov_b64 s[10:11], 0
                                        ; implicit-def: $vgpr3
	s_and_saveexec_b64 s[12:13], vcc
	s_xor_b64 s[12:13], exec, s[12:13]
	s_cbranch_execz .LBB110_2002
; %bb.1892:
	v_bfe_u32 v3, v2, 20, 1
	s_mov_b32 s15, 0x487ffff
	v_add3_u32 v3, v2, v3, s15
	s_mov_b64 s[10:11], exec
	v_lshrrev_b32_e32 v3, 20, v3
	s_andn2_saveexec_b64 s[12:13], s[12:13]
	s_cbranch_execnz .LBB110_2003
.LBB110_1893:
	s_or_b64 exec, exec, s[12:13]
	v_mov_b32_e32 v5, 0
	s_and_saveexec_b64 s[12:13], s[10:11]
.LBB110_1894:
	v_lshrrev_b32_e32 v2, 24, v2
	s_movk_i32 s10, 0x80
	v_and_or_b32 v5, v2, s10, v3
.LBB110_1895:
	s_or_b64 exec, exec, s[12:13]
.LBB110_1896:
	s_or_b64 exec, exec, s[8:9]
	global_store_byte v[0:1], v5, off
.LBB110_1897:
	s_mov_b64 s[8:9], 0
.LBB110_1898:
	s_and_b64 vcc, exec, s[8:9]
	s_cbranch_vccz .LBB110_1938
; %bb.1899:
	s_cmp_gt_i32 s14, 22
	s_mov_b64 s[2:3], -1
	s_cbranch_scc0 .LBB110_1931
; %bb.1900:
	s_cmp_lt_i32 s14, 24
	s_cbranch_scc1 .LBB110_1920
; %bb.1901:
	s_cmp_gt_i32 s14, 24
	s_cbranch_scc0 .LBB110_1909
; %bb.1902:
	v_cvt_f32_i32_sdwa v2, sext(v4) dst_sel:DWORD dst_unused:UNUSED_PAD src0_sel:WORD_0
	s_mov_b32 s2, 0x47800000
	v_mov_b32_e32 v5, 0x80
	v_and_b32_e32 v3, 0x7fffffff, v2
	v_cmp_gt_u32_e32 vcc, s2, v3
	s_and_saveexec_b64 s[2:3], vcc
	s_cbranch_execz .LBB110_1908
; %bb.1903:
	s_mov_b32 s8, 0x37ffffff
	v_cmp_lt_u32_e32 vcc, s8, v3
	s_mov_b64 s[8:9], 0
                                        ; implicit-def: $vgpr3
	s_and_saveexec_b64 s[10:11], vcc
	s_xor_b64 s[10:11], exec, s[10:11]
	s_cbranch_execz .LBB110_2005
; %bb.1904:
	v_bfe_u32 v3, v2, 21, 1
	s_mov_b32 s12, 0x88fffff
	v_add3_u32 v3, v2, v3, s12
	s_mov_b64 s[8:9], exec
	v_lshrrev_b32_e32 v3, 21, v3
	s_andn2_saveexec_b64 s[10:11], s[10:11]
	s_cbranch_execnz .LBB110_2006
.LBB110_1905:
	s_or_b64 exec, exec, s[10:11]
	v_mov_b32_e32 v5, 0
	s_and_saveexec_b64 s[10:11], s[8:9]
.LBB110_1906:
	v_lshrrev_b32_e32 v2, 24, v2
	s_movk_i32 s8, 0x80
	v_and_or_b32 v5, v2, s8, v3
.LBB110_1907:
	s_or_b64 exec, exec, s[10:11]
.LBB110_1908:
	s_or_b64 exec, exec, s[2:3]
	s_mov_b64 s[2:3], 0
	global_store_byte v[0:1], v5, off
.LBB110_1909:
	s_and_b64 vcc, exec, s[2:3]
	s_cbranch_vccz .LBB110_1919
; %bb.1910:
	v_cvt_f32_i32_sdwa v2, sext(v4) dst_sel:DWORD dst_unused:UNUSED_PAD src0_sel:WORD_0
	s_mov_b32 s2, 0x43f00000
                                        ; implicit-def: $vgpr3
	v_and_b32_e32 v5, 0x7fffffff, v2
	v_cmp_gt_u32_e32 vcc, s2, v5
	s_and_saveexec_b64 s[2:3], vcc
	s_xor_b64 s[2:3], exec, s[2:3]
	s_cbranch_execz .LBB110_1916
; %bb.1911:
	s_mov_b32 s8, 0x3c7fffff
	v_cmp_lt_u32_e32 vcc, s8, v5
                                        ; implicit-def: $vgpr3
	s_and_saveexec_b64 s[8:9], vcc
	s_xor_b64 s[8:9], exec, s[8:9]
; %bb.1912:
	v_bfe_u32 v3, v2, 20, 1
	s_mov_b32 s10, 0x407ffff
	v_add3_u32 v3, v2, v3, s10
	v_lshrrev_b32_e32 v5, 20, v3
	v_and_b32_e32 v3, 0xff00000, v3
	s_mov_b32 s10, 0x7f00000
	v_mov_b32_e32 v6, 0x7e
	v_cmp_ne_u32_e32 vcc, s10, v3
	v_cndmask_b32_e32 v3, v6, v5, vcc
; %bb.1913:
	s_andn2_saveexec_b64 s[8:9], s[8:9]
; %bb.1914:
	s_mov_b32 s10, 0x46800000
	v_add_f32_e64 v3, |v2|, s10
; %bb.1915:
	s_or_b64 exec, exec, s[8:9]
                                        ; implicit-def: $vgpr5
.LBB110_1916:
	s_andn2_saveexec_b64 s[2:3], s[2:3]
; %bb.1917:
	s_mov_b32 s8, 0x7f800000
	v_mov_b32_e32 v3, 0x7e
	v_mov_b32_e32 v6, 0x7f
	v_cmp_lt_u32_e32 vcc, s8, v5
	v_cndmask_b32_e32 v3, v3, v6, vcc
; %bb.1918:
	s_or_b64 exec, exec, s[2:3]
	v_lshrrev_b32_e32 v2, 24, v2
	s_movk_i32 s2, 0x80
	v_and_or_b32 v2, v2, s2, v3
	global_store_byte v[0:1], v2, off
.LBB110_1919:
	s_mov_b64 s[2:3], 0
.LBB110_1920:
	s_andn2_b64 vcc, exec, s[2:3]
	s_cbranch_vccnz .LBB110_1930
; %bb.1921:
	v_cvt_f32_i32_sdwa v2, sext(v4) dst_sel:DWORD dst_unused:UNUSED_PAD src0_sel:WORD_0
	s_mov_b32 s2, 0x47800000
                                        ; implicit-def: $vgpr3
	v_and_b32_e32 v5, 0x7fffffff, v2
	v_cmp_gt_u32_e32 vcc, s2, v5
	s_and_saveexec_b64 s[2:3], vcc
	s_xor_b64 s[2:3], exec, s[2:3]
	s_cbranch_execz .LBB110_1927
; %bb.1922:
	s_mov_b32 s8, 0x387fffff
	v_cmp_lt_u32_e32 vcc, s8, v5
                                        ; implicit-def: $vgpr3
	s_and_saveexec_b64 s[8:9], vcc
	s_xor_b64 s[8:9], exec, s[8:9]
; %bb.1923:
	v_bfe_u32 v3, v2, 21, 1
	s_mov_b32 s10, 0x80fffff
	v_add3_u32 v3, v2, v3, s10
	v_lshrrev_b32_e32 v3, 21, v3
; %bb.1924:
	s_andn2_saveexec_b64 s[8:9], s[8:9]
; %bb.1925:
	s_mov_b32 s10, 0x43000000
	v_add_f32_e64 v3, |v2|, s10
; %bb.1926:
	s_or_b64 exec, exec, s[8:9]
                                        ; implicit-def: $vgpr5
.LBB110_1927:
	s_andn2_saveexec_b64 s[2:3], s[2:3]
; %bb.1928:
	s_mov_b32 s8, 0x7f800000
	v_mov_b32_e32 v3, 0x7c
	v_mov_b32_e32 v6, 0x7f
	v_cmp_lt_u32_e32 vcc, s8, v5
	v_cndmask_b32_e32 v3, v3, v6, vcc
; %bb.1929:
	s_or_b64 exec, exec, s[2:3]
	v_lshrrev_b32_e32 v2, 24, v2
	s_movk_i32 s2, 0x80
	v_and_or_b32 v2, v2, s2, v3
	global_store_byte v[0:1], v2, off
.LBB110_1930:
	s_mov_b64 s[2:3], 0
.LBB110_1931:
	s_andn2_b64 vcc, exec, s[2:3]
	s_mov_b64 s[2:3], 0
	s_cbranch_vccnz .LBB110_1938
; %bb.1932:
	s_cmp_gt_i32 s14, 14
	s_mov_b64 s[8:9], -1
	s_cbranch_scc0 .LBB110_1936
; %bb.1933:
	s_cmp_eq_u32 s14, 15
	s_mov_b64 s[0:1], -1
	s_cbranch_scc0 .LBB110_1935
; %bb.1934:
	v_cvt_f32_i32_sdwa v2, sext(v4) dst_sel:DWORD dst_unused:UNUSED_PAD src0_sel:WORD_0
	s_movk_i32 s0, 0x7fff
	v_bfe_u32 v3, v2, 16, 1
	v_add3_u32 v2, v2, v3, s0
	global_store_short_d16_hi v[0:1], v2, off
	s_mov_b64 s[0:1], 0
.LBB110_1935:
	s_mov_b64 s[8:9], 0
.LBB110_1936:
	s_and_b64 vcc, exec, s[8:9]
	s_cbranch_vccz .LBB110_1938
; %bb.1937:
	s_cmp_lg_u32 s14, 11
	s_mov_b64 s[2:3], -1
	s_cselect_b64 s[0:1], -1, 0
.LBB110_1938:
	s_and_b64 vcc, exec, s[0:1]
	s_cbranch_vccnz .LBB110_2004
.LBB110_1939:
	s_mov_b64 s[0:1], 0
	s_branch .LBB110_1941
.LBB110_1940:
	s_mov_b64 s[0:1], 0
	s_mov_b64 s[2:3], 0
                                        ; implicit-def: $sgpr22
                                        ; implicit-def: $vgpr0_vgpr1
                                        ; implicit-def: $vgpr4
.LBB110_1941:
	s_andn2_b64 s[6:7], s[6:7], exec
	s_and_b64 s[8:9], s[16:17], exec
	s_and_b64 s[0:1], s[0:1], exec
	;; [unrolled: 1-line block ×3, first 2 shown]
	s_or_b64 s[6:7], s[6:7], s[8:9]
.LBB110_1942:
	s_or_b64 exec, exec, s[4:5]
	s_and_saveexec_b64 s[4:5], s[6:7]
	s_cbranch_execz .LBB110_1945
; %bb.1943:
	; divergent unreachable
	s_or_b64 exec, exec, s[4:5]
	s_and_saveexec_b64 s[4:5], s[2:3]
	s_xor_b64 s[2:3], exec, s[4:5]
	s_cbranch_execnz .LBB110_1946
.LBB110_1944:
	s_or_b64 exec, exec, s[2:3]
	s_and_saveexec_b64 s[2:3], s[0:1]
	s_cbranch_execnz .LBB110_1947
	s_branch .LBB110_1984
.LBB110_1945:
	s_or_b64 exec, exec, s[4:5]
	s_and_saveexec_b64 s[4:5], s[2:3]
	s_xor_b64 s[2:3], exec, s[4:5]
	s_cbranch_execz .LBB110_1944
.LBB110_1946:
	s_waitcnt vmcnt(0)
	v_cmp_ne_u16_e32 vcc, 0, v4
	v_cndmask_b32_e64 v2, 0, 1, vcc
	global_store_byte v[0:1], v2, off
	s_or_b64 exec, exec, s[2:3]
	s_and_saveexec_b64 s[2:3], s[0:1]
	s_cbranch_execz .LBB110_1984
.LBB110_1947:
	s_sext_i32_i16 s2, s22
	s_cmp_lt_i32 s2, 5
	s_mov_b64 s[0:1], -1
	s_cbranch_scc1 .LBB110_1968
; %bb.1948:
	s_cmp_lt_i32 s2, 8
	s_cbranch_scc1 .LBB110_1958
; %bb.1949:
	s_cmp_lt_i32 s2, 9
	s_cbranch_scc1 .LBB110_1955
; %bb.1950:
	s_cmp_gt_i32 s2, 9
	s_cbranch_scc0 .LBB110_1952
; %bb.1951:
	s_waitcnt vmcnt(0)
	v_bfe_i32 v2, v4, 0, 16
	v_cvt_f64_i32_e32 v[5:6], v2
	v_mov_b32_e32 v7, 0
	v_mov_b32_e32 v8, v7
	s_mov_b64 s[0:1], 0
	global_store_dwordx4 v[0:1], v[5:8], off
.LBB110_1952:
	s_andn2_b64 vcc, exec, s[0:1]
	s_cbranch_vccnz .LBB110_1954
; %bb.1953:
	s_waitcnt vmcnt(0)
	v_cvt_f32_i32_sdwa v2, sext(v4) dst_sel:DWORD dst_unused:UNUSED_PAD src0_sel:WORD_0
	v_mov_b32_e32 v3, 0
	global_store_dwordx2 v[0:1], v[2:3], off
.LBB110_1954:
	s_mov_b64 s[0:1], 0
.LBB110_1955:
	s_andn2_b64 vcc, exec, s[0:1]
	s_cbranch_vccnz .LBB110_1957
; %bb.1956:
	s_waitcnt vmcnt(0)
	v_cvt_f16_i16_e32 v2, v4
	global_store_dword v[0:1], v2, off
.LBB110_1957:
	s_mov_b64 s[0:1], 0
.LBB110_1958:
	s_andn2_b64 vcc, exec, s[0:1]
	s_cbranch_vccnz .LBB110_1967
; %bb.1959:
	s_sext_i32_i16 s2, s22
	s_cmp_lt_i32 s2, 6
	s_mov_b64 s[0:1], -1
	s_cbranch_scc1 .LBB110_1965
; %bb.1960:
	s_cmp_gt_i32 s2, 6
	s_cbranch_scc0 .LBB110_1962
; %bb.1961:
	s_waitcnt vmcnt(0)
	v_bfe_i32 v2, v4, 0, 16
	v_cvt_f64_i32_e32 v[2:3], v2
	s_mov_b64 s[0:1], 0
	global_store_dwordx2 v[0:1], v[2:3], off
.LBB110_1962:
	s_andn2_b64 vcc, exec, s[0:1]
	s_cbranch_vccnz .LBB110_1964
; %bb.1963:
	s_waitcnt vmcnt(0)
	v_cvt_f32_i32_sdwa v2, sext(v4) dst_sel:DWORD dst_unused:UNUSED_PAD src0_sel:WORD_0
	global_store_dword v[0:1], v2, off
.LBB110_1964:
	s_mov_b64 s[0:1], 0
.LBB110_1965:
	s_andn2_b64 vcc, exec, s[0:1]
	s_cbranch_vccnz .LBB110_1967
; %bb.1966:
	s_waitcnt vmcnt(0)
	v_cvt_f16_i16_e32 v2, v4
	global_store_short v[0:1], v2, off
.LBB110_1967:
	s_mov_b64 s[0:1], 0
.LBB110_1968:
	s_andn2_b64 vcc, exec, s[0:1]
	s_cbranch_vccnz .LBB110_1984
; %bb.1969:
	s_sext_i32_i16 s2, s22
	s_cmp_lt_i32 s2, 2
	s_mov_b64 s[0:1], -1
	s_cbranch_scc1 .LBB110_1979
; %bb.1970:
	s_cmp_lt_i32 s2, 3
	s_cbranch_scc1 .LBB110_1976
; %bb.1971:
	s_cmp_gt_i32 s2, 3
	s_waitcnt vmcnt(0)
	v_bfe_i32 v2, v4, 0, 16
	s_cbranch_scc0 .LBB110_1973
; %bb.1972:
	v_ashrrev_i32_e32 v3, 31, v2
	global_store_dwordx2 v[0:1], v[2:3], off
	s_mov_b64 s[0:1], 0
.LBB110_1973:
	s_andn2_b64 vcc, exec, s[0:1]
	s_cbranch_vccnz .LBB110_1975
; %bb.1974:
	global_store_dword v[0:1], v2, off
.LBB110_1975:
	s_mov_b64 s[0:1], 0
.LBB110_1976:
	s_andn2_b64 vcc, exec, s[0:1]
	s_cbranch_vccnz .LBB110_1978
; %bb.1977:
	s_waitcnt vmcnt(0)
	global_store_short v[0:1], v4, off
.LBB110_1978:
	s_mov_b64 s[0:1], 0
.LBB110_1979:
	s_andn2_b64 vcc, exec, s[0:1]
	s_cbranch_vccnz .LBB110_1984
; %bb.1980:
	s_sext_i32_i16 s0, s22
	s_cmp_gt_i32 s0, 0
	s_mov_b64 s[0:1], -1
	s_cbranch_scc0 .LBB110_1982
; %bb.1981:
	s_waitcnt vmcnt(0)
	global_store_byte v[0:1], v4, off
	s_mov_b64 s[0:1], 0
.LBB110_1982:
	s_andn2_b64 vcc, exec, s[0:1]
	s_cbranch_vccnz .LBB110_1984
; %bb.1983:
	s_waitcnt vmcnt(0)
	global_store_byte v[0:1], v4, off
	s_endpgm
.LBB110_1984:
	s_endpgm
.LBB110_1985:
	s_mov_b64 s[2:3], 0
	s_mov_b64 s[0:1], -1
	s_branch .LBB110_1941
.LBB110_1986:
	s_trap 2
	s_or_b64 s[16:17], s[16:17], exec
	s_cbranch_execz .LBB110_1455
	s_branch .LBB110_1456
.LBB110_1987:
	s_andn2_saveexec_b64 s[20:21], s[20:21]
	s_cbranch_execz .LBB110_1535
.LBB110_1988:
	s_mov_b32 s24, 0x46000000
	v_add_f32_e64 v8, |v7|, s24
	v_and_b32_e32 v8, 0xff, v8
	v_cmp_ne_u32_e32 vcc, 0, v8
	s_andn2_b64 s[18:19], s[18:19], exec
	s_and_b64 s[24:25], vcc, exec
	s_or_b64 s[18:19], s[18:19], s[24:25]
	s_or_b64 exec, exec, s[20:21]
	v_mov_b32_e32 v9, 0
	s_and_saveexec_b64 s[20:21], s[18:19]
	s_cbranch_execnz .LBB110_1536
	s_branch .LBB110_1537
.LBB110_1989:
	s_trap 2
	s_or_b64 s[16:17], s[16:17], exec
	s_cbranch_execz .LBB110_1583
	s_branch .LBB110_1584
.LBB110_1990:
	s_andn2_saveexec_b64 s[18:19], s[18:19]
	s_cbranch_execz .LBB110_1548
.LBB110_1991:
	s_mov_b32 s20, 0x42800000
	v_add_f32_e64 v8, |v7|, s20
	v_and_b32_e32 v8, 0xff, v8
	v_cmp_ne_u32_e32 vcc, 0, v8
	s_andn2_b64 s[14:15], s[14:15], exec
	s_and_b64 s[20:21], vcc, exec
	s_or_b64 s[14:15], s[14:15], s[20:21]
	s_or_b64 exec, exec, s[18:19]
	v_mov_b32_e32 v9, 0
	s_and_saveexec_b64 s[18:19], s[14:15]
	s_cbranch_execnz .LBB110_1549
	s_branch .LBB110_1550
.LBB110_1992:
	s_andn2_saveexec_b64 s[18:19], s[18:19]
	s_cbranch_execz .LBB110_1654
.LBB110_1993:
	s_mov_b32 s24, 0x46000000
	v_add_f32_e64 v6, |v5|, s24
	v_and_b32_e32 v6, 0xff, v6
	v_cmp_ne_u32_e32 vcc, 0, v6
	s_andn2_b64 s[14:15], s[14:15], exec
	s_and_b64 s[24:25], vcc, exec
	s_or_b64 s[14:15], s[14:15], s[24:25]
	s_or_b64 exec, exec, s[18:19]
	v_mov_b32_e32 v8, 0
	s_and_saveexec_b64 s[18:19], s[14:15]
	s_cbranch_execnz .LBB110_1655
	s_branch .LBB110_1656
.LBB110_1994:
	s_trap 2
	s_or_b64 s[16:17], s[16:17], exec
	s_cbranch_execz .LBB110_1702
	s_branch .LBB110_1703
.LBB110_1995:
	s_andn2_saveexec_b64 s[14:15], s[14:15]
	s_cbranch_execz .LBB110_1667
.LBB110_1996:
	s_mov_b32 s18, 0x42800000
	v_add_f32_e64 v6, |v5|, s18
	v_and_b32_e32 v6, 0xff, v6
	v_cmp_ne_u32_e32 vcc, 0, v6
	s_andn2_b64 s[12:13], s[12:13], exec
	s_and_b64 s[18:19], vcc, exec
	s_or_b64 s[12:13], s[12:13], s[18:19]
	s_or_b64 exec, exec, s[14:15]
	v_mov_b32_e32 v8, 0
	s_and_saveexec_b64 s[14:15], s[12:13]
	s_cbranch_execnz .LBB110_1668
	s_branch .LBB110_1669
.LBB110_1997:
	s_andn2_saveexec_b64 s[18:19], s[18:19]
	s_cbranch_execz .LBB110_1773
.LBB110_1998:
	s_mov_b32 s24, 0x46000000
	v_add_f32_e64 v4, |v3|, s24
	v_and_b32_e32 v4, 0xff, v4
	v_cmp_ne_u32_e32 vcc, 0, v4
	s_andn2_b64 s[14:15], s[14:15], exec
	s_and_b64 s[24:25], vcc, exec
	s_or_b64 s[14:15], s[14:15], s[24:25]
	s_or_b64 exec, exec, s[18:19]
	v_mov_b32_e32 v7, 0
	s_and_saveexec_b64 s[18:19], s[14:15]
	s_cbranch_execnz .LBB110_1774
	s_branch .LBB110_1775
.LBB110_1999:
	s_trap 2
	s_or_b64 s[16:17], s[16:17], exec
	s_cbranch_execz .LBB110_1821
	s_branch .LBB110_1822
.LBB110_2000:
	s_andn2_saveexec_b64 s[14:15], s[14:15]
	s_cbranch_execz .LBB110_1786
.LBB110_2001:
	s_mov_b32 s18, 0x42800000
	v_add_f32_e64 v4, |v3|, s18
	v_and_b32_e32 v4, 0xff, v4
	v_cmp_ne_u32_e32 vcc, 0, v4
	s_andn2_b64 s[12:13], s[12:13], exec
	s_and_b64 s[18:19], vcc, exec
	s_or_b64 s[12:13], s[12:13], s[18:19]
	s_or_b64 exec, exec, s[14:15]
	v_mov_b32_e32 v7, 0
	s_and_saveexec_b64 s[14:15], s[12:13]
	s_cbranch_execnz .LBB110_1787
	s_branch .LBB110_1788
.LBB110_2002:
	s_andn2_saveexec_b64 s[12:13], s[12:13]
	s_cbranch_execz .LBB110_1893
.LBB110_2003:
	s_mov_b32 s15, 0x46000000
	v_add_f32_e64 v3, |v2|, s15
	v_and_b32_e32 v3, 0xff, v3
	v_cmp_ne_u32_e32 vcc, 0, v3
	s_andn2_b64 s[10:11], s[10:11], exec
	s_and_b64 s[18:19], vcc, exec
	s_or_b64 s[10:11], s[10:11], s[18:19]
	s_or_b64 exec, exec, s[12:13]
	v_mov_b32_e32 v5, 0
	s_and_saveexec_b64 s[12:13], s[10:11]
	s_cbranch_execnz .LBB110_1894
	s_branch .LBB110_1895
.LBB110_2004:
	s_mov_b64 s[2:3], 0
	s_or_b64 s[16:17], s[16:17], exec
	s_trap 2
	s_branch .LBB110_1939
.LBB110_2005:
	s_andn2_saveexec_b64 s[10:11], s[10:11]
	s_cbranch_execz .LBB110_1905
.LBB110_2006:
	s_mov_b32 s12, 0x42800000
	v_add_f32_e64 v3, |v2|, s12
	v_and_b32_e32 v3, 0xff, v3
	v_cmp_ne_u32_e32 vcc, 0, v3
	s_andn2_b64 s[8:9], s[8:9], exec
	s_and_b64 s[12:13], vcc, exec
	s_or_b64 s[8:9], s[8:9], s[12:13]
	s_or_b64 exec, exec, s[10:11]
	v_mov_b32_e32 v5, 0
	s_and_saveexec_b64 s[10:11], s[8:9]
	s_cbranch_execnz .LBB110_1906
	s_branch .LBB110_1907
	.section	.rodata,"a",@progbits
	.p2align	6, 0x0
	.amdhsa_kernel _ZN2at6native32elementwise_kernel_manual_unrollILi128ELi4EZNS0_15gpu_kernel_implINS0_13BUnaryFunctorIsssZZZNS0_18lshift_kernel_cudaERNS_18TensorIteratorBaseEENKUlvE_clEvENKUlvE3_clEvEUlssE_EEEEvS5_RKT_EUlibE_EEviT1_
		.amdhsa_group_segment_fixed_size 0
		.amdhsa_private_segment_fixed_size 0
		.amdhsa_kernarg_size 40
		.amdhsa_user_sgpr_count 6
		.amdhsa_user_sgpr_private_segment_buffer 1
		.amdhsa_user_sgpr_dispatch_ptr 0
		.amdhsa_user_sgpr_queue_ptr 0
		.amdhsa_user_sgpr_kernarg_segment_ptr 1
		.amdhsa_user_sgpr_dispatch_id 0
		.amdhsa_user_sgpr_flat_scratch_init 0
		.amdhsa_user_sgpr_private_segment_size 0
		.amdhsa_uses_dynamic_stack 0
		.amdhsa_system_sgpr_private_segment_wavefront_offset 0
		.amdhsa_system_sgpr_workgroup_id_x 1
		.amdhsa_system_sgpr_workgroup_id_y 0
		.amdhsa_system_sgpr_workgroup_id_z 0
		.amdhsa_system_sgpr_workgroup_info 0
		.amdhsa_system_vgpr_workitem_id 0
		.amdhsa_next_free_vgpr 12
		.amdhsa_next_free_sgpr 50
		.amdhsa_reserve_vcc 1
		.amdhsa_reserve_flat_scratch 0
		.amdhsa_float_round_mode_32 0
		.amdhsa_float_round_mode_16_64 0
		.amdhsa_float_denorm_mode_32 3
		.amdhsa_float_denorm_mode_16_64 3
		.amdhsa_dx10_clamp 1
		.amdhsa_ieee_mode 1
		.amdhsa_fp16_overflow 0
		.amdhsa_exception_fp_ieee_invalid_op 0
		.amdhsa_exception_fp_denorm_src 0
		.amdhsa_exception_fp_ieee_div_zero 0
		.amdhsa_exception_fp_ieee_overflow 0
		.amdhsa_exception_fp_ieee_underflow 0
		.amdhsa_exception_fp_ieee_inexact 0
		.amdhsa_exception_int_div_zero 0
	.end_amdhsa_kernel
	.section	.text._ZN2at6native32elementwise_kernel_manual_unrollILi128ELi4EZNS0_15gpu_kernel_implINS0_13BUnaryFunctorIsssZZZNS0_18lshift_kernel_cudaERNS_18TensorIteratorBaseEENKUlvE_clEvENKUlvE3_clEvEUlssE_EEEEvS5_RKT_EUlibE_EEviT1_,"axG",@progbits,_ZN2at6native32elementwise_kernel_manual_unrollILi128ELi4EZNS0_15gpu_kernel_implINS0_13BUnaryFunctorIsssZZZNS0_18lshift_kernel_cudaERNS_18TensorIteratorBaseEENKUlvE_clEvENKUlvE3_clEvEUlssE_EEEEvS5_RKT_EUlibE_EEviT1_,comdat
.Lfunc_end110:
	.size	_ZN2at6native32elementwise_kernel_manual_unrollILi128ELi4EZNS0_15gpu_kernel_implINS0_13BUnaryFunctorIsssZZZNS0_18lshift_kernel_cudaERNS_18TensorIteratorBaseEENKUlvE_clEvENKUlvE3_clEvEUlssE_EEEEvS5_RKT_EUlibE_EEviT1_, .Lfunc_end110-_ZN2at6native32elementwise_kernel_manual_unrollILi128ELi4EZNS0_15gpu_kernel_implINS0_13BUnaryFunctorIsssZZZNS0_18lshift_kernel_cudaERNS_18TensorIteratorBaseEENKUlvE_clEvENKUlvE3_clEvEUlssE_EEEEvS5_RKT_EUlibE_EEviT1_
                                        ; -- End function
	.set _ZN2at6native32elementwise_kernel_manual_unrollILi128ELi4EZNS0_15gpu_kernel_implINS0_13BUnaryFunctorIsssZZZNS0_18lshift_kernel_cudaERNS_18TensorIteratorBaseEENKUlvE_clEvENKUlvE3_clEvEUlssE_EEEEvS5_RKT_EUlibE_EEviT1_.num_vgpr, 12
	.set _ZN2at6native32elementwise_kernel_manual_unrollILi128ELi4EZNS0_15gpu_kernel_implINS0_13BUnaryFunctorIsssZZZNS0_18lshift_kernel_cudaERNS_18TensorIteratorBaseEENKUlvE_clEvENKUlvE3_clEvEUlssE_EEEEvS5_RKT_EUlibE_EEviT1_.num_agpr, 0
	.set _ZN2at6native32elementwise_kernel_manual_unrollILi128ELi4EZNS0_15gpu_kernel_implINS0_13BUnaryFunctorIsssZZZNS0_18lshift_kernel_cudaERNS_18TensorIteratorBaseEENKUlvE_clEvENKUlvE3_clEvEUlssE_EEEEvS5_RKT_EUlibE_EEviT1_.numbered_sgpr, 50
	.set _ZN2at6native32elementwise_kernel_manual_unrollILi128ELi4EZNS0_15gpu_kernel_implINS0_13BUnaryFunctorIsssZZZNS0_18lshift_kernel_cudaERNS_18TensorIteratorBaseEENKUlvE_clEvENKUlvE3_clEvEUlssE_EEEEvS5_RKT_EUlibE_EEviT1_.num_named_barrier, 0
	.set _ZN2at6native32elementwise_kernel_manual_unrollILi128ELi4EZNS0_15gpu_kernel_implINS0_13BUnaryFunctorIsssZZZNS0_18lshift_kernel_cudaERNS_18TensorIteratorBaseEENKUlvE_clEvENKUlvE3_clEvEUlssE_EEEEvS5_RKT_EUlibE_EEviT1_.private_seg_size, 0
	.set _ZN2at6native32elementwise_kernel_manual_unrollILi128ELi4EZNS0_15gpu_kernel_implINS0_13BUnaryFunctorIsssZZZNS0_18lshift_kernel_cudaERNS_18TensorIteratorBaseEENKUlvE_clEvENKUlvE3_clEvEUlssE_EEEEvS5_RKT_EUlibE_EEviT1_.uses_vcc, 1
	.set _ZN2at6native32elementwise_kernel_manual_unrollILi128ELi4EZNS0_15gpu_kernel_implINS0_13BUnaryFunctorIsssZZZNS0_18lshift_kernel_cudaERNS_18TensorIteratorBaseEENKUlvE_clEvENKUlvE3_clEvEUlssE_EEEEvS5_RKT_EUlibE_EEviT1_.uses_flat_scratch, 0
	.set _ZN2at6native32elementwise_kernel_manual_unrollILi128ELi4EZNS0_15gpu_kernel_implINS0_13BUnaryFunctorIsssZZZNS0_18lshift_kernel_cudaERNS_18TensorIteratorBaseEENKUlvE_clEvENKUlvE3_clEvEUlssE_EEEEvS5_RKT_EUlibE_EEviT1_.has_dyn_sized_stack, 0
	.set _ZN2at6native32elementwise_kernel_manual_unrollILi128ELi4EZNS0_15gpu_kernel_implINS0_13BUnaryFunctorIsssZZZNS0_18lshift_kernel_cudaERNS_18TensorIteratorBaseEENKUlvE_clEvENKUlvE3_clEvEUlssE_EEEEvS5_RKT_EUlibE_EEviT1_.has_recursion, 0
	.set _ZN2at6native32elementwise_kernel_manual_unrollILi128ELi4EZNS0_15gpu_kernel_implINS0_13BUnaryFunctorIsssZZZNS0_18lshift_kernel_cudaERNS_18TensorIteratorBaseEENKUlvE_clEvENKUlvE3_clEvEUlssE_EEEEvS5_RKT_EUlibE_EEviT1_.has_indirect_call, 0
	.section	.AMDGPU.csdata,"",@progbits
; Kernel info:
; codeLenInByte = 29860
; TotalNumSgprs: 54
; NumVgprs: 12
; ScratchSize: 0
; MemoryBound: 1
; FloatMode: 240
; IeeeMode: 1
; LDSByteSize: 0 bytes/workgroup (compile time only)
; SGPRBlocks: 6
; VGPRBlocks: 2
; NumSGPRsForWavesPerEU: 54
; NumVGPRsForWavesPerEU: 12
; Occupancy: 10
; WaveLimiterHint : 0
; COMPUTE_PGM_RSRC2:SCRATCH_EN: 0
; COMPUTE_PGM_RSRC2:USER_SGPR: 6
; COMPUTE_PGM_RSRC2:TRAP_HANDLER: 0
; COMPUTE_PGM_RSRC2:TGID_X_EN: 1
; COMPUTE_PGM_RSRC2:TGID_Y_EN: 0
; COMPUTE_PGM_RSRC2:TGID_Z_EN: 0
; COMPUTE_PGM_RSRC2:TIDIG_COMP_CNT: 0
	.section	.text._ZN2at6native32elementwise_kernel_manual_unrollILi128ELi4EZNS0_15gpu_kernel_implINS0_13BUnaryFunctorIsssZZZNS0_18lshift_kernel_cudaERNS_18TensorIteratorBaseEENKUlvE_clEvENKUlvE3_clEvEUlssE_EEEEvS5_RKT_EUlibE0_EEviT1_,"axG",@progbits,_ZN2at6native32elementwise_kernel_manual_unrollILi128ELi4EZNS0_15gpu_kernel_implINS0_13BUnaryFunctorIsssZZZNS0_18lshift_kernel_cudaERNS_18TensorIteratorBaseEENKUlvE_clEvENKUlvE3_clEvEUlssE_EEEEvS5_RKT_EUlibE0_EEviT1_,comdat
	.globl	_ZN2at6native32elementwise_kernel_manual_unrollILi128ELi4EZNS0_15gpu_kernel_implINS0_13BUnaryFunctorIsssZZZNS0_18lshift_kernel_cudaERNS_18TensorIteratorBaseEENKUlvE_clEvENKUlvE3_clEvEUlssE_EEEEvS5_RKT_EUlibE0_EEviT1_ ; -- Begin function _ZN2at6native32elementwise_kernel_manual_unrollILi128ELi4EZNS0_15gpu_kernel_implINS0_13BUnaryFunctorIsssZZZNS0_18lshift_kernel_cudaERNS_18TensorIteratorBaseEENKUlvE_clEvENKUlvE3_clEvEUlssE_EEEEvS5_RKT_EUlibE0_EEviT1_
	.p2align	8
	.type	_ZN2at6native32elementwise_kernel_manual_unrollILi128ELi4EZNS0_15gpu_kernel_implINS0_13BUnaryFunctorIsssZZZNS0_18lshift_kernel_cudaERNS_18TensorIteratorBaseEENKUlvE_clEvENKUlvE3_clEvEUlssE_EEEEvS5_RKT_EUlibE0_EEviT1_,@function
_ZN2at6native32elementwise_kernel_manual_unrollILi128ELi4EZNS0_15gpu_kernel_implINS0_13BUnaryFunctorIsssZZZNS0_18lshift_kernel_cudaERNS_18TensorIteratorBaseEENKUlvE_clEvENKUlvE3_clEvEUlssE_EEEEvS5_RKT_EUlibE0_EEviT1_: ; @_ZN2at6native32elementwise_kernel_manual_unrollILi128ELi4EZNS0_15gpu_kernel_implINS0_13BUnaryFunctorIsssZZZNS0_18lshift_kernel_cudaERNS_18TensorIteratorBaseEENKUlvE_clEvENKUlvE3_clEvEUlssE_EEEEvS5_RKT_EUlibE0_EEviT1_
; %bb.0:
	s_load_dword s72, s[4:5], 0x0
	s_load_dword s33, s[4:5], 0x8
	s_add_u32 s34, s4, 8
	s_addc_u32 s35, s5, 0
	v_lshl_or_b32 v8, s6, 9, v0
	v_or_b32_e32 v15, 0x180, v8
	s_waitcnt lgkmcnt(0)
	s_add_i32 s74, s33, -1
	s_cmp_gt_u32 s74, 1
	v_cmp_le_i32_e32 vcc, s72, v15
	s_cselect_b64 s[40:41], -1, 0
	s_mov_b64 s[6:7], 0
	s_mov_b64 s[28:29], 0
	s_and_saveexec_b64 s[0:1], vcc
	s_xor_b64 s[42:43], exec, s[0:1]
	s_cbranch_execz .LBB111_1070
; %bb.1:
	s_load_dwordx4 s[28:31], s[34:35], 0x4
	s_load_dwordx2 s[46:47], s[34:35], 0x14
	s_load_dword s0, s[4:5], 0x160
	s_load_dword s75, s[34:35], 0x15c
	s_cmp_lg_u32 s33, 0
	s_cselect_b64 s[52:53], -1, 0
	s_add_u32 s50, s34, 0xc4
	s_addc_u32 s51, s35, 0
	s_min_u32 s78, s74, 15
	s_load_dwordx4 s[36:39], s[34:35], 0xc4
	s_load_dwordx4 s[24:27], s[34:35], 0x148
	s_cmp_gt_u32 s33, 1
	s_cselect_b64 s[48:49], -1, 0
	s_waitcnt lgkmcnt(0)
	s_lshr_b32 s76, s0, 16
	s_bfe_u32 s77, s75, 0x80008
	s_cmp_gt_u32 s76, 15
	s_cselect_b64 s[44:45], -1, 0
	v_cmp_gt_i32_e32 vcc, s72, v8
	s_mov_b64 s[2:3], -1
	s_mov_b64 s[62:63], 0
	s_mov_b64 s[56:57], 0
	s_mov_b64 s[54:55], 0
	s_and_saveexec_b64 s[58:59], vcc
	s_cbranch_execz .LBB111_262
; %bb.2:
	s_andn2_b64 vcc, exec, s[40:41]
	s_cbranch_vccnz .LBB111_7
; %bb.3:
	s_andn2_b64 vcc, exec, s[52:53]
	s_cbranch_vccnz .LBB111_8
; %bb.4:
	s_add_i32 s61, s78, 1
	s_cmp_eq_u32 s74, 2
	s_cbranch_scc1 .LBB111_9
; %bb.5:
	s_and_b32 s60, s61, 28
	v_mov_b32_e32 v2, 0
	s_mov_b32 s64, 0
	s_mov_b64 s[54:55], s[34:35]
	s_mov_b64 s[56:57], s[50:51]
	v_mov_b32_e32 v0, 0
	v_mov_b32_e32 v1, v8
.LBB111_6:                              ; =>This Inner Loop Header: Depth=1
	s_load_dwordx8 s[16:23], s[54:55], 0x4
	s_load_dwordx4 s[0:3], s[54:55], 0x24
	s_load_dwordx8 s[8:15], s[56:57], 0x0
	s_add_u32 s54, s54, 48
	s_addc_u32 s55, s55, 0
	s_waitcnt lgkmcnt(0)
	v_mul_hi_u32 v3, s17, v1
	s_add_i32 s64, s64, 4
	s_add_u32 s56, s56, 32
	s_addc_u32 s57, s57, 0
	v_add_u32_e32 v3, v1, v3
	v_lshrrev_b32_e32 v3, s18, v3
	v_mul_lo_u32 v4, v3, s16
	v_mul_hi_u32 v5, s20, v3
	s_cmp_lg_u32 s60, s64
	v_sub_u32_e32 v1, v1, v4
	v_add_u32_e32 v4, v3, v5
	v_mul_lo_u32 v5, v1, s8
	v_mul_lo_u32 v6, v1, s9
	v_lshrrev_b32_e32 v1, s21, v4
	v_mul_lo_u32 v4, v1, s19
	v_mul_hi_u32 v7, s23, v1
	v_sub_u32_e32 v3, v3, v4
	v_add_u32_e32 v4, v1, v7
	v_lshrrev_b32_e32 v4, s0, v4
	v_mul_hi_u32 v9, s2, v4
	v_mul_lo_u32 v10, v4, s22
	v_mul_lo_u32 v7, v3, s10
	;; [unrolled: 1-line block ×3, first 2 shown]
	v_sub_u32_e32 v10, v1, v10
	v_add_u32_e32 v1, v4, v9
	v_lshrrev_b32_e32 v1, s3, v1
	v_mul_lo_u32 v9, v1, s1
	v_mul_lo_u32 v11, v10, s12
	;; [unrolled: 1-line block ×3, first 2 shown]
	v_add3_u32 v0, v5, v0, v7
	v_sub_u32_e32 v4, v4, v9
	v_mul_lo_u32 v9, v4, s14
	v_mul_lo_u32 v4, v4, s15
	v_add3_u32 v2, v6, v2, v3
	v_add3_u32 v0, v11, v0, v9
	;; [unrolled: 1-line block ×3, first 2 shown]
	s_cbranch_scc1 .LBB111_6
	s_branch .LBB111_10
.LBB111_7:
                                        ; implicit-def: $vgpr0
                                        ; implicit-def: $vgpr2
	s_branch .LBB111_14
.LBB111_8:
	v_mov_b32_e32 v0, 0
	v_mov_b32_e32 v2, 0
	s_branch .LBB111_13
.LBB111_9:
	s_mov_b32 s60, 0
	v_mov_b32_e32 v0, 0
	v_mov_b32_e32 v2, 0
	;; [unrolled: 1-line block ×3, first 2 shown]
.LBB111_10:
	s_and_b32 s8, s61, 3
	s_cmp_eq_u32 s8, 0
	s_cbranch_scc1 .LBB111_13
; %bb.11:
	s_lshl_b32 s0, s60, 3
	s_add_u32 s0, s34, s0
	s_addc_u32 s1, s35, 0
	s_add_u32 s0, s0, 0xc4
	s_addc_u32 s1, s1, 0
	s_mul_i32 s2, s60, 12
	s_add_u32 s2, s34, s2
	s_addc_u32 s3, s35, 0
.LBB111_12:                             ; =>This Inner Loop Header: Depth=1
	s_load_dwordx2 s[10:11], s[2:3], 0x4
	s_load_dword s9, s[2:3], 0xc
	s_load_dwordx2 s[12:13], s[0:1], 0x0
	s_add_u32 s2, s2, 12
	s_addc_u32 s3, s3, 0
	s_waitcnt lgkmcnt(0)
	v_mul_hi_u32 v3, s11, v1
	s_add_u32 s0, s0, 8
	s_addc_u32 s1, s1, 0
	s_add_i32 s8, s8, -1
	v_add_u32_e32 v3, v1, v3
	v_lshrrev_b32_e32 v4, s9, v3
	v_mul_lo_u32 v3, v4, s10
	s_cmp_lg_u32 s8, 0
	v_sub_u32_e32 v3, v1, v3
	v_mad_u64_u32 v[0:1], s[10:11], v3, s12, v[0:1]
	v_mad_u64_u32 v[2:3], s[10:11], v3, s13, v[2:3]
	v_mov_b32_e32 v1, v4
	s_cbranch_scc1 .LBB111_12
.LBB111_13:
	s_cbranch_execnz .LBB111_16
.LBB111_14:
	v_mul_hi_u32 v0, s29, v8
	s_andn2_b64 vcc, exec, s[48:49]
	v_add_u32_e32 v0, v8, v0
	v_lshrrev_b32_e32 v1, s30, v0
	v_mul_lo_u32 v0, v1, s28
	v_sub_u32_e32 v2, v8, v0
	v_mul_lo_u32 v0, v2, s36
	v_mul_lo_u32 v2, v2, s37
	s_cbranch_vccnz .LBB111_16
; %bb.15:
	v_mul_hi_u32 v3, s46, v1
	v_add_u32_e32 v3, v1, v3
	v_lshrrev_b32_e32 v3, s47, v3
	v_mul_lo_u32 v3, v3, s31
	v_sub_u32_e32 v3, v1, v3
	v_mad_u64_u32 v[0:1], s[0:1], v3, s38, v[0:1]
	v_mad_u64_u32 v[2:3], s[0:1], v3, s39, v[2:3]
.LBB111_16:
	v_mov_b32_e32 v3, s27
	s_and_b32 s10, 0xffff, s77
	v_add_co_u32_e32 v1, vcc, s26, v2
	s_cmp_lt_i32 s10, 11
	v_addc_co_u32_e32 v2, vcc, 0, v3, vcc
	s_cbranch_scc1 .LBB111_23
; %bb.17:
	s_cmp_gt_i32 s10, 25
	s_cbranch_scc0 .LBB111_32
; %bb.18:
	s_cmp_gt_i32 s10, 28
	s_cbranch_scc0 .LBB111_35
	;; [unrolled: 3-line block ×4, first 2 shown]
; %bb.21:
	s_cmp_eq_u32 s10, 46
	s_mov_b64 s[8:9], 0
	s_cbranch_scc0 .LBB111_41
; %bb.22:
	global_load_dword v3, v[1:2], off
	s_mov_b64 s[0:1], -1
	s_mov_b64 s[2:3], 0
	s_waitcnt vmcnt(0)
	v_lshlrev_b32_e32 v3, 16, v3
	v_cvt_i32_f32_e32 v3, v3
	s_branch .LBB111_43
.LBB111_23:
	s_mov_b64 s[2:3], 0
                                        ; implicit-def: $vgpr3
	s_mov_b64 s[0:1], 0
	s_cbranch_execnz .LBB111_212
.LBB111_24:
	s_andn2_b64 vcc, exec, s[0:1]
	s_cbranch_vccnz .LBB111_259
.LBB111_25:
	s_waitcnt vmcnt(0)
	v_lshlrev_b32_e32 v1, s76, v3
	v_cndmask_b32_e64 v4, v1, 0, s[44:45]
	v_mov_b32_e32 v1, s25
	s_and_b32 s14, s75, 0xff
	v_add_co_u32_e32 v0, vcc, s24, v0
	s_cmp_lt_i32 s14, 11
	v_addc_co_u32_e32 v1, vcc, 0, v1, vcc
	s_cbranch_scc1 .LBB111_33
; %bb.26:
	s_and_b32 s15, 0xffff, s14
	s_cmp_gt_i32 s15, 25
	s_cbranch_scc0 .LBB111_36
; %bb.27:
	s_cmp_gt_i32 s15, 28
	s_cbranch_scc0 .LBB111_38
; %bb.28:
	;; [unrolled: 3-line block ×4, first 2 shown]
	s_mov_b64 s[10:11], 0
	s_mov_b64 s[0:1], -1
	s_cmp_eq_u32 s15, 46
	s_mov_b64 s[8:9], 0
	s_cbranch_scc0 .LBB111_47
; %bb.31:
	v_cvt_f32_i32_sdwa v2, sext(v4) dst_sel:DWORD dst_unused:UNUSED_PAD src0_sel:WORD_0
	s_movk_i32 s0, 0x7fff
	s_mov_b64 s[8:9], -1
	v_bfe_u32 v3, v2, 16, 1
	v_add3_u32 v2, v2, v3, s0
	v_lshrrev_b32_e32 v2, 16, v2
	global_store_dword v[0:1], v2, off
	s_mov_b64 s[0:1], 0
	s_branch .LBB111_47
.LBB111_32:
	s_mov_b64 s[2:3], 0
	s_mov_b64 s[0:1], 0
                                        ; implicit-def: $vgpr3
	s_cbranch_execnz .LBB111_179
	s_branch .LBB111_211
.LBB111_33:
	s_mov_b64 s[0:1], 0
	s_mov_b64 s[8:9], 0
	s_cbranch_execnz .LBB111_116
.LBB111_34:
	s_andn2_b64 vcc, exec, s[8:9]
	s_cbranch_vccnz .LBB111_260
	s_branch .LBB111_154
.LBB111_35:
	s_mov_b64 s[8:9], -1
	s_mov_b64 s[2:3], 0
	s_mov_b64 s[0:1], 0
                                        ; implicit-def: $vgpr3
	s_branch .LBB111_162
.LBB111_36:
	s_mov_b64 s[10:11], -1
	s_mov_b64 s[0:1], 0
	s_mov_b64 s[8:9], 0
	s_branch .LBB111_74
.LBB111_37:
	s_mov_b64 s[8:9], -1
	s_mov_b64 s[2:3], 0
	s_mov_b64 s[0:1], 0
                                        ; implicit-def: $vgpr3
	s_branch .LBB111_157
.LBB111_38:
	s_mov_b64 s[10:11], -1
	s_mov_b64 s[0:1], 0
	s_mov_b64 s[8:9], 0
	s_branch .LBB111_57
.LBB111_39:
	s_mov_b64 s[8:9], -1
	s_mov_b64 s[2:3], 0
	s_branch .LBB111_42
.LBB111_40:
	s_mov_b64 s[10:11], -1
	s_mov_b64 s[0:1], 0
	s_mov_b64 s[8:9], 0
	s_branch .LBB111_53
.LBB111_41:
	s_mov_b64 s[2:3], -1
.LBB111_42:
	s_mov_b64 s[0:1], 0
                                        ; implicit-def: $vgpr3
.LBB111_43:
	s_and_b64 vcc, exec, s[8:9]
	s_cbranch_vccz .LBB111_156
; %bb.44:
	s_cmp_eq_u32 s10, 44
	s_cbranch_scc0 .LBB111_155
; %bb.45:
	global_load_ubyte v3, v[1:2], off
	s_mov_b64 s[0:1], -1
	s_mov_b64 s[2:3], 0
	s_waitcnt vmcnt(0)
	v_lshlrev_b32_e32 v4, 23, v3
	v_cvt_i32_f32_e32 v4, v4
	v_cmp_ne_u32_e32 vcc, 0, v3
	v_cndmask_b32_e32 v3, 0, v4, vcc
	s_branch .LBB111_156
.LBB111_46:
	s_mov_b64 s[10:11], -1
	s_mov_b64 s[0:1], 0
	s_mov_b64 s[8:9], 0
.LBB111_47:
	s_and_b64 vcc, exec, s[10:11]
	s_cbranch_vccz .LBB111_52
; %bb.48:
	s_cmp_eq_u32 s15, 44
	s_mov_b64 s[0:1], -1
	s_cbranch_scc0 .LBB111_52
; %bb.49:
	v_cvt_f32_i32_sdwa v2, sext(v4) dst_sel:DWORD dst_unused:UNUSED_PAD src0_sel:WORD_0
	s_movk_i32 s0, 0xff
	v_mov_b32_e32 v5, 0xff
	v_bfe_u32 v3, v2, 23, 8
	v_cmp_ne_u32_e32 vcc, s0, v3
	s_and_saveexec_b64 s[8:9], vcc
; %bb.50:
	s_mov_b32 s0, 0x3fffff
	v_lshrrev_b32_e32 v5, 23, v2
	v_and_b32_e32 v6, 0x400000, v2
	v_and_or_b32 v2, v2, s0, v3
	v_cmp_ne_u32_e32 vcc, 0, v6
	v_cmp_ne_u32_e64 s[0:1], 0, v2
	s_and_b64 s[0:1], vcc, s[0:1]
	v_cndmask_b32_e64 v2, 0, 1, s[0:1]
	v_add_u32_e32 v5, v5, v2
; %bb.51:
	s_or_b64 exec, exec, s[8:9]
	s_mov_b64 s[8:9], -1
	s_mov_b64 s[0:1], 0
	global_store_byte v[0:1], v5, off
.LBB111_52:
	s_mov_b64 s[10:11], 0
.LBB111_53:
	s_and_b64 vcc, exec, s[10:11]
	s_cbranch_vccz .LBB111_56
; %bb.54:
	s_cmp_eq_u32 s15, 29
	s_mov_b64 s[0:1], -1
	s_cbranch_scc0 .LBB111_56
; %bb.55:
	v_bfe_i32 v2, v4, 0, 16
	v_ashrrev_i32_e32 v3, 31, v2
	global_store_dwordx2 v[0:1], v[2:3], off
	s_mov_b64 s[8:9], -1
	s_mov_b64 s[0:1], 0
.LBB111_56:
	s_mov_b64 s[10:11], 0
.LBB111_57:
	s_and_b64 vcc, exec, s[10:11]
	s_cbranch_vccz .LBB111_73
; %bb.58:
	s_cmp_lt_i32 s15, 27
	s_mov_b64 s[8:9], -1
	s_cbranch_scc1 .LBB111_64
; %bb.59:
	s_cmp_gt_i32 s15, 27
	s_cbranch_scc0 .LBB111_61
; %bb.60:
	v_bfe_i32 v2, v4, 0, 16
	s_mov_b64 s[8:9], 0
	global_store_dword v[0:1], v2, off
.LBB111_61:
	s_andn2_b64 vcc, exec, s[8:9]
	s_cbranch_vccnz .LBB111_63
; %bb.62:
	global_store_short v[0:1], v4, off
.LBB111_63:
	s_mov_b64 s[8:9], 0
.LBB111_64:
	s_andn2_b64 vcc, exec, s[8:9]
	s_cbranch_vccnz .LBB111_72
; %bb.65:
	v_cvt_f32_i32_sdwa v2, sext(v4) dst_sel:DWORD dst_unused:UNUSED_PAD src0_sel:WORD_0
	s_mov_b32 s8, 0x43800000
	v_mov_b32_e32 v5, 0x80
	v_and_b32_e32 v3, 0x7fffffff, v2
	v_cmp_gt_u32_e32 vcc, s8, v3
	s_and_saveexec_b64 s[8:9], vcc
	s_cbranch_execz .LBB111_71
; %bb.66:
	s_mov_b32 s10, 0x3bffffff
	v_cmp_lt_u32_e32 vcc, s10, v3
	s_mov_b64 s[10:11], 0
                                        ; implicit-def: $vgpr3
	s_and_saveexec_b64 s[12:13], vcc
	s_xor_b64 s[12:13], exec, s[12:13]
	s_cbranch_execz .LBB111_303
; %bb.67:
	v_bfe_u32 v3, v2, 20, 1
	s_mov_b32 s16, 0x487ffff
	v_add3_u32 v3, v2, v3, s16
	s_mov_b64 s[10:11], exec
	v_lshrrev_b32_e32 v3, 20, v3
	s_andn2_saveexec_b64 s[12:13], s[12:13]
	s_cbranch_execnz .LBB111_304
.LBB111_68:
	s_or_b64 exec, exec, s[12:13]
	v_mov_b32_e32 v5, 0
	s_and_saveexec_b64 s[12:13], s[10:11]
.LBB111_69:
	v_lshrrev_b32_e32 v2, 24, v2
	s_movk_i32 s10, 0x80
	v_and_or_b32 v5, v2, s10, v3
.LBB111_70:
	s_or_b64 exec, exec, s[12:13]
.LBB111_71:
	s_or_b64 exec, exec, s[8:9]
	global_store_byte v[0:1], v5, off
.LBB111_72:
	s_mov_b64 s[8:9], -1
.LBB111_73:
	s_mov_b64 s[10:11], 0
.LBB111_74:
	s_and_b64 vcc, exec, s[10:11]
	s_cbranch_vccz .LBB111_115
; %bb.75:
	s_cmp_gt_i32 s15, 22
	s_mov_b64 s[10:11], -1
	s_cbranch_scc0 .LBB111_107
; %bb.76:
	s_cmp_lt_i32 s15, 24
	s_mov_b64 s[8:9], -1
	s_cbranch_scc1 .LBB111_96
; %bb.77:
	s_cmp_gt_i32 s15, 24
	s_cbranch_scc0 .LBB111_85
; %bb.78:
	v_cvt_f32_i32_sdwa v2, sext(v4) dst_sel:DWORD dst_unused:UNUSED_PAD src0_sel:WORD_0
	s_mov_b32 s8, 0x47800000
	v_mov_b32_e32 v5, 0x80
	v_and_b32_e32 v3, 0x7fffffff, v2
	v_cmp_gt_u32_e32 vcc, s8, v3
	s_and_saveexec_b64 s[8:9], vcc
	s_cbranch_execz .LBB111_84
; %bb.79:
	s_mov_b32 s10, 0x37ffffff
	v_cmp_lt_u32_e32 vcc, s10, v3
	s_mov_b64 s[10:11], 0
                                        ; implicit-def: $vgpr3
	s_and_saveexec_b64 s[12:13], vcc
	s_xor_b64 s[12:13], exec, s[12:13]
	s_cbranch_execz .LBB111_307
; %bb.80:
	v_bfe_u32 v3, v2, 21, 1
	s_mov_b32 s16, 0x88fffff
	v_add3_u32 v3, v2, v3, s16
	s_mov_b64 s[10:11], exec
	v_lshrrev_b32_e32 v3, 21, v3
	s_andn2_saveexec_b64 s[12:13], s[12:13]
	s_cbranch_execnz .LBB111_308
.LBB111_81:
	s_or_b64 exec, exec, s[12:13]
	v_mov_b32_e32 v5, 0
	s_and_saveexec_b64 s[12:13], s[10:11]
.LBB111_82:
	v_lshrrev_b32_e32 v2, 24, v2
	s_movk_i32 s10, 0x80
	v_and_or_b32 v5, v2, s10, v3
.LBB111_83:
	s_or_b64 exec, exec, s[12:13]
.LBB111_84:
	s_or_b64 exec, exec, s[8:9]
	s_mov_b64 s[8:9], 0
	global_store_byte v[0:1], v5, off
.LBB111_85:
	s_and_b64 vcc, exec, s[8:9]
	s_cbranch_vccz .LBB111_95
; %bb.86:
	v_cvt_f32_i32_sdwa v2, sext(v4) dst_sel:DWORD dst_unused:UNUSED_PAD src0_sel:WORD_0
	s_mov_b32 s8, 0x43f00000
                                        ; implicit-def: $vgpr3
	v_and_b32_e32 v5, 0x7fffffff, v2
	v_cmp_gt_u32_e32 vcc, s8, v5
	s_and_saveexec_b64 s[8:9], vcc
	s_xor_b64 s[8:9], exec, s[8:9]
	s_cbranch_execz .LBB111_92
; %bb.87:
	s_mov_b32 s10, 0x3c7fffff
	v_cmp_lt_u32_e32 vcc, s10, v5
                                        ; implicit-def: $vgpr3
	s_and_saveexec_b64 s[10:11], vcc
	s_xor_b64 s[10:11], exec, s[10:11]
; %bb.88:
	v_bfe_u32 v3, v2, 20, 1
	s_mov_b32 s12, 0x407ffff
	v_add3_u32 v3, v2, v3, s12
	v_lshrrev_b32_e32 v5, 20, v3
	v_and_b32_e32 v3, 0xff00000, v3
	s_mov_b32 s12, 0x7f00000
	v_mov_b32_e32 v6, 0x7e
	v_cmp_ne_u32_e32 vcc, s12, v3
	v_cndmask_b32_e32 v3, v6, v5, vcc
; %bb.89:
	s_andn2_saveexec_b64 s[10:11], s[10:11]
; %bb.90:
	s_mov_b32 s12, 0x46800000
	v_add_f32_e64 v3, |v2|, s12
; %bb.91:
	s_or_b64 exec, exec, s[10:11]
                                        ; implicit-def: $vgpr5
.LBB111_92:
	s_andn2_saveexec_b64 s[8:9], s[8:9]
; %bb.93:
	s_mov_b32 s10, 0x7f800000
	v_mov_b32_e32 v3, 0x7e
	v_mov_b32_e32 v6, 0x7f
	v_cmp_lt_u32_e32 vcc, s10, v5
	v_cndmask_b32_e32 v3, v3, v6, vcc
; %bb.94:
	s_or_b64 exec, exec, s[8:9]
	v_lshrrev_b32_e32 v2, 24, v2
	s_movk_i32 s8, 0x80
	v_and_or_b32 v2, v2, s8, v3
	global_store_byte v[0:1], v2, off
.LBB111_95:
	s_mov_b64 s[8:9], 0
.LBB111_96:
	s_andn2_b64 vcc, exec, s[8:9]
	s_cbranch_vccnz .LBB111_106
; %bb.97:
	v_cvt_f32_i32_sdwa v2, sext(v4) dst_sel:DWORD dst_unused:UNUSED_PAD src0_sel:WORD_0
	s_mov_b32 s8, 0x47800000
                                        ; implicit-def: $vgpr3
	v_and_b32_e32 v5, 0x7fffffff, v2
	v_cmp_gt_u32_e32 vcc, s8, v5
	s_and_saveexec_b64 s[8:9], vcc
	s_xor_b64 s[8:9], exec, s[8:9]
	s_cbranch_execz .LBB111_103
; %bb.98:
	s_mov_b32 s10, 0x387fffff
	v_cmp_lt_u32_e32 vcc, s10, v5
                                        ; implicit-def: $vgpr3
	s_and_saveexec_b64 s[10:11], vcc
	s_xor_b64 s[10:11], exec, s[10:11]
; %bb.99:
	v_bfe_u32 v3, v2, 21, 1
	s_mov_b32 s12, 0x80fffff
	v_add3_u32 v3, v2, v3, s12
	v_lshrrev_b32_e32 v3, 21, v3
; %bb.100:
	s_andn2_saveexec_b64 s[10:11], s[10:11]
; %bb.101:
	s_mov_b32 s12, 0x43000000
	v_add_f32_e64 v3, |v2|, s12
; %bb.102:
	s_or_b64 exec, exec, s[10:11]
                                        ; implicit-def: $vgpr5
.LBB111_103:
	s_andn2_saveexec_b64 s[8:9], s[8:9]
; %bb.104:
	s_mov_b32 s10, 0x7f800000
	v_mov_b32_e32 v3, 0x7c
	v_mov_b32_e32 v6, 0x7f
	v_cmp_lt_u32_e32 vcc, s10, v5
	v_cndmask_b32_e32 v3, v3, v6, vcc
; %bb.105:
	s_or_b64 exec, exec, s[8:9]
	v_lshrrev_b32_e32 v2, 24, v2
	s_movk_i32 s8, 0x80
	v_and_or_b32 v2, v2, s8, v3
	global_store_byte v[0:1], v2, off
.LBB111_106:
	s_mov_b64 s[10:11], 0
	s_mov_b64 s[8:9], -1
.LBB111_107:
	s_andn2_b64 vcc, exec, s[10:11]
	s_cbranch_vccnz .LBB111_115
; %bb.108:
	s_cmp_gt_i32 s15, 14
	s_mov_b64 s[10:11], -1
	s_cbranch_scc0 .LBB111_112
; %bb.109:
	s_cmp_eq_u32 s15, 15
	s_mov_b64 s[0:1], -1
	s_cbranch_scc0 .LBB111_111
; %bb.110:
	v_cvt_f32_i32_sdwa v2, sext(v4) dst_sel:DWORD dst_unused:UNUSED_PAD src0_sel:WORD_0
	s_movk_i32 s0, 0x7fff
	s_mov_b64 s[8:9], -1
	v_bfe_u32 v3, v2, 16, 1
	v_add3_u32 v2, v2, v3, s0
	global_store_short_d16_hi v[0:1], v2, off
	s_mov_b64 s[0:1], 0
.LBB111_111:
	s_mov_b64 s[10:11], 0
.LBB111_112:
	s_and_b64 vcc, exec, s[10:11]
	s_cbranch_vccz .LBB111_115
; %bb.113:
	s_cmp_eq_u32 s15, 11
	s_mov_b64 s[0:1], -1
	s_cbranch_scc0 .LBB111_115
; %bb.114:
	v_cmp_ne_u16_e32 vcc, 0, v4
	v_cndmask_b32_e64 v2, 0, 1, vcc
	s_mov_b64 s[8:9], -1
	s_mov_b64 s[0:1], 0
	global_store_byte v[0:1], v2, off
.LBB111_115:
	s_branch .LBB111_34
.LBB111_116:
	s_and_b32 s10, 0xffff, s14
	s_cmp_lt_i32 s10, 5
	s_mov_b64 s[8:9], -1
	s_cbranch_scc1 .LBB111_137
; %bb.117:
	s_cmp_lt_i32 s10, 8
	s_cbranch_scc1 .LBB111_127
; %bb.118:
	s_cmp_lt_i32 s10, 9
	s_cbranch_scc1 .LBB111_124
; %bb.119:
	s_cmp_gt_i32 s10, 9
	s_cbranch_scc0 .LBB111_121
; %bb.120:
	v_bfe_i32 v2, v4, 0, 16
	v_cvt_f64_i32_e32 v[9:10], v2
	v_mov_b32_e32 v11, 0
	v_mov_b32_e32 v12, v11
	s_mov_b64 s[8:9], 0
	global_store_dwordx4 v[0:1], v[9:12], off
.LBB111_121:
	s_andn2_b64 vcc, exec, s[8:9]
	s_cbranch_vccnz .LBB111_123
; %bb.122:
	v_cvt_f32_i32_sdwa v2, sext(v4) dst_sel:DWORD dst_unused:UNUSED_PAD src0_sel:WORD_0
	v_mov_b32_e32 v3, 0
	global_store_dwordx2 v[0:1], v[2:3], off
.LBB111_123:
	s_mov_b64 s[8:9], 0
.LBB111_124:
	s_andn2_b64 vcc, exec, s[8:9]
	s_cbranch_vccnz .LBB111_126
; %bb.125:
	v_cvt_f16_i16_e32 v2, v4
	global_store_dword v[0:1], v2, off
.LBB111_126:
	s_mov_b64 s[8:9], 0
.LBB111_127:
	s_andn2_b64 vcc, exec, s[8:9]
	s_cbranch_vccnz .LBB111_136
; %bb.128:
	s_cmp_lt_i32 s10, 6
	s_mov_b64 s[8:9], -1
	s_cbranch_scc1 .LBB111_134
; %bb.129:
	s_cmp_gt_i32 s10, 6
	s_cbranch_scc0 .LBB111_131
; %bb.130:
	v_bfe_i32 v2, v4, 0, 16
	v_cvt_f64_i32_e32 v[2:3], v2
	s_mov_b64 s[8:9], 0
	global_store_dwordx2 v[0:1], v[2:3], off
.LBB111_131:
	s_andn2_b64 vcc, exec, s[8:9]
	s_cbranch_vccnz .LBB111_133
; %bb.132:
	v_cvt_f32_i32_sdwa v2, sext(v4) dst_sel:DWORD dst_unused:UNUSED_PAD src0_sel:WORD_0
	global_store_dword v[0:1], v2, off
.LBB111_133:
	s_mov_b64 s[8:9], 0
.LBB111_134:
	s_andn2_b64 vcc, exec, s[8:9]
	s_cbranch_vccnz .LBB111_136
; %bb.135:
	v_cvt_f16_i16_e32 v2, v4
	global_store_short v[0:1], v2, off
.LBB111_136:
	s_mov_b64 s[8:9], 0
.LBB111_137:
	s_andn2_b64 vcc, exec, s[8:9]
	s_cbranch_vccnz .LBB111_153
; %bb.138:
	s_cmp_lt_i32 s10, 2
	s_mov_b64 s[8:9], -1
	s_cbranch_scc1 .LBB111_148
; %bb.139:
	s_cmp_lt_i32 s10, 3
	s_cbranch_scc1 .LBB111_145
; %bb.140:
	s_cmp_gt_i32 s10, 3
	v_bfe_i32 v2, v4, 0, 16
	s_cbranch_scc0 .LBB111_142
; %bb.141:
	v_ashrrev_i32_e32 v3, 31, v2
	global_store_dwordx2 v[0:1], v[2:3], off
	s_mov_b64 s[8:9], 0
.LBB111_142:
	s_andn2_b64 vcc, exec, s[8:9]
	s_cbranch_vccnz .LBB111_144
; %bb.143:
	global_store_dword v[0:1], v2, off
.LBB111_144:
	s_mov_b64 s[8:9], 0
.LBB111_145:
	s_andn2_b64 vcc, exec, s[8:9]
	s_cbranch_vccnz .LBB111_147
; %bb.146:
	global_store_short v[0:1], v4, off
.LBB111_147:
	s_mov_b64 s[8:9], 0
.LBB111_148:
	s_andn2_b64 vcc, exec, s[8:9]
	s_cbranch_vccnz .LBB111_153
; %bb.149:
	s_cmp_gt_i32 s10, 0
	s_mov_b64 s[8:9], -1
	s_cbranch_scc0 .LBB111_151
; %bb.150:
	global_store_byte v[0:1], v4, off
	s_mov_b64 s[8:9], 0
.LBB111_151:
	s_andn2_b64 vcc, exec, s[8:9]
	s_cbranch_vccnz .LBB111_153
; %bb.152:
	global_store_byte v[0:1], v4, off
.LBB111_153:
.LBB111_154:
	v_add_u32_e32 v8, 0x80, v8
	s_mov_b64 s[8:9], -1
	s_branch .LBB111_261
.LBB111_155:
	s_mov_b64 s[2:3], -1
                                        ; implicit-def: $vgpr3
.LBB111_156:
	s_mov_b64 s[8:9], 0
.LBB111_157:
	s_and_b64 vcc, exec, s[8:9]
	s_cbranch_vccz .LBB111_161
; %bb.158:
	s_cmp_eq_u32 s10, 29
	s_cbranch_scc0 .LBB111_160
; %bb.159:
	global_load_dwordx2 v[3:4], v[1:2], off
	s_mov_b64 s[0:1], -1
	s_mov_b64 s[2:3], 0
	s_branch .LBB111_161
.LBB111_160:
	s_mov_b64 s[2:3], -1
                                        ; implicit-def: $vgpr3
.LBB111_161:
	s_mov_b64 s[8:9], 0
.LBB111_162:
	s_and_b64 vcc, exec, s[8:9]
	s_cbranch_vccz .LBB111_178
; %bb.163:
	s_cmp_lt_i32 s10, 27
	s_cbranch_scc1 .LBB111_166
; %bb.164:
	s_cmp_gt_i32 s10, 27
	s_cbranch_scc0 .LBB111_167
; %bb.165:
	global_load_dword v3, v[1:2], off
	s_mov_b64 s[0:1], 0
	s_branch .LBB111_168
.LBB111_166:
	s_mov_b64 s[0:1], -1
                                        ; implicit-def: $vgpr3
	s_branch .LBB111_171
.LBB111_167:
	s_mov_b64 s[0:1], -1
                                        ; implicit-def: $vgpr3
.LBB111_168:
	s_andn2_b64 vcc, exec, s[0:1]
	s_cbranch_vccnz .LBB111_170
; %bb.169:
	global_load_ushort v3, v[1:2], off
.LBB111_170:
	s_mov_b64 s[0:1], 0
.LBB111_171:
	s_andn2_b64 vcc, exec, s[0:1]
	s_cbranch_vccnz .LBB111_177
; %bb.172:
	global_load_ubyte v4, v[1:2], off
	s_movk_i32 s0, 0x7f
	s_mov_b64 s[8:9], 0
	s_waitcnt vmcnt(0)
	v_cmp_lt_i16_e32 vcc, s0, v4
	s_and_saveexec_b64 s[0:1], vcc
	s_xor_b64 s[0:1], exec, s[0:1]
	s_cbranch_execz .LBB111_188
; %bb.173:
	s_movk_i32 s8, 0x80
	v_cmp_ne_u16_e32 vcc, s8, v4
	s_and_b64 s[8:9], vcc, exec
	s_andn2_saveexec_b64 s[0:1], s[0:1]
	s_cbranch_execnz .LBB111_189
.LBB111_174:
	s_or_b64 exec, exec, s[0:1]
	v_mov_b32_e32 v3, 0
	s_and_saveexec_b64 s[0:1], s[8:9]
	s_cbranch_execz .LBB111_176
.LBB111_175:
	v_lshlrev_b32_e32 v3, 24, v4
	v_and_b32_e32 v4, 0xffff, v4
	v_and_b32_e32 v5, 7, v4
	v_ffbh_u32_e32 v7, v5
	v_min_u32_e32 v7, 32, v7
	v_subrev_u32_e32 v9, 28, v7
	v_bfe_u32 v6, v4, 3, 4
	v_lshlrev_b32_e32 v4, v9, v4
	v_sub_u32_e32 v7, 29, v7
	v_and_b32_e32 v4, 7, v4
	v_cmp_eq_u32_e32 vcc, 0, v6
	v_cndmask_b32_e32 v6, v6, v7, vcc
	v_cndmask_b32_e32 v4, v5, v4, vcc
	v_mov_b32_e32 v5, 0x3b800000
	v_lshlrev_b32_e32 v4, 20, v4
	v_and_b32_e32 v3, 0x80000000, v3
	v_lshl_add_u32 v5, v6, 23, v5
	v_or3_b32 v3, v3, v5, v4
	v_cvt_i32_f32_e32 v3, v3
.LBB111_176:
	s_or_b64 exec, exec, s[0:1]
.LBB111_177:
	s_mov_b64 s[0:1], -1
.LBB111_178:
	s_branch .LBB111_211
.LBB111_179:
	s_cmp_gt_i32 s10, 22
	s_cbranch_scc0 .LBB111_187
; %bb.180:
	s_cmp_lt_i32 s10, 24
	s_cbranch_scc1 .LBB111_190
; %bb.181:
	s_cmp_gt_i32 s10, 24
	s_cbranch_scc0 .LBB111_191
; %bb.182:
	global_load_ubyte v4, v[1:2], off
	s_movk_i32 s0, 0x7f
	s_mov_b64 s[8:9], 0
	s_waitcnt vmcnt(0)
	v_cmp_lt_i16_e32 vcc, s0, v4
	s_and_saveexec_b64 s[0:1], vcc
	s_xor_b64 s[0:1], exec, s[0:1]
	s_cbranch_execz .LBB111_203
; %bb.183:
	s_movk_i32 s8, 0x80
	v_cmp_ne_u16_e32 vcc, s8, v4
	s_and_b64 s[8:9], vcc, exec
	s_andn2_saveexec_b64 s[0:1], s[0:1]
	s_cbranch_execnz .LBB111_204
.LBB111_184:
	s_or_b64 exec, exec, s[0:1]
	v_mov_b32_e32 v3, 0
	s_and_saveexec_b64 s[0:1], s[8:9]
	s_cbranch_execz .LBB111_186
.LBB111_185:
	v_lshlrev_b32_e32 v3, 24, v4
	v_and_b32_e32 v4, 0xffff, v4
	v_and_b32_e32 v5, 3, v4
	v_ffbh_u32_e32 v7, v5
	v_min_u32_e32 v7, 32, v7
	v_subrev_u32_e32 v9, 29, v7
	v_bfe_u32 v6, v4, 2, 5
	v_lshlrev_b32_e32 v4, v9, v4
	v_sub_u32_e32 v7, 30, v7
	v_and_b32_e32 v4, 3, v4
	v_cmp_eq_u32_e32 vcc, 0, v6
	v_cndmask_b32_e32 v6, v6, v7, vcc
	v_cndmask_b32_e32 v4, v5, v4, vcc
	v_mov_b32_e32 v5, 0x37800000
	v_lshlrev_b32_e32 v4, 21, v4
	v_and_b32_e32 v3, 0x80000000, v3
	v_lshl_add_u32 v5, v6, 23, v5
	v_or3_b32 v3, v3, v5, v4
	v_cvt_i32_f32_e32 v3, v3
.LBB111_186:
	s_or_b64 exec, exec, s[0:1]
	s_mov_b64 s[0:1], 0
	s_branch .LBB111_192
.LBB111_187:
	s_mov_b64 s[8:9], -1
                                        ; implicit-def: $vgpr3
	s_branch .LBB111_198
.LBB111_188:
	s_andn2_saveexec_b64 s[0:1], s[0:1]
	s_cbranch_execz .LBB111_174
.LBB111_189:
	v_cmp_ne_u16_e32 vcc, 0, v4
	s_andn2_b64 s[8:9], s[8:9], exec
	s_and_b64 s[12:13], vcc, exec
	s_or_b64 s[8:9], s[8:9], s[12:13]
	s_or_b64 exec, exec, s[0:1]
	v_mov_b32_e32 v3, 0
	s_and_saveexec_b64 s[0:1], s[8:9]
	s_cbranch_execnz .LBB111_175
	s_branch .LBB111_176
.LBB111_190:
	s_mov_b64 s[0:1], -1
                                        ; implicit-def: $vgpr3
	s_branch .LBB111_195
.LBB111_191:
	s_mov_b64 s[0:1], -1
                                        ; implicit-def: $vgpr3
.LBB111_192:
	s_and_b64 vcc, exec, s[0:1]
	s_cbranch_vccz .LBB111_194
; %bb.193:
	global_load_ubyte v3, v[1:2], off
	s_mov_b32 s0, 0x7f800000
	s_waitcnt vmcnt(0)
	v_lshlrev_b32_e32 v3, 24, v3
	v_and_b32_e32 v4, 0x7f000000, v3
	v_ffbh_u32_e32 v5, v4
	v_min_u32_e32 v5, 32, v5
	v_sub_u32_e64 v5, v5, 4 clamp
	v_lshlrev_b32_e32 v7, v5, v4
	v_lshlrev_b32_e32 v5, 23, v5
	v_lshrrev_b32_e32 v7, 4, v7
	v_add_u32_e32 v6, 0x1000000, v4
	v_sub_u32_e32 v5, v7, v5
	v_ashrrev_i32_e32 v6, 8, v6
	v_add_u32_e32 v5, 0x3c000000, v5
	v_and_or_b32 v5, v6, s0, v5
	v_cmp_ne_u32_e32 vcc, 0, v4
	v_cndmask_b32_e32 v4, 0, v5, vcc
	s_brev_b32 s0, 1
	v_and_or_b32 v3, v3, s0, v4
	v_cvt_i32_f32_e32 v3, v3
.LBB111_194:
	s_mov_b64 s[0:1], 0
.LBB111_195:
	s_andn2_b64 vcc, exec, s[0:1]
	s_cbranch_vccnz .LBB111_197
; %bb.196:
	global_load_ubyte v3, v[1:2], off
	s_movk_i32 s0, 0x7f00
	s_brev_b32 s1, 16
	s_waitcnt vmcnt(0)
	v_lshlrev_b16_e32 v4, 8, v3
	v_lshlrev_b32_e32 v3, 25, v3
	v_lshrrev_b32_e32 v5, 4, v3
	v_and_or_b32 v6, v4, s0, 0.5
	v_or_b32_e32 v5, 0x70000000, v5
	v_add_f32_e32 v6, -0.5, v6
	v_mul_f32_e32 v5, 0x7800000, v5
	v_cmp_gt_u32_e32 vcc, s1, v3
	v_bfe_i32 v4, v4, 0, 16
	v_cndmask_b32_e32 v3, v5, v6, vcc
	s_brev_b32 s0, 1
	v_and_or_b32 v3, v4, s0, v3
	v_cvt_i32_f32_e32 v3, v3
.LBB111_197:
	s_mov_b64 s[8:9], 0
	s_mov_b64 s[0:1], -1
.LBB111_198:
	s_andn2_b64 vcc, exec, s[8:9]
	s_cbranch_vccnz .LBB111_211
; %bb.199:
	s_cmp_gt_i32 s10, 14
	s_cbranch_scc0 .LBB111_202
; %bb.200:
	s_cmp_eq_u32 s10, 15
	s_cbranch_scc0 .LBB111_205
; %bb.201:
	global_load_ushort v3, v[1:2], off
	s_mov_b64 s[0:1], -1
	s_mov_b64 s[2:3], 0
	s_waitcnt vmcnt(0)
	v_lshlrev_b32_e32 v3, 16, v3
	v_cvt_i32_f32_e32 v3, v3
	s_branch .LBB111_206
.LBB111_202:
	s_mov_b64 s[8:9], -1
                                        ; implicit-def: $vgpr3
	s_branch .LBB111_207
.LBB111_203:
	s_andn2_saveexec_b64 s[0:1], s[0:1]
	s_cbranch_execz .LBB111_184
.LBB111_204:
	v_cmp_ne_u16_e32 vcc, 0, v4
	s_andn2_b64 s[8:9], s[8:9], exec
	s_and_b64 s[12:13], vcc, exec
	s_or_b64 s[8:9], s[8:9], s[12:13]
	s_or_b64 exec, exec, s[0:1]
	v_mov_b32_e32 v3, 0
	s_and_saveexec_b64 s[0:1], s[8:9]
	s_cbranch_execnz .LBB111_185
	s_branch .LBB111_186
.LBB111_205:
	s_mov_b64 s[2:3], -1
                                        ; implicit-def: $vgpr3
.LBB111_206:
	s_mov_b64 s[8:9], 0
.LBB111_207:
	s_and_b64 vcc, exec, s[8:9]
	s_cbranch_vccz .LBB111_211
; %bb.208:
	s_cmp_eq_u32 s10, 11
	s_cbranch_scc0 .LBB111_210
; %bb.209:
	global_load_ubyte v3, v[1:2], off
	s_mov_b64 s[0:1], -1
	s_mov_b64 s[2:3], 0
	s_waitcnt vmcnt(0)
	v_cmp_ne_u16_e32 vcc, 0, v3
	v_cndmask_b32_e64 v3, 0, 1, vcc
	s_branch .LBB111_211
.LBB111_210:
	s_mov_b64 s[2:3], -1
                                        ; implicit-def: $vgpr3
.LBB111_211:
	s_branch .LBB111_24
.LBB111_212:
	s_cmp_lt_i32 s10, 5
	s_cbranch_scc1 .LBB111_217
; %bb.213:
	s_cmp_lt_i32 s10, 8
	s_cbranch_scc1 .LBB111_218
; %bb.214:
	;; [unrolled: 3-line block ×3, first 2 shown]
	s_cmp_gt_i32 s10, 9
	s_cbranch_scc0 .LBB111_220
; %bb.216:
	global_load_dwordx2 v[3:4], v[1:2], off
	s_mov_b64 s[0:1], 0
	s_waitcnt vmcnt(0)
	v_cvt_i32_f64_e32 v3, v[3:4]
	s_branch .LBB111_221
.LBB111_217:
                                        ; implicit-def: $vgpr3
	s_branch .LBB111_239
.LBB111_218:
	s_mov_b64 s[0:1], -1
                                        ; implicit-def: $vgpr3
	s_branch .LBB111_227
.LBB111_219:
	s_mov_b64 s[0:1], -1
                                        ; implicit-def: $vgpr3
	s_branch .LBB111_224
.LBB111_220:
	s_mov_b64 s[0:1], -1
                                        ; implicit-def: $vgpr3
.LBB111_221:
	s_andn2_b64 vcc, exec, s[0:1]
	s_cbranch_vccnz .LBB111_223
; %bb.222:
	global_load_dword v3, v[1:2], off
	s_waitcnt vmcnt(0)
	v_cvt_i32_f32_e32 v3, v3
.LBB111_223:
	s_mov_b64 s[0:1], 0
.LBB111_224:
	s_andn2_b64 vcc, exec, s[0:1]
	s_cbranch_vccnz .LBB111_226
; %bb.225:
	global_load_dword v3, v[1:2], off
	s_waitcnt vmcnt(0)
	v_cvt_i16_f16_e32 v3, v3
.LBB111_226:
	s_mov_b64 s[0:1], 0
.LBB111_227:
	s_andn2_b64 vcc, exec, s[0:1]
	s_cbranch_vccnz .LBB111_238
; %bb.228:
	s_cmp_lt_i32 s10, 6
	s_cbranch_scc1 .LBB111_231
; %bb.229:
	s_cmp_gt_i32 s10, 6
	s_cbranch_scc0 .LBB111_232
; %bb.230:
	global_load_dwordx2 v[3:4], v[1:2], off
	s_mov_b64 s[0:1], 0
	s_waitcnt vmcnt(0)
	v_cvt_i32_f64_e32 v3, v[3:4]
	s_branch .LBB111_233
.LBB111_231:
	s_mov_b64 s[0:1], -1
                                        ; implicit-def: $vgpr3
	s_branch .LBB111_236
.LBB111_232:
	s_mov_b64 s[0:1], -1
                                        ; implicit-def: $vgpr3
.LBB111_233:
	s_andn2_b64 vcc, exec, s[0:1]
	s_cbranch_vccnz .LBB111_235
; %bb.234:
	global_load_dword v3, v[1:2], off
	s_waitcnt vmcnt(0)
	v_cvt_i32_f32_e32 v3, v3
.LBB111_235:
	s_mov_b64 s[0:1], 0
.LBB111_236:
	s_andn2_b64 vcc, exec, s[0:1]
	s_cbranch_vccnz .LBB111_238
; %bb.237:
	global_load_ushort v3, v[1:2], off
	s_waitcnt vmcnt(0)
	v_cvt_i16_f16_e32 v3, v3
.LBB111_238:
	s_cbranch_execnz .LBB111_258
.LBB111_239:
	s_cmp_lt_i32 s10, 2
	s_cbranch_scc1 .LBB111_243
; %bb.240:
	s_cmp_lt_i32 s10, 3
	s_cbranch_scc1 .LBB111_244
; %bb.241:
	s_cmp_gt_i32 s10, 3
	s_cbranch_scc0 .LBB111_245
; %bb.242:
	global_load_dwordx2 v[3:4], v[1:2], off
	s_mov_b64 s[0:1], 0
	s_branch .LBB111_246
.LBB111_243:
	s_mov_b64 s[0:1], -1
                                        ; implicit-def: $vgpr3
	s_branch .LBB111_252
.LBB111_244:
	s_mov_b64 s[0:1], -1
                                        ; implicit-def: $vgpr3
	s_branch .LBB111_249
.LBB111_245:
	s_mov_b64 s[0:1], -1
                                        ; implicit-def: $vgpr3
.LBB111_246:
	s_andn2_b64 vcc, exec, s[0:1]
	s_cbranch_vccnz .LBB111_248
; %bb.247:
	global_load_dword v3, v[1:2], off
.LBB111_248:
	s_mov_b64 s[0:1], 0
.LBB111_249:
	s_andn2_b64 vcc, exec, s[0:1]
	s_cbranch_vccnz .LBB111_251
; %bb.250:
	global_load_ushort v3, v[1:2], off
.LBB111_251:
	s_mov_b64 s[0:1], 0
.LBB111_252:
	s_andn2_b64 vcc, exec, s[0:1]
	s_cbranch_vccnz .LBB111_258
; %bb.253:
	s_cmp_gt_i32 s10, 0
	s_cbranch_scc0 .LBB111_255
; %bb.254:
	global_load_sbyte v3, v[1:2], off
	s_mov_b64 s[0:1], 0
	s_branch .LBB111_256
.LBB111_255:
	s_mov_b64 s[0:1], -1
                                        ; implicit-def: $vgpr3
.LBB111_256:
	s_andn2_b64 vcc, exec, s[0:1]
	s_cbranch_vccnz .LBB111_258
; %bb.257:
	global_load_ubyte v3, v[1:2], off
.LBB111_258:
	s_branch .LBB111_25
.LBB111_259:
	s_mov_b64 s[0:1], 0
.LBB111_260:
	s_mov_b64 s[8:9], 0
                                        ; implicit-def: $vgpr8
.LBB111_261:
	s_and_b64 s[54:55], s[0:1], exec
	s_and_b64 s[56:57], s[2:3], exec
	s_orn2_b64 s[2:3], s[8:9], exec
.LBB111_262:
	s_or_b64 exec, exec, s[58:59]
	s_mov_b64 s[10:11], 0
	s_mov_b64 s[0:1], 0
                                        ; implicit-def: $vgpr1_vgpr2
                                        ; implicit-def: $vgpr0
                                        ; implicit-def: $vgpr3
	s_and_saveexec_b64 s[58:59], s[2:3]
	s_cbranch_execz .LBB111_269
; %bb.263:
	v_cmp_gt_i32_e32 vcc, s72, v8
	s_mov_b64 s[0:1], -1
	s_mov_b64 s[60:61], s[56:57]
	s_mov_b64 s[62:63], s[54:55]
	s_and_saveexec_b64 s[64:65], vcc
	s_cbranch_execz .LBB111_534
; %bb.264:
	s_andn2_b64 vcc, exec, s[40:41]
	s_cbranch_vccnz .LBB111_272
; %bb.265:
	s_andn2_b64 vcc, exec, s[52:53]
	s_cbranch_vccnz .LBB111_273
; %bb.266:
	s_add_i32 s67, s78, 1
	s_cmp_eq_u32 s74, 2
	s_cbranch_scc1 .LBB111_274
; %bb.267:
	s_and_b32 s66, s67, 28
	v_mov_b32_e32 v2, 0
	s_mov_b32 s68, 0
	s_mov_b64 s[60:61], s[34:35]
	s_mov_b64 s[62:63], s[50:51]
	v_mov_b32_e32 v0, 0
	v_mov_b32_e32 v1, v8
.LBB111_268:                            ; =>This Inner Loop Header: Depth=1
	s_load_dwordx8 s[16:23], s[60:61], 0x4
	s_load_dwordx4 s[0:3], s[60:61], 0x24
	s_load_dwordx8 s[8:15], s[62:63], 0x0
	s_add_u32 s60, s60, 48
	s_addc_u32 s61, s61, 0
	s_waitcnt vmcnt(0) lgkmcnt(0)
	v_mul_hi_u32 v3, s17, v1
	s_add_i32 s68, s68, 4
	s_add_u32 s62, s62, 32
	s_addc_u32 s63, s63, 0
	v_add_u32_e32 v3, v1, v3
	v_lshrrev_b32_e32 v3, s18, v3
	v_mul_lo_u32 v4, v3, s16
	v_mul_hi_u32 v5, s20, v3
	s_cmp_eq_u32 s66, s68
	v_sub_u32_e32 v1, v1, v4
	v_add_u32_e32 v4, v3, v5
	v_mul_lo_u32 v5, v1, s8
	v_mul_lo_u32 v6, v1, s9
	v_lshrrev_b32_e32 v1, s21, v4
	v_mul_lo_u32 v4, v1, s19
	v_mul_hi_u32 v7, s23, v1
	v_sub_u32_e32 v3, v3, v4
	v_add_u32_e32 v4, v1, v7
	v_lshrrev_b32_e32 v4, s0, v4
	v_mul_hi_u32 v9, s2, v4
	v_mul_lo_u32 v10, v4, s22
	v_mul_lo_u32 v7, v3, s10
	;; [unrolled: 1-line block ×3, first 2 shown]
	v_sub_u32_e32 v10, v1, v10
	v_add_u32_e32 v1, v4, v9
	v_lshrrev_b32_e32 v1, s3, v1
	v_mul_lo_u32 v9, v1, s1
	v_mul_lo_u32 v11, v10, s12
	;; [unrolled: 1-line block ×3, first 2 shown]
	v_add3_u32 v0, v5, v0, v7
	v_sub_u32_e32 v4, v4, v9
	v_mul_lo_u32 v9, v4, s14
	v_mul_lo_u32 v4, v4, s15
	v_add3_u32 v2, v6, v2, v3
	v_add3_u32 v0, v11, v0, v9
	;; [unrolled: 1-line block ×3, first 2 shown]
	s_cbranch_scc0 .LBB111_268
	s_branch .LBB111_275
.LBB111_269:
	s_or_b64 exec, exec, s[58:59]
	s_mov_b64 s[2:3], 0
	s_and_saveexec_b64 s[8:9], s[56:57]
	s_cbranch_execnz .LBB111_902
.LBB111_270:
	s_or_b64 exec, exec, s[8:9]
	s_and_saveexec_b64 s[8:9], s[62:63]
	s_xor_b64 s[8:9], exec, s[8:9]
	s_cbranch_execz .LBB111_903
.LBB111_271:
	global_load_ubyte v3, v[1:2], off
	s_or_b64 s[0:1], s[0:1], exec
	s_waitcnt vmcnt(0)
	v_cmp_ne_u16_e32 vcc, 0, v3
	v_cndmask_b32_e64 v3, 0, 1, vcc
	s_or_b64 exec, exec, s[8:9]
	s_and_saveexec_b64 s[8:9], s[10:11]
	s_cbranch_execz .LBB111_949
	s_branch .LBB111_904
.LBB111_272:
                                        ; implicit-def: $vgpr0
                                        ; implicit-def: $vgpr2
	s_andn2_b64 vcc, exec, s[0:1]
	s_cbranch_vccz .LBB111_279
	s_branch .LBB111_281
.LBB111_273:
	v_mov_b32_e32 v0, 0
	v_mov_b32_e32 v2, 0
	s_branch .LBB111_278
.LBB111_274:
	s_mov_b32 s66, 0
	v_mov_b32_e32 v0, 0
	v_mov_b32_e32 v2, 0
	v_mov_b32_e32 v1, v8
.LBB111_275:
	s_and_b32 s8, s67, 3
	s_cmp_eq_u32 s8, 0
	s_cbranch_scc1 .LBB111_278
; %bb.276:
	s_lshl_b32 s0, s66, 3
	s_add_u32 s0, s34, s0
	s_addc_u32 s1, s35, 0
	s_add_u32 s0, s0, 0xc4
	s_addc_u32 s1, s1, 0
	s_mul_i32 s2, s66, 12
	s_add_u32 s2, s34, s2
	s_addc_u32 s3, s35, 0
.LBB111_277:                            ; =>This Inner Loop Header: Depth=1
	s_load_dwordx2 s[10:11], s[2:3], 0x4
	s_load_dword s9, s[2:3], 0xc
	s_load_dwordx2 s[12:13], s[0:1], 0x0
	s_add_u32 s2, s2, 12
	s_addc_u32 s3, s3, 0
	s_waitcnt vmcnt(0) lgkmcnt(0)
	v_mul_hi_u32 v3, s11, v1
	s_add_u32 s0, s0, 8
	s_addc_u32 s1, s1, 0
	s_add_i32 s8, s8, -1
	v_add_u32_e32 v3, v1, v3
	v_lshrrev_b32_e32 v4, s9, v3
	v_mul_lo_u32 v3, v4, s10
	s_cmp_lg_u32 s8, 0
	v_sub_u32_e32 v3, v1, v3
	v_mad_u64_u32 v[0:1], s[10:11], v3, s12, v[0:1]
	v_mad_u64_u32 v[2:3], s[10:11], v3, s13, v[2:3]
	v_mov_b32_e32 v1, v4
	s_cbranch_scc1 .LBB111_277
.LBB111_278:
	s_cbranch_execnz .LBB111_281
.LBB111_279:
	v_mul_hi_u32 v0, s29, v8
	s_andn2_b64 vcc, exec, s[48:49]
	v_add_u32_e32 v0, v8, v0
	v_lshrrev_b32_e32 v1, s30, v0
	v_mul_lo_u32 v0, v1, s28
	v_sub_u32_e32 v2, v8, v0
	v_mul_lo_u32 v0, v2, s36
	v_mul_lo_u32 v2, v2, s37
	s_cbranch_vccnz .LBB111_281
; %bb.280:
	s_waitcnt vmcnt(0)
	v_mul_hi_u32 v3, s46, v1
	v_add_u32_e32 v3, v1, v3
	v_lshrrev_b32_e32 v3, s47, v3
	v_mul_lo_u32 v3, v3, s31
	v_sub_u32_e32 v3, v1, v3
	v_mad_u64_u32 v[0:1], s[0:1], v3, s38, v[0:1]
	v_mad_u64_u32 v[2:3], s[0:1], v3, s39, v[2:3]
.LBB111_281:
	s_waitcnt vmcnt(0)
	v_mov_b32_e32 v3, s27
	s_and_b32 s10, 0xffff, s77
	v_add_co_u32_e32 v1, vcc, s26, v2
	s_cmp_lt_i32 s10, 11
	v_addc_co_u32_e32 v2, vcc, 0, v3, vcc
	s_cbranch_scc1 .LBB111_288
; %bb.282:
	s_cmp_gt_i32 s10, 25
	s_cbranch_scc0 .LBB111_297
; %bb.283:
	s_cmp_gt_i32 s10, 28
	s_cbranch_scc0 .LBB111_299
	;; [unrolled: 3-line block ×4, first 2 shown]
; %bb.286:
	s_cmp_eq_u32 s10, 46
	s_mov_b64 s[8:9], 0
	s_cbranch_scc0 .LBB111_309
; %bb.287:
	global_load_dword v3, v[1:2], off
	s_mov_b64 s[0:1], -1
	s_mov_b64 s[2:3], 0
	s_waitcnt vmcnt(0)
	v_lshlrev_b32_e32 v3, 16, v3
	v_cvt_i32_f32_e32 v3, v3
	s_branch .LBB111_310
.LBB111_288:
	s_mov_b64 s[0:1], 0
                                        ; implicit-def: $vgpr3
	s_mov_b64 s[2:3], s[56:57]
	s_cbranch_execnz .LBB111_483
.LBB111_289:
	s_andn2_b64 vcc, exec, s[0:1]
	s_cbranch_vccnz .LBB111_531
.LBB111_290:
	s_waitcnt vmcnt(0)
	v_lshlrev_b32_e32 v1, s76, v3
	v_cndmask_b32_e64 v4, v1, 0, s[44:45]
	v_mov_b32_e32 v1, s25
	s_and_b32 s14, s75, 0xff
	v_add_co_u32_e32 v0, vcc, s24, v0
	s_cmp_lt_i32 s14, 11
	v_addc_co_u32_e32 v1, vcc, 0, v1, vcc
	s_cbranch_scc1 .LBB111_298
; %bb.291:
	s_and_b32 s15, 0xffff, s14
	s_cmp_gt_i32 s15, 25
	s_cbranch_scc0 .LBB111_300
; %bb.292:
	s_cmp_gt_i32 s15, 28
	s_cbranch_scc0 .LBB111_302
; %bb.293:
	;; [unrolled: 3-line block ×4, first 2 shown]
	s_mov_b64 s[10:11], 0
	s_mov_b64 s[0:1], -1
	s_cmp_eq_u32 s15, 46
	s_mov_b64 s[8:9], 0
	s_cbranch_scc0 .LBB111_314
; %bb.296:
	v_cvt_f32_i32_sdwa v2, sext(v4) dst_sel:DWORD dst_unused:UNUSED_PAD src0_sel:WORD_0
	s_movk_i32 s0, 0x7fff
	s_mov_b64 s[8:9], -1
	v_bfe_u32 v3, v2, 16, 1
	v_add3_u32 v2, v2, v3, s0
	v_lshrrev_b32_e32 v2, 16, v2
	global_store_dword v[0:1], v2, off
	s_mov_b64 s[0:1], 0
	s_branch .LBB111_314
.LBB111_297:
	s_mov_b64 s[8:9], -1
	s_mov_b64 s[0:1], 0
	s_mov_b64 s[2:3], s[56:57]
                                        ; implicit-def: $vgpr3
	s_branch .LBB111_449
.LBB111_298:
	s_mov_b64 s[10:11], -1
	s_mov_b64 s[8:9], 0
	s_mov_b64 s[0:1], s[54:55]
	s_branch .LBB111_383
.LBB111_299:
	s_mov_b64 s[8:9], -1
	s_mov_b64 s[0:1], 0
	s_mov_b64 s[2:3], s[56:57]
                                        ; implicit-def: $vgpr3
	s_branch .LBB111_432
.LBB111_300:
	s_mov_b64 s[10:11], -1
	s_mov_b64 s[8:9], 0
	s_mov_b64 s[0:1], s[54:55]
	s_branch .LBB111_341
.LBB111_301:
	s_mov_b64 s[8:9], -1
	s_mov_b64 s[0:1], 0
	s_mov_b64 s[2:3], s[56:57]
                                        ; implicit-def: $vgpr3
	s_branch .LBB111_427
.LBB111_302:
	s_mov_b64 s[10:11], -1
	s_mov_b64 s[8:9], 0
	s_mov_b64 s[0:1], s[54:55]
	s_branch .LBB111_324
.LBB111_303:
	s_andn2_saveexec_b64 s[12:13], s[12:13]
	s_cbranch_execz .LBB111_68
.LBB111_304:
	s_mov_b32 s16, 0x46000000
	v_add_f32_e64 v3, |v2|, s16
	v_and_b32_e32 v3, 0xff, v3
	v_cmp_ne_u32_e32 vcc, 0, v3
	s_andn2_b64 s[10:11], s[10:11], exec
	s_and_b64 s[16:17], vcc, exec
	s_or_b64 s[10:11], s[10:11], s[16:17]
	s_or_b64 exec, exec, s[12:13]
	v_mov_b32_e32 v5, 0
	s_and_saveexec_b64 s[12:13], s[10:11]
	s_cbranch_execnz .LBB111_69
	s_branch .LBB111_70
.LBB111_305:
	s_mov_b64 s[8:9], -1
	s_mov_b64 s[0:1], 0
	s_mov_b64 s[2:3], s[56:57]
                                        ; implicit-def: $vgpr3
	s_branch .LBB111_310
.LBB111_306:
	s_mov_b64 s[10:11], -1
	s_mov_b64 s[8:9], 0
	s_mov_b64 s[0:1], s[54:55]
	s_branch .LBB111_320
.LBB111_307:
	s_andn2_saveexec_b64 s[12:13], s[12:13]
	s_cbranch_execz .LBB111_81
.LBB111_308:
	s_mov_b32 s16, 0x42800000
	v_add_f32_e64 v3, |v2|, s16
	v_and_b32_e32 v3, 0xff, v3
	v_cmp_ne_u32_e32 vcc, 0, v3
	s_andn2_b64 s[10:11], s[10:11], exec
	s_and_b64 s[16:17], vcc, exec
	s_or_b64 s[10:11], s[10:11], s[16:17]
	s_or_b64 exec, exec, s[12:13]
	v_mov_b32_e32 v5, 0
	s_and_saveexec_b64 s[12:13], s[10:11]
	s_cbranch_execnz .LBB111_82
	s_branch .LBB111_83
.LBB111_309:
	s_mov_b64 s[2:3], -1
                                        ; implicit-def: $vgpr3
	s_mov_b64 s[0:1], 0
.LBB111_310:
	s_and_b64 vcc, exec, s[8:9]
	s_cbranch_vccz .LBB111_426
; %bb.311:
	s_cmp_eq_u32 s10, 44
	s_cbranch_scc0 .LBB111_425
; %bb.312:
	global_load_ubyte v3, v[1:2], off
	s_mov_b64 s[0:1], -1
	s_mov_b64 s[2:3], 0
	s_waitcnt vmcnt(0)
	v_lshlrev_b32_e32 v4, 23, v3
	v_cvt_i32_f32_e32 v4, v4
	v_cmp_ne_u32_e32 vcc, 0, v3
	v_cndmask_b32_e32 v3, 0, v4, vcc
	s_branch .LBB111_426
.LBB111_313:
	s_mov_b64 s[10:11], -1
	s_mov_b64 s[8:9], 0
	s_mov_b64 s[0:1], s[54:55]
.LBB111_314:
	s_and_b64 vcc, exec, s[10:11]
	s_cbranch_vccz .LBB111_319
; %bb.315:
	s_cmp_eq_u32 s15, 44
	s_mov_b64 s[0:1], -1
	s_cbranch_scc0 .LBB111_319
; %bb.316:
	v_cvt_f32_i32_sdwa v2, sext(v4) dst_sel:DWORD dst_unused:UNUSED_PAD src0_sel:WORD_0
	s_movk_i32 s0, 0xff
	v_mov_b32_e32 v5, 0xff
	v_bfe_u32 v3, v2, 23, 8
	v_cmp_ne_u32_e32 vcc, s0, v3
	s_and_saveexec_b64 s[8:9], vcc
; %bb.317:
	s_mov_b32 s0, 0x3fffff
	v_lshrrev_b32_e32 v5, 23, v2
	v_and_b32_e32 v6, 0x400000, v2
	v_and_or_b32 v2, v2, s0, v3
	v_cmp_ne_u32_e32 vcc, 0, v6
	v_cmp_ne_u32_e64 s[0:1], 0, v2
	s_and_b64 s[0:1], vcc, s[0:1]
	v_cndmask_b32_e64 v2, 0, 1, s[0:1]
	v_add_u32_e32 v5, v5, v2
; %bb.318:
	s_or_b64 exec, exec, s[8:9]
	s_mov_b64 s[8:9], -1
	s_mov_b64 s[0:1], 0
	global_store_byte v[0:1], v5, off
.LBB111_319:
	s_mov_b64 s[10:11], 0
.LBB111_320:
	s_and_b64 vcc, exec, s[10:11]
	s_cbranch_vccz .LBB111_323
; %bb.321:
	s_cmp_eq_u32 s15, 29
	s_mov_b64 s[0:1], -1
	s_cbranch_scc0 .LBB111_323
; %bb.322:
	v_bfe_i32 v2, v4, 0, 16
	v_ashrrev_i32_e32 v3, 31, v2
	global_store_dwordx2 v[0:1], v[2:3], off
	s_mov_b64 s[8:9], -1
	s_mov_b64 s[0:1], 0
.LBB111_323:
	s_mov_b64 s[10:11], 0
.LBB111_324:
	s_and_b64 vcc, exec, s[10:11]
	s_cbranch_vccz .LBB111_340
; %bb.325:
	s_cmp_lt_i32 s15, 27
	s_mov_b64 s[8:9], -1
	s_cbranch_scc1 .LBB111_331
; %bb.326:
	s_cmp_gt_i32 s15, 27
	s_cbranch_scc0 .LBB111_328
; %bb.327:
	v_bfe_i32 v2, v4, 0, 16
	s_mov_b64 s[8:9], 0
	global_store_dword v[0:1], v2, off
.LBB111_328:
	s_andn2_b64 vcc, exec, s[8:9]
	s_cbranch_vccnz .LBB111_330
; %bb.329:
	global_store_short v[0:1], v4, off
.LBB111_330:
	s_mov_b64 s[8:9], 0
.LBB111_331:
	s_andn2_b64 vcc, exec, s[8:9]
	s_cbranch_vccnz .LBB111_339
; %bb.332:
	v_cvt_f32_i32_sdwa v2, sext(v4) dst_sel:DWORD dst_unused:UNUSED_PAD src0_sel:WORD_0
	s_mov_b32 s8, 0x43800000
	v_mov_b32_e32 v5, 0x80
	v_and_b32_e32 v3, 0x7fffffff, v2
	v_cmp_gt_u32_e32 vcc, s8, v3
	s_and_saveexec_b64 s[8:9], vcc
	s_cbranch_execz .LBB111_338
; %bb.333:
	s_mov_b32 s10, 0x3bffffff
	v_cmp_lt_u32_e32 vcc, s10, v3
	s_mov_b64 s[10:11], 0
                                        ; implicit-def: $vgpr3
	s_and_saveexec_b64 s[12:13], vcc
	s_xor_b64 s[12:13], exec, s[12:13]
	s_cbranch_execz .LBB111_562
; %bb.334:
	v_bfe_u32 v3, v2, 20, 1
	s_mov_b32 s16, 0x487ffff
	v_add3_u32 v3, v2, v3, s16
	s_mov_b64 s[10:11], exec
	v_lshrrev_b32_e32 v3, 20, v3
	s_andn2_saveexec_b64 s[12:13], s[12:13]
	s_cbranch_execnz .LBB111_563
.LBB111_335:
	s_or_b64 exec, exec, s[12:13]
	v_mov_b32_e32 v5, 0
	s_and_saveexec_b64 s[12:13], s[10:11]
.LBB111_336:
	v_lshrrev_b32_e32 v2, 24, v2
	s_movk_i32 s10, 0x80
	v_and_or_b32 v5, v2, s10, v3
.LBB111_337:
	s_or_b64 exec, exec, s[12:13]
.LBB111_338:
	s_or_b64 exec, exec, s[8:9]
	global_store_byte v[0:1], v5, off
.LBB111_339:
	s_mov_b64 s[8:9], -1
.LBB111_340:
	s_mov_b64 s[10:11], 0
.LBB111_341:
	s_and_b64 vcc, exec, s[10:11]
	s_cbranch_vccz .LBB111_382
; %bb.342:
	s_cmp_gt_i32 s15, 22
	s_mov_b64 s[10:11], -1
	s_cbranch_scc0 .LBB111_374
; %bb.343:
	s_cmp_lt_i32 s15, 24
	s_mov_b64 s[8:9], -1
	s_cbranch_scc1 .LBB111_363
; %bb.344:
	s_cmp_gt_i32 s15, 24
	s_cbranch_scc0 .LBB111_352
; %bb.345:
	v_cvt_f32_i32_sdwa v2, sext(v4) dst_sel:DWORD dst_unused:UNUSED_PAD src0_sel:WORD_0
	s_mov_b32 s8, 0x47800000
	v_mov_b32_e32 v5, 0x80
	v_and_b32_e32 v3, 0x7fffffff, v2
	v_cmp_gt_u32_e32 vcc, s8, v3
	s_and_saveexec_b64 s[8:9], vcc
	s_cbranch_execz .LBB111_351
; %bb.346:
	s_mov_b32 s10, 0x37ffffff
	v_cmp_lt_u32_e32 vcc, s10, v3
	s_mov_b64 s[10:11], 0
                                        ; implicit-def: $vgpr3
	s_and_saveexec_b64 s[12:13], vcc
	s_xor_b64 s[12:13], exec, s[12:13]
	s_cbranch_execz .LBB111_565
; %bb.347:
	v_bfe_u32 v3, v2, 21, 1
	s_mov_b32 s16, 0x88fffff
	v_add3_u32 v3, v2, v3, s16
	s_mov_b64 s[10:11], exec
	v_lshrrev_b32_e32 v3, 21, v3
	s_andn2_saveexec_b64 s[12:13], s[12:13]
	s_cbranch_execnz .LBB111_566
.LBB111_348:
	s_or_b64 exec, exec, s[12:13]
	v_mov_b32_e32 v5, 0
	s_and_saveexec_b64 s[12:13], s[10:11]
.LBB111_349:
	v_lshrrev_b32_e32 v2, 24, v2
	s_movk_i32 s10, 0x80
	v_and_or_b32 v5, v2, s10, v3
.LBB111_350:
	s_or_b64 exec, exec, s[12:13]
.LBB111_351:
	s_or_b64 exec, exec, s[8:9]
	s_mov_b64 s[8:9], 0
	global_store_byte v[0:1], v5, off
.LBB111_352:
	s_and_b64 vcc, exec, s[8:9]
	s_cbranch_vccz .LBB111_362
; %bb.353:
	v_cvt_f32_i32_sdwa v2, sext(v4) dst_sel:DWORD dst_unused:UNUSED_PAD src0_sel:WORD_0
	s_mov_b32 s8, 0x43f00000
                                        ; implicit-def: $vgpr3
	v_and_b32_e32 v5, 0x7fffffff, v2
	v_cmp_gt_u32_e32 vcc, s8, v5
	s_and_saveexec_b64 s[8:9], vcc
	s_xor_b64 s[8:9], exec, s[8:9]
	s_cbranch_execz .LBB111_359
; %bb.354:
	s_mov_b32 s10, 0x3c7fffff
	v_cmp_lt_u32_e32 vcc, s10, v5
                                        ; implicit-def: $vgpr3
	s_and_saveexec_b64 s[10:11], vcc
	s_xor_b64 s[10:11], exec, s[10:11]
; %bb.355:
	v_bfe_u32 v3, v2, 20, 1
	s_mov_b32 s12, 0x407ffff
	v_add3_u32 v3, v2, v3, s12
	v_lshrrev_b32_e32 v5, 20, v3
	v_and_b32_e32 v3, 0xff00000, v3
	s_mov_b32 s12, 0x7f00000
	v_mov_b32_e32 v6, 0x7e
	v_cmp_ne_u32_e32 vcc, s12, v3
	v_cndmask_b32_e32 v3, v6, v5, vcc
; %bb.356:
	s_andn2_saveexec_b64 s[10:11], s[10:11]
; %bb.357:
	s_mov_b32 s12, 0x46800000
	v_add_f32_e64 v3, |v2|, s12
; %bb.358:
	s_or_b64 exec, exec, s[10:11]
                                        ; implicit-def: $vgpr5
.LBB111_359:
	s_andn2_saveexec_b64 s[8:9], s[8:9]
; %bb.360:
	s_mov_b32 s10, 0x7f800000
	v_mov_b32_e32 v3, 0x7e
	v_mov_b32_e32 v6, 0x7f
	v_cmp_lt_u32_e32 vcc, s10, v5
	v_cndmask_b32_e32 v3, v3, v6, vcc
; %bb.361:
	s_or_b64 exec, exec, s[8:9]
	v_lshrrev_b32_e32 v2, 24, v2
	s_movk_i32 s8, 0x80
	v_and_or_b32 v2, v2, s8, v3
	global_store_byte v[0:1], v2, off
.LBB111_362:
	s_mov_b64 s[8:9], 0
.LBB111_363:
	s_andn2_b64 vcc, exec, s[8:9]
	s_cbranch_vccnz .LBB111_373
; %bb.364:
	v_cvt_f32_i32_sdwa v2, sext(v4) dst_sel:DWORD dst_unused:UNUSED_PAD src0_sel:WORD_0
	s_mov_b32 s8, 0x47800000
                                        ; implicit-def: $vgpr3
	v_and_b32_e32 v5, 0x7fffffff, v2
	v_cmp_gt_u32_e32 vcc, s8, v5
	s_and_saveexec_b64 s[8:9], vcc
	s_xor_b64 s[8:9], exec, s[8:9]
	s_cbranch_execz .LBB111_370
; %bb.365:
	s_mov_b32 s10, 0x387fffff
	v_cmp_lt_u32_e32 vcc, s10, v5
                                        ; implicit-def: $vgpr3
	s_and_saveexec_b64 s[10:11], vcc
	s_xor_b64 s[10:11], exec, s[10:11]
; %bb.366:
	v_bfe_u32 v3, v2, 21, 1
	s_mov_b32 s12, 0x80fffff
	v_add3_u32 v3, v2, v3, s12
	v_lshrrev_b32_e32 v3, 21, v3
; %bb.367:
	s_andn2_saveexec_b64 s[10:11], s[10:11]
; %bb.368:
	s_mov_b32 s12, 0x43000000
	v_add_f32_e64 v3, |v2|, s12
; %bb.369:
	s_or_b64 exec, exec, s[10:11]
                                        ; implicit-def: $vgpr5
.LBB111_370:
	s_andn2_saveexec_b64 s[8:9], s[8:9]
; %bb.371:
	s_mov_b32 s10, 0x7f800000
	v_mov_b32_e32 v3, 0x7c
	v_mov_b32_e32 v6, 0x7f
	v_cmp_lt_u32_e32 vcc, s10, v5
	v_cndmask_b32_e32 v3, v3, v6, vcc
; %bb.372:
	s_or_b64 exec, exec, s[8:9]
	v_lshrrev_b32_e32 v2, 24, v2
	s_movk_i32 s8, 0x80
	v_and_or_b32 v2, v2, s8, v3
	global_store_byte v[0:1], v2, off
.LBB111_373:
	s_mov_b64 s[10:11], 0
	s_mov_b64 s[8:9], -1
.LBB111_374:
	s_andn2_b64 vcc, exec, s[10:11]
	s_cbranch_vccnz .LBB111_382
; %bb.375:
	s_cmp_gt_i32 s15, 14
	s_mov_b64 s[10:11], -1
	s_cbranch_scc0 .LBB111_379
; %bb.376:
	s_cmp_eq_u32 s15, 15
	s_mov_b64 s[0:1], -1
	s_cbranch_scc0 .LBB111_378
; %bb.377:
	v_cvt_f32_i32_sdwa v2, sext(v4) dst_sel:DWORD dst_unused:UNUSED_PAD src0_sel:WORD_0
	s_movk_i32 s0, 0x7fff
	s_mov_b64 s[8:9], -1
	v_bfe_u32 v3, v2, 16, 1
	v_add3_u32 v2, v2, v3, s0
	global_store_short_d16_hi v[0:1], v2, off
	s_mov_b64 s[0:1], 0
.LBB111_378:
	s_mov_b64 s[10:11], 0
.LBB111_379:
	s_and_b64 vcc, exec, s[10:11]
	s_cbranch_vccz .LBB111_382
; %bb.380:
	s_cmp_eq_u32 s15, 11
	s_mov_b64 s[0:1], -1
	s_cbranch_scc0 .LBB111_382
; %bb.381:
	v_cmp_ne_u16_e32 vcc, 0, v4
	v_cndmask_b32_e64 v2, 0, 1, vcc
	s_mov_b64 s[8:9], -1
	s_mov_b64 s[0:1], 0
	global_store_byte v[0:1], v2, off
.LBB111_382:
	s_mov_b64 s[10:11], 0
.LBB111_383:
	s_and_b64 vcc, exec, s[10:11]
	s_cbranch_vccz .LBB111_422
; %bb.384:
	s_and_b32 s10, 0xffff, s14
	s_cmp_lt_i32 s10, 5
	s_mov_b64 s[8:9], -1
	s_cbranch_scc1 .LBB111_405
; %bb.385:
	s_cmp_lt_i32 s10, 8
	s_cbranch_scc1 .LBB111_395
; %bb.386:
	s_cmp_lt_i32 s10, 9
	s_cbranch_scc1 .LBB111_392
; %bb.387:
	s_cmp_gt_i32 s10, 9
	s_cbranch_scc0 .LBB111_389
; %bb.388:
	v_bfe_i32 v2, v4, 0, 16
	v_cvt_f64_i32_e32 v[9:10], v2
	v_mov_b32_e32 v11, 0
	v_mov_b32_e32 v12, v11
	s_mov_b64 s[8:9], 0
	global_store_dwordx4 v[0:1], v[9:12], off
.LBB111_389:
	s_andn2_b64 vcc, exec, s[8:9]
	s_cbranch_vccnz .LBB111_391
; %bb.390:
	v_cvt_f32_i32_sdwa v2, sext(v4) dst_sel:DWORD dst_unused:UNUSED_PAD src0_sel:WORD_0
	v_mov_b32_e32 v3, 0
	global_store_dwordx2 v[0:1], v[2:3], off
.LBB111_391:
	s_mov_b64 s[8:9], 0
.LBB111_392:
	s_andn2_b64 vcc, exec, s[8:9]
	s_cbranch_vccnz .LBB111_394
; %bb.393:
	v_cvt_f16_i16_e32 v2, v4
	global_store_dword v[0:1], v2, off
.LBB111_394:
	s_mov_b64 s[8:9], 0
.LBB111_395:
	s_andn2_b64 vcc, exec, s[8:9]
	s_cbranch_vccnz .LBB111_404
; %bb.396:
	s_cmp_lt_i32 s10, 6
	s_mov_b64 s[8:9], -1
	s_cbranch_scc1 .LBB111_402
; %bb.397:
	s_cmp_gt_i32 s10, 6
	s_cbranch_scc0 .LBB111_399
; %bb.398:
	v_bfe_i32 v2, v4, 0, 16
	v_cvt_f64_i32_e32 v[2:3], v2
	s_mov_b64 s[8:9], 0
	global_store_dwordx2 v[0:1], v[2:3], off
.LBB111_399:
	s_andn2_b64 vcc, exec, s[8:9]
	s_cbranch_vccnz .LBB111_401
; %bb.400:
	v_cvt_f32_i32_sdwa v2, sext(v4) dst_sel:DWORD dst_unused:UNUSED_PAD src0_sel:WORD_0
	global_store_dword v[0:1], v2, off
.LBB111_401:
	s_mov_b64 s[8:9], 0
.LBB111_402:
	s_andn2_b64 vcc, exec, s[8:9]
	s_cbranch_vccnz .LBB111_404
; %bb.403:
	v_cvt_f16_i16_e32 v2, v4
	global_store_short v[0:1], v2, off
.LBB111_404:
	s_mov_b64 s[8:9], 0
.LBB111_405:
	s_andn2_b64 vcc, exec, s[8:9]
	s_cbranch_vccnz .LBB111_421
; %bb.406:
	s_cmp_lt_i32 s10, 2
	s_mov_b64 s[8:9], -1
	s_cbranch_scc1 .LBB111_416
; %bb.407:
	s_cmp_lt_i32 s10, 3
	s_cbranch_scc1 .LBB111_413
; %bb.408:
	s_cmp_gt_i32 s10, 3
	v_bfe_i32 v2, v4, 0, 16
	s_cbranch_scc0 .LBB111_410
; %bb.409:
	v_ashrrev_i32_e32 v3, 31, v2
	s_mov_b64 s[8:9], 0
	global_store_dwordx2 v[0:1], v[2:3], off
.LBB111_410:
	s_andn2_b64 vcc, exec, s[8:9]
	s_cbranch_vccnz .LBB111_412
; %bb.411:
	global_store_dword v[0:1], v2, off
.LBB111_412:
	s_mov_b64 s[8:9], 0
.LBB111_413:
	s_andn2_b64 vcc, exec, s[8:9]
	s_cbranch_vccnz .LBB111_415
; %bb.414:
	global_store_short v[0:1], v4, off
.LBB111_415:
	s_mov_b64 s[8:9], 0
.LBB111_416:
	s_andn2_b64 vcc, exec, s[8:9]
	s_cbranch_vccnz .LBB111_421
; %bb.417:
	s_cmp_gt_i32 s10, 0
	s_mov_b64 s[8:9], -1
	s_cbranch_scc0 .LBB111_419
; %bb.418:
	s_mov_b64 s[8:9], 0
	global_store_byte v[0:1], v4, off
.LBB111_419:
	s_andn2_b64 vcc, exec, s[8:9]
	s_cbranch_vccnz .LBB111_421
; %bb.420:
	global_store_byte v[0:1], v4, off
.LBB111_421:
	s_mov_b64 s[8:9], -1
.LBB111_422:
	s_andn2_b64 vcc, exec, s[8:9]
	s_cbranch_vccnz .LBB111_424
; %bb.423:
	v_add_u32_e32 v8, 0x80, v8
	s_mov_b64 s[8:9], -1
	s_branch .LBB111_533
.LBB111_424:
	s_mov_b64 s[8:9], 0
	s_branch .LBB111_532
.LBB111_425:
	s_mov_b64 s[2:3], -1
                                        ; implicit-def: $vgpr3
.LBB111_426:
	s_mov_b64 s[8:9], 0
.LBB111_427:
	s_and_b64 vcc, exec, s[8:9]
	s_cbranch_vccz .LBB111_431
; %bb.428:
	s_cmp_eq_u32 s10, 29
	s_cbranch_scc0 .LBB111_430
; %bb.429:
	global_load_dwordx2 v[3:4], v[1:2], off
	s_mov_b64 s[0:1], -1
	s_mov_b64 s[2:3], 0
	s_branch .LBB111_431
.LBB111_430:
	s_mov_b64 s[2:3], -1
                                        ; implicit-def: $vgpr3
.LBB111_431:
	s_mov_b64 s[8:9], 0
.LBB111_432:
	s_and_b64 vcc, exec, s[8:9]
	s_cbranch_vccz .LBB111_448
; %bb.433:
	s_cmp_lt_i32 s10, 27
	s_cbranch_scc1 .LBB111_436
; %bb.434:
	s_cmp_gt_i32 s10, 27
	s_cbranch_scc0 .LBB111_437
; %bb.435:
	global_load_dword v3, v[1:2], off
	s_mov_b64 s[0:1], 0
	s_branch .LBB111_438
.LBB111_436:
	s_mov_b64 s[0:1], -1
                                        ; implicit-def: $vgpr3
	s_branch .LBB111_441
.LBB111_437:
	s_mov_b64 s[0:1], -1
                                        ; implicit-def: $vgpr3
.LBB111_438:
	s_andn2_b64 vcc, exec, s[0:1]
	s_cbranch_vccnz .LBB111_440
; %bb.439:
	global_load_ushort v3, v[1:2], off
.LBB111_440:
	s_mov_b64 s[0:1], 0
.LBB111_441:
	s_andn2_b64 vcc, exec, s[0:1]
	s_cbranch_vccnz .LBB111_447
; %bb.442:
	global_load_ubyte v4, v[1:2], off
	s_movk_i32 s0, 0x7f
	s_mov_b64 s[8:9], 0
	s_waitcnt vmcnt(0)
	v_cmp_lt_i16_e32 vcc, s0, v4
	s_and_saveexec_b64 s[0:1], vcc
	s_xor_b64 s[0:1], exec, s[0:1]
	s_cbranch_execz .LBB111_459
; %bb.443:
	s_movk_i32 s8, 0x80
	v_cmp_ne_u16_e32 vcc, s8, v4
	s_and_b64 s[8:9], vcc, exec
	s_andn2_saveexec_b64 s[0:1], s[0:1]
	s_cbranch_execnz .LBB111_460
.LBB111_444:
	s_or_b64 exec, exec, s[0:1]
	v_mov_b32_e32 v3, 0
	s_and_saveexec_b64 s[0:1], s[8:9]
	s_cbranch_execz .LBB111_446
.LBB111_445:
	v_lshlrev_b32_e32 v3, 24, v4
	v_and_b32_e32 v4, 0xffff, v4
	v_and_b32_e32 v5, 7, v4
	v_ffbh_u32_e32 v7, v5
	v_min_u32_e32 v7, 32, v7
	v_subrev_u32_e32 v9, 28, v7
	v_bfe_u32 v6, v4, 3, 4
	v_lshlrev_b32_e32 v4, v9, v4
	v_sub_u32_e32 v7, 29, v7
	v_and_b32_e32 v4, 7, v4
	v_cmp_eq_u32_e32 vcc, 0, v6
	v_cndmask_b32_e32 v6, v6, v7, vcc
	v_cndmask_b32_e32 v4, v5, v4, vcc
	v_mov_b32_e32 v5, 0x3b800000
	v_lshlrev_b32_e32 v4, 20, v4
	v_and_b32_e32 v3, 0x80000000, v3
	v_lshl_add_u32 v5, v6, 23, v5
	v_or3_b32 v3, v3, v5, v4
	v_cvt_i32_f32_e32 v3, v3
.LBB111_446:
	s_or_b64 exec, exec, s[0:1]
.LBB111_447:
	s_mov_b64 s[0:1], -1
.LBB111_448:
	s_mov_b64 s[8:9], 0
.LBB111_449:
	s_and_b64 vcc, exec, s[8:9]
	s_cbranch_vccz .LBB111_482
; %bb.450:
	s_cmp_gt_i32 s10, 22
	s_cbranch_scc0 .LBB111_458
; %bb.451:
	s_cmp_lt_i32 s10, 24
	s_cbranch_scc1 .LBB111_461
; %bb.452:
	s_cmp_gt_i32 s10, 24
	s_cbranch_scc0 .LBB111_462
; %bb.453:
	global_load_ubyte v4, v[1:2], off
	s_movk_i32 s0, 0x7f
	s_mov_b64 s[8:9], 0
	s_waitcnt vmcnt(0)
	v_cmp_lt_i16_e32 vcc, s0, v4
	s_and_saveexec_b64 s[0:1], vcc
	s_xor_b64 s[0:1], exec, s[0:1]
	s_cbranch_execz .LBB111_474
; %bb.454:
	s_movk_i32 s8, 0x80
	v_cmp_ne_u16_e32 vcc, s8, v4
	s_and_b64 s[8:9], vcc, exec
	s_andn2_saveexec_b64 s[0:1], s[0:1]
	s_cbranch_execnz .LBB111_475
.LBB111_455:
	s_or_b64 exec, exec, s[0:1]
	v_mov_b32_e32 v3, 0
	s_and_saveexec_b64 s[0:1], s[8:9]
	s_cbranch_execz .LBB111_457
.LBB111_456:
	v_lshlrev_b32_e32 v3, 24, v4
	v_and_b32_e32 v4, 0xffff, v4
	v_and_b32_e32 v5, 3, v4
	v_ffbh_u32_e32 v7, v5
	v_min_u32_e32 v7, 32, v7
	v_subrev_u32_e32 v9, 29, v7
	v_bfe_u32 v6, v4, 2, 5
	v_lshlrev_b32_e32 v4, v9, v4
	v_sub_u32_e32 v7, 30, v7
	v_and_b32_e32 v4, 3, v4
	v_cmp_eq_u32_e32 vcc, 0, v6
	v_cndmask_b32_e32 v6, v6, v7, vcc
	v_cndmask_b32_e32 v4, v5, v4, vcc
	v_mov_b32_e32 v5, 0x37800000
	v_lshlrev_b32_e32 v4, 21, v4
	v_and_b32_e32 v3, 0x80000000, v3
	v_lshl_add_u32 v5, v6, 23, v5
	v_or3_b32 v3, v3, v5, v4
	v_cvt_i32_f32_e32 v3, v3
.LBB111_457:
	s_or_b64 exec, exec, s[0:1]
	s_mov_b64 s[0:1], 0
	s_branch .LBB111_463
.LBB111_458:
	s_mov_b64 s[8:9], -1
                                        ; implicit-def: $vgpr3
	s_branch .LBB111_469
.LBB111_459:
	s_andn2_saveexec_b64 s[0:1], s[0:1]
	s_cbranch_execz .LBB111_444
.LBB111_460:
	v_cmp_ne_u16_e32 vcc, 0, v4
	s_andn2_b64 s[8:9], s[8:9], exec
	s_and_b64 s[12:13], vcc, exec
	s_or_b64 s[8:9], s[8:9], s[12:13]
	s_or_b64 exec, exec, s[0:1]
	v_mov_b32_e32 v3, 0
	s_and_saveexec_b64 s[0:1], s[8:9]
	s_cbranch_execnz .LBB111_445
	s_branch .LBB111_446
.LBB111_461:
	s_mov_b64 s[0:1], -1
                                        ; implicit-def: $vgpr3
	s_branch .LBB111_466
.LBB111_462:
	s_mov_b64 s[0:1], -1
                                        ; implicit-def: $vgpr3
.LBB111_463:
	s_and_b64 vcc, exec, s[0:1]
	s_cbranch_vccz .LBB111_465
; %bb.464:
	global_load_ubyte v3, v[1:2], off
	s_mov_b32 s0, 0x7f800000
	s_waitcnt vmcnt(0)
	v_lshlrev_b32_e32 v3, 24, v3
	v_and_b32_e32 v4, 0x7f000000, v3
	v_ffbh_u32_e32 v5, v4
	v_min_u32_e32 v5, 32, v5
	v_sub_u32_e64 v5, v5, 4 clamp
	v_lshlrev_b32_e32 v7, v5, v4
	v_lshlrev_b32_e32 v5, 23, v5
	v_lshrrev_b32_e32 v7, 4, v7
	v_add_u32_e32 v6, 0x1000000, v4
	v_sub_u32_e32 v5, v7, v5
	v_ashrrev_i32_e32 v6, 8, v6
	v_add_u32_e32 v5, 0x3c000000, v5
	v_and_or_b32 v5, v6, s0, v5
	v_cmp_ne_u32_e32 vcc, 0, v4
	v_cndmask_b32_e32 v4, 0, v5, vcc
	s_brev_b32 s0, 1
	v_and_or_b32 v3, v3, s0, v4
	v_cvt_i32_f32_e32 v3, v3
.LBB111_465:
	s_mov_b64 s[0:1], 0
.LBB111_466:
	s_andn2_b64 vcc, exec, s[0:1]
	s_cbranch_vccnz .LBB111_468
; %bb.467:
	global_load_ubyte v3, v[1:2], off
	s_movk_i32 s0, 0x7f00
	s_brev_b32 s1, 16
	s_waitcnt vmcnt(0)
	v_lshlrev_b16_e32 v4, 8, v3
	v_lshlrev_b32_e32 v3, 25, v3
	v_lshrrev_b32_e32 v5, 4, v3
	v_and_or_b32 v6, v4, s0, 0.5
	v_or_b32_e32 v5, 0x70000000, v5
	v_add_f32_e32 v6, -0.5, v6
	v_mul_f32_e32 v5, 0x7800000, v5
	v_cmp_gt_u32_e32 vcc, s1, v3
	v_bfe_i32 v4, v4, 0, 16
	v_cndmask_b32_e32 v3, v5, v6, vcc
	s_brev_b32 s0, 1
	v_and_or_b32 v3, v4, s0, v3
	v_cvt_i32_f32_e32 v3, v3
.LBB111_468:
	s_mov_b64 s[8:9], 0
	s_mov_b64 s[0:1], -1
.LBB111_469:
	s_andn2_b64 vcc, exec, s[8:9]
	s_cbranch_vccnz .LBB111_482
; %bb.470:
	s_cmp_gt_i32 s10, 14
	s_cbranch_scc0 .LBB111_473
; %bb.471:
	s_cmp_eq_u32 s10, 15
	s_cbranch_scc0 .LBB111_476
; %bb.472:
	global_load_ushort v3, v[1:2], off
	s_mov_b64 s[0:1], -1
	s_mov_b64 s[2:3], 0
	s_waitcnt vmcnt(0)
	v_lshlrev_b32_e32 v3, 16, v3
	v_cvt_i32_f32_e32 v3, v3
	s_branch .LBB111_477
.LBB111_473:
	s_mov_b64 s[8:9], -1
                                        ; implicit-def: $vgpr3
	s_branch .LBB111_478
.LBB111_474:
	s_andn2_saveexec_b64 s[0:1], s[0:1]
	s_cbranch_execz .LBB111_455
.LBB111_475:
	v_cmp_ne_u16_e32 vcc, 0, v4
	s_andn2_b64 s[8:9], s[8:9], exec
	s_and_b64 s[12:13], vcc, exec
	s_or_b64 s[8:9], s[8:9], s[12:13]
	s_or_b64 exec, exec, s[0:1]
	v_mov_b32_e32 v3, 0
	s_and_saveexec_b64 s[0:1], s[8:9]
	s_cbranch_execnz .LBB111_456
	s_branch .LBB111_457
.LBB111_476:
	s_mov_b64 s[2:3], -1
                                        ; implicit-def: $vgpr3
.LBB111_477:
	s_mov_b64 s[8:9], 0
.LBB111_478:
	s_and_b64 vcc, exec, s[8:9]
	s_cbranch_vccz .LBB111_482
; %bb.479:
	s_cmp_eq_u32 s10, 11
	s_cbranch_scc0 .LBB111_481
; %bb.480:
	global_load_ubyte v3, v[1:2], off
	s_mov_b64 s[0:1], -1
	s_mov_b64 s[2:3], 0
	s_waitcnt vmcnt(0)
	v_cmp_ne_u16_e32 vcc, 0, v3
	v_cndmask_b32_e64 v3, 0, 1, vcc
	s_branch .LBB111_482
.LBB111_481:
	s_mov_b64 s[2:3], -1
                                        ; implicit-def: $vgpr3
.LBB111_482:
	s_branch .LBB111_289
.LBB111_483:
	s_cmp_lt_i32 s10, 5
	s_cbranch_scc1 .LBB111_488
; %bb.484:
	s_cmp_lt_i32 s10, 8
	s_cbranch_scc1 .LBB111_489
; %bb.485:
	;; [unrolled: 3-line block ×3, first 2 shown]
	s_cmp_gt_i32 s10, 9
	s_cbranch_scc0 .LBB111_491
; %bb.487:
	global_load_dwordx2 v[3:4], v[1:2], off
	s_mov_b64 s[0:1], 0
	s_waitcnt vmcnt(0)
	v_cvt_i32_f64_e32 v3, v[3:4]
	s_branch .LBB111_492
.LBB111_488:
	s_mov_b64 s[0:1], -1
                                        ; implicit-def: $vgpr3
	s_branch .LBB111_510
.LBB111_489:
	s_mov_b64 s[0:1], -1
                                        ; implicit-def: $vgpr3
	s_branch .LBB111_498
.LBB111_490:
	s_mov_b64 s[0:1], -1
                                        ; implicit-def: $vgpr3
	s_branch .LBB111_495
.LBB111_491:
	s_mov_b64 s[0:1], -1
                                        ; implicit-def: $vgpr3
.LBB111_492:
	s_andn2_b64 vcc, exec, s[0:1]
	s_cbranch_vccnz .LBB111_494
; %bb.493:
	global_load_dword v3, v[1:2], off
	s_waitcnt vmcnt(0)
	v_cvt_i32_f32_e32 v3, v3
.LBB111_494:
	s_mov_b64 s[0:1], 0
.LBB111_495:
	s_andn2_b64 vcc, exec, s[0:1]
	s_cbranch_vccnz .LBB111_497
; %bb.496:
	global_load_dword v3, v[1:2], off
	s_waitcnt vmcnt(0)
	v_cvt_i16_f16_e32 v3, v3
.LBB111_497:
	s_mov_b64 s[0:1], 0
.LBB111_498:
	s_andn2_b64 vcc, exec, s[0:1]
	s_cbranch_vccnz .LBB111_509
; %bb.499:
	s_cmp_lt_i32 s10, 6
	s_cbranch_scc1 .LBB111_502
; %bb.500:
	s_cmp_gt_i32 s10, 6
	s_cbranch_scc0 .LBB111_503
; %bb.501:
	global_load_dwordx2 v[3:4], v[1:2], off
	s_mov_b64 s[0:1], 0
	s_waitcnt vmcnt(0)
	v_cvt_i32_f64_e32 v3, v[3:4]
	s_branch .LBB111_504
.LBB111_502:
	s_mov_b64 s[0:1], -1
                                        ; implicit-def: $vgpr3
	s_branch .LBB111_507
.LBB111_503:
	s_mov_b64 s[0:1], -1
                                        ; implicit-def: $vgpr3
.LBB111_504:
	s_andn2_b64 vcc, exec, s[0:1]
	s_cbranch_vccnz .LBB111_506
; %bb.505:
	global_load_dword v3, v[1:2], off
	s_waitcnt vmcnt(0)
	v_cvt_i32_f32_e32 v3, v3
.LBB111_506:
	s_mov_b64 s[0:1], 0
.LBB111_507:
	s_andn2_b64 vcc, exec, s[0:1]
	s_cbranch_vccnz .LBB111_509
; %bb.508:
	global_load_ushort v3, v[1:2], off
	s_waitcnt vmcnt(0)
	v_cvt_i16_f16_e32 v3, v3
.LBB111_509:
	s_mov_b64 s[0:1], 0
.LBB111_510:
	s_andn2_b64 vcc, exec, s[0:1]
	s_cbranch_vccnz .LBB111_530
; %bb.511:
	s_cmp_lt_i32 s10, 2
	s_cbranch_scc1 .LBB111_515
; %bb.512:
	s_cmp_lt_i32 s10, 3
	s_cbranch_scc1 .LBB111_516
; %bb.513:
	s_cmp_gt_i32 s10, 3
	s_cbranch_scc0 .LBB111_517
; %bb.514:
	global_load_dwordx2 v[3:4], v[1:2], off
	s_mov_b64 s[0:1], 0
	s_branch .LBB111_518
.LBB111_515:
	s_mov_b64 s[0:1], -1
                                        ; implicit-def: $vgpr3
	s_branch .LBB111_524
.LBB111_516:
	s_mov_b64 s[0:1], -1
                                        ; implicit-def: $vgpr3
	s_branch .LBB111_521
.LBB111_517:
	s_mov_b64 s[0:1], -1
                                        ; implicit-def: $vgpr3
.LBB111_518:
	s_andn2_b64 vcc, exec, s[0:1]
	s_cbranch_vccnz .LBB111_520
; %bb.519:
	global_load_dword v3, v[1:2], off
.LBB111_520:
	s_mov_b64 s[0:1], 0
.LBB111_521:
	s_andn2_b64 vcc, exec, s[0:1]
	s_cbranch_vccnz .LBB111_523
; %bb.522:
	global_load_ushort v3, v[1:2], off
.LBB111_523:
	s_mov_b64 s[0:1], 0
.LBB111_524:
	s_andn2_b64 vcc, exec, s[0:1]
	s_cbranch_vccnz .LBB111_530
; %bb.525:
	s_cmp_gt_i32 s10, 0
	s_cbranch_scc0 .LBB111_527
; %bb.526:
	global_load_sbyte v3, v[1:2], off
	s_mov_b64 s[0:1], 0
	s_branch .LBB111_528
.LBB111_527:
	s_mov_b64 s[0:1], -1
                                        ; implicit-def: $vgpr3
.LBB111_528:
	s_andn2_b64 vcc, exec, s[0:1]
	s_cbranch_vccnz .LBB111_530
; %bb.529:
	global_load_ubyte v3, v[1:2], off
.LBB111_530:
	s_branch .LBB111_290
.LBB111_531:
	s_mov_b64 s[8:9], 0
	s_mov_b64 s[0:1], s[54:55]
.LBB111_532:
                                        ; implicit-def: $vgpr8
.LBB111_533:
	s_andn2_b64 s[10:11], s[54:55], exec
	s_and_b64 s[0:1], s[0:1], exec
	s_or_b64 s[62:63], s[10:11], s[0:1]
	s_andn2_b64 s[0:1], s[56:57], exec
	s_and_b64 s[2:3], s[2:3], exec
	s_or_b64 s[60:61], s[0:1], s[2:3]
	s_orn2_b64 s[0:1], s[8:9], exec
.LBB111_534:
	s_or_b64 exec, exec, s[64:65]
	s_mov_b64 s[2:3], 0
	s_mov_b64 s[8:9], 0
	s_mov_b64 s[10:11], 0
                                        ; implicit-def: $vgpr1_vgpr2
                                        ; implicit-def: $vgpr0
                                        ; implicit-def: $vgpr3
	s_and_saveexec_b64 s[64:65], s[0:1]
	s_cbranch_execz .LBB111_901
; %bb.535:
	v_cmp_gt_i32_e32 vcc, s72, v8
	s_mov_b64 s[2:3], -1
	s_mov_b64 s[68:69], s[60:61]
	s_mov_b64 s[70:71], s[62:63]
	s_and_saveexec_b64 s[66:67], vcc
	s_cbranch_execz .LBB111_805
; %bb.536:
	s_andn2_b64 vcc, exec, s[40:41]
	s_cbranch_vccnz .LBB111_541
; %bb.537:
	s_andn2_b64 vcc, exec, s[52:53]
	s_cbranch_vccnz .LBB111_542
; %bb.538:
	s_add_i32 s79, s78, 1
	s_cmp_eq_u32 s74, 2
	s_cbranch_scc1 .LBB111_543
; %bb.539:
	s_and_b32 s73, s79, 28
	v_mov_b32_e32 v2, 0
	s_mov_b32 s80, 0
	s_mov_b64 s[68:69], s[34:35]
	s_mov_b64 s[70:71], s[50:51]
	v_mov_b32_e32 v0, 0
	v_mov_b32_e32 v1, v8
.LBB111_540:                            ; =>This Inner Loop Header: Depth=1
	s_load_dwordx8 s[16:23], s[68:69], 0x4
	s_load_dwordx4 s[0:3], s[68:69], 0x24
	s_load_dwordx8 s[8:15], s[70:71], 0x0
	s_add_u32 s68, s68, 48
	s_addc_u32 s69, s69, 0
	s_waitcnt vmcnt(0) lgkmcnt(0)
	v_mul_hi_u32 v3, s17, v1
	s_add_i32 s80, s80, 4
	s_add_u32 s70, s70, 32
	s_addc_u32 s71, s71, 0
	v_add_u32_e32 v3, v1, v3
	v_lshrrev_b32_e32 v3, s18, v3
	v_mul_lo_u32 v4, v3, s16
	v_mul_hi_u32 v5, s20, v3
	s_cmp_eq_u32 s73, s80
	v_sub_u32_e32 v1, v1, v4
	v_add_u32_e32 v4, v3, v5
	v_mul_lo_u32 v5, v1, s8
	v_mul_lo_u32 v6, v1, s9
	v_lshrrev_b32_e32 v1, s21, v4
	v_mul_lo_u32 v4, v1, s19
	v_mul_hi_u32 v7, s23, v1
	v_sub_u32_e32 v3, v3, v4
	v_add_u32_e32 v4, v1, v7
	v_lshrrev_b32_e32 v4, s0, v4
	v_mul_hi_u32 v9, s2, v4
	v_mul_lo_u32 v10, v4, s22
	v_mul_lo_u32 v7, v3, s10
	;; [unrolled: 1-line block ×3, first 2 shown]
	v_sub_u32_e32 v10, v1, v10
	v_add_u32_e32 v1, v4, v9
	v_lshrrev_b32_e32 v1, s3, v1
	v_mul_lo_u32 v9, v1, s1
	v_mul_lo_u32 v11, v10, s12
	;; [unrolled: 1-line block ×3, first 2 shown]
	v_add3_u32 v0, v5, v0, v7
	v_sub_u32_e32 v4, v4, v9
	v_mul_lo_u32 v9, v4, s14
	v_mul_lo_u32 v4, v4, s15
	v_add3_u32 v2, v6, v2, v3
	v_add3_u32 v0, v11, v0, v9
	;; [unrolled: 1-line block ×3, first 2 shown]
	s_cbranch_scc0 .LBB111_540
	s_branch .LBB111_544
.LBB111_541:
	s_mov_b64 s[0:1], -1
                                        ; implicit-def: $vgpr0
                                        ; implicit-def: $vgpr2
	s_branch .LBB111_548
.LBB111_542:
	v_mov_b32_e32 v0, 0
	v_mov_b32_e32 v2, 0
	s_branch .LBB111_547
.LBB111_543:
	s_mov_b32 s73, 0
	v_mov_b32_e32 v0, 0
	v_mov_b32_e32 v2, 0
	;; [unrolled: 1-line block ×3, first 2 shown]
.LBB111_544:
	s_and_b32 s8, s79, 3
	s_cmp_eq_u32 s8, 0
	s_cbranch_scc1 .LBB111_547
; %bb.545:
	s_lshl_b32 s0, s73, 3
	s_add_u32 s0, s34, s0
	s_addc_u32 s1, s35, 0
	s_add_u32 s0, s0, 0xc4
	s_addc_u32 s1, s1, 0
	s_mul_i32 s2, s73, 12
	s_add_u32 s2, s34, s2
	s_addc_u32 s3, s35, 0
.LBB111_546:                            ; =>This Inner Loop Header: Depth=1
	s_load_dwordx2 s[10:11], s[2:3], 0x4
	s_load_dword s9, s[2:3], 0xc
	s_load_dwordx2 s[12:13], s[0:1], 0x0
	s_add_u32 s2, s2, 12
	s_addc_u32 s3, s3, 0
	s_waitcnt vmcnt(0) lgkmcnt(0)
	v_mul_hi_u32 v3, s11, v1
	s_add_u32 s0, s0, 8
	s_addc_u32 s1, s1, 0
	s_add_i32 s8, s8, -1
	v_add_u32_e32 v3, v1, v3
	v_lshrrev_b32_e32 v4, s9, v3
	v_mul_lo_u32 v3, v4, s10
	s_cmp_lg_u32 s8, 0
	v_sub_u32_e32 v3, v1, v3
	v_mad_u64_u32 v[0:1], s[10:11], v3, s12, v[0:1]
	v_mad_u64_u32 v[2:3], s[10:11], v3, s13, v[2:3]
	v_mov_b32_e32 v1, v4
	s_cbranch_scc1 .LBB111_546
.LBB111_547:
	s_mov_b64 s[0:1], 0
.LBB111_548:
	s_andn2_b64 vcc, exec, s[0:1]
	s_cbranch_vccnz .LBB111_551
; %bb.549:
	v_mul_hi_u32 v0, s29, v8
	s_andn2_b64 vcc, exec, s[48:49]
	v_add_u32_e32 v0, v8, v0
	v_lshrrev_b32_e32 v1, s30, v0
	v_mul_lo_u32 v0, v1, s28
	v_sub_u32_e32 v2, v8, v0
	v_mul_lo_u32 v0, v2, s36
	v_mul_lo_u32 v2, v2, s37
	s_cbranch_vccnz .LBB111_551
; %bb.550:
	s_waitcnt vmcnt(0)
	v_mul_hi_u32 v3, s46, v1
	v_add_u32_e32 v3, v1, v3
	v_lshrrev_b32_e32 v3, s47, v3
	v_mul_lo_u32 v3, v3, s31
	v_sub_u32_e32 v3, v1, v3
	v_mad_u64_u32 v[0:1], s[0:1], v3, s38, v[0:1]
	v_mad_u64_u32 v[2:3], s[0:1], v3, s39, v[2:3]
.LBB111_551:
	s_waitcnt vmcnt(0)
	v_mov_b32_e32 v3, s27
	s_and_b32 s10, 0xffff, s77
	v_add_co_u32_e32 v1, vcc, s26, v2
	s_cmp_lt_i32 s10, 11
	v_addc_co_u32_e32 v2, vcc, 0, v3, vcc
	s_cbranch_scc1 .LBB111_558
; %bb.552:
	s_cmp_gt_i32 s10, 25
	s_cbranch_scc0 .LBB111_559
; %bb.553:
	s_cmp_gt_i32 s10, 28
	s_cbranch_scc0 .LBB111_560
	;; [unrolled: 3-line block ×4, first 2 shown]
; %bb.556:
	s_cmp_eq_u32 s10, 46
	s_mov_b64 s[8:9], 0
	s_cbranch_scc0 .LBB111_567
; %bb.557:
	global_load_dword v3, v[1:2], off
	s_mov_b64 s[0:1], -1
	s_mov_b64 s[2:3], 0
	s_waitcnt vmcnt(0)
	v_lshlrev_b32_e32 v3, 16, v3
	v_cvt_i32_f32_e32 v3, v3
	s_branch .LBB111_568
.LBB111_558:
	s_mov_b64 s[8:9], -1
	s_mov_b64 s[0:1], 0
                                        ; implicit-def: $vgpr3
	s_mov_b64 s[2:3], s[60:61]
	s_branch .LBB111_629
.LBB111_559:
	s_mov_b64 s[8:9], -1
	s_mov_b64 s[0:1], 0
	s_mov_b64 s[2:3], s[60:61]
                                        ; implicit-def: $vgpr3
	s_branch .LBB111_595
.LBB111_560:
	s_mov_b64 s[8:9], -1
	s_mov_b64 s[0:1], 0
	s_mov_b64 s[2:3], s[60:61]
                                        ; implicit-def: $vgpr3
	s_branch .LBB111_578
.LBB111_561:
	s_mov_b64 s[8:9], -1
	s_mov_b64 s[0:1], 0
	s_mov_b64 s[2:3], s[60:61]
                                        ; implicit-def: $vgpr3
	s_branch .LBB111_573
.LBB111_562:
	s_andn2_saveexec_b64 s[12:13], s[12:13]
	s_cbranch_execz .LBB111_335
.LBB111_563:
	s_mov_b32 s16, 0x46000000
	v_add_f32_e64 v3, |v2|, s16
	v_and_b32_e32 v3, 0xff, v3
	v_cmp_ne_u32_e32 vcc, 0, v3
	s_andn2_b64 s[10:11], s[10:11], exec
	s_and_b64 s[16:17], vcc, exec
	s_or_b64 s[10:11], s[10:11], s[16:17]
	s_or_b64 exec, exec, s[12:13]
	v_mov_b32_e32 v5, 0
	s_and_saveexec_b64 s[12:13], s[10:11]
	s_cbranch_execnz .LBB111_336
	s_branch .LBB111_337
.LBB111_564:
	s_mov_b64 s[8:9], -1
	s_mov_b64 s[0:1], 0
	s_mov_b64 s[2:3], s[60:61]
                                        ; implicit-def: $vgpr3
	s_branch .LBB111_568
.LBB111_565:
	s_andn2_saveexec_b64 s[12:13], s[12:13]
	s_cbranch_execz .LBB111_348
.LBB111_566:
	s_mov_b32 s16, 0x42800000
	v_add_f32_e64 v3, |v2|, s16
	v_and_b32_e32 v3, 0xff, v3
	v_cmp_ne_u32_e32 vcc, 0, v3
	s_andn2_b64 s[10:11], s[10:11], exec
	s_and_b64 s[16:17], vcc, exec
	s_or_b64 s[10:11], s[10:11], s[16:17]
	s_or_b64 exec, exec, s[12:13]
	v_mov_b32_e32 v5, 0
	s_and_saveexec_b64 s[12:13], s[10:11]
	s_cbranch_execnz .LBB111_349
	s_branch .LBB111_350
.LBB111_567:
	s_mov_b64 s[2:3], -1
                                        ; implicit-def: $vgpr3
	s_mov_b64 s[0:1], 0
.LBB111_568:
	s_and_b64 vcc, exec, s[8:9]
	s_cbranch_vccz .LBB111_572
; %bb.569:
	s_cmp_eq_u32 s10, 44
	s_cbranch_scc0 .LBB111_571
; %bb.570:
	global_load_ubyte v3, v[1:2], off
	s_mov_b64 s[0:1], -1
	s_mov_b64 s[2:3], 0
	s_waitcnt vmcnt(0)
	v_lshlrev_b32_e32 v4, 23, v3
	v_cvt_i32_f32_e32 v4, v4
	v_cmp_ne_u32_e32 vcc, 0, v3
	v_cndmask_b32_e32 v3, 0, v4, vcc
	s_branch .LBB111_572
.LBB111_571:
	s_mov_b64 s[2:3], -1
                                        ; implicit-def: $vgpr3
.LBB111_572:
	s_mov_b64 s[8:9], 0
.LBB111_573:
	s_and_b64 vcc, exec, s[8:9]
	s_cbranch_vccz .LBB111_577
; %bb.574:
	s_cmp_eq_u32 s10, 29
	s_cbranch_scc0 .LBB111_576
; %bb.575:
	global_load_dwordx2 v[3:4], v[1:2], off
	s_mov_b64 s[0:1], -1
	s_mov_b64 s[2:3], 0
	s_branch .LBB111_577
.LBB111_576:
	s_mov_b64 s[2:3], -1
                                        ; implicit-def: $vgpr3
.LBB111_577:
	s_mov_b64 s[8:9], 0
.LBB111_578:
	s_and_b64 vcc, exec, s[8:9]
	s_cbranch_vccz .LBB111_594
; %bb.579:
	s_cmp_lt_i32 s10, 27
	s_cbranch_scc1 .LBB111_582
; %bb.580:
	s_cmp_gt_i32 s10, 27
	s_cbranch_scc0 .LBB111_583
; %bb.581:
	global_load_dword v3, v[1:2], off
	s_mov_b64 s[0:1], 0
	s_branch .LBB111_584
.LBB111_582:
	s_mov_b64 s[0:1], -1
                                        ; implicit-def: $vgpr3
	s_branch .LBB111_587
.LBB111_583:
	s_mov_b64 s[0:1], -1
                                        ; implicit-def: $vgpr3
.LBB111_584:
	s_andn2_b64 vcc, exec, s[0:1]
	s_cbranch_vccnz .LBB111_586
; %bb.585:
	global_load_ushort v3, v[1:2], off
.LBB111_586:
	s_mov_b64 s[0:1], 0
.LBB111_587:
	s_andn2_b64 vcc, exec, s[0:1]
	s_cbranch_vccnz .LBB111_593
; %bb.588:
	global_load_ubyte v4, v[1:2], off
	s_movk_i32 s0, 0x7f
	s_mov_b64 s[8:9], 0
	s_waitcnt vmcnt(0)
	v_cmp_lt_i16_e32 vcc, s0, v4
	s_and_saveexec_b64 s[0:1], vcc
	s_xor_b64 s[0:1], exec, s[0:1]
	s_cbranch_execz .LBB111_605
; %bb.589:
	s_movk_i32 s8, 0x80
	v_cmp_ne_u16_e32 vcc, s8, v4
	s_and_b64 s[8:9], vcc, exec
	s_andn2_saveexec_b64 s[0:1], s[0:1]
	s_cbranch_execnz .LBB111_606
.LBB111_590:
	s_or_b64 exec, exec, s[0:1]
	v_mov_b32_e32 v3, 0
	s_and_saveexec_b64 s[0:1], s[8:9]
	s_cbranch_execz .LBB111_592
.LBB111_591:
	v_lshlrev_b32_e32 v3, 24, v4
	v_and_b32_e32 v4, 0xffff, v4
	v_and_b32_e32 v5, 7, v4
	v_ffbh_u32_e32 v7, v5
	v_min_u32_e32 v7, 32, v7
	v_subrev_u32_e32 v9, 28, v7
	v_bfe_u32 v6, v4, 3, 4
	v_lshlrev_b32_e32 v4, v9, v4
	v_sub_u32_e32 v7, 29, v7
	v_and_b32_e32 v4, 7, v4
	v_cmp_eq_u32_e32 vcc, 0, v6
	v_cndmask_b32_e32 v6, v6, v7, vcc
	v_cndmask_b32_e32 v4, v5, v4, vcc
	v_mov_b32_e32 v5, 0x3b800000
	v_lshlrev_b32_e32 v4, 20, v4
	v_and_b32_e32 v3, 0x80000000, v3
	v_lshl_add_u32 v5, v6, 23, v5
	v_or3_b32 v3, v3, v5, v4
	v_cvt_i32_f32_e32 v3, v3
.LBB111_592:
	s_or_b64 exec, exec, s[0:1]
.LBB111_593:
	s_mov_b64 s[0:1], -1
.LBB111_594:
	s_mov_b64 s[8:9], 0
.LBB111_595:
	s_and_b64 vcc, exec, s[8:9]
	s_cbranch_vccz .LBB111_628
; %bb.596:
	s_cmp_gt_i32 s10, 22
	s_cbranch_scc0 .LBB111_604
; %bb.597:
	s_cmp_lt_i32 s10, 24
	s_cbranch_scc1 .LBB111_607
; %bb.598:
	s_cmp_gt_i32 s10, 24
	s_cbranch_scc0 .LBB111_608
; %bb.599:
	global_load_ubyte v4, v[1:2], off
	s_movk_i32 s0, 0x7f
	s_mov_b64 s[8:9], 0
	s_waitcnt vmcnt(0)
	v_cmp_lt_i16_e32 vcc, s0, v4
	s_and_saveexec_b64 s[0:1], vcc
	s_xor_b64 s[0:1], exec, s[0:1]
	s_cbranch_execz .LBB111_620
; %bb.600:
	s_movk_i32 s8, 0x80
	v_cmp_ne_u16_e32 vcc, s8, v4
	s_and_b64 s[8:9], vcc, exec
	s_andn2_saveexec_b64 s[0:1], s[0:1]
	s_cbranch_execnz .LBB111_621
.LBB111_601:
	s_or_b64 exec, exec, s[0:1]
	v_mov_b32_e32 v3, 0
	s_and_saveexec_b64 s[0:1], s[8:9]
	s_cbranch_execz .LBB111_603
.LBB111_602:
	v_lshlrev_b32_e32 v3, 24, v4
	v_and_b32_e32 v4, 0xffff, v4
	v_and_b32_e32 v5, 3, v4
	v_ffbh_u32_e32 v7, v5
	v_min_u32_e32 v7, 32, v7
	v_subrev_u32_e32 v9, 29, v7
	v_bfe_u32 v6, v4, 2, 5
	v_lshlrev_b32_e32 v4, v9, v4
	v_sub_u32_e32 v7, 30, v7
	v_and_b32_e32 v4, 3, v4
	v_cmp_eq_u32_e32 vcc, 0, v6
	v_cndmask_b32_e32 v6, v6, v7, vcc
	v_cndmask_b32_e32 v4, v5, v4, vcc
	v_mov_b32_e32 v5, 0x37800000
	v_lshlrev_b32_e32 v4, 21, v4
	v_and_b32_e32 v3, 0x80000000, v3
	v_lshl_add_u32 v5, v6, 23, v5
	v_or3_b32 v3, v3, v5, v4
	v_cvt_i32_f32_e32 v3, v3
.LBB111_603:
	s_or_b64 exec, exec, s[0:1]
	s_mov_b64 s[0:1], 0
	s_branch .LBB111_609
.LBB111_604:
	s_mov_b64 s[8:9], -1
                                        ; implicit-def: $vgpr3
	s_branch .LBB111_615
.LBB111_605:
	s_andn2_saveexec_b64 s[0:1], s[0:1]
	s_cbranch_execz .LBB111_590
.LBB111_606:
	v_cmp_ne_u16_e32 vcc, 0, v4
	s_andn2_b64 s[8:9], s[8:9], exec
	s_and_b64 s[12:13], vcc, exec
	s_or_b64 s[8:9], s[8:9], s[12:13]
	s_or_b64 exec, exec, s[0:1]
	v_mov_b32_e32 v3, 0
	s_and_saveexec_b64 s[0:1], s[8:9]
	s_cbranch_execnz .LBB111_591
	s_branch .LBB111_592
.LBB111_607:
	s_mov_b64 s[0:1], -1
                                        ; implicit-def: $vgpr3
	s_branch .LBB111_612
.LBB111_608:
	s_mov_b64 s[0:1], -1
                                        ; implicit-def: $vgpr3
.LBB111_609:
	s_and_b64 vcc, exec, s[0:1]
	s_cbranch_vccz .LBB111_611
; %bb.610:
	global_load_ubyte v3, v[1:2], off
	s_mov_b32 s0, 0x7f800000
	s_waitcnt vmcnt(0)
	v_lshlrev_b32_e32 v3, 24, v3
	v_and_b32_e32 v4, 0x7f000000, v3
	v_ffbh_u32_e32 v5, v4
	v_min_u32_e32 v5, 32, v5
	v_sub_u32_e64 v5, v5, 4 clamp
	v_lshlrev_b32_e32 v7, v5, v4
	v_lshlrev_b32_e32 v5, 23, v5
	v_lshrrev_b32_e32 v7, 4, v7
	v_add_u32_e32 v6, 0x1000000, v4
	v_sub_u32_e32 v5, v7, v5
	v_ashrrev_i32_e32 v6, 8, v6
	v_add_u32_e32 v5, 0x3c000000, v5
	v_and_or_b32 v5, v6, s0, v5
	v_cmp_ne_u32_e32 vcc, 0, v4
	v_cndmask_b32_e32 v4, 0, v5, vcc
	s_brev_b32 s0, 1
	v_and_or_b32 v3, v3, s0, v4
	v_cvt_i32_f32_e32 v3, v3
.LBB111_611:
	s_mov_b64 s[0:1], 0
.LBB111_612:
	s_andn2_b64 vcc, exec, s[0:1]
	s_cbranch_vccnz .LBB111_614
; %bb.613:
	global_load_ubyte v3, v[1:2], off
	s_movk_i32 s0, 0x7f00
	s_brev_b32 s1, 16
	s_waitcnt vmcnt(0)
	v_lshlrev_b16_e32 v4, 8, v3
	v_lshlrev_b32_e32 v3, 25, v3
	v_lshrrev_b32_e32 v5, 4, v3
	v_and_or_b32 v6, v4, s0, 0.5
	v_or_b32_e32 v5, 0x70000000, v5
	v_add_f32_e32 v6, -0.5, v6
	v_mul_f32_e32 v5, 0x7800000, v5
	v_cmp_gt_u32_e32 vcc, s1, v3
	v_bfe_i32 v4, v4, 0, 16
	v_cndmask_b32_e32 v3, v5, v6, vcc
	s_brev_b32 s0, 1
	v_and_or_b32 v3, v4, s0, v3
	v_cvt_i32_f32_e32 v3, v3
.LBB111_614:
	s_mov_b64 s[8:9], 0
	s_mov_b64 s[0:1], -1
.LBB111_615:
	s_andn2_b64 vcc, exec, s[8:9]
	s_cbranch_vccnz .LBB111_628
; %bb.616:
	s_cmp_gt_i32 s10, 14
	s_cbranch_scc0 .LBB111_619
; %bb.617:
	s_cmp_eq_u32 s10, 15
	s_cbranch_scc0 .LBB111_622
; %bb.618:
	global_load_ushort v3, v[1:2], off
	s_mov_b64 s[0:1], -1
	s_mov_b64 s[2:3], 0
	s_waitcnt vmcnt(0)
	v_lshlrev_b32_e32 v3, 16, v3
	v_cvt_i32_f32_e32 v3, v3
	s_branch .LBB111_623
.LBB111_619:
	s_mov_b64 s[8:9], -1
                                        ; implicit-def: $vgpr3
	s_branch .LBB111_624
.LBB111_620:
	s_andn2_saveexec_b64 s[0:1], s[0:1]
	s_cbranch_execz .LBB111_601
.LBB111_621:
	v_cmp_ne_u16_e32 vcc, 0, v4
	s_andn2_b64 s[8:9], s[8:9], exec
	s_and_b64 s[12:13], vcc, exec
	s_or_b64 s[8:9], s[8:9], s[12:13]
	s_or_b64 exec, exec, s[0:1]
	v_mov_b32_e32 v3, 0
	s_and_saveexec_b64 s[0:1], s[8:9]
	s_cbranch_execnz .LBB111_602
	s_branch .LBB111_603
.LBB111_622:
	s_mov_b64 s[2:3], -1
                                        ; implicit-def: $vgpr3
.LBB111_623:
	s_mov_b64 s[8:9], 0
.LBB111_624:
	s_and_b64 vcc, exec, s[8:9]
	s_cbranch_vccz .LBB111_628
; %bb.625:
	s_cmp_eq_u32 s10, 11
	s_cbranch_scc0 .LBB111_627
; %bb.626:
	global_load_ubyte v3, v[1:2], off
	s_mov_b64 s[0:1], -1
	s_mov_b64 s[2:3], 0
	s_waitcnt vmcnt(0)
	v_cmp_ne_u16_e32 vcc, 0, v3
	v_cndmask_b32_e64 v3, 0, 1, vcc
	s_branch .LBB111_628
.LBB111_627:
	s_mov_b64 s[2:3], -1
                                        ; implicit-def: $vgpr3
.LBB111_628:
	s_mov_b64 s[8:9], 0
.LBB111_629:
	s_and_b64 vcc, exec, s[8:9]
	s_cbranch_vccz .LBB111_678
; %bb.630:
	s_cmp_lt_i32 s10, 5
	s_cbranch_scc1 .LBB111_635
; %bb.631:
	s_cmp_lt_i32 s10, 8
	s_cbranch_scc1 .LBB111_636
	;; [unrolled: 3-line block ×3, first 2 shown]
; %bb.633:
	s_cmp_gt_i32 s10, 9
	s_cbranch_scc0 .LBB111_638
; %bb.634:
	global_load_dwordx2 v[3:4], v[1:2], off
	s_mov_b64 s[0:1], 0
	s_waitcnt vmcnt(0)
	v_cvt_i32_f64_e32 v3, v[3:4]
	s_branch .LBB111_639
.LBB111_635:
	s_mov_b64 s[0:1], -1
                                        ; implicit-def: $vgpr3
	s_branch .LBB111_657
.LBB111_636:
	s_mov_b64 s[0:1], -1
                                        ; implicit-def: $vgpr3
	s_branch .LBB111_645
.LBB111_637:
	s_mov_b64 s[0:1], -1
                                        ; implicit-def: $vgpr3
	s_branch .LBB111_642
.LBB111_638:
	s_mov_b64 s[0:1], -1
                                        ; implicit-def: $vgpr3
.LBB111_639:
	s_andn2_b64 vcc, exec, s[0:1]
	s_cbranch_vccnz .LBB111_641
; %bb.640:
	global_load_dword v3, v[1:2], off
	s_waitcnt vmcnt(0)
	v_cvt_i32_f32_e32 v3, v3
.LBB111_641:
	s_mov_b64 s[0:1], 0
.LBB111_642:
	s_andn2_b64 vcc, exec, s[0:1]
	s_cbranch_vccnz .LBB111_644
; %bb.643:
	global_load_dword v3, v[1:2], off
	s_waitcnt vmcnt(0)
	v_cvt_i16_f16_e32 v3, v3
.LBB111_644:
	s_mov_b64 s[0:1], 0
.LBB111_645:
	s_andn2_b64 vcc, exec, s[0:1]
	s_cbranch_vccnz .LBB111_656
; %bb.646:
	s_cmp_lt_i32 s10, 6
	s_cbranch_scc1 .LBB111_649
; %bb.647:
	s_cmp_gt_i32 s10, 6
	s_cbranch_scc0 .LBB111_650
; %bb.648:
	global_load_dwordx2 v[3:4], v[1:2], off
	s_mov_b64 s[0:1], 0
	s_waitcnt vmcnt(0)
	v_cvt_i32_f64_e32 v3, v[3:4]
	s_branch .LBB111_651
.LBB111_649:
	s_mov_b64 s[0:1], -1
                                        ; implicit-def: $vgpr3
	s_branch .LBB111_654
.LBB111_650:
	s_mov_b64 s[0:1], -1
                                        ; implicit-def: $vgpr3
.LBB111_651:
	s_andn2_b64 vcc, exec, s[0:1]
	s_cbranch_vccnz .LBB111_653
; %bb.652:
	global_load_dword v3, v[1:2], off
	s_waitcnt vmcnt(0)
	v_cvt_i32_f32_e32 v3, v3
.LBB111_653:
	s_mov_b64 s[0:1], 0
.LBB111_654:
	s_andn2_b64 vcc, exec, s[0:1]
	s_cbranch_vccnz .LBB111_656
; %bb.655:
	global_load_ushort v3, v[1:2], off
	s_waitcnt vmcnt(0)
	v_cvt_i16_f16_e32 v3, v3
.LBB111_656:
	s_mov_b64 s[0:1], 0
.LBB111_657:
	s_andn2_b64 vcc, exec, s[0:1]
	s_cbranch_vccnz .LBB111_677
; %bb.658:
	s_cmp_lt_i32 s10, 2
	s_cbranch_scc1 .LBB111_662
; %bb.659:
	s_cmp_lt_i32 s10, 3
	s_cbranch_scc1 .LBB111_663
; %bb.660:
	s_cmp_gt_i32 s10, 3
	s_cbranch_scc0 .LBB111_664
; %bb.661:
	global_load_dwordx2 v[3:4], v[1:2], off
	s_mov_b64 s[0:1], 0
	s_branch .LBB111_665
.LBB111_662:
	s_mov_b64 s[0:1], -1
                                        ; implicit-def: $vgpr3
	s_branch .LBB111_671
.LBB111_663:
	s_mov_b64 s[0:1], -1
                                        ; implicit-def: $vgpr3
	s_branch .LBB111_668
.LBB111_664:
	s_mov_b64 s[0:1], -1
                                        ; implicit-def: $vgpr3
.LBB111_665:
	s_andn2_b64 vcc, exec, s[0:1]
	s_cbranch_vccnz .LBB111_667
; %bb.666:
	global_load_dword v3, v[1:2], off
.LBB111_667:
	s_mov_b64 s[0:1], 0
.LBB111_668:
	s_andn2_b64 vcc, exec, s[0:1]
	s_cbranch_vccnz .LBB111_670
; %bb.669:
	global_load_ushort v3, v[1:2], off
.LBB111_670:
	s_mov_b64 s[0:1], 0
.LBB111_671:
	s_andn2_b64 vcc, exec, s[0:1]
	s_cbranch_vccnz .LBB111_677
; %bb.672:
	s_cmp_gt_i32 s10, 0
	s_cbranch_scc0 .LBB111_674
; %bb.673:
	global_load_sbyte v3, v[1:2], off
	s_mov_b64 s[0:1], 0
	s_branch .LBB111_675
.LBB111_674:
	s_mov_b64 s[0:1], -1
                                        ; implicit-def: $vgpr3
.LBB111_675:
	s_andn2_b64 vcc, exec, s[0:1]
	s_cbranch_vccnz .LBB111_677
; %bb.676:
	global_load_ubyte v3, v[1:2], off
.LBB111_677:
	s_mov_b64 s[0:1], -1
.LBB111_678:
	s_andn2_b64 vcc, exec, s[0:1]
	s_cbranch_vccnz .LBB111_686
; %bb.679:
	s_waitcnt vmcnt(0)
	v_lshlrev_b32_e32 v1, s76, v3
	v_cndmask_b32_e64 v4, v1, 0, s[44:45]
	v_mov_b32_e32 v1, s25
	s_and_b32 s14, s75, 0xff
	v_add_co_u32_e32 v0, vcc, s24, v0
	s_cmp_lt_i32 s14, 11
	v_addc_co_u32_e32 v1, vcc, 0, v1, vcc
	s_cbranch_scc1 .LBB111_687
; %bb.680:
	s_and_b32 s15, 0xffff, s14
	s_cmp_gt_i32 s15, 25
	s_cbranch_scc0 .LBB111_688
; %bb.681:
	s_cmp_gt_i32 s15, 28
	s_cbranch_scc0 .LBB111_689
; %bb.682:
	;; [unrolled: 3-line block ×4, first 2 shown]
	s_mov_b64 s[10:11], 0
	s_mov_b64 s[0:1], -1
	s_cmp_eq_u32 s15, 46
	s_mov_b64 s[8:9], 0
	s_cbranch_scc0 .LBB111_692
; %bb.685:
	v_cvt_f32_i32_sdwa v2, sext(v4) dst_sel:DWORD dst_unused:UNUSED_PAD src0_sel:WORD_0
	s_movk_i32 s0, 0x7fff
	s_mov_b64 s[8:9], -1
	v_bfe_u32 v3, v2, 16, 1
	v_add3_u32 v2, v2, v3, s0
	v_lshrrev_b32_e32 v2, 16, v2
	global_store_dword v[0:1], v2, off
	s_mov_b64 s[0:1], 0
	s_branch .LBB111_692
.LBB111_686:
	s_mov_b64 s[8:9], 0
	s_mov_b64 s[0:1], s[62:63]
	s_branch .LBB111_803
.LBB111_687:
	s_mov_b64 s[10:11], -1
	s_mov_b64 s[8:9], 0
	s_mov_b64 s[0:1], s[62:63]
	s_branch .LBB111_761
.LBB111_688:
	s_mov_b64 s[10:11], -1
	s_mov_b64 s[8:9], 0
	s_mov_b64 s[0:1], s[62:63]
	s_branch .LBB111_719
.LBB111_689:
	s_mov_b64 s[10:11], -1
	s_mov_b64 s[8:9], 0
	s_mov_b64 s[0:1], s[62:63]
	s_branch .LBB111_702
.LBB111_690:
	s_mov_b64 s[10:11], -1
	s_mov_b64 s[8:9], 0
	s_mov_b64 s[0:1], s[62:63]
	s_branch .LBB111_698
.LBB111_691:
	s_mov_b64 s[10:11], -1
	s_mov_b64 s[8:9], 0
	s_mov_b64 s[0:1], s[62:63]
.LBB111_692:
	s_and_b64 vcc, exec, s[10:11]
	s_cbranch_vccz .LBB111_697
; %bb.693:
	s_cmp_eq_u32 s15, 44
	s_mov_b64 s[0:1], -1
	s_cbranch_scc0 .LBB111_697
; %bb.694:
	v_cvt_f32_i32_sdwa v2, sext(v4) dst_sel:DWORD dst_unused:UNUSED_PAD src0_sel:WORD_0
	s_movk_i32 s0, 0xff
	v_mov_b32_e32 v5, 0xff
	v_bfe_u32 v3, v2, 23, 8
	v_cmp_ne_u32_e32 vcc, s0, v3
	s_and_saveexec_b64 s[8:9], vcc
; %bb.695:
	s_mov_b32 s0, 0x3fffff
	v_lshrrev_b32_e32 v5, 23, v2
	v_and_b32_e32 v6, 0x400000, v2
	v_and_or_b32 v2, v2, s0, v3
	v_cmp_ne_u32_e32 vcc, 0, v6
	v_cmp_ne_u32_e64 s[0:1], 0, v2
	s_and_b64 s[0:1], vcc, s[0:1]
	v_cndmask_b32_e64 v2, 0, 1, s[0:1]
	v_add_u32_e32 v5, v5, v2
; %bb.696:
	s_or_b64 exec, exec, s[8:9]
	s_mov_b64 s[8:9], -1
	s_mov_b64 s[0:1], 0
	global_store_byte v[0:1], v5, off
.LBB111_697:
	s_mov_b64 s[10:11], 0
.LBB111_698:
	s_and_b64 vcc, exec, s[10:11]
	s_cbranch_vccz .LBB111_701
; %bb.699:
	s_cmp_eq_u32 s15, 29
	s_mov_b64 s[0:1], -1
	s_cbranch_scc0 .LBB111_701
; %bb.700:
	v_bfe_i32 v2, v4, 0, 16
	v_ashrrev_i32_e32 v3, 31, v2
	global_store_dwordx2 v[0:1], v[2:3], off
	s_mov_b64 s[8:9], -1
	s_mov_b64 s[0:1], 0
.LBB111_701:
	s_mov_b64 s[10:11], 0
.LBB111_702:
	s_and_b64 vcc, exec, s[10:11]
	s_cbranch_vccz .LBB111_718
; %bb.703:
	s_cmp_lt_i32 s15, 27
	s_mov_b64 s[8:9], -1
	s_cbranch_scc1 .LBB111_709
; %bb.704:
	s_cmp_gt_i32 s15, 27
	s_cbranch_scc0 .LBB111_706
; %bb.705:
	v_bfe_i32 v2, v4, 0, 16
	s_mov_b64 s[8:9], 0
	global_store_dword v[0:1], v2, off
.LBB111_706:
	s_andn2_b64 vcc, exec, s[8:9]
	s_cbranch_vccnz .LBB111_708
; %bb.707:
	global_store_short v[0:1], v4, off
.LBB111_708:
	s_mov_b64 s[8:9], 0
.LBB111_709:
	s_andn2_b64 vcc, exec, s[8:9]
	s_cbranch_vccnz .LBB111_717
; %bb.710:
	v_cvt_f32_i32_sdwa v2, sext(v4) dst_sel:DWORD dst_unused:UNUSED_PAD src0_sel:WORD_0
	s_mov_b32 s8, 0x43800000
	v_mov_b32_e32 v5, 0x80
	v_and_b32_e32 v3, 0x7fffffff, v2
	v_cmp_gt_u32_e32 vcc, s8, v3
	s_and_saveexec_b64 s[8:9], vcc
	s_cbranch_execz .LBB111_716
; %bb.711:
	s_mov_b32 s10, 0x3bffffff
	v_cmp_lt_u32_e32 vcc, s10, v3
	s_mov_b64 s[10:11], 0
                                        ; implicit-def: $vgpr3
	s_and_saveexec_b64 s[12:13], vcc
	s_xor_b64 s[12:13], exec, s[12:13]
	s_cbranch_execz .LBB111_833
; %bb.712:
	v_bfe_u32 v3, v2, 20, 1
	s_mov_b32 s16, 0x487ffff
	v_add3_u32 v3, v2, v3, s16
	s_mov_b64 s[10:11], exec
	v_lshrrev_b32_e32 v3, 20, v3
	s_andn2_saveexec_b64 s[12:13], s[12:13]
	s_cbranch_execnz .LBB111_834
.LBB111_713:
	s_or_b64 exec, exec, s[12:13]
	v_mov_b32_e32 v5, 0
	s_and_saveexec_b64 s[12:13], s[10:11]
.LBB111_714:
	v_lshrrev_b32_e32 v2, 24, v2
	s_movk_i32 s10, 0x80
	v_and_or_b32 v5, v2, s10, v3
.LBB111_715:
	s_or_b64 exec, exec, s[12:13]
.LBB111_716:
	s_or_b64 exec, exec, s[8:9]
	global_store_byte v[0:1], v5, off
.LBB111_717:
	s_mov_b64 s[8:9], -1
.LBB111_718:
	s_mov_b64 s[10:11], 0
.LBB111_719:
	s_and_b64 vcc, exec, s[10:11]
	s_cbranch_vccz .LBB111_760
; %bb.720:
	s_cmp_gt_i32 s15, 22
	s_mov_b64 s[10:11], -1
	s_cbranch_scc0 .LBB111_752
; %bb.721:
	s_cmp_lt_i32 s15, 24
	s_mov_b64 s[8:9], -1
	s_cbranch_scc1 .LBB111_741
; %bb.722:
	s_cmp_gt_i32 s15, 24
	s_cbranch_scc0 .LBB111_730
; %bb.723:
	v_cvt_f32_i32_sdwa v2, sext(v4) dst_sel:DWORD dst_unused:UNUSED_PAD src0_sel:WORD_0
	s_mov_b32 s8, 0x47800000
	v_mov_b32_e32 v5, 0x80
	v_and_b32_e32 v3, 0x7fffffff, v2
	v_cmp_gt_u32_e32 vcc, s8, v3
	s_and_saveexec_b64 s[8:9], vcc
	s_cbranch_execz .LBB111_729
; %bb.724:
	s_mov_b32 s10, 0x37ffffff
	v_cmp_lt_u32_e32 vcc, s10, v3
	s_mov_b64 s[10:11], 0
                                        ; implicit-def: $vgpr3
	s_and_saveexec_b64 s[12:13], vcc
	s_xor_b64 s[12:13], exec, s[12:13]
	s_cbranch_execz .LBB111_836
; %bb.725:
	v_bfe_u32 v3, v2, 21, 1
	s_mov_b32 s16, 0x88fffff
	v_add3_u32 v3, v2, v3, s16
	s_mov_b64 s[10:11], exec
	v_lshrrev_b32_e32 v3, 21, v3
	s_andn2_saveexec_b64 s[12:13], s[12:13]
	s_cbranch_execnz .LBB111_837
.LBB111_726:
	s_or_b64 exec, exec, s[12:13]
	v_mov_b32_e32 v5, 0
	s_and_saveexec_b64 s[12:13], s[10:11]
.LBB111_727:
	v_lshrrev_b32_e32 v2, 24, v2
	s_movk_i32 s10, 0x80
	v_and_or_b32 v5, v2, s10, v3
.LBB111_728:
	s_or_b64 exec, exec, s[12:13]
.LBB111_729:
	s_or_b64 exec, exec, s[8:9]
	s_mov_b64 s[8:9], 0
	global_store_byte v[0:1], v5, off
.LBB111_730:
	s_and_b64 vcc, exec, s[8:9]
	s_cbranch_vccz .LBB111_740
; %bb.731:
	v_cvt_f32_i32_sdwa v2, sext(v4) dst_sel:DWORD dst_unused:UNUSED_PAD src0_sel:WORD_0
	s_mov_b32 s8, 0x43f00000
                                        ; implicit-def: $vgpr3
	v_and_b32_e32 v5, 0x7fffffff, v2
	v_cmp_gt_u32_e32 vcc, s8, v5
	s_and_saveexec_b64 s[8:9], vcc
	s_xor_b64 s[8:9], exec, s[8:9]
	s_cbranch_execz .LBB111_737
; %bb.732:
	s_mov_b32 s10, 0x3c7fffff
	v_cmp_lt_u32_e32 vcc, s10, v5
                                        ; implicit-def: $vgpr3
	s_and_saveexec_b64 s[10:11], vcc
	s_xor_b64 s[10:11], exec, s[10:11]
; %bb.733:
	v_bfe_u32 v3, v2, 20, 1
	s_mov_b32 s12, 0x407ffff
	v_add3_u32 v3, v2, v3, s12
	v_lshrrev_b32_e32 v5, 20, v3
	v_and_b32_e32 v3, 0xff00000, v3
	s_mov_b32 s12, 0x7f00000
	v_mov_b32_e32 v6, 0x7e
	v_cmp_ne_u32_e32 vcc, s12, v3
	v_cndmask_b32_e32 v3, v6, v5, vcc
; %bb.734:
	s_andn2_saveexec_b64 s[10:11], s[10:11]
; %bb.735:
	s_mov_b32 s12, 0x46800000
	v_add_f32_e64 v3, |v2|, s12
; %bb.736:
	s_or_b64 exec, exec, s[10:11]
                                        ; implicit-def: $vgpr5
.LBB111_737:
	s_andn2_saveexec_b64 s[8:9], s[8:9]
; %bb.738:
	s_mov_b32 s10, 0x7f800000
	v_mov_b32_e32 v3, 0x7e
	v_mov_b32_e32 v6, 0x7f
	v_cmp_lt_u32_e32 vcc, s10, v5
	v_cndmask_b32_e32 v3, v3, v6, vcc
; %bb.739:
	s_or_b64 exec, exec, s[8:9]
	v_lshrrev_b32_e32 v2, 24, v2
	s_movk_i32 s8, 0x80
	v_and_or_b32 v2, v2, s8, v3
	global_store_byte v[0:1], v2, off
.LBB111_740:
	s_mov_b64 s[8:9], 0
.LBB111_741:
	s_andn2_b64 vcc, exec, s[8:9]
	s_cbranch_vccnz .LBB111_751
; %bb.742:
	v_cvt_f32_i32_sdwa v2, sext(v4) dst_sel:DWORD dst_unused:UNUSED_PAD src0_sel:WORD_0
	s_mov_b32 s8, 0x47800000
                                        ; implicit-def: $vgpr3
	v_and_b32_e32 v5, 0x7fffffff, v2
	v_cmp_gt_u32_e32 vcc, s8, v5
	s_and_saveexec_b64 s[8:9], vcc
	s_xor_b64 s[8:9], exec, s[8:9]
	s_cbranch_execz .LBB111_748
; %bb.743:
	s_mov_b32 s10, 0x387fffff
	v_cmp_lt_u32_e32 vcc, s10, v5
                                        ; implicit-def: $vgpr3
	s_and_saveexec_b64 s[10:11], vcc
	s_xor_b64 s[10:11], exec, s[10:11]
; %bb.744:
	v_bfe_u32 v3, v2, 21, 1
	s_mov_b32 s12, 0x80fffff
	v_add3_u32 v3, v2, v3, s12
	v_lshrrev_b32_e32 v3, 21, v3
; %bb.745:
	s_andn2_saveexec_b64 s[10:11], s[10:11]
; %bb.746:
	s_mov_b32 s12, 0x43000000
	v_add_f32_e64 v3, |v2|, s12
; %bb.747:
	s_or_b64 exec, exec, s[10:11]
                                        ; implicit-def: $vgpr5
.LBB111_748:
	s_andn2_saveexec_b64 s[8:9], s[8:9]
; %bb.749:
	s_mov_b32 s10, 0x7f800000
	v_mov_b32_e32 v3, 0x7c
	v_mov_b32_e32 v6, 0x7f
	v_cmp_lt_u32_e32 vcc, s10, v5
	v_cndmask_b32_e32 v3, v3, v6, vcc
; %bb.750:
	s_or_b64 exec, exec, s[8:9]
	v_lshrrev_b32_e32 v2, 24, v2
	s_movk_i32 s8, 0x80
	v_and_or_b32 v2, v2, s8, v3
	global_store_byte v[0:1], v2, off
.LBB111_751:
	s_mov_b64 s[10:11], 0
	s_mov_b64 s[8:9], -1
.LBB111_752:
	s_andn2_b64 vcc, exec, s[10:11]
	s_cbranch_vccnz .LBB111_760
; %bb.753:
	s_cmp_gt_i32 s15, 14
	s_mov_b64 s[10:11], -1
	s_cbranch_scc0 .LBB111_757
; %bb.754:
	s_cmp_eq_u32 s15, 15
	s_mov_b64 s[0:1], -1
	s_cbranch_scc0 .LBB111_756
; %bb.755:
	v_cvt_f32_i32_sdwa v2, sext(v4) dst_sel:DWORD dst_unused:UNUSED_PAD src0_sel:WORD_0
	s_movk_i32 s0, 0x7fff
	s_mov_b64 s[8:9], -1
	v_bfe_u32 v3, v2, 16, 1
	v_add3_u32 v2, v2, v3, s0
	global_store_short_d16_hi v[0:1], v2, off
	s_mov_b64 s[0:1], 0
.LBB111_756:
	s_mov_b64 s[10:11], 0
.LBB111_757:
	s_and_b64 vcc, exec, s[10:11]
	s_cbranch_vccz .LBB111_760
; %bb.758:
	s_cmp_eq_u32 s15, 11
	s_mov_b64 s[0:1], -1
	s_cbranch_scc0 .LBB111_760
; %bb.759:
	v_cmp_ne_u16_e32 vcc, 0, v4
	v_cndmask_b32_e64 v2, 0, 1, vcc
	s_mov_b64 s[8:9], -1
	s_mov_b64 s[0:1], 0
	global_store_byte v[0:1], v2, off
.LBB111_760:
	s_mov_b64 s[10:11], 0
.LBB111_761:
	s_and_b64 vcc, exec, s[10:11]
	s_cbranch_vccz .LBB111_800
; %bb.762:
	s_and_b32 s10, 0xffff, s14
	s_cmp_lt_i32 s10, 5
	s_mov_b64 s[8:9], -1
	s_cbranch_scc1 .LBB111_783
; %bb.763:
	s_cmp_lt_i32 s10, 8
	s_cbranch_scc1 .LBB111_773
; %bb.764:
	s_cmp_lt_i32 s10, 9
	s_cbranch_scc1 .LBB111_770
; %bb.765:
	s_cmp_gt_i32 s10, 9
	s_cbranch_scc0 .LBB111_767
; %bb.766:
	v_bfe_i32 v2, v4, 0, 16
	v_cvt_f64_i32_e32 v[9:10], v2
	v_mov_b32_e32 v11, 0
	v_mov_b32_e32 v12, v11
	s_mov_b64 s[8:9], 0
	global_store_dwordx4 v[0:1], v[9:12], off
.LBB111_767:
	s_andn2_b64 vcc, exec, s[8:9]
	s_cbranch_vccnz .LBB111_769
; %bb.768:
	v_cvt_f32_i32_sdwa v2, sext(v4) dst_sel:DWORD dst_unused:UNUSED_PAD src0_sel:WORD_0
	v_mov_b32_e32 v3, 0
	global_store_dwordx2 v[0:1], v[2:3], off
.LBB111_769:
	s_mov_b64 s[8:9], 0
.LBB111_770:
	s_andn2_b64 vcc, exec, s[8:9]
	s_cbranch_vccnz .LBB111_772
; %bb.771:
	v_cvt_f16_i16_e32 v2, v4
	global_store_dword v[0:1], v2, off
.LBB111_772:
	s_mov_b64 s[8:9], 0
.LBB111_773:
	s_andn2_b64 vcc, exec, s[8:9]
	s_cbranch_vccnz .LBB111_782
; %bb.774:
	s_cmp_lt_i32 s10, 6
	s_mov_b64 s[8:9], -1
	s_cbranch_scc1 .LBB111_780
; %bb.775:
	s_cmp_gt_i32 s10, 6
	s_cbranch_scc0 .LBB111_777
; %bb.776:
	v_bfe_i32 v2, v4, 0, 16
	v_cvt_f64_i32_e32 v[2:3], v2
	s_mov_b64 s[8:9], 0
	global_store_dwordx2 v[0:1], v[2:3], off
.LBB111_777:
	s_andn2_b64 vcc, exec, s[8:9]
	s_cbranch_vccnz .LBB111_779
; %bb.778:
	v_cvt_f32_i32_sdwa v2, sext(v4) dst_sel:DWORD dst_unused:UNUSED_PAD src0_sel:WORD_0
	global_store_dword v[0:1], v2, off
.LBB111_779:
	s_mov_b64 s[8:9], 0
.LBB111_780:
	s_andn2_b64 vcc, exec, s[8:9]
	s_cbranch_vccnz .LBB111_782
; %bb.781:
	v_cvt_f16_i16_e32 v2, v4
	global_store_short v[0:1], v2, off
.LBB111_782:
	s_mov_b64 s[8:9], 0
.LBB111_783:
	s_andn2_b64 vcc, exec, s[8:9]
	s_cbranch_vccnz .LBB111_799
; %bb.784:
	s_cmp_lt_i32 s10, 2
	s_mov_b64 s[8:9], -1
	s_cbranch_scc1 .LBB111_794
; %bb.785:
	s_cmp_lt_i32 s10, 3
	s_cbranch_scc1 .LBB111_791
; %bb.786:
	s_cmp_gt_i32 s10, 3
	v_bfe_i32 v2, v4, 0, 16
	s_cbranch_scc0 .LBB111_788
; %bb.787:
	v_ashrrev_i32_e32 v3, 31, v2
	s_mov_b64 s[8:9], 0
	global_store_dwordx2 v[0:1], v[2:3], off
.LBB111_788:
	s_andn2_b64 vcc, exec, s[8:9]
	s_cbranch_vccnz .LBB111_790
; %bb.789:
	global_store_dword v[0:1], v2, off
.LBB111_790:
	s_mov_b64 s[8:9], 0
.LBB111_791:
	s_andn2_b64 vcc, exec, s[8:9]
	s_cbranch_vccnz .LBB111_793
; %bb.792:
	global_store_short v[0:1], v4, off
.LBB111_793:
	s_mov_b64 s[8:9], 0
.LBB111_794:
	s_andn2_b64 vcc, exec, s[8:9]
	s_cbranch_vccnz .LBB111_799
; %bb.795:
	s_cmp_gt_i32 s10, 0
	s_mov_b64 s[8:9], -1
	s_cbranch_scc0 .LBB111_797
; %bb.796:
	s_mov_b64 s[8:9], 0
	global_store_byte v[0:1], v4, off
.LBB111_797:
	s_andn2_b64 vcc, exec, s[8:9]
	s_cbranch_vccnz .LBB111_799
; %bb.798:
	global_store_byte v[0:1], v4, off
.LBB111_799:
	s_mov_b64 s[8:9], -1
.LBB111_800:
	s_andn2_b64 vcc, exec, s[8:9]
	s_cbranch_vccnz .LBB111_802
; %bb.801:
	v_add_u32_e32 v8, 0x80, v8
	s_mov_b64 s[8:9], -1
	s_branch .LBB111_804
.LBB111_802:
	s_mov_b64 s[8:9], 0
.LBB111_803:
                                        ; implicit-def: $vgpr8
.LBB111_804:
	s_andn2_b64 s[10:11], s[62:63], exec
	s_and_b64 s[0:1], s[0:1], exec
	s_or_b64 s[70:71], s[10:11], s[0:1]
	s_andn2_b64 s[0:1], s[60:61], exec
	s_and_b64 s[2:3], s[2:3], exec
	s_or_b64 s[68:69], s[0:1], s[2:3]
	s_orn2_b64 s[2:3], s[8:9], exec
.LBB111_805:
	s_or_b64 exec, exec, s[66:67]
	s_mov_b64 s[0:1], 0
	s_mov_b64 s[8:9], 0
	;; [unrolled: 1-line block ×3, first 2 shown]
                                        ; implicit-def: $vgpr1_vgpr2
                                        ; implicit-def: $vgpr0
                                        ; implicit-def: $vgpr3
	s_and_saveexec_b64 s[66:67], s[2:3]
	s_cbranch_execz .LBB111_900
; %bb.806:
	v_cmp_gt_i32_e32 vcc, s72, v8
	s_mov_b64 s[2:3], 0
	s_mov_b64 s[12:13], s[68:69]
                                        ; implicit-def: $vgpr1_vgpr2
                                        ; implicit-def: $vgpr0
                                        ; implicit-def: $vgpr3
	s_and_saveexec_b64 s[72:73], vcc
	s_cbranch_execz .LBB111_899
; %bb.807:
	s_andn2_b64 vcc, exec, s[40:41]
	s_cbranch_vccnz .LBB111_812
; %bb.808:
	s_andn2_b64 vcc, exec, s[52:53]
	s_cbranch_vccnz .LBB111_813
; %bb.809:
	s_add_i32 s79, s78, 1
	s_cmp_eq_u32 s74, 2
	s_cbranch_scc1 .LBB111_814
; %bb.810:
	s_and_b32 s78, s79, 28
	v_mov_b32_e32 v2, 0
	s_mov_b32 s80, 0
	s_mov_b64 s[52:53], s[34:35]
	v_mov_b32_e32 v0, 0
	v_mov_b32_e32 v1, v8
.LBB111_811:                            ; =>This Inner Loop Header: Depth=1
	s_load_dwordx8 s[16:23], s[52:53], 0x4
	s_load_dwordx4 s[0:3], s[52:53], 0x24
	s_load_dwordx8 s[8:15], s[50:51], 0x0
	s_add_u32 s52, s52, 48
	s_addc_u32 s53, s53, 0
	s_waitcnt vmcnt(0) lgkmcnt(0)
	v_mul_hi_u32 v3, s17, v1
	s_add_i32 s80, s80, 4
	s_add_u32 s50, s50, 32
	s_addc_u32 s51, s51, 0
	v_add_u32_e32 v3, v1, v3
	v_lshrrev_b32_e32 v3, s18, v3
	v_mul_lo_u32 v4, v3, s16
	v_mul_hi_u32 v5, s20, v3
	s_cmp_eq_u32 s78, s80
	v_sub_u32_e32 v1, v1, v4
	v_add_u32_e32 v4, v3, v5
	v_mul_lo_u32 v5, v1, s8
	v_mul_lo_u32 v6, v1, s9
	v_lshrrev_b32_e32 v1, s21, v4
	v_mul_lo_u32 v4, v1, s19
	v_mul_hi_u32 v7, s23, v1
	v_sub_u32_e32 v3, v3, v4
	v_add_u32_e32 v4, v1, v7
	v_lshrrev_b32_e32 v4, s0, v4
	v_mul_hi_u32 v9, s2, v4
	v_mul_lo_u32 v10, v4, s22
	v_mul_lo_u32 v7, v3, s10
	;; [unrolled: 1-line block ×3, first 2 shown]
	v_sub_u32_e32 v10, v1, v10
	v_add_u32_e32 v1, v4, v9
	v_lshrrev_b32_e32 v1, s3, v1
	v_mul_lo_u32 v9, v1, s1
	v_mul_lo_u32 v11, v10, s12
	;; [unrolled: 1-line block ×3, first 2 shown]
	v_add3_u32 v0, v5, v0, v7
	v_sub_u32_e32 v4, v4, v9
	v_mul_lo_u32 v9, v4, s14
	v_mul_lo_u32 v4, v4, s15
	v_add3_u32 v2, v6, v2, v3
	v_add3_u32 v0, v11, v0, v9
	;; [unrolled: 1-line block ×3, first 2 shown]
	s_cbranch_scc0 .LBB111_811
	s_branch .LBB111_815
.LBB111_812:
	s_mov_b64 s[0:1], -1
                                        ; implicit-def: $vgpr0
                                        ; implicit-def: $vgpr2
	s_branch .LBB111_819
.LBB111_813:
	v_mov_b32_e32 v0, 0
	v_mov_b32_e32 v2, 0
	s_branch .LBB111_818
.LBB111_814:
	s_mov_b32 s78, 0
	v_mov_b32_e32 v0, 0
	v_mov_b32_e32 v2, 0
	;; [unrolled: 1-line block ×3, first 2 shown]
.LBB111_815:
	s_and_b32 s8, s79, 3
	s_cmp_eq_u32 s8, 0
	s_cbranch_scc1 .LBB111_818
; %bb.816:
	s_lshl_b32 s0, s78, 3
	s_add_u32 s0, s34, s0
	s_addc_u32 s1, s35, 0
	s_add_u32 s0, s0, 0xc4
	s_addc_u32 s1, s1, 0
	s_mul_i32 s2, s78, 12
	s_add_u32 s2, s34, s2
	s_addc_u32 s3, s35, 0
.LBB111_817:                            ; =>This Inner Loop Header: Depth=1
	s_load_dwordx2 s[10:11], s[2:3], 0x4
	s_load_dword s9, s[2:3], 0xc
	s_load_dwordx2 s[12:13], s[0:1], 0x0
	s_add_u32 s2, s2, 12
	s_addc_u32 s3, s3, 0
	s_waitcnt vmcnt(0) lgkmcnt(0)
	v_mul_hi_u32 v3, s11, v1
	s_add_u32 s0, s0, 8
	s_addc_u32 s1, s1, 0
	s_add_i32 s8, s8, -1
	v_add_u32_e32 v3, v1, v3
	v_lshrrev_b32_e32 v4, s9, v3
	v_mul_lo_u32 v3, v4, s10
	s_cmp_lg_u32 s8, 0
	v_sub_u32_e32 v3, v1, v3
	v_mad_u64_u32 v[0:1], s[10:11], v3, s12, v[0:1]
	v_mad_u64_u32 v[2:3], s[10:11], v3, s13, v[2:3]
	v_mov_b32_e32 v1, v4
	s_cbranch_scc1 .LBB111_817
.LBB111_818:
	s_mov_b64 s[0:1], 0
.LBB111_819:
	s_andn2_b64 vcc, exec, s[0:1]
	s_cbranch_vccnz .LBB111_822
; %bb.820:
	v_mul_hi_u32 v0, s29, v8
	s_andn2_b64 vcc, exec, s[48:49]
	v_add_u32_e32 v0, v8, v0
	v_lshrrev_b32_e32 v1, s30, v0
	v_mul_lo_u32 v0, v1, s28
	v_sub_u32_e32 v2, v8, v0
	v_mul_lo_u32 v0, v2, s36
	v_mul_lo_u32 v2, v2, s37
	s_cbranch_vccnz .LBB111_822
; %bb.821:
	s_waitcnt vmcnt(0)
	v_mul_hi_u32 v3, s46, v1
	v_add_u32_e32 v3, v1, v3
	v_lshrrev_b32_e32 v3, s47, v3
	v_mul_lo_u32 v3, v3, s31
	v_sub_u32_e32 v3, v1, v3
	v_mad_u64_u32 v[0:1], s[0:1], v3, s38, v[0:1]
	v_mad_u64_u32 v[2:3], s[0:1], v3, s39, v[2:3]
.LBB111_822:
	s_waitcnt vmcnt(0)
	v_mov_b32_e32 v3, s27
	s_and_b32 s12, 0xffff, s77
	v_add_co_u32_e32 v1, vcc, s26, v2
	s_cmp_lt_i32 s12, 11
	v_addc_co_u32_e32 v2, vcc, 0, v3, vcc
	s_cbranch_scc1 .LBB111_829
; %bb.823:
	s_cmp_gt_i32 s12, 25
	s_mov_b64 s[2:3], 0
	s_cbranch_scc0 .LBB111_830
; %bb.824:
	s_cmp_gt_i32 s12, 28
	s_cbranch_scc0 .LBB111_831
; %bb.825:
	s_cmp_gt_i32 s12, 43
	;; [unrolled: 3-line block ×3, first 2 shown]
	s_cbranch_scc0 .LBB111_835
; %bb.827:
	s_cmp_eq_u32 s12, 46
	s_mov_b64 s[10:11], 0
	s_cbranch_scc0 .LBB111_838
; %bb.828:
	global_load_dword v3, v[1:2], off
	s_mov_b64 s[0:1], 0
	s_mov_b64 s[8:9], -1
	s_waitcnt vmcnt(0)
	v_lshlrev_b32_e32 v3, 16, v3
	v_cvt_i32_f32_e32 v3, v3
	s_branch .LBB111_839
.LBB111_829:
	s_mov_b64 s[12:13], -1
	s_mov_b64 s[8:9], 0
	s_mov_b64 s[2:3], 0
	;; [unrolled: 1-line block ×3, first 2 shown]
                                        ; implicit-def: $vgpr3
	s_branch .LBB111_898
.LBB111_830:
	s_mov_b64 s[10:11], -1
	s_mov_b64 s[8:9], 0
	s_mov_b64 s[0:1], s[68:69]
                                        ; implicit-def: $vgpr3
	s_branch .LBB111_866
.LBB111_831:
	s_mov_b64 s[10:11], -1
	s_mov_b64 s[8:9], 0
	s_mov_b64 s[0:1], s[68:69]
                                        ; implicit-def: $vgpr3
	s_branch .LBB111_849
.LBB111_832:
	s_mov_b64 s[10:11], -1
	s_mov_b64 s[8:9], 0
	s_mov_b64 s[0:1], s[68:69]
                                        ; implicit-def: $vgpr3
	s_branch .LBB111_844
.LBB111_833:
	s_andn2_saveexec_b64 s[12:13], s[12:13]
	s_cbranch_execz .LBB111_713
.LBB111_834:
	s_mov_b32 s16, 0x46000000
	v_add_f32_e64 v3, |v2|, s16
	v_and_b32_e32 v3, 0xff, v3
	v_cmp_ne_u32_e32 vcc, 0, v3
	s_andn2_b64 s[10:11], s[10:11], exec
	s_and_b64 s[16:17], vcc, exec
	s_or_b64 s[10:11], s[10:11], s[16:17]
	s_or_b64 exec, exec, s[12:13]
	v_mov_b32_e32 v5, 0
	s_and_saveexec_b64 s[12:13], s[10:11]
	s_cbranch_execnz .LBB111_714
	s_branch .LBB111_715
.LBB111_835:
	s_mov_b64 s[10:11], -1
	s_mov_b64 s[8:9], 0
	s_mov_b64 s[0:1], s[68:69]
                                        ; implicit-def: $vgpr3
	s_branch .LBB111_839
.LBB111_836:
	s_andn2_saveexec_b64 s[12:13], s[12:13]
	s_cbranch_execz .LBB111_726
.LBB111_837:
	s_mov_b32 s16, 0x42800000
	v_add_f32_e64 v3, |v2|, s16
	v_and_b32_e32 v3, 0xff, v3
	v_cmp_ne_u32_e32 vcc, 0, v3
	s_andn2_b64 s[10:11], s[10:11], exec
	s_and_b64 s[16:17], vcc, exec
	s_or_b64 s[10:11], s[10:11], s[16:17]
	s_or_b64 exec, exec, s[12:13]
	v_mov_b32_e32 v5, 0
	s_and_saveexec_b64 s[12:13], s[10:11]
	s_cbranch_execnz .LBB111_727
	s_branch .LBB111_728
.LBB111_838:
	s_mov_b64 s[0:1], -1
                                        ; implicit-def: $vgpr3
	s_mov_b64 s[8:9], 0
.LBB111_839:
	s_and_b64 vcc, exec, s[10:11]
	s_cbranch_vccz .LBB111_843
; %bb.840:
	s_cmp_eq_u32 s12, 44
	s_cbranch_scc0 .LBB111_842
; %bb.841:
	global_load_ubyte v3, v[1:2], off
	s_mov_b64 s[0:1], 0
	s_mov_b64 s[8:9], -1
	s_waitcnt vmcnt(0)
	v_lshlrev_b32_e32 v4, 23, v3
	v_cvt_i32_f32_e32 v4, v4
	v_cmp_ne_u32_e32 vcc, 0, v3
	v_cndmask_b32_e32 v3, 0, v4, vcc
	s_branch .LBB111_843
.LBB111_842:
	s_mov_b64 s[0:1], -1
                                        ; implicit-def: $vgpr3
.LBB111_843:
	s_mov_b64 s[10:11], 0
.LBB111_844:
	s_and_b64 vcc, exec, s[10:11]
	s_cbranch_vccz .LBB111_848
; %bb.845:
	s_cmp_eq_u32 s12, 29
	s_cbranch_scc0 .LBB111_847
; %bb.846:
	global_load_dwordx2 v[3:4], v[1:2], off
	s_mov_b64 s[0:1], 0
	s_mov_b64 s[8:9], -1
	s_branch .LBB111_848
.LBB111_847:
	s_mov_b64 s[0:1], -1
                                        ; implicit-def: $vgpr3
.LBB111_848:
	s_mov_b64 s[10:11], 0
.LBB111_849:
	s_and_b64 vcc, exec, s[10:11]
	s_cbranch_vccz .LBB111_865
; %bb.850:
	s_cmp_lt_i32 s12, 27
	s_cbranch_scc1 .LBB111_853
; %bb.851:
	s_cmp_gt_i32 s12, 27
	s_cbranch_scc0 .LBB111_854
; %bb.852:
	global_load_dword v3, v[1:2], off
	s_mov_b64 s[8:9], 0
	s_branch .LBB111_855
.LBB111_853:
	s_mov_b64 s[8:9], -1
                                        ; implicit-def: $vgpr3
	s_branch .LBB111_858
.LBB111_854:
	s_mov_b64 s[8:9], -1
                                        ; implicit-def: $vgpr3
.LBB111_855:
	s_andn2_b64 vcc, exec, s[8:9]
	s_cbranch_vccnz .LBB111_857
; %bb.856:
	global_load_ushort v3, v[1:2], off
.LBB111_857:
	s_mov_b64 s[8:9], 0
.LBB111_858:
	s_andn2_b64 vcc, exec, s[8:9]
	s_cbranch_vccnz .LBB111_864
; %bb.859:
	global_load_ubyte v4, v[1:2], off
	s_movk_i32 s8, 0x7f
	s_mov_b64 s[10:11], 0
	s_waitcnt vmcnt(0)
	v_cmp_lt_i16_e32 vcc, s8, v4
	s_and_saveexec_b64 s[8:9], vcc
	s_xor_b64 s[8:9], exec, s[8:9]
	s_cbranch_execz .LBB111_876
; %bb.860:
	s_movk_i32 s10, 0x80
	v_cmp_ne_u16_e32 vcc, s10, v4
	s_and_b64 s[10:11], vcc, exec
	s_andn2_saveexec_b64 s[8:9], s[8:9]
	s_cbranch_execnz .LBB111_877
.LBB111_861:
	s_or_b64 exec, exec, s[8:9]
	v_mov_b32_e32 v3, 0
	s_and_saveexec_b64 s[8:9], s[10:11]
	s_cbranch_execz .LBB111_863
.LBB111_862:
	v_lshlrev_b32_e32 v3, 24, v4
	v_and_b32_e32 v4, 0xffff, v4
	v_and_b32_e32 v5, 7, v4
	v_ffbh_u32_e32 v7, v5
	v_min_u32_e32 v7, 32, v7
	v_subrev_u32_e32 v8, 28, v7
	v_bfe_u32 v6, v4, 3, 4
	v_lshlrev_b32_e32 v4, v8, v4
	v_sub_u32_e32 v7, 29, v7
	v_and_b32_e32 v4, 7, v4
	v_cmp_eq_u32_e32 vcc, 0, v6
	v_cndmask_b32_e32 v6, v6, v7, vcc
	v_cndmask_b32_e32 v4, v5, v4, vcc
	v_mov_b32_e32 v5, 0x3b800000
	v_lshlrev_b32_e32 v4, 20, v4
	v_and_b32_e32 v3, 0x80000000, v3
	v_lshl_add_u32 v5, v6, 23, v5
	v_or3_b32 v3, v3, v5, v4
	v_cvt_i32_f32_e32 v3, v3
.LBB111_863:
	s_or_b64 exec, exec, s[8:9]
.LBB111_864:
	s_mov_b64 s[8:9], -1
.LBB111_865:
	s_mov_b64 s[10:11], 0
.LBB111_866:
	s_and_b64 vcc, exec, s[10:11]
	s_cbranch_vccz .LBB111_897
; %bb.867:
	s_cmp_gt_i32 s12, 22
	s_cbranch_scc0 .LBB111_875
; %bb.868:
	s_cmp_lt_i32 s12, 24
	s_cbranch_scc1 .LBB111_878
; %bb.869:
	s_cmp_gt_i32 s12, 24
	s_cbranch_scc0 .LBB111_879
; %bb.870:
	global_load_ubyte v4, v[1:2], off
	s_movk_i32 s2, 0x7f
	s_mov_b64 s[8:9], 0
	s_waitcnt vmcnt(0)
	v_cmp_lt_i16_e32 vcc, s2, v4
	s_and_saveexec_b64 s[2:3], vcc
	s_xor_b64 s[2:3], exec, s[2:3]
	s_cbranch_execz .LBB111_891
; %bb.871:
	s_movk_i32 s8, 0x80
	v_cmp_ne_u16_e32 vcc, s8, v4
	s_and_b64 s[8:9], vcc, exec
	s_andn2_saveexec_b64 s[2:3], s[2:3]
	s_cbranch_execnz .LBB111_892
.LBB111_872:
	s_or_b64 exec, exec, s[2:3]
	v_mov_b32_e32 v3, 0
	s_and_saveexec_b64 s[2:3], s[8:9]
	s_cbranch_execz .LBB111_874
.LBB111_873:
	v_lshlrev_b32_e32 v3, 24, v4
	v_and_b32_e32 v4, 0xffff, v4
	v_and_b32_e32 v5, 3, v4
	v_ffbh_u32_e32 v7, v5
	v_min_u32_e32 v7, 32, v7
	v_subrev_u32_e32 v8, 29, v7
	v_bfe_u32 v6, v4, 2, 5
	v_lshlrev_b32_e32 v4, v8, v4
	v_sub_u32_e32 v7, 30, v7
	v_and_b32_e32 v4, 3, v4
	v_cmp_eq_u32_e32 vcc, 0, v6
	v_cndmask_b32_e32 v6, v6, v7, vcc
	v_cndmask_b32_e32 v4, v5, v4, vcc
	v_mov_b32_e32 v5, 0x37800000
	v_lshlrev_b32_e32 v4, 21, v4
	v_and_b32_e32 v3, 0x80000000, v3
	v_lshl_add_u32 v5, v6, 23, v5
	v_or3_b32 v3, v3, v5, v4
	v_cvt_i32_f32_e32 v3, v3
.LBB111_874:
	s_or_b64 exec, exec, s[2:3]
	s_mov_b64 s[2:3], 0
	s_branch .LBB111_880
.LBB111_875:
	s_mov_b64 s[2:3], -1
                                        ; implicit-def: $vgpr3
	s_branch .LBB111_886
.LBB111_876:
	s_andn2_saveexec_b64 s[8:9], s[8:9]
	s_cbranch_execz .LBB111_861
.LBB111_877:
	v_cmp_ne_u16_e32 vcc, 0, v4
	s_andn2_b64 s[10:11], s[10:11], exec
	s_and_b64 s[14:15], vcc, exec
	s_or_b64 s[10:11], s[10:11], s[14:15]
	s_or_b64 exec, exec, s[8:9]
	v_mov_b32_e32 v3, 0
	s_and_saveexec_b64 s[8:9], s[10:11]
	s_cbranch_execnz .LBB111_862
	s_branch .LBB111_863
.LBB111_878:
	s_mov_b64 s[2:3], -1
                                        ; implicit-def: $vgpr3
	s_branch .LBB111_883
.LBB111_879:
	s_mov_b64 s[2:3], -1
                                        ; implicit-def: $vgpr3
.LBB111_880:
	s_and_b64 vcc, exec, s[2:3]
	s_cbranch_vccz .LBB111_882
; %bb.881:
	global_load_ubyte v3, v[1:2], off
	s_mov_b32 s2, 0x7f800000
	s_waitcnt vmcnt(0)
	v_lshlrev_b32_e32 v3, 24, v3
	v_and_b32_e32 v4, 0x7f000000, v3
	v_ffbh_u32_e32 v5, v4
	v_min_u32_e32 v5, 32, v5
	v_sub_u32_e64 v5, v5, 4 clamp
	v_lshlrev_b32_e32 v7, v5, v4
	v_lshlrev_b32_e32 v5, 23, v5
	v_lshrrev_b32_e32 v7, 4, v7
	v_add_u32_e32 v6, 0x1000000, v4
	v_sub_u32_e32 v5, v7, v5
	v_ashrrev_i32_e32 v6, 8, v6
	v_add_u32_e32 v5, 0x3c000000, v5
	v_and_or_b32 v5, v6, s2, v5
	v_cmp_ne_u32_e32 vcc, 0, v4
	v_cndmask_b32_e32 v4, 0, v5, vcc
	s_brev_b32 s2, 1
	v_and_or_b32 v3, v3, s2, v4
	v_cvt_i32_f32_e32 v3, v3
.LBB111_882:
	s_mov_b64 s[2:3], 0
.LBB111_883:
	s_andn2_b64 vcc, exec, s[2:3]
	s_cbranch_vccnz .LBB111_885
; %bb.884:
	global_load_ubyte v3, v[1:2], off
	s_movk_i32 s2, 0x7f00
	s_brev_b32 s3, 16
	s_waitcnt vmcnt(0)
	v_lshlrev_b16_e32 v4, 8, v3
	v_lshlrev_b32_e32 v3, 25, v3
	v_lshrrev_b32_e32 v5, 4, v3
	v_and_or_b32 v6, v4, s2, 0.5
	v_or_b32_e32 v5, 0x70000000, v5
	v_add_f32_e32 v6, -0.5, v6
	v_mul_f32_e32 v5, 0x7800000, v5
	v_cmp_gt_u32_e32 vcc, s3, v3
	v_bfe_i32 v4, v4, 0, 16
	v_cndmask_b32_e32 v3, v5, v6, vcc
	s_brev_b32 s2, 1
	v_and_or_b32 v3, v4, s2, v3
	v_cvt_i32_f32_e32 v3, v3
.LBB111_885:
	s_mov_b64 s[2:3], 0
	s_mov_b64 s[8:9], -1
.LBB111_886:
	s_andn2_b64 vcc, exec, s[2:3]
	s_mov_b64 s[2:3], 0
	s_cbranch_vccnz .LBB111_897
; %bb.887:
	s_cmp_gt_i32 s12, 14
	s_cbranch_scc0 .LBB111_890
; %bb.888:
	s_cmp_eq_u32 s12, 15
	s_cbranch_scc0 .LBB111_893
; %bb.889:
	global_load_ushort v3, v[1:2], off
	s_mov_b64 s[0:1], 0
	s_mov_b64 s[8:9], -1
	s_waitcnt vmcnt(0)
	v_lshlrev_b32_e32 v3, 16, v3
	v_cvt_i32_f32_e32 v3, v3
	s_branch .LBB111_894
.LBB111_890:
	s_mov_b64 s[10:11], -1
                                        ; implicit-def: $vgpr3
	s_branch .LBB111_895
.LBB111_891:
	s_andn2_saveexec_b64 s[2:3], s[2:3]
	s_cbranch_execz .LBB111_872
.LBB111_892:
	v_cmp_ne_u16_e32 vcc, 0, v4
	s_andn2_b64 s[8:9], s[8:9], exec
	s_and_b64 s[10:11], vcc, exec
	s_or_b64 s[8:9], s[8:9], s[10:11]
	s_or_b64 exec, exec, s[2:3]
	v_mov_b32_e32 v3, 0
	s_and_saveexec_b64 s[2:3], s[8:9]
	s_cbranch_execnz .LBB111_873
	s_branch .LBB111_874
.LBB111_893:
	s_mov_b64 s[0:1], -1
                                        ; implicit-def: $vgpr3
.LBB111_894:
	s_mov_b64 s[10:11], 0
.LBB111_895:
	s_and_b64 vcc, exec, s[10:11]
	s_cbranch_vccz .LBB111_897
; %bb.896:
	s_cmp_lg_u32 s12, 11
	s_cselect_b64 s[10:11], -1, 0
	s_andn2_b64 s[0:1], s[0:1], exec
	s_and_b64 s[10:11], s[10:11], exec
	s_mov_b64 s[2:3], -1
	s_or_b64 s[0:1], s[0:1], s[10:11]
.LBB111_897:
	s_mov_b64 s[12:13], 0
.LBB111_898:
	s_and_b64 s[10:11], s[8:9], exec
	s_and_b64 s[8:9], s[12:13], exec
	s_andn2_b64 s[12:13], s[68:69], exec
	s_and_b64 s[0:1], s[0:1], exec
	s_and_b64 s[2:3], s[2:3], exec
	s_or_b64 s[12:13], s[12:13], s[0:1]
.LBB111_899:
	s_or_b64 exec, exec, s[72:73]
	s_and_b64 s[0:1], s[2:3], exec
	s_andn2_b64 s[2:3], s[68:69], exec
	s_and_b64 s[12:13], s[12:13], exec
	s_and_b64 s[10:11], s[10:11], exec
	;; [unrolled: 1-line block ×3, first 2 shown]
	s_or_b64 s[68:69], s[2:3], s[12:13]
.LBB111_900:
	s_or_b64 exec, exec, s[66:67]
	s_andn2_b64 s[2:3], s[62:63], exec
	s_and_b64 s[12:13], s[70:71], exec
	s_or_b64 s[62:63], s[2:3], s[12:13]
	s_and_b64 s[2:3], s[0:1], exec
	s_andn2_b64 s[0:1], s[60:61], exec
	s_and_b64 s[12:13], s[68:69], exec
	s_and_b64 s[10:11], s[10:11], exec
	;; [unrolled: 1-line block ×3, first 2 shown]
	s_or_b64 s[60:61], s[0:1], s[12:13]
.LBB111_901:
	s_or_b64 exec, exec, s[64:65]
	s_andn2_b64 s[0:1], s[54:55], exec
	s_and_b64 s[12:13], s[62:63], exec
	s_or_b64 s[54:55], s[0:1], s[12:13]
	s_and_b64 s[0:1], s[10:11], exec
	s_and_b64 s[10:11], s[8:9], exec
	;; [unrolled: 1-line block ×3, first 2 shown]
	s_andn2_b64 s[2:3], s[56:57], exec
	s_and_b64 s[8:9], s[60:61], exec
	s_or_b64 s[56:57], s[2:3], s[8:9]
	s_or_b64 exec, exec, s[58:59]
	s_mov_b64 s[2:3], 0
	s_and_saveexec_b64 s[8:9], s[56:57]
	s_cbranch_execz .LBB111_270
.LBB111_902:
	s_mov_b64 s[2:3], exec
	s_andn2_b64 s[62:63], s[62:63], exec
	s_trap 2
	s_or_b64 exec, exec, s[8:9]
	s_and_saveexec_b64 s[8:9], s[62:63]
	s_xor_b64 s[8:9], exec, s[8:9]
	s_cbranch_execnz .LBB111_271
.LBB111_903:
	s_or_b64 exec, exec, s[8:9]
	s_and_saveexec_b64 s[8:9], s[10:11]
	s_cbranch_execz .LBB111_949
.LBB111_904:
	s_sext_i32_i16 s10, s77
	s_cmp_lt_i32 s10, 5
	s_cbranch_scc1 .LBB111_909
; %bb.905:
	s_cmp_lt_i32 s10, 8
	s_cbranch_scc1 .LBB111_910
; %bb.906:
	;; [unrolled: 3-line block ×3, first 2 shown]
	s_cmp_gt_i32 s10, 9
	s_cbranch_scc0 .LBB111_912
; %bb.908:
	global_load_dwordx2 v[3:4], v[1:2], off
	s_mov_b64 s[10:11], 0
	s_waitcnt vmcnt(0)
	v_cvt_i32_f64_e32 v3, v[3:4]
	s_branch .LBB111_913
.LBB111_909:
                                        ; implicit-def: $vgpr3
	s_branch .LBB111_930
.LBB111_910:
                                        ; implicit-def: $vgpr3
	s_branch .LBB111_919
.LBB111_911:
	s_mov_b64 s[10:11], -1
                                        ; implicit-def: $vgpr3
	s_branch .LBB111_916
.LBB111_912:
	s_mov_b64 s[10:11], -1
                                        ; implicit-def: $vgpr3
.LBB111_913:
	s_andn2_b64 vcc, exec, s[10:11]
	s_cbranch_vccnz .LBB111_915
; %bb.914:
	global_load_dword v3, v[1:2], off
	s_waitcnt vmcnt(0)
	v_cvt_i32_f32_e32 v3, v3
.LBB111_915:
	s_mov_b64 s[10:11], 0
.LBB111_916:
	s_andn2_b64 vcc, exec, s[10:11]
	s_cbranch_vccnz .LBB111_918
; %bb.917:
	global_load_dword v3, v[1:2], off
	s_waitcnt vmcnt(0)
	v_cvt_i16_f16_e32 v3, v3
.LBB111_918:
	s_cbranch_execnz .LBB111_929
.LBB111_919:
	s_sext_i32_i16 s10, s77
	s_cmp_lt_i32 s10, 6
	s_cbranch_scc1 .LBB111_922
; %bb.920:
	s_cmp_gt_i32 s10, 6
	s_cbranch_scc0 .LBB111_923
; %bb.921:
	global_load_dwordx2 v[3:4], v[1:2], off
	s_mov_b64 s[10:11], 0
	s_waitcnt vmcnt(0)
	v_cvt_i32_f64_e32 v3, v[3:4]
	s_branch .LBB111_924
.LBB111_922:
	s_mov_b64 s[10:11], -1
                                        ; implicit-def: $vgpr3
	s_branch .LBB111_927
.LBB111_923:
	s_mov_b64 s[10:11], -1
                                        ; implicit-def: $vgpr3
.LBB111_924:
	s_andn2_b64 vcc, exec, s[10:11]
	s_cbranch_vccnz .LBB111_926
; %bb.925:
	global_load_dword v3, v[1:2], off
	s_waitcnt vmcnt(0)
	v_cvt_i32_f32_e32 v3, v3
.LBB111_926:
	s_mov_b64 s[10:11], 0
.LBB111_927:
	s_andn2_b64 vcc, exec, s[10:11]
	s_cbranch_vccnz .LBB111_929
; %bb.928:
	global_load_ushort v3, v[1:2], off
	s_waitcnt vmcnt(0)
	v_cvt_i16_f16_e32 v3, v3
.LBB111_929:
	s_cbranch_execnz .LBB111_948
.LBB111_930:
	s_sext_i32_i16 s10, s77
	s_cmp_lt_i32 s10, 2
	s_cbranch_scc1 .LBB111_934
; %bb.931:
	s_cmp_lt_i32 s10, 3
	s_cbranch_scc1 .LBB111_935
; %bb.932:
	s_cmp_gt_i32 s10, 3
	s_cbranch_scc0 .LBB111_936
; %bb.933:
	global_load_dwordx2 v[3:4], v[1:2], off
	s_mov_b64 s[10:11], 0
	s_branch .LBB111_937
.LBB111_934:
                                        ; implicit-def: $vgpr3
	s_branch .LBB111_943
.LBB111_935:
	s_mov_b64 s[10:11], -1
                                        ; implicit-def: $vgpr3
	s_branch .LBB111_940
.LBB111_936:
	s_mov_b64 s[10:11], -1
                                        ; implicit-def: $vgpr3
.LBB111_937:
	s_andn2_b64 vcc, exec, s[10:11]
	s_cbranch_vccnz .LBB111_939
; %bb.938:
	global_load_dword v3, v[1:2], off
.LBB111_939:
	s_mov_b64 s[10:11], 0
.LBB111_940:
	s_andn2_b64 vcc, exec, s[10:11]
	s_cbranch_vccnz .LBB111_942
; %bb.941:
	global_load_ushort v3, v[1:2], off
.LBB111_942:
	s_cbranch_execnz .LBB111_948
.LBB111_943:
	s_sext_i32_i16 s10, s77
	s_cmp_gt_i32 s10, 0
	s_cbranch_scc0 .LBB111_945
; %bb.944:
	global_load_sbyte v3, v[1:2], off
	s_mov_b64 s[10:11], 0
	s_branch .LBB111_946
.LBB111_945:
	s_mov_b64 s[10:11], -1
                                        ; implicit-def: $vgpr3
.LBB111_946:
	s_andn2_b64 vcc, exec, s[10:11]
	s_cbranch_vccnz .LBB111_948
; %bb.947:
	global_load_ubyte v3, v[1:2], off
.LBB111_948:
	s_or_b64 s[0:1], s[0:1], exec
.LBB111_949:
	s_or_b64 exec, exec, s[8:9]
	s_mov_b64 s[12:13], 0
	s_mov_b64 s[10:11], 0
                                        ; implicit-def: $sgpr18
                                        ; implicit-def: $vgpr1_vgpr2
                                        ; implicit-def: $vgpr4
	s_and_saveexec_b64 s[8:9], s[0:1]
	s_cbranch_execz .LBB111_957
; %bb.950:
	s_waitcnt vmcnt(0)
	v_lshlrev_b32_e32 v1, s76, v3
	v_cndmask_b32_e64 v4, v1, 0, s[44:45]
	v_mov_b32_e32 v2, s25
	s_and_b32 s18, s75, 0xff
	v_add_co_u32_e32 v1, vcc, s24, v0
	s_cmp_lt_i32 s18, 11
	v_addc_co_u32_e32 v2, vcc, 0, v2, vcc
	s_cbranch_scc1 .LBB111_960
; %bb.951:
	s_and_b32 s19, 0xffff, s18
	s_mov_b64 s[12:13], -1
	s_cmp_gt_i32 s19, 25
	s_mov_b64 s[0:1], s[54:55]
	s_cbranch_scc0 .LBB111_988
; %bb.952:
	s_mov_b64 s[10:11], -1
	s_cmp_gt_i32 s19, 28
	s_mov_b64 s[0:1], s[54:55]
	s_cbranch_scc0 .LBB111_972
; %bb.953:
	s_cmp_gt_i32 s19, 43
	s_mov_b64 s[0:1], s[54:55]
	s_cbranch_scc0 .LBB111_968
; %bb.954:
	;; [unrolled: 4-line block ×3, first 2 shown]
	s_cmp_eq_u32 s19, 46
	s_mov_b64 s[0:1], -1
	s_cbranch_scc0 .LBB111_961
; %bb.956:
	v_cvt_f32_i32_sdwa v0, sext(v4) dst_sel:DWORD dst_unused:UNUSED_PAD src0_sel:WORD_0
	s_movk_i32 s0, 0x7fff
	s_mov_b64 s[10:11], 0
	v_bfe_u32 v3, v0, 16, 1
	v_add3_u32 v0, v0, v3, s0
	v_lshrrev_b32_e32 v0, 16, v0
	global_store_dword v[1:2], v0, off
	s_mov_b64 s[0:1], 0
	s_branch .LBB111_962
.LBB111_957:
	s_or_b64 exec, exec, s[8:9]
	s_and_saveexec_b64 s[0:1], s[54:55]
	s_cbranch_execnz .LBB111_1030
.LBB111_958:
	s_or_b64 exec, exec, s[0:1]
	s_and_saveexec_b64 s[0:1], s[12:13]
	s_xor_b64 s[0:1], exec, s[0:1]
	s_cbranch_execz .LBB111_1031
.LBB111_959:
	s_waitcnt vmcnt(0)
	v_cmp_ne_u16_e32 vcc, 0, v4
	v_cndmask_b32_e64 v0, 0, 1, vcc
	global_store_byte v[1:2], v0, off
	s_or_b64 exec, exec, s[0:1]
	s_and_saveexec_b64 s[0:1], s[10:11]
	s_xor_b64 s[0:1], exec, s[0:1]
	s_cbranch_execz .LBB111_1069
	s_branch .LBB111_1032
.LBB111_960:
	s_mov_b64 s[10:11], -1
	s_mov_b64 s[0:1], s[54:55]
	s_branch .LBB111_1029
.LBB111_961:
	s_mov_b64 s[10:11], 0
.LBB111_962:
	s_and_b64 vcc, exec, s[10:11]
	s_cbranch_vccz .LBB111_967
; %bb.963:
	s_cmp_eq_u32 s19, 44
	s_mov_b64 s[0:1], -1
	s_cbranch_scc0 .LBB111_967
; %bb.964:
	v_cvt_f32_i32_sdwa v0, sext(v4) dst_sel:DWORD dst_unused:UNUSED_PAD src0_sel:WORD_0
	s_movk_i32 s0, 0xff
	v_mov_b32_e32 v5, 0xff
	v_bfe_u32 v3, v0, 23, 8
	v_cmp_ne_u32_e32 vcc, s0, v3
	s_and_saveexec_b64 s[10:11], vcc
; %bb.965:
	s_mov_b32 s0, 0x3fffff
	v_lshrrev_b32_e32 v5, 23, v0
	v_and_b32_e32 v6, 0x400000, v0
	v_and_or_b32 v0, v0, s0, v3
	v_cmp_ne_u32_e32 vcc, 0, v6
	v_cmp_ne_u32_e64 s[0:1], 0, v0
	s_and_b64 s[0:1], vcc, s[0:1]
	v_cndmask_b32_e64 v0, 0, 1, s[0:1]
	v_add_u32_e32 v5, v5, v0
; %bb.966:
	s_or_b64 exec, exec, s[10:11]
	s_mov_b64 s[0:1], 0
	global_store_byte v[1:2], v5, off
.LBB111_967:
	s_mov_b64 s[10:11], 0
.LBB111_968:
	s_and_b64 vcc, exec, s[10:11]
	s_cbranch_vccz .LBB111_971
; %bb.969:
	s_cmp_eq_u32 s19, 29
	s_mov_b64 s[0:1], -1
	s_cbranch_scc0 .LBB111_971
; %bb.970:
	v_bfe_i32 v5, v4, 0, 16
	v_ashrrev_i32_e32 v6, 31, v5
	global_store_dwordx2 v[1:2], v[5:6], off
	s_mov_b64 s[0:1], 0
.LBB111_971:
	s_mov_b64 s[10:11], 0
.LBB111_972:
	s_and_b64 vcc, exec, s[10:11]
	s_cbranch_vccz .LBB111_987
; %bb.973:
	s_cmp_lt_i32 s19, 27
	s_mov_b64 s[10:11], -1
	s_cbranch_scc1 .LBB111_979
; %bb.974:
	s_cmp_gt_i32 s19, 27
	s_cbranch_scc0 .LBB111_976
; %bb.975:
	v_bfe_i32 v0, v4, 0, 16
	s_mov_b64 s[10:11], 0
	global_store_dword v[1:2], v0, off
.LBB111_976:
	s_andn2_b64 vcc, exec, s[10:11]
	s_cbranch_vccnz .LBB111_978
; %bb.977:
	global_store_short v[1:2], v4, off
.LBB111_978:
	s_mov_b64 s[10:11], 0
.LBB111_979:
	s_andn2_b64 vcc, exec, s[10:11]
	s_cbranch_vccnz .LBB111_987
; %bb.980:
	v_cvt_f32_i32_sdwa v0, sext(v4) dst_sel:DWORD dst_unused:UNUSED_PAD src0_sel:WORD_0
	s_mov_b32 s10, 0x43800000
	v_mov_b32_e32 v5, 0x80
	v_and_b32_e32 v3, 0x7fffffff, v0
	v_cmp_gt_u32_e32 vcc, s10, v3
	s_and_saveexec_b64 s[10:11], vcc
	s_cbranch_execz .LBB111_986
; %bb.981:
	s_mov_b32 s12, 0x3bffffff
	v_cmp_lt_u32_e32 vcc, s12, v3
	s_mov_b64 s[12:13], 0
                                        ; implicit-def: $vgpr3
	s_and_saveexec_b64 s[14:15], vcc
	s_xor_b64 s[14:15], exec, s[14:15]
	s_cbranch_execz .LBB111_1140
; %bb.982:
	v_bfe_u32 v3, v0, 20, 1
	s_mov_b32 s16, 0x487ffff
	v_add3_u32 v3, v0, v3, s16
	s_mov_b64 s[12:13], exec
	v_lshrrev_b32_e32 v3, 20, v3
	s_andn2_saveexec_b64 s[14:15], s[14:15]
	s_cbranch_execnz .LBB111_1141
.LBB111_983:
	s_or_b64 exec, exec, s[14:15]
	v_mov_b32_e32 v5, 0
	s_and_saveexec_b64 s[14:15], s[12:13]
.LBB111_984:
	v_lshrrev_b32_e32 v0, 24, v0
	s_movk_i32 s12, 0x80
	v_and_or_b32 v5, v0, s12, v3
.LBB111_985:
	s_or_b64 exec, exec, s[14:15]
.LBB111_986:
	s_or_b64 exec, exec, s[10:11]
	global_store_byte v[1:2], v5, off
.LBB111_987:
	s_mov_b64 s[12:13], 0
.LBB111_988:
	s_mov_b64 s[10:11], 0
	s_and_b64 vcc, exec, s[12:13]
	s_cbranch_vccz .LBB111_1028
; %bb.989:
	s_cmp_gt_i32 s19, 22
	s_mov_b64 s[12:13], -1
	s_cbranch_scc0 .LBB111_1021
; %bb.990:
	s_cmp_lt_i32 s19, 24
	s_cbranch_scc1 .LBB111_1010
; %bb.991:
	s_cmp_gt_i32 s19, 24
	s_cbranch_scc0 .LBB111_999
; %bb.992:
	v_cvt_f32_i32_sdwa v0, sext(v4) dst_sel:DWORD dst_unused:UNUSED_PAD src0_sel:WORD_0
	s_mov_b32 s12, 0x47800000
	v_mov_b32_e32 v5, 0x80
	v_and_b32_e32 v3, 0x7fffffff, v0
	v_cmp_gt_u32_e32 vcc, s12, v3
	s_and_saveexec_b64 s[12:13], vcc
	s_cbranch_execz .LBB111_998
; %bb.993:
	s_mov_b32 s14, 0x37ffffff
	v_cmp_lt_u32_e32 vcc, s14, v3
	s_mov_b64 s[14:15], 0
                                        ; implicit-def: $vgpr3
	s_and_saveexec_b64 s[16:17], vcc
	s_xor_b64 s[16:17], exec, s[16:17]
	s_cbranch_execz .LBB111_1260
; %bb.994:
	v_bfe_u32 v3, v0, 21, 1
	s_mov_b32 s20, 0x88fffff
	v_add3_u32 v3, v0, v3, s20
	s_mov_b64 s[14:15], exec
	v_lshrrev_b32_e32 v3, 21, v3
	s_andn2_saveexec_b64 s[16:17], s[16:17]
	s_cbranch_execnz .LBB111_1261
.LBB111_995:
	s_or_b64 exec, exec, s[16:17]
	v_mov_b32_e32 v5, 0
	s_and_saveexec_b64 s[16:17], s[14:15]
.LBB111_996:
	v_lshrrev_b32_e32 v0, 24, v0
	s_movk_i32 s14, 0x80
	v_and_or_b32 v5, v0, s14, v3
.LBB111_997:
	s_or_b64 exec, exec, s[16:17]
.LBB111_998:
	s_or_b64 exec, exec, s[12:13]
	s_mov_b64 s[12:13], 0
	global_store_byte v[1:2], v5, off
.LBB111_999:
	s_and_b64 vcc, exec, s[12:13]
	s_cbranch_vccz .LBB111_1009
; %bb.1000:
	v_cvt_f32_i32_sdwa v0, sext(v4) dst_sel:DWORD dst_unused:UNUSED_PAD src0_sel:WORD_0
	s_mov_b32 s12, 0x43f00000
                                        ; implicit-def: $vgpr3
	v_and_b32_e32 v5, 0x7fffffff, v0
	v_cmp_gt_u32_e32 vcc, s12, v5
	s_and_saveexec_b64 s[12:13], vcc
	s_xor_b64 s[12:13], exec, s[12:13]
	s_cbranch_execz .LBB111_1006
; %bb.1001:
	s_mov_b32 s14, 0x3c7fffff
	v_cmp_lt_u32_e32 vcc, s14, v5
                                        ; implicit-def: $vgpr3
	s_and_saveexec_b64 s[14:15], vcc
	s_xor_b64 s[14:15], exec, s[14:15]
; %bb.1002:
	v_bfe_u32 v3, v0, 20, 1
	s_mov_b32 s16, 0x407ffff
	v_add3_u32 v3, v0, v3, s16
	v_lshrrev_b32_e32 v5, 20, v3
	v_and_b32_e32 v3, 0xff00000, v3
	s_mov_b32 s16, 0x7f00000
	v_mov_b32_e32 v6, 0x7e
	v_cmp_ne_u32_e32 vcc, s16, v3
	v_cndmask_b32_e32 v3, v6, v5, vcc
; %bb.1003:
	s_andn2_saveexec_b64 s[14:15], s[14:15]
; %bb.1004:
	s_mov_b32 s16, 0x46800000
	v_add_f32_e64 v3, |v0|, s16
; %bb.1005:
	s_or_b64 exec, exec, s[14:15]
                                        ; implicit-def: $vgpr5
.LBB111_1006:
	s_andn2_saveexec_b64 s[12:13], s[12:13]
; %bb.1007:
	s_mov_b32 s14, 0x7f800000
	v_mov_b32_e32 v3, 0x7e
	v_mov_b32_e32 v6, 0x7f
	v_cmp_lt_u32_e32 vcc, s14, v5
	v_cndmask_b32_e32 v3, v3, v6, vcc
; %bb.1008:
	s_or_b64 exec, exec, s[12:13]
	v_lshrrev_b32_e32 v0, 24, v0
	s_movk_i32 s12, 0x80
	v_and_or_b32 v0, v0, s12, v3
	global_store_byte v[1:2], v0, off
.LBB111_1009:
	s_mov_b64 s[12:13], 0
.LBB111_1010:
	s_andn2_b64 vcc, exec, s[12:13]
	s_cbranch_vccnz .LBB111_1020
; %bb.1011:
	v_cvt_f32_i32_sdwa v0, sext(v4) dst_sel:DWORD dst_unused:UNUSED_PAD src0_sel:WORD_0
	s_mov_b32 s12, 0x47800000
                                        ; implicit-def: $vgpr3
	v_and_b32_e32 v5, 0x7fffffff, v0
	v_cmp_gt_u32_e32 vcc, s12, v5
	s_and_saveexec_b64 s[12:13], vcc
	s_xor_b64 s[12:13], exec, s[12:13]
	s_cbranch_execz .LBB111_1017
; %bb.1012:
	s_mov_b32 s14, 0x387fffff
	v_cmp_lt_u32_e32 vcc, s14, v5
                                        ; implicit-def: $vgpr3
	s_and_saveexec_b64 s[14:15], vcc
	s_xor_b64 s[14:15], exec, s[14:15]
; %bb.1013:
	v_bfe_u32 v3, v0, 21, 1
	s_mov_b32 s16, 0x80fffff
	v_add3_u32 v3, v0, v3, s16
	v_lshrrev_b32_e32 v3, 21, v3
; %bb.1014:
	s_andn2_saveexec_b64 s[14:15], s[14:15]
; %bb.1015:
	s_mov_b32 s16, 0x43000000
	v_add_f32_e64 v3, |v0|, s16
; %bb.1016:
	s_or_b64 exec, exec, s[14:15]
                                        ; implicit-def: $vgpr5
.LBB111_1017:
	s_andn2_saveexec_b64 s[12:13], s[12:13]
; %bb.1018:
	s_mov_b32 s14, 0x7f800000
	v_mov_b32_e32 v3, 0x7c
	v_mov_b32_e32 v6, 0x7f
	v_cmp_lt_u32_e32 vcc, s14, v5
	v_cndmask_b32_e32 v3, v3, v6, vcc
; %bb.1019:
	s_or_b64 exec, exec, s[12:13]
	v_lshrrev_b32_e32 v0, 24, v0
	s_movk_i32 s12, 0x80
	v_and_or_b32 v0, v0, s12, v3
	global_store_byte v[1:2], v0, off
.LBB111_1020:
	s_mov_b64 s[12:13], 0
.LBB111_1021:
	s_andn2_b64 vcc, exec, s[12:13]
	s_mov_b64 s[12:13], 0
	s_cbranch_vccnz .LBB111_1029
; %bb.1022:
	s_cmp_gt_i32 s19, 14
	s_mov_b64 s[14:15], -1
	s_cbranch_scc0 .LBB111_1026
; %bb.1023:
	s_cmp_eq_u32 s19, 15
	s_mov_b64 s[0:1], -1
	s_cbranch_scc0 .LBB111_1025
; %bb.1024:
	v_cvt_f32_i32_sdwa v0, sext(v4) dst_sel:DWORD dst_unused:UNUSED_PAD src0_sel:WORD_0
	s_movk_i32 s0, 0x7fff
	v_bfe_u32 v3, v0, 16, 1
	v_add3_u32 v0, v0, v3, s0
	global_store_short_d16_hi v[1:2], v0, off
	s_mov_b64 s[0:1], 0
.LBB111_1025:
	s_mov_b64 s[14:15], 0
.LBB111_1026:
	s_and_b64 vcc, exec, s[14:15]
	s_cbranch_vccz .LBB111_1029
; %bb.1027:
	s_cmp_lg_u32 s19, 11
	s_cselect_b64 s[14:15], -1, 0
	s_andn2_b64 s[0:1], s[0:1], exec
	s_and_b64 s[14:15], s[14:15], exec
	s_mov_b64 s[12:13], -1
	s_or_b64 s[0:1], s[0:1], s[14:15]
	s_branch .LBB111_1029
.LBB111_1028:
	s_mov_b64 s[12:13], 0
.LBB111_1029:
	s_andn2_b64 s[14:15], s[54:55], exec
	s_and_b64 s[0:1], s[0:1], exec
	s_and_b64 s[10:11], s[10:11], exec
	;; [unrolled: 1-line block ×3, first 2 shown]
	s_or_b64 s[54:55], s[14:15], s[0:1]
	s_or_b64 exec, exec, s[8:9]
	s_and_saveexec_b64 s[0:1], s[54:55]
	s_cbranch_execz .LBB111_958
.LBB111_1030:
	s_or_b64 s[2:3], s[2:3], exec
	s_andn2_b64 s[12:13], s[12:13], exec
	s_trap 2
	s_or_b64 exec, exec, s[0:1]
	s_and_saveexec_b64 s[0:1], s[12:13]
	s_xor_b64 s[0:1], exec, s[0:1]
	s_cbranch_execnz .LBB111_959
.LBB111_1031:
	s_or_b64 exec, exec, s[0:1]
	s_and_saveexec_b64 s[0:1], s[10:11]
	s_xor_b64 s[0:1], exec, s[0:1]
	s_cbranch_execz .LBB111_1069
.LBB111_1032:
	s_sext_i32_i16 s10, s18
	s_cmp_lt_i32 s10, 5
	s_mov_b64 s[8:9], -1
	s_cbranch_scc1 .LBB111_1053
; %bb.1033:
	s_cmp_lt_i32 s10, 8
	s_cbranch_scc1 .LBB111_1043
; %bb.1034:
	s_cmp_lt_i32 s10, 9
	s_cbranch_scc1 .LBB111_1040
; %bb.1035:
	s_cmp_gt_i32 s10, 9
	s_cbranch_scc0 .LBB111_1037
; %bb.1036:
	s_waitcnt vmcnt(0)
	v_bfe_i32 v0, v4, 0, 16
	v_cvt_f64_i32_e32 v[5:6], v0
	v_mov_b32_e32 v7, 0
	v_mov_b32_e32 v8, v7
	s_mov_b64 s[8:9], 0
	global_store_dwordx4 v[1:2], v[5:8], off
.LBB111_1037:
	s_andn2_b64 vcc, exec, s[8:9]
	s_cbranch_vccnz .LBB111_1039
; %bb.1038:
	s_waitcnt vmcnt(0)
	v_cvt_f32_i32_sdwa v5, sext(v4) dst_sel:DWORD dst_unused:UNUSED_PAD src0_sel:WORD_0
	v_mov_b32_e32 v6, 0
	global_store_dwordx2 v[1:2], v[5:6], off
.LBB111_1039:
	s_mov_b64 s[8:9], 0
.LBB111_1040:
	s_andn2_b64 vcc, exec, s[8:9]
	s_cbranch_vccnz .LBB111_1042
; %bb.1041:
	s_waitcnt vmcnt(0)
	v_cvt_f16_i16_e32 v0, v4
	global_store_dword v[1:2], v0, off
.LBB111_1042:
	s_mov_b64 s[8:9], 0
.LBB111_1043:
	s_andn2_b64 vcc, exec, s[8:9]
	s_cbranch_vccnz .LBB111_1052
; %bb.1044:
	s_sext_i32_i16 s10, s18
	s_cmp_lt_i32 s10, 6
	s_mov_b64 s[8:9], -1
	s_cbranch_scc1 .LBB111_1050
; %bb.1045:
	s_cmp_gt_i32 s10, 6
	s_cbranch_scc0 .LBB111_1047
; %bb.1046:
	s_waitcnt vmcnt(0)
	v_bfe_i32 v0, v4, 0, 16
	v_cvt_f64_i32_e32 v[5:6], v0
	s_mov_b64 s[8:9], 0
	global_store_dwordx2 v[1:2], v[5:6], off
.LBB111_1047:
	s_andn2_b64 vcc, exec, s[8:9]
	s_cbranch_vccnz .LBB111_1049
; %bb.1048:
	s_waitcnt vmcnt(0)
	v_cvt_f32_i32_sdwa v0, sext(v4) dst_sel:DWORD dst_unused:UNUSED_PAD src0_sel:WORD_0
	global_store_dword v[1:2], v0, off
.LBB111_1049:
	s_mov_b64 s[8:9], 0
.LBB111_1050:
	s_andn2_b64 vcc, exec, s[8:9]
	s_cbranch_vccnz .LBB111_1052
; %bb.1051:
	s_waitcnt vmcnt(0)
	v_cvt_f16_i16_e32 v0, v4
	global_store_short v[1:2], v0, off
.LBB111_1052:
	s_mov_b64 s[8:9], 0
.LBB111_1053:
	s_andn2_b64 vcc, exec, s[8:9]
	s_cbranch_vccnz .LBB111_1069
; %bb.1054:
	s_sext_i32_i16 s10, s18
	s_cmp_lt_i32 s10, 2
	s_mov_b64 s[8:9], -1
	s_cbranch_scc1 .LBB111_1064
; %bb.1055:
	s_cmp_lt_i32 s10, 3
	s_cbranch_scc1 .LBB111_1061
; %bb.1056:
	s_cmp_gt_i32 s10, 3
	s_cbranch_scc0 .LBB111_1058
; %bb.1057:
	s_waitcnt vmcnt(0)
	v_bfe_i32 v5, v4, 0, 16
	v_ashrrev_i32_e32 v6, 31, v5
	s_mov_b64 s[8:9], 0
	global_store_dwordx2 v[1:2], v[5:6], off
.LBB111_1058:
	s_andn2_b64 vcc, exec, s[8:9]
	s_cbranch_vccnz .LBB111_1060
; %bb.1059:
	s_waitcnt vmcnt(0)
	v_bfe_i32 v0, v4, 0, 16
	global_store_dword v[1:2], v0, off
.LBB111_1060:
	s_mov_b64 s[8:9], 0
.LBB111_1061:
	s_andn2_b64 vcc, exec, s[8:9]
	s_cbranch_vccnz .LBB111_1063
; %bb.1062:
	s_waitcnt vmcnt(0)
	global_store_short v[1:2], v4, off
.LBB111_1063:
	s_mov_b64 s[8:9], 0
.LBB111_1064:
	s_andn2_b64 vcc, exec, s[8:9]
	s_cbranch_vccnz .LBB111_1069
; %bb.1065:
	s_sext_i32_i16 s8, s18
	s_cmp_gt_i32 s8, 0
	s_mov_b64 s[8:9], -1
	s_cbranch_scc0 .LBB111_1067
; %bb.1066:
	s_mov_b64 s[8:9], 0
	s_waitcnt vmcnt(0)
	global_store_byte v[1:2], v4, off
.LBB111_1067:
	s_andn2_b64 vcc, exec, s[8:9]
	s_cbranch_vccnz .LBB111_1069
; %bb.1068:
	s_waitcnt vmcnt(0)
	global_store_byte v[1:2], v4, off
.LBB111_1069:
	s_or_b64 exec, exec, s[0:1]
	s_and_b64 s[28:29], s[2:3], exec
                                        ; implicit-def: $vgpr15
                                        ; implicit-def: $vgpr8
.LBB111_1070:
	s_or_saveexec_b64 s[30:31], s[42:43]
	s_mov_b64 s[0:1], 0
                                        ; implicit-def: $vgpr0_vgpr1
                                        ; implicit-def: $sgpr16
                                        ; implicit-def: $vgpr2
	s_xor_b64 exec, exec, s[30:31]
	s_cbranch_execz .LBB111_2057
; %bb.1071:
	v_cndmask_b32_e64 v0, 0, 1, s[40:41]
	v_cmp_ne_u32_e64 s[0:1], 1, v0
	s_andn2_b64 vcc, exec, s[40:41]
	s_cbranch_vccnz .LBB111_1077
; %bb.1072:
	s_cmp_lg_u32 s33, 0
	s_mov_b32 s36, 0
	s_cbranch_scc0 .LBB111_1078
; %bb.1073:
	s_min_u32 s37, s74, 15
	s_add_i32 s37, s37, 1
	s_cmp_eq_u32 s74, 2
	s_cbranch_scc1 .LBB111_1079
; %bb.1074:
	s_and_b32 s36, s37, 28
	s_add_u32 s2, s34, 0xc4
	s_addc_u32 s3, s35, 0
	v_mov_b32_e32 v13, 0
	s_mov_b32 s38, 0
	s_mov_b64 s[6:7], s[34:35]
	v_mov_b32_e32 v6, 0
	v_mov_b32_e32 v0, v8
.LBB111_1075:                           ; =>This Inner Loop Header: Depth=1
	s_load_dwordx8 s[16:23], s[6:7], 0x4
	s_load_dwordx4 s[24:27], s[6:7], 0x24
	s_load_dwordx8 s[8:15], s[2:3], 0x0
	s_add_u32 s6, s6, 48
	s_addc_u32 s7, s7, 0
	s_waitcnt lgkmcnt(0)
	v_mul_hi_u32 v1, s17, v0
	s_add_i32 s38, s38, 4
	s_add_u32 s2, s2, 32
	s_addc_u32 s3, s3, 0
	v_add_u32_e32 v1, v0, v1
	v_lshrrev_b32_e32 v1, s18, v1
	v_mul_lo_u32 v2, v1, s16
	s_waitcnt vmcnt(0)
	v_mul_hi_u32 v3, s20, v1
	s_cmp_lg_u32 s36, s38
	v_sub_u32_e32 v0, v0, v2
	v_add_u32_e32 v2, v1, v3
	v_mul_lo_u32 v3, v0, s8
	v_mul_lo_u32 v4, v0, s9
	v_lshrrev_b32_e32 v0, s21, v2
	v_mul_lo_u32 v2, v0, s19
	v_mul_hi_u32 v5, s23, v0
	v_sub_u32_e32 v1, v1, v2
	v_add_u32_e32 v2, v0, v5
	v_lshrrev_b32_e32 v2, s24, v2
	v_mul_hi_u32 v7, s26, v2
	v_mul_lo_u32 v9, v2, s22
	v_mul_lo_u32 v5, v1, s10
	;; [unrolled: 1-line block ×3, first 2 shown]
	v_sub_u32_e32 v9, v0, v9
	v_add_u32_e32 v0, v2, v7
	v_lshrrev_b32_e32 v0, s27, v0
	v_mul_lo_u32 v7, v0, s25
	v_mul_lo_u32 v10, v9, s12
	;; [unrolled: 1-line block ×3, first 2 shown]
	v_add3_u32 v3, v3, v6, v5
	v_sub_u32_e32 v2, v2, v7
	v_mul_lo_u32 v7, v2, s14
	v_mul_lo_u32 v2, v2, s15
	v_add3_u32 v1, v4, v13, v1
	v_add3_u32 v6, v10, v3, v7
	;; [unrolled: 1-line block ×3, first 2 shown]
	s_cbranch_scc1 .LBB111_1075
; %bb.1076:
	s_and_b32 s8, s37, 3
	s_cmp_eq_u32 s8, 0
	s_cbranch_scc0 .LBB111_1080
	s_branch .LBB111_1082
.LBB111_1077:
                                        ; implicit-def: $vgpr6
                                        ; implicit-def: $vgpr13
	s_branch .LBB111_1083
.LBB111_1078:
	v_mov_b32_e32 v6, 0
	v_mov_b32_e32 v13, 0
	s_branch .LBB111_1082
.LBB111_1079:
	v_mov_b32_e32 v6, 0
	v_mov_b32_e32 v13, 0
	;; [unrolled: 1-line block ×3, first 2 shown]
	s_and_b32 s8, s37, 3
	s_cmp_eq_u32 s8, 0
	s_cbranch_scc1 .LBB111_1082
.LBB111_1080:
	s_lshl_b32 s2, s36, 3
	s_add_u32 s2, s34, s2
	s_addc_u32 s3, s35, 0
	s_add_u32 s2, s2, 0xc4
	s_addc_u32 s3, s3, 0
	s_mul_i32 s6, s36, 12
	s_add_u32 s6, s34, s6
	s_addc_u32 s7, s35, 0
.LBB111_1081:                           ; =>This Inner Loop Header: Depth=1
	s_load_dwordx2 s[10:11], s[6:7], 0x4
	s_load_dword s9, s[6:7], 0xc
	s_load_dwordx2 s[12:13], s[2:3], 0x0
	s_add_u32 s6, s6, 12
	s_addc_u32 s7, s7, 0
	s_waitcnt lgkmcnt(0)
	v_mul_hi_u32 v1, s11, v0
	s_add_u32 s2, s2, 8
	s_addc_u32 s3, s3, 0
	s_add_i32 s8, s8, -1
	v_add_u32_e32 v1, v0, v1
	v_lshrrev_b32_e32 v1, s9, v1
	v_mul_lo_u32 v2, v1, s10
	s_cmp_lg_u32 s8, 0
	v_sub_u32_e32 v0, v0, v2
	v_mad_u64_u32 v[6:7], s[10:11], v0, s12, v[6:7]
	v_mad_u64_u32 v[13:14], s[10:11], v0, s13, v[13:14]
	v_mov_b32_e32 v0, v1
	s_cbranch_scc1 .LBB111_1081
.LBB111_1082:
	s_cbranch_execnz .LBB111_1085
.LBB111_1083:
	s_load_dwordx4 s[8:11], s[34:35], 0x4
	s_load_dwordx2 s[2:3], s[34:35], 0xc4
	s_cmp_lt_u32 s33, 2
	s_waitcnt lgkmcnt(0)
	v_mul_hi_u32 v0, s9, v8
	v_add_u32_e32 v0, v8, v0
	v_lshrrev_b32_e32 v0, s10, v0
	v_mul_lo_u32 v1, v0, s8
	v_sub_u32_e32 v1, v8, v1
	v_mul_lo_u32 v6, v1, s2
	v_mul_lo_u32 v13, v1, s3
	s_cbranch_scc1 .LBB111_1085
; %bb.1084:
	s_load_dwordx4 s[8:11], s[34:35], 0x10
	s_load_dwordx2 s[2:3], s[34:35], 0xcc
	s_waitcnt lgkmcnt(0)
	v_mul_hi_u32 v1, s9, v0
	v_add_u32_e32 v1, v0, v1
	v_lshrrev_b32_e32 v1, s10, v1
	v_mul_lo_u32 v1, v1, s8
	v_sub_u32_e32 v0, v0, v1
	v_mad_u64_u32 v[6:7], s[6:7], v0, s2, v[6:7]
	v_mad_u64_u32 v[13:14], s[2:3], v0, s3, v[13:14]
.LBB111_1085:
	s_and_b64 vcc, exec, s[0:1]
	v_add_u32_e32 v0, 0x80, v8
	s_cbranch_vccnz .LBB111_1091
; %bb.1086:
	s_cmp_lg_u32 s33, 0
	s_mov_b32 s36, 0
	s_cbranch_scc0 .LBB111_1092
; %bb.1087:
	s_min_u32 s37, s74, 15
	s_add_i32 s37, s37, 1
	s_cmp_eq_u32 s74, 2
	s_cbranch_scc1 .LBB111_1093
; %bb.1088:
	s_and_b32 s36, s37, 28
	s_add_u32 s2, s34, 0xc4
	s_addc_u32 s3, s35, 0
	v_mov_b32_e32 v11, 0
	s_mov_b32 s38, 0
	s_mov_b64 s[6:7], s[34:35]
	s_waitcnt vmcnt(0)
	v_mov_b32_e32 v4, 0
	v_mov_b32_e32 v1, v0
.LBB111_1089:                           ; =>This Inner Loop Header: Depth=1
	s_load_dwordx8 s[16:23], s[6:7], 0x4
	s_load_dwordx4 s[24:27], s[6:7], 0x24
	s_load_dwordx8 s[8:15], s[2:3], 0x0
	s_add_u32 s6, s6, 48
	s_addc_u32 s7, s7, 0
	s_waitcnt lgkmcnt(0)
	v_mul_hi_u32 v2, s17, v1
	s_add_i32 s38, s38, 4
	s_add_u32 s2, s2, 32
	s_addc_u32 s3, s3, 0
	v_add_u32_e32 v2, v1, v2
	v_lshrrev_b32_e32 v2, s18, v2
	v_mul_lo_u32 v3, v2, s16
	v_mul_hi_u32 v5, s20, v2
	s_cmp_lg_u32 s36, s38
	v_sub_u32_e32 v1, v1, v3
	v_add_u32_e32 v3, v2, v5
	v_mul_lo_u32 v5, v1, s8
	v_mul_lo_u32 v7, v1, s9
	v_lshrrev_b32_e32 v1, s21, v3
	v_mul_lo_u32 v3, v1, s19
	v_mul_hi_u32 v9, s23, v1
	v_sub_u32_e32 v2, v2, v3
	v_add_u32_e32 v3, v1, v9
	v_lshrrev_b32_e32 v3, s24, v3
	v_mul_hi_u32 v10, s26, v3
	v_mul_lo_u32 v12, v3, s22
	v_mul_lo_u32 v9, v2, s10
	;; [unrolled: 1-line block ×3, first 2 shown]
	v_sub_u32_e32 v12, v1, v12
	v_add_u32_e32 v1, v3, v10
	v_lshrrev_b32_e32 v1, s27, v1
	v_mul_lo_u32 v10, v1, s25
	v_mul_lo_u32 v14, v12, s12
	;; [unrolled: 1-line block ×3, first 2 shown]
	v_add3_u32 v4, v5, v4, v9
	v_sub_u32_e32 v3, v3, v10
	v_mul_lo_u32 v10, v3, s14
	v_mul_lo_u32 v3, v3, s15
	v_add3_u32 v2, v7, v11, v2
	v_add3_u32 v4, v14, v4, v10
	;; [unrolled: 1-line block ×3, first 2 shown]
	s_cbranch_scc1 .LBB111_1089
; %bb.1090:
	s_and_b32 s8, s37, 3
	s_cmp_eq_u32 s8, 0
	s_cbranch_scc0 .LBB111_1094
	s_branch .LBB111_1096
.LBB111_1091:
                                        ; implicit-def: $vgpr4
                                        ; implicit-def: $vgpr11
	s_branch .LBB111_1097
.LBB111_1092:
	s_waitcnt vmcnt(0)
	v_mov_b32_e32 v4, 0
	v_mov_b32_e32 v11, 0
	s_branch .LBB111_1096
.LBB111_1093:
	s_waitcnt vmcnt(0)
	v_mov_b32_e32 v4, 0
	v_mov_b32_e32 v11, 0
	;; [unrolled: 1-line block ×3, first 2 shown]
	s_and_b32 s8, s37, 3
	s_cmp_eq_u32 s8, 0
	s_cbranch_scc1 .LBB111_1096
.LBB111_1094:
	s_lshl_b32 s2, s36, 3
	s_add_u32 s2, s34, s2
	s_addc_u32 s3, s35, 0
	s_add_u32 s2, s2, 0xc4
	s_addc_u32 s3, s3, 0
	s_mul_i32 s6, s36, 12
	s_add_u32 s6, s34, s6
	s_addc_u32 s7, s35, 0
.LBB111_1095:                           ; =>This Inner Loop Header: Depth=1
	s_load_dwordx2 s[10:11], s[6:7], 0x4
	s_load_dword s9, s[6:7], 0xc
	s_load_dwordx2 s[12:13], s[2:3], 0x0
	s_add_u32 s6, s6, 12
	s_addc_u32 s7, s7, 0
	s_waitcnt lgkmcnt(0)
	v_mul_hi_u32 v2, s11, v1
	s_add_u32 s2, s2, 8
	s_addc_u32 s3, s3, 0
	s_add_i32 s8, s8, -1
	v_add_u32_e32 v2, v1, v2
	v_lshrrev_b32_e32 v2, s9, v2
	v_mul_lo_u32 v3, v2, s10
	s_cmp_lg_u32 s8, 0
	v_sub_u32_e32 v1, v1, v3
	v_mad_u64_u32 v[4:5], s[10:11], v1, s12, v[4:5]
	v_mad_u64_u32 v[11:12], s[10:11], v1, s13, v[11:12]
	v_mov_b32_e32 v1, v2
	s_cbranch_scc1 .LBB111_1095
.LBB111_1096:
	s_cbranch_execnz .LBB111_1099
.LBB111_1097:
	s_load_dwordx4 s[8:11], s[34:35], 0x4
	s_load_dwordx2 s[2:3], s[34:35], 0xc4
	s_cmp_lt_u32 s33, 2
	s_waitcnt lgkmcnt(0)
	v_mul_hi_u32 v1, s9, v0
	v_add_u32_e32 v1, v0, v1
	v_lshrrev_b32_e32 v1, s10, v1
	v_mul_lo_u32 v2, v1, s8
	v_sub_u32_e32 v0, v0, v2
	s_waitcnt vmcnt(0)
	v_mul_lo_u32 v4, v0, s2
	v_mul_lo_u32 v11, v0, s3
	s_cbranch_scc1 .LBB111_1099
; %bb.1098:
	s_load_dwordx4 s[8:11], s[34:35], 0x10
	s_load_dwordx2 s[2:3], s[34:35], 0xcc
	s_waitcnt lgkmcnt(0)
	v_mul_hi_u32 v0, s9, v1
	v_add_u32_e32 v0, v1, v0
	v_lshrrev_b32_e32 v0, s10, v0
	v_mul_lo_u32 v0, v0, s8
	v_sub_u32_e32 v0, v1, v0
	v_mad_u64_u32 v[4:5], s[6:7], v0, s2, v[4:5]
	v_mad_u64_u32 v[11:12], s[2:3], v0, s3, v[11:12]
.LBB111_1099:
	s_and_b64 vcc, exec, s[0:1]
	v_add_u32_e32 v0, 0x100, v8
	s_cbranch_vccnz .LBB111_1105
; %bb.1100:
	s_cmp_lg_u32 s33, 0
	s_mov_b32 s36, 0
	s_cbranch_scc0 .LBB111_1106
; %bb.1101:
	s_min_u32 s37, s74, 15
	s_add_i32 s37, s37, 1
	s_cmp_eq_u32 s74, 2
	s_cbranch_scc1 .LBB111_1107
; %bb.1102:
	s_and_b32 s36, s37, 28
	s_add_u32 s2, s34, 0xc4
	s_addc_u32 s3, s35, 0
	v_mov_b32_e32 v9, 0
	s_mov_b32 s38, 0
	s_mov_b64 s[6:7], s[34:35]
	v_mov_b32_e32 v2, 0
	v_mov_b32_e32 v1, v0
.LBB111_1103:                           ; =>This Inner Loop Header: Depth=1
	s_load_dwordx8 s[16:23], s[6:7], 0x4
	s_load_dwordx4 s[24:27], s[6:7], 0x24
	s_load_dwordx8 s[8:15], s[2:3], 0x0
	s_add_u32 s6, s6, 48
	s_addc_u32 s7, s7, 0
	s_waitcnt vmcnt(0) lgkmcnt(0)
	v_mul_hi_u32 v3, s17, v1
	s_add_i32 s38, s38, 4
	s_add_u32 s2, s2, 32
	s_addc_u32 s3, s3, 0
	v_add_u32_e32 v3, v1, v3
	v_lshrrev_b32_e32 v3, s18, v3
	v_mul_lo_u32 v5, v3, s16
	v_mul_hi_u32 v7, s20, v3
	s_cmp_lg_u32 s36, s38
	v_sub_u32_e32 v1, v1, v5
	v_add_u32_e32 v5, v3, v7
	v_mul_lo_u32 v7, v1, s8
	v_mul_lo_u32 v8, v1, s9
	v_lshrrev_b32_e32 v1, s21, v5
	v_mul_lo_u32 v5, v1, s19
	v_mul_hi_u32 v10, s23, v1
	v_sub_u32_e32 v3, v3, v5
	v_add_u32_e32 v5, v1, v10
	v_lshrrev_b32_e32 v5, s24, v5
	v_mul_hi_u32 v12, s26, v5
	v_mul_lo_u32 v14, v5, s22
	v_mul_lo_u32 v10, v3, s10
	;; [unrolled: 1-line block ×3, first 2 shown]
	v_sub_u32_e32 v14, v1, v14
	v_add_u32_e32 v1, v5, v12
	v_lshrrev_b32_e32 v1, s27, v1
	v_mul_lo_u32 v12, v1, s25
	v_mul_lo_u32 v16, v14, s12
	;; [unrolled: 1-line block ×3, first 2 shown]
	v_add3_u32 v2, v7, v2, v10
	v_sub_u32_e32 v5, v5, v12
	v_mul_lo_u32 v12, v5, s14
	v_mul_lo_u32 v5, v5, s15
	v_add3_u32 v3, v8, v9, v3
	v_add3_u32 v2, v16, v2, v12
	;; [unrolled: 1-line block ×3, first 2 shown]
	s_cbranch_scc1 .LBB111_1103
; %bb.1104:
	s_and_b32 s8, s37, 3
	s_cmp_eq_u32 s8, 0
	s_cbranch_scc0 .LBB111_1108
	s_branch .LBB111_1110
.LBB111_1105:
                                        ; implicit-def: $vgpr2
                                        ; implicit-def: $vgpr9
	s_branch .LBB111_1111
.LBB111_1106:
	v_mov_b32_e32 v2, 0
	v_mov_b32_e32 v9, 0
	s_branch .LBB111_1110
.LBB111_1107:
	v_mov_b32_e32 v2, 0
	v_mov_b32_e32 v9, 0
	;; [unrolled: 1-line block ×3, first 2 shown]
	s_and_b32 s8, s37, 3
	s_cmp_eq_u32 s8, 0
	s_cbranch_scc1 .LBB111_1110
.LBB111_1108:
	s_lshl_b32 s2, s36, 3
	s_add_u32 s2, s34, s2
	s_addc_u32 s3, s35, 0
	s_add_u32 s2, s2, 0xc4
	s_addc_u32 s3, s3, 0
	s_mul_i32 s6, s36, 12
	s_add_u32 s6, s34, s6
	s_addc_u32 s7, s35, 0
.LBB111_1109:                           ; =>This Inner Loop Header: Depth=1
	s_load_dwordx2 s[10:11], s[6:7], 0x4
	s_load_dword s9, s[6:7], 0xc
	s_load_dwordx2 s[12:13], s[2:3], 0x0
	s_add_u32 s6, s6, 12
	s_addc_u32 s7, s7, 0
	s_waitcnt vmcnt(0) lgkmcnt(0)
	v_mul_hi_u32 v3, s11, v1
	s_add_u32 s2, s2, 8
	s_addc_u32 s3, s3, 0
	s_add_i32 s8, s8, -1
	v_add_u32_e32 v3, v1, v3
	v_lshrrev_b32_e32 v5, s9, v3
	v_mul_lo_u32 v3, v5, s10
	s_cmp_lg_u32 s8, 0
	v_sub_u32_e32 v1, v1, v3
	v_mad_u64_u32 v[2:3], s[10:11], v1, s12, v[2:3]
	v_mad_u64_u32 v[9:10], s[10:11], v1, s13, v[9:10]
	v_mov_b32_e32 v1, v5
	s_cbranch_scc1 .LBB111_1109
.LBB111_1110:
	s_cbranch_execnz .LBB111_1113
.LBB111_1111:
	s_load_dwordx4 s[8:11], s[34:35], 0x4
	s_load_dwordx2 s[2:3], s[34:35], 0xc4
	s_cmp_lt_u32 s33, 2
	s_waitcnt lgkmcnt(0)
	v_mul_hi_u32 v1, s9, v0
	v_add_u32_e32 v1, v0, v1
	v_lshrrev_b32_e32 v1, s10, v1
	v_mul_lo_u32 v2, v1, s8
	v_sub_u32_e32 v0, v0, v2
	v_mul_lo_u32 v2, v0, s2
	v_mul_lo_u32 v9, v0, s3
	s_cbranch_scc1 .LBB111_1113
; %bb.1112:
	s_load_dwordx4 s[8:11], s[34:35], 0x10
	s_load_dwordx2 s[2:3], s[34:35], 0xcc
	s_waitcnt lgkmcnt(0)
	v_mul_hi_u32 v0, s9, v1
	v_add_u32_e32 v0, v1, v0
	v_lshrrev_b32_e32 v0, s10, v0
	v_mul_lo_u32 v0, v0, s8
	v_sub_u32_e32 v0, v1, v0
	s_waitcnt vmcnt(0)
	v_mad_u64_u32 v[2:3], s[6:7], v0, s2, v[2:3]
	v_mad_u64_u32 v[9:10], s[2:3], v0, s3, v[9:10]
.LBB111_1113:
	s_and_b64 vcc, exec, s[0:1]
	s_cbranch_vccnz .LBB111_1119
; %bb.1114:
	s_cmp_lg_u32 s33, 0
	s_mov_b32 s26, 0
	s_cbranch_scc0 .LBB111_1120
; %bb.1115:
	s_min_u32 s27, s74, 15
	s_add_i32 s27, s27, 1
	s_cmp_eq_u32 s74, 2
	s_cbranch_scc1 .LBB111_1121
; %bb.1116:
	s_and_b32 s26, s27, 28
	s_add_u32 s6, s34, 0xc4
	s_addc_u32 s7, s35, 0
	v_mov_b32_e32 v7, 0
	s_mov_b32 s36, 0
	s_mov_b64 s[24:25], s[34:35]
	v_mov_b32_e32 v0, 0
	v_mov_b32_e32 v1, v15
.LBB111_1117:                           ; =>This Inner Loop Header: Depth=1
	s_load_dwordx8 s[16:23], s[24:25], 0x4
	s_load_dwordx4 s[0:3], s[24:25], 0x24
	s_load_dwordx8 s[8:15], s[6:7], 0x0
	s_add_u32 s24, s24, 48
	s_addc_u32 s25, s25, 0
	s_waitcnt vmcnt(0) lgkmcnt(0)
	v_mul_hi_u32 v3, s17, v1
	s_add_i32 s36, s36, 4
	s_add_u32 s6, s6, 32
	s_addc_u32 s7, s7, 0
	v_add_u32_e32 v3, v1, v3
	v_lshrrev_b32_e32 v3, s18, v3
	v_mul_lo_u32 v5, v3, s16
	v_mul_hi_u32 v8, s20, v3
	s_cmp_lg_u32 s26, s36
	v_sub_u32_e32 v1, v1, v5
	v_add_u32_e32 v5, v3, v8
	v_mul_lo_u32 v8, v1, s8
	v_mul_lo_u32 v10, v1, s9
	v_lshrrev_b32_e32 v1, s21, v5
	v_mul_lo_u32 v5, v1, s19
	v_mul_hi_u32 v12, s23, v1
	v_sub_u32_e32 v3, v3, v5
	v_add_u32_e32 v5, v1, v12
	v_lshrrev_b32_e32 v5, s0, v5
	v_mul_hi_u32 v14, s2, v5
	v_mul_lo_u32 v16, v5, s22
	v_mul_lo_u32 v12, v3, s10
	;; [unrolled: 1-line block ×3, first 2 shown]
	v_sub_u32_e32 v16, v1, v16
	v_add_u32_e32 v1, v5, v14
	v_lshrrev_b32_e32 v1, s3, v1
	v_mul_lo_u32 v14, v1, s1
	v_mul_lo_u32 v17, v16, s12
	;; [unrolled: 1-line block ×3, first 2 shown]
	v_add3_u32 v0, v8, v0, v12
	v_sub_u32_e32 v5, v5, v14
	v_mul_lo_u32 v14, v5, s14
	v_mul_lo_u32 v5, v5, s15
	v_add3_u32 v3, v10, v7, v3
	v_add3_u32 v0, v17, v0, v14
	;; [unrolled: 1-line block ×3, first 2 shown]
	s_cbranch_scc1 .LBB111_1117
; %bb.1118:
	s_and_b32 s6, s27, 3
	s_cmp_eq_u32 s6, 0
	s_cbranch_scc0 .LBB111_1122
	s_branch .LBB111_1124
.LBB111_1119:
                                        ; implicit-def: $vgpr0
                                        ; implicit-def: $vgpr7
	s_branch .LBB111_1125
.LBB111_1120:
	v_mov_b32_e32 v0, 0
	v_mov_b32_e32 v7, 0
	s_branch .LBB111_1124
.LBB111_1121:
	v_mov_b32_e32 v0, 0
	v_mov_b32_e32 v7, 0
	;; [unrolled: 1-line block ×3, first 2 shown]
	s_and_b32 s6, s27, 3
	s_cmp_eq_u32 s6, 0
	s_cbranch_scc1 .LBB111_1124
.LBB111_1122:
	s_lshl_b32 s0, s26, 3
	s_add_u32 s0, s34, s0
	s_addc_u32 s1, s35, 0
	s_add_u32 s0, s0, 0xc4
	s_addc_u32 s1, s1, 0
	s_mul_i32 s2, s26, 12
	s_add_u32 s2, s34, s2
	s_addc_u32 s3, s35, 0
.LBB111_1123:                           ; =>This Inner Loop Header: Depth=1
	s_load_dwordx2 s[8:9], s[2:3], 0x4
	s_load_dword s7, s[2:3], 0xc
	s_load_dwordx2 s[10:11], s[0:1], 0x0
	s_add_u32 s2, s2, 12
	s_addc_u32 s3, s3, 0
	s_waitcnt vmcnt(0) lgkmcnt(0)
	v_mul_hi_u32 v3, s9, v1
	s_add_u32 s0, s0, 8
	s_addc_u32 s1, s1, 0
	s_add_i32 s6, s6, -1
	v_add_u32_e32 v3, v1, v3
	v_lshrrev_b32_e32 v3, s7, v3
	v_mul_lo_u32 v5, v3, s8
	s_cmp_lg_u32 s6, 0
	v_sub_u32_e32 v5, v1, v5
	v_mad_u64_u32 v[0:1], s[8:9], v5, s10, v[0:1]
	v_mad_u64_u32 v[7:8], s[8:9], v5, s11, v[7:8]
	v_mov_b32_e32 v1, v3
	s_cbranch_scc1 .LBB111_1123
.LBB111_1124:
	s_cbranch_execnz .LBB111_1127
.LBB111_1125:
	s_load_dwordx4 s[0:3], s[34:35], 0x4
	s_load_dwordx2 s[6:7], s[34:35], 0xc4
	s_cmp_lt_u32 s33, 2
	s_waitcnt lgkmcnt(0)
	v_mul_hi_u32 v0, s1, v15
	v_add_u32_e32 v0, v15, v0
	v_lshrrev_b32_e32 v1, s2, v0
	v_mul_lo_u32 v0, v1, s0
	s_waitcnt vmcnt(0)
	v_sub_u32_e32 v3, v15, v0
	v_mul_lo_u32 v0, v3, s6
	v_mul_lo_u32 v7, v3, s7
	s_cbranch_scc1 .LBB111_1127
; %bb.1126:
	s_load_dwordx4 s[0:3], s[34:35], 0x10
	s_load_dwordx2 s[6:7], s[34:35], 0xcc
	s_waitcnt lgkmcnt(0)
	v_mul_hi_u32 v3, s1, v1
	v_add_u32_e32 v3, v1, v3
	v_lshrrev_b32_e32 v3, s2, v3
	v_mul_lo_u32 v3, v3, s0
	v_sub_u32_e32 v3, v1, v3
	v_mad_u64_u32 v[0:1], s[0:1], v3, s6, v[0:1]
	v_mad_u64_u32 v[7:8], s[0:1], v3, s7, v[7:8]
.LBB111_1127:
	s_load_dwordx4 s[8:11], s[34:35], 0x148
	s_load_dword s14, s[4:5], 0x164
	s_waitcnt lgkmcnt(0)
	v_mov_b32_e32 v1, s11
	s_bfe_u32 s15, s14, 0x80008
	v_add_co_u32_e32 v15, vcc, s10, v13
	s_cmp_lt_i32 s15, 11
	v_addc_co_u32_e32 v16, vcc, 0, v1, vcc
	s_cbranch_scc1 .LBB111_1134
; %bb.1128:
	s_and_b32 s16, 0xffff, s15
	s_cmp_gt_i32 s16, 25
	s_mov_b64 s[6:7], 0
	s_cbranch_scc0 .LBB111_1136
; %bb.1129:
	s_cmp_gt_i32 s16, 28
	s_cbranch_scc0 .LBB111_1137
; %bb.1130:
	s_cmp_gt_i32 s16, 43
	;; [unrolled: 3-line block ×3, first 2 shown]
	s_cbranch_scc0 .LBB111_1139
; %bb.1132:
	s_cmp_eq_u32 s16, 46
	s_mov_b64 s[2:3], 0
	s_cbranch_scc0 .LBB111_1142
; %bb.1133:
	global_load_dword v1, v[15:16], off
	s_mov_b64 s[0:1], 0
	s_mov_b64 s[12:13], -1
	s_waitcnt vmcnt(0)
	v_lshlrev_b32_e32 v1, 16, v1
	v_cvt_i32_f32_e32 v13, v1
	s_branch .LBB111_1143
.LBB111_1134:
	s_mov_b64 s[12:13], 0
                                        ; implicit-def: $vgpr13
	s_mov_b64 s[2:3], s[28:29]
	s_cbranch_execnz .LBB111_1201
.LBB111_1135:
	s_andn2_b64 vcc, exec, s[12:13]
	s_cbranch_vccz .LBB111_1246
	s_branch .LBB111_2055
.LBB111_1136:
	s_mov_b64 s[12:13], 0
	s_mov_b64 s[0:1], 0
                                        ; implicit-def: $vgpr13
	s_cbranch_execnz .LBB111_1168
	s_branch .LBB111_1197
.LBB111_1137:
	s_mov_b64 s[12:13], 0
	s_mov_b64 s[0:1], 0
                                        ; implicit-def: $vgpr13
	s_cbranch_execz .LBB111_1167
	s_branch .LBB111_1152
.LBB111_1138:
	s_mov_b64 s[12:13], 0
	s_mov_b64 s[0:1], 0
                                        ; implicit-def: $vgpr13
	s_cbranch_execnz .LBB111_1148
	s_branch .LBB111_1151
.LBB111_1139:
	s_mov_b64 s[2:3], -1
	s_mov_b64 s[12:13], 0
	s_mov_b64 s[0:1], 0
                                        ; implicit-def: $vgpr13
	s_branch .LBB111_1143
.LBB111_1140:
	s_andn2_saveexec_b64 s[14:15], s[14:15]
	s_cbranch_execz .LBB111_983
.LBB111_1141:
	s_mov_b32 s16, 0x46000000
	v_add_f32_e64 v3, |v0|, s16
	v_and_b32_e32 v3, 0xff, v3
	v_cmp_ne_u32_e32 vcc, 0, v3
	s_andn2_b64 s[12:13], s[12:13], exec
	s_and_b64 s[16:17], vcc, exec
	s_or_b64 s[12:13], s[12:13], s[16:17]
	s_or_b64 exec, exec, s[14:15]
	v_mov_b32_e32 v5, 0
	s_and_saveexec_b64 s[14:15], s[12:13]
	s_cbranch_execnz .LBB111_984
	s_branch .LBB111_985
.LBB111_1142:
	s_mov_b64 s[0:1], -1
                                        ; implicit-def: $vgpr13
	s_mov_b64 s[12:13], 0
.LBB111_1143:
	s_and_b64 vcc, exec, s[2:3]
	s_cbranch_vccz .LBB111_1146
; %bb.1144:
	s_cmp_eq_u32 s16, 44
	s_cbranch_scc0 .LBB111_1147
; %bb.1145:
	global_load_ubyte v1, v[15:16], off
	s_mov_b64 s[0:1], 0
	s_mov_b64 s[12:13], -1
	s_waitcnt vmcnt(0)
	v_lshlrev_b32_e32 v3, 23, v1
	v_cvt_i32_f32_e32 v3, v3
	v_cmp_ne_u32_e32 vcc, 0, v1
	v_cndmask_b32_e32 v13, 0, v3, vcc
.LBB111_1146:
	s_branch .LBB111_1151
.LBB111_1147:
	s_mov_b64 s[0:1], -1
                                        ; implicit-def: $vgpr13
	s_branch .LBB111_1151
.LBB111_1148:
	s_cmp_eq_u32 s16, 29
	s_cbranch_scc0 .LBB111_1150
; %bb.1149:
	global_load_dwordx2 v[13:14], v[15:16], off
	s_mov_b64 s[0:1], 0
	s_mov_b64 s[12:13], -1
	s_branch .LBB111_1151
.LBB111_1150:
	s_mov_b64 s[0:1], -1
                                        ; implicit-def: $vgpr13
.LBB111_1151:
	s_branch .LBB111_1167
.LBB111_1152:
	s_cmp_lt_i32 s16, 27
	s_cbranch_scc1 .LBB111_1155
; %bb.1153:
	s_cmp_gt_i32 s16, 27
	s_cbranch_scc0 .LBB111_1156
; %bb.1154:
	global_load_dword v13, v[15:16], off
	s_mov_b64 s[2:3], 0
	s_branch .LBB111_1157
.LBB111_1155:
	s_mov_b64 s[2:3], -1
                                        ; implicit-def: $vgpr13
	s_branch .LBB111_1160
.LBB111_1156:
	s_mov_b64 s[2:3], -1
                                        ; implicit-def: $vgpr13
.LBB111_1157:
	s_andn2_b64 vcc, exec, s[2:3]
	s_cbranch_vccnz .LBB111_1159
; %bb.1158:
	global_load_ushort v13, v[15:16], off
.LBB111_1159:
	s_mov_b64 s[2:3], 0
.LBB111_1160:
	s_andn2_b64 vcc, exec, s[2:3]
	s_cbranch_vccnz .LBB111_1166
; %bb.1161:
	global_load_ubyte v1, v[15:16], off
	s_movk_i32 s2, 0x7f
	s_mov_b64 s[12:13], 0
	s_waitcnt vmcnt(0)
	v_cmp_lt_i16_e32 vcc, s2, v1
	s_and_saveexec_b64 s[2:3], vcc
	s_xor_b64 s[2:3], exec, s[2:3]
	s_cbranch_execz .LBB111_1177
; %bb.1162:
	s_movk_i32 s12, 0x80
	v_cmp_ne_u16_e32 vcc, s12, v1
	s_and_b64 s[12:13], vcc, exec
	s_andn2_saveexec_b64 s[2:3], s[2:3]
	s_cbranch_execnz .LBB111_1178
.LBB111_1163:
	s_or_b64 exec, exec, s[2:3]
	v_mov_b32_e32 v13, 0
	s_and_saveexec_b64 s[2:3], s[12:13]
	s_cbranch_execz .LBB111_1165
.LBB111_1164:
	v_lshlrev_b32_e32 v3, 24, v1
	v_and_b32_e32 v1, 0xffff, v1
	v_and_b32_e32 v5, 7, v1
	v_ffbh_u32_e32 v10, v5
	v_min_u32_e32 v10, 32, v10
	v_subrev_u32_e32 v12, 28, v10
	v_bfe_u32 v8, v1, 3, 4
	v_lshlrev_b32_e32 v1, v12, v1
	v_sub_u32_e32 v10, 29, v10
	v_and_b32_e32 v1, 7, v1
	v_cmp_eq_u32_e32 vcc, 0, v8
	v_cndmask_b32_e32 v8, v8, v10, vcc
	v_cndmask_b32_e32 v1, v5, v1, vcc
	v_mov_b32_e32 v5, 0x3b800000
	v_lshlrev_b32_e32 v1, 20, v1
	v_and_b32_e32 v3, 0x80000000, v3
	v_lshl_add_u32 v5, v8, 23, v5
	v_or3_b32 v1, v3, v5, v1
	v_cvt_i32_f32_e32 v13, v1
.LBB111_1165:
	s_or_b64 exec, exec, s[2:3]
.LBB111_1166:
	s_mov_b64 s[12:13], -1
.LBB111_1167:
	s_branch .LBB111_1197
.LBB111_1168:
	s_cmp_gt_i32 s16, 22
	s_cbranch_scc0 .LBB111_1176
; %bb.1169:
	s_cmp_lt_i32 s16, 24
	s_cbranch_scc1 .LBB111_1179
; %bb.1170:
	s_cmp_gt_i32 s16, 24
	s_cbranch_scc0 .LBB111_1180
; %bb.1171:
	global_load_ubyte v1, v[15:16], off
	s_movk_i32 s2, 0x7f
	s_waitcnt vmcnt(0)
	v_cmp_lt_i16_e32 vcc, s2, v1
	s_and_saveexec_b64 s[2:3], vcc
	s_xor_b64 s[2:3], exec, s[2:3]
	s_cbranch_execz .LBB111_1191
; %bb.1172:
	s_movk_i32 s6, 0x80
	v_cmp_ne_u16_e32 vcc, s6, v1
	s_and_b64 s[6:7], vcc, exec
	s_andn2_saveexec_b64 s[2:3], s[2:3]
	s_cbranch_execnz .LBB111_1192
.LBB111_1173:
	s_or_b64 exec, exec, s[2:3]
	v_mov_b32_e32 v13, 0
	s_and_saveexec_b64 s[2:3], s[6:7]
	s_cbranch_execz .LBB111_1175
.LBB111_1174:
	v_lshlrev_b32_e32 v3, 24, v1
	v_and_b32_e32 v1, 0xffff, v1
	v_and_b32_e32 v5, 3, v1
	v_ffbh_u32_e32 v10, v5
	v_min_u32_e32 v10, 32, v10
	v_subrev_u32_e32 v12, 29, v10
	v_bfe_u32 v8, v1, 2, 5
	v_lshlrev_b32_e32 v1, v12, v1
	v_sub_u32_e32 v10, 30, v10
	v_and_b32_e32 v1, 3, v1
	v_cmp_eq_u32_e32 vcc, 0, v8
	v_cndmask_b32_e32 v8, v8, v10, vcc
	v_cndmask_b32_e32 v1, v5, v1, vcc
	v_mov_b32_e32 v5, 0x37800000
	v_lshlrev_b32_e32 v1, 21, v1
	v_and_b32_e32 v3, 0x80000000, v3
	v_lshl_add_u32 v5, v8, 23, v5
	v_or3_b32 v1, v3, v5, v1
	v_cvt_i32_f32_e32 v13, v1
.LBB111_1175:
	s_or_b64 exec, exec, s[2:3]
	s_mov_b64 s[2:3], 0
	s_branch .LBB111_1181
.LBB111_1176:
                                        ; implicit-def: $vgpr13
	s_mov_b64 s[6:7], 0
	s_branch .LBB111_1187
.LBB111_1177:
	s_andn2_saveexec_b64 s[2:3], s[2:3]
	s_cbranch_execz .LBB111_1163
.LBB111_1178:
	v_cmp_ne_u16_e32 vcc, 0, v1
	s_andn2_b64 s[12:13], s[12:13], exec
	s_and_b64 s[18:19], vcc, exec
	s_or_b64 s[12:13], s[12:13], s[18:19]
	s_or_b64 exec, exec, s[2:3]
	v_mov_b32_e32 v13, 0
	s_and_saveexec_b64 s[2:3], s[12:13]
	s_cbranch_execnz .LBB111_1164
	s_branch .LBB111_1165
.LBB111_1179:
	s_mov_b64 s[2:3], -1
                                        ; implicit-def: $vgpr13
	s_branch .LBB111_1184
.LBB111_1180:
	s_mov_b64 s[2:3], -1
                                        ; implicit-def: $vgpr13
.LBB111_1181:
	s_and_b64 vcc, exec, s[2:3]
	s_cbranch_vccz .LBB111_1183
; %bb.1182:
	global_load_ubyte v1, v[15:16], off
	s_mov_b32 s2, 0x7f800000
	s_waitcnt vmcnt(0)
	v_lshlrev_b32_e32 v1, 24, v1
	v_and_b32_e32 v3, 0x7f000000, v1
	v_ffbh_u32_e32 v5, v3
	v_min_u32_e32 v5, 32, v5
	v_sub_u32_e64 v5, v5, 4 clamp
	v_lshlrev_b32_e32 v10, v5, v3
	v_lshlrev_b32_e32 v5, 23, v5
	v_lshrrev_b32_e32 v10, 4, v10
	v_add_u32_e32 v8, 0x1000000, v3
	v_sub_u32_e32 v5, v10, v5
	v_ashrrev_i32_e32 v8, 8, v8
	v_add_u32_e32 v5, 0x3c000000, v5
	v_and_or_b32 v5, v8, s2, v5
	v_cmp_ne_u32_e32 vcc, 0, v3
	v_cndmask_b32_e32 v3, 0, v5, vcc
	s_brev_b32 s2, 1
	v_and_or_b32 v1, v1, s2, v3
	v_cvt_i32_f32_e32 v13, v1
.LBB111_1183:
	s_mov_b64 s[2:3], 0
.LBB111_1184:
	s_andn2_b64 vcc, exec, s[2:3]
	s_cbranch_vccnz .LBB111_1186
; %bb.1185:
	global_load_ubyte v1, v[15:16], off
	s_movk_i32 s2, 0x7f00
	s_brev_b32 s3, 16
	s_waitcnt vmcnt(0)
	v_lshlrev_b16_e32 v3, 8, v1
	v_lshlrev_b32_e32 v1, 25, v1
	v_lshrrev_b32_e32 v5, 4, v1
	v_and_or_b32 v8, v3, s2, 0.5
	v_or_b32_e32 v5, 0x70000000, v5
	v_add_f32_e32 v8, -0.5, v8
	v_mul_f32_e32 v5, 0x7800000, v5
	v_cmp_gt_u32_e32 vcc, s3, v1
	v_bfe_i32 v3, v3, 0, 16
	v_cndmask_b32_e32 v1, v5, v8, vcc
	s_brev_b32 s2, 1
	v_and_or_b32 v1, v3, s2, v1
	v_cvt_i32_f32_e32 v13, v1
.LBB111_1186:
	s_mov_b64 s[12:13], -1
	s_mov_b64 s[6:7], 0
	s_cbranch_execnz .LBB111_1197
.LBB111_1187:
	s_cmp_gt_i32 s16, 14
	s_cbranch_scc0 .LBB111_1190
; %bb.1188:
	s_cmp_eq_u32 s16, 15
	s_cbranch_scc0 .LBB111_1193
; %bb.1189:
	global_load_ushort v1, v[15:16], off
	s_mov_b64 s[0:1], 0
	s_mov_b64 s[12:13], -1
	s_waitcnt vmcnt(0)
	v_lshlrev_b32_e32 v1, 16, v1
	v_cvt_i32_f32_e32 v13, v1
	s_branch .LBB111_1194
.LBB111_1190:
	s_mov_b64 s[2:3], -1
                                        ; implicit-def: $vgpr13
	s_branch .LBB111_1195
.LBB111_1191:
	s_andn2_saveexec_b64 s[2:3], s[2:3]
	s_cbranch_execz .LBB111_1173
.LBB111_1192:
	v_cmp_ne_u16_e32 vcc, 0, v1
	s_andn2_b64 s[6:7], s[6:7], exec
	s_and_b64 s[12:13], vcc, exec
	s_or_b64 s[6:7], s[6:7], s[12:13]
	s_or_b64 exec, exec, s[2:3]
	v_mov_b32_e32 v13, 0
	s_and_saveexec_b64 s[2:3], s[6:7]
	s_cbranch_execnz .LBB111_1174
	s_branch .LBB111_1175
.LBB111_1193:
	s_mov_b64 s[0:1], -1
                                        ; implicit-def: $vgpr13
.LBB111_1194:
	s_mov_b64 s[2:3], 0
.LBB111_1195:
	s_and_b64 vcc, exec, s[2:3]
	s_cbranch_vccz .LBB111_1197
; %bb.1196:
	s_cmp_lg_u32 s16, 11
	s_mov_b64 s[6:7], -1
	s_cselect_b64 s[0:1], -1, 0
.LBB111_1197:
	s_and_b64 vcc, exec, s[0:1]
	s_mov_b64 s[2:3], s[28:29]
	s_cbranch_vccnz .LBB111_1258
; %bb.1198:
	s_andn2_b64 vcc, exec, s[6:7]
	s_cbranch_vccnz .LBB111_1200
.LBB111_1199:
	global_load_ubyte v1, v[15:16], off
	s_mov_b64 s[12:13], -1
	s_waitcnt vmcnt(0)
	v_cmp_ne_u16_e32 vcc, 0, v1
	v_cndmask_b32_e64 v13, 0, 1, vcc
.LBB111_1200:
	s_branch .LBB111_1135
.LBB111_1201:
	s_and_b32 s6, 0xffff, s15
	s_cmp_lt_i32 s6, 5
	s_cbranch_scc1 .LBB111_1206
; %bb.1202:
	s_cmp_lt_i32 s6, 8
	s_cbranch_scc1 .LBB111_1207
; %bb.1203:
	;; [unrolled: 3-line block ×3, first 2 shown]
	s_cmp_gt_i32 s6, 9
	s_cbranch_scc0 .LBB111_1209
; %bb.1205:
	global_load_dwordx2 v[12:13], v[15:16], off
	s_mov_b64 s[0:1], 0
	s_waitcnt vmcnt(0)
	v_cvt_i32_f64_e32 v13, v[12:13]
	s_branch .LBB111_1210
.LBB111_1206:
                                        ; implicit-def: $vgpr13
	s_branch .LBB111_1227
.LBB111_1207:
                                        ; implicit-def: $vgpr13
	s_branch .LBB111_1216
.LBB111_1208:
	s_mov_b64 s[0:1], -1
                                        ; implicit-def: $vgpr13
	s_branch .LBB111_1213
.LBB111_1209:
	s_mov_b64 s[0:1], -1
                                        ; implicit-def: $vgpr13
.LBB111_1210:
	s_andn2_b64 vcc, exec, s[0:1]
	s_cbranch_vccnz .LBB111_1212
; %bb.1211:
	global_load_dword v1, v[15:16], off
	s_waitcnt vmcnt(0)
	v_cvt_i32_f32_e32 v13, v1
.LBB111_1212:
	s_mov_b64 s[0:1], 0
.LBB111_1213:
	s_andn2_b64 vcc, exec, s[0:1]
	s_cbranch_vccnz .LBB111_1215
; %bb.1214:
	global_load_dword v1, v[15:16], off
	s_waitcnt vmcnt(0)
	v_cvt_i16_f16_e32 v13, v1
.LBB111_1215:
	s_cbranch_execnz .LBB111_1226
.LBB111_1216:
	s_cmp_lt_i32 s6, 6
	s_cbranch_scc1 .LBB111_1219
; %bb.1217:
	s_cmp_gt_i32 s6, 6
	s_cbranch_scc0 .LBB111_1220
; %bb.1218:
	global_load_dwordx2 v[12:13], v[15:16], off
	s_mov_b64 s[0:1], 0
	s_waitcnt vmcnt(0)
	v_cvt_i32_f64_e32 v13, v[12:13]
	s_branch .LBB111_1221
.LBB111_1219:
	s_mov_b64 s[0:1], -1
                                        ; implicit-def: $vgpr13
	s_branch .LBB111_1224
.LBB111_1220:
	s_mov_b64 s[0:1], -1
                                        ; implicit-def: $vgpr13
.LBB111_1221:
	s_andn2_b64 vcc, exec, s[0:1]
	s_cbranch_vccnz .LBB111_1223
; %bb.1222:
	global_load_dword v1, v[15:16], off
	s_waitcnt vmcnt(0)
	v_cvt_i32_f32_e32 v13, v1
.LBB111_1223:
	s_mov_b64 s[0:1], 0
.LBB111_1224:
	s_andn2_b64 vcc, exec, s[0:1]
	s_cbranch_vccnz .LBB111_1226
; %bb.1225:
	global_load_ushort v1, v[15:16], off
	s_waitcnt vmcnt(0)
	v_cvt_i16_f16_e32 v13, v1
.LBB111_1226:
	s_cbranch_execnz .LBB111_1245
.LBB111_1227:
	s_cmp_lt_i32 s6, 2
	s_cbranch_scc1 .LBB111_1231
; %bb.1228:
	s_cmp_lt_i32 s6, 3
	s_cbranch_scc1 .LBB111_1232
; %bb.1229:
	s_cmp_gt_i32 s6, 3
	s_cbranch_scc0 .LBB111_1233
; %bb.1230:
	global_load_dwordx2 v[13:14], v[15:16], off
	s_mov_b64 s[0:1], 0
	s_branch .LBB111_1234
.LBB111_1231:
                                        ; implicit-def: $vgpr13
	s_branch .LBB111_1240
.LBB111_1232:
	s_mov_b64 s[0:1], -1
                                        ; implicit-def: $vgpr13
	s_branch .LBB111_1237
.LBB111_1233:
	s_mov_b64 s[0:1], -1
                                        ; implicit-def: $vgpr13
.LBB111_1234:
	s_andn2_b64 vcc, exec, s[0:1]
	s_cbranch_vccnz .LBB111_1236
; %bb.1235:
	global_load_dword v13, v[15:16], off
.LBB111_1236:
	s_mov_b64 s[0:1], 0
.LBB111_1237:
	s_andn2_b64 vcc, exec, s[0:1]
	s_cbranch_vccnz .LBB111_1239
; %bb.1238:
	global_load_ushort v13, v[15:16], off
.LBB111_1239:
	s_cbranch_execnz .LBB111_1245
.LBB111_1240:
	s_cmp_gt_i32 s6, 0
	s_cbranch_scc0 .LBB111_1242
; %bb.1241:
	global_load_sbyte v13, v[15:16], off
	s_mov_b64 s[0:1], 0
	s_branch .LBB111_1243
.LBB111_1242:
	s_mov_b64 s[0:1], -1
                                        ; implicit-def: $vgpr13
.LBB111_1243:
	s_andn2_b64 vcc, exec, s[0:1]
	s_cbranch_vccnz .LBB111_1245
; %bb.1244:
	global_load_ubyte v13, v[15:16], off
.LBB111_1245:
.LBB111_1246:
	s_lshr_b32 s0, s14, 8
	v_mov_b32_e32 v1, s11
	s_and_b32 s16, s0, 0xff
	s_waitcnt vmcnt(0)
	v_add_co_u32_e32 v14, vcc, s10, v11
	s_cmp_lt_i32 s16, 11
	v_addc_co_u32_e32 v15, vcc, 0, v1, vcc
	s_cbranch_scc1 .LBB111_1253
; %bb.1247:
	s_and_b32 s17, 0xffff, s16
	s_cmp_gt_i32 s17, 25
	s_mov_b64 s[6:7], 0
	s_cbranch_scc0 .LBB111_1255
; %bb.1248:
	s_cmp_gt_i32 s17, 28
	s_cbranch_scc0 .LBB111_1256
; %bb.1249:
	s_cmp_gt_i32 s17, 43
	;; [unrolled: 3-line block ×3, first 2 shown]
	s_cbranch_scc0 .LBB111_1259
; %bb.1251:
	s_cmp_eq_u32 s17, 46
	s_mov_b64 s[14:15], 0
	s_cbranch_scc0 .LBB111_1262
; %bb.1252:
	global_load_dword v1, v[14:15], off
	s_mov_b64 s[0:1], 0
	s_mov_b64 s[12:13], -1
	s_waitcnt vmcnt(0)
	v_lshlrev_b32_e32 v1, 16, v1
	v_cvt_i32_f32_e32 v11, v1
	s_branch .LBB111_1263
.LBB111_1253:
	s_mov_b64 s[12:13], 0
                                        ; implicit-def: $vgpr11
	s_cbranch_execnz .LBB111_1324
.LBB111_1254:
	s_andn2_b64 vcc, exec, s[12:13]
	s_cbranch_vccnz .LBB111_2055
	s_branch .LBB111_1371
.LBB111_1255:
	s_mov_b64 s[12:13], 0
	s_mov_b64 s[0:1], 0
                                        ; implicit-def: $vgpr11
	s_cbranch_execnz .LBB111_1290
	s_branch .LBB111_1320
.LBB111_1256:
	s_mov_b64 s[14:15], -1
	s_mov_b64 s[12:13], 0
	s_mov_b64 s[0:1], 0
                                        ; implicit-def: $vgpr11
	s_branch .LBB111_1273
.LBB111_1257:
	s_mov_b64 s[14:15], -1
	s_mov_b64 s[12:13], 0
	s_mov_b64 s[0:1], 0
                                        ; implicit-def: $vgpr11
	s_branch .LBB111_1268
.LBB111_1258:
	s_or_b64 s[2:3], s[28:29], exec
	s_trap 2
	s_cbranch_execz .LBB111_1199
	s_branch .LBB111_1200
.LBB111_1259:
	s_mov_b64 s[14:15], -1
	s_mov_b64 s[12:13], 0
	s_mov_b64 s[0:1], 0
                                        ; implicit-def: $vgpr11
	s_branch .LBB111_1263
.LBB111_1260:
	s_andn2_saveexec_b64 s[16:17], s[16:17]
	s_cbranch_execz .LBB111_995
.LBB111_1261:
	s_mov_b32 s20, 0x42800000
	v_add_f32_e64 v3, |v0|, s20
	v_and_b32_e32 v3, 0xff, v3
	v_cmp_ne_u32_e32 vcc, 0, v3
	s_andn2_b64 s[14:15], s[14:15], exec
	s_and_b64 s[20:21], vcc, exec
	s_or_b64 s[14:15], s[14:15], s[20:21]
	s_or_b64 exec, exec, s[16:17]
	v_mov_b32_e32 v5, 0
	s_and_saveexec_b64 s[16:17], s[14:15]
	s_cbranch_execnz .LBB111_996
	s_branch .LBB111_997
.LBB111_1262:
	s_mov_b64 s[0:1], -1
                                        ; implicit-def: $vgpr11
	s_mov_b64 s[12:13], 0
.LBB111_1263:
	s_and_b64 vcc, exec, s[14:15]
	s_cbranch_vccz .LBB111_1267
; %bb.1264:
	s_cmp_eq_u32 s17, 44
	s_cbranch_scc0 .LBB111_1266
; %bb.1265:
	global_load_ubyte v1, v[14:15], off
	s_mov_b64 s[0:1], 0
	s_mov_b64 s[12:13], -1
	s_waitcnt vmcnt(0)
	v_lshlrev_b32_e32 v3, 23, v1
	v_cvt_i32_f32_e32 v3, v3
	v_cmp_ne_u32_e32 vcc, 0, v1
	v_cndmask_b32_e32 v11, 0, v3, vcc
	s_branch .LBB111_1267
.LBB111_1266:
	s_mov_b64 s[0:1], -1
                                        ; implicit-def: $vgpr11
.LBB111_1267:
	s_mov_b64 s[14:15], 0
.LBB111_1268:
	s_and_b64 vcc, exec, s[14:15]
	s_cbranch_vccz .LBB111_1272
; %bb.1269:
	s_cmp_eq_u32 s17, 29
	s_cbranch_scc0 .LBB111_1271
; %bb.1270:
	global_load_dwordx2 v[11:12], v[14:15], off
	s_mov_b64 s[0:1], 0
	s_mov_b64 s[12:13], -1
	s_branch .LBB111_1272
.LBB111_1271:
	s_mov_b64 s[0:1], -1
                                        ; implicit-def: $vgpr11
.LBB111_1272:
	s_mov_b64 s[14:15], 0
.LBB111_1273:
	s_and_b64 vcc, exec, s[14:15]
	s_cbranch_vccz .LBB111_1289
; %bb.1274:
	s_cmp_lt_i32 s17, 27
	s_cbranch_scc1 .LBB111_1277
; %bb.1275:
	s_cmp_gt_i32 s17, 27
	s_cbranch_scc0 .LBB111_1278
; %bb.1276:
	global_load_dword v11, v[14:15], off
	s_mov_b64 s[12:13], 0
	s_branch .LBB111_1279
.LBB111_1277:
	s_mov_b64 s[12:13], -1
                                        ; implicit-def: $vgpr11
	s_branch .LBB111_1282
.LBB111_1278:
	s_mov_b64 s[12:13], -1
                                        ; implicit-def: $vgpr11
.LBB111_1279:
	s_andn2_b64 vcc, exec, s[12:13]
	s_cbranch_vccnz .LBB111_1281
; %bb.1280:
	global_load_ushort v11, v[14:15], off
.LBB111_1281:
	s_mov_b64 s[12:13], 0
.LBB111_1282:
	s_andn2_b64 vcc, exec, s[12:13]
	s_cbranch_vccnz .LBB111_1288
; %bb.1283:
	global_load_ubyte v1, v[14:15], off
	s_movk_i32 s12, 0x7f
	s_mov_b64 s[14:15], 0
	s_waitcnt vmcnt(0)
	v_cmp_lt_i16_e32 vcc, s12, v1
	s_and_saveexec_b64 s[12:13], vcc
	s_xor_b64 s[12:13], exec, s[12:13]
	s_cbranch_execz .LBB111_1299
; %bb.1284:
	s_movk_i32 s14, 0x80
	v_cmp_ne_u16_e32 vcc, s14, v1
	s_and_b64 s[14:15], vcc, exec
	s_andn2_saveexec_b64 s[12:13], s[12:13]
	s_cbranch_execnz .LBB111_1300
.LBB111_1285:
	s_or_b64 exec, exec, s[12:13]
	v_mov_b32_e32 v11, 0
	s_and_saveexec_b64 s[12:13], s[14:15]
	s_cbranch_execz .LBB111_1287
.LBB111_1286:
	v_lshlrev_b32_e32 v3, 24, v1
	v_and_b32_e32 v1, 0xffff, v1
	v_and_b32_e32 v5, 7, v1
	v_ffbh_u32_e32 v10, v5
	v_min_u32_e32 v10, 32, v10
	v_subrev_u32_e32 v11, 28, v10
	v_bfe_u32 v8, v1, 3, 4
	v_lshlrev_b32_e32 v1, v11, v1
	v_sub_u32_e32 v10, 29, v10
	v_and_b32_e32 v1, 7, v1
	v_cmp_eq_u32_e32 vcc, 0, v8
	v_cndmask_b32_e32 v8, v8, v10, vcc
	v_cndmask_b32_e32 v1, v5, v1, vcc
	v_mov_b32_e32 v5, 0x3b800000
	v_lshlrev_b32_e32 v1, 20, v1
	v_and_b32_e32 v3, 0x80000000, v3
	v_lshl_add_u32 v5, v8, 23, v5
	v_or3_b32 v1, v3, v5, v1
	v_cvt_i32_f32_e32 v11, v1
.LBB111_1287:
	s_or_b64 exec, exec, s[12:13]
.LBB111_1288:
	s_mov_b64 s[12:13], -1
.LBB111_1289:
	s_branch .LBB111_1320
.LBB111_1290:
	s_cmp_gt_i32 s17, 22
	s_cbranch_scc0 .LBB111_1298
; %bb.1291:
	s_cmp_lt_i32 s17, 24
	s_cbranch_scc1 .LBB111_1301
; %bb.1292:
	s_cmp_gt_i32 s17, 24
	s_cbranch_scc0 .LBB111_1302
; %bb.1293:
	global_load_ubyte v1, v[14:15], off
	s_movk_i32 s6, 0x7f
	s_mov_b64 s[12:13], 0
	s_waitcnt vmcnt(0)
	v_cmp_lt_i16_e32 vcc, s6, v1
	s_and_saveexec_b64 s[6:7], vcc
	s_xor_b64 s[6:7], exec, s[6:7]
	s_cbranch_execz .LBB111_1314
; %bb.1294:
	s_movk_i32 s12, 0x80
	v_cmp_ne_u16_e32 vcc, s12, v1
	s_and_b64 s[12:13], vcc, exec
	s_andn2_saveexec_b64 s[6:7], s[6:7]
	s_cbranch_execnz .LBB111_1315
.LBB111_1295:
	s_or_b64 exec, exec, s[6:7]
	v_mov_b32_e32 v11, 0
	s_and_saveexec_b64 s[6:7], s[12:13]
	s_cbranch_execz .LBB111_1297
.LBB111_1296:
	v_lshlrev_b32_e32 v3, 24, v1
	v_and_b32_e32 v1, 0xffff, v1
	v_and_b32_e32 v5, 3, v1
	v_ffbh_u32_e32 v10, v5
	v_min_u32_e32 v10, 32, v10
	v_subrev_u32_e32 v11, 29, v10
	v_bfe_u32 v8, v1, 2, 5
	v_lshlrev_b32_e32 v1, v11, v1
	v_sub_u32_e32 v10, 30, v10
	v_and_b32_e32 v1, 3, v1
	v_cmp_eq_u32_e32 vcc, 0, v8
	v_cndmask_b32_e32 v8, v8, v10, vcc
	v_cndmask_b32_e32 v1, v5, v1, vcc
	v_mov_b32_e32 v5, 0x37800000
	v_lshlrev_b32_e32 v1, 21, v1
	v_and_b32_e32 v3, 0x80000000, v3
	v_lshl_add_u32 v5, v8, 23, v5
	v_or3_b32 v1, v3, v5, v1
	v_cvt_i32_f32_e32 v11, v1
.LBB111_1297:
	s_or_b64 exec, exec, s[6:7]
	s_mov_b64 s[6:7], 0
	s_branch .LBB111_1303
.LBB111_1298:
	s_mov_b64 s[6:7], -1
                                        ; implicit-def: $vgpr11
	s_branch .LBB111_1309
.LBB111_1299:
	s_andn2_saveexec_b64 s[12:13], s[12:13]
	s_cbranch_execz .LBB111_1285
.LBB111_1300:
	v_cmp_ne_u16_e32 vcc, 0, v1
	s_andn2_b64 s[14:15], s[14:15], exec
	s_and_b64 s[18:19], vcc, exec
	s_or_b64 s[14:15], s[14:15], s[18:19]
	s_or_b64 exec, exec, s[12:13]
	v_mov_b32_e32 v11, 0
	s_and_saveexec_b64 s[12:13], s[14:15]
	s_cbranch_execnz .LBB111_1286
	s_branch .LBB111_1287
.LBB111_1301:
	s_mov_b64 s[6:7], -1
                                        ; implicit-def: $vgpr11
	s_branch .LBB111_1306
.LBB111_1302:
	s_mov_b64 s[6:7], -1
                                        ; implicit-def: $vgpr11
.LBB111_1303:
	s_and_b64 vcc, exec, s[6:7]
	s_cbranch_vccz .LBB111_1305
; %bb.1304:
	global_load_ubyte v1, v[14:15], off
	s_mov_b32 s6, 0x7f800000
	s_waitcnt vmcnt(0)
	v_lshlrev_b32_e32 v1, 24, v1
	v_and_b32_e32 v3, 0x7f000000, v1
	v_ffbh_u32_e32 v5, v3
	v_min_u32_e32 v5, 32, v5
	v_sub_u32_e64 v5, v5, 4 clamp
	v_lshlrev_b32_e32 v10, v5, v3
	v_lshlrev_b32_e32 v5, 23, v5
	v_lshrrev_b32_e32 v10, 4, v10
	v_add_u32_e32 v8, 0x1000000, v3
	v_sub_u32_e32 v5, v10, v5
	v_ashrrev_i32_e32 v8, 8, v8
	v_add_u32_e32 v5, 0x3c000000, v5
	v_and_or_b32 v5, v8, s6, v5
	v_cmp_ne_u32_e32 vcc, 0, v3
	v_cndmask_b32_e32 v3, 0, v5, vcc
	s_brev_b32 s6, 1
	v_and_or_b32 v1, v1, s6, v3
	v_cvt_i32_f32_e32 v11, v1
.LBB111_1305:
	s_mov_b64 s[6:7], 0
.LBB111_1306:
	s_andn2_b64 vcc, exec, s[6:7]
	s_cbranch_vccnz .LBB111_1308
; %bb.1307:
	global_load_ubyte v1, v[14:15], off
	s_movk_i32 s6, 0x7f00
	s_brev_b32 s7, 16
	s_waitcnt vmcnt(0)
	v_lshlrev_b16_e32 v3, 8, v1
	v_lshlrev_b32_e32 v1, 25, v1
	v_lshrrev_b32_e32 v5, 4, v1
	v_and_or_b32 v8, v3, s6, 0.5
	v_or_b32_e32 v5, 0x70000000, v5
	v_add_f32_e32 v8, -0.5, v8
	v_mul_f32_e32 v5, 0x7800000, v5
	v_cmp_gt_u32_e32 vcc, s7, v1
	v_bfe_i32 v3, v3, 0, 16
	v_cndmask_b32_e32 v1, v5, v8, vcc
	s_brev_b32 s6, 1
	v_and_or_b32 v1, v3, s6, v1
	v_cvt_i32_f32_e32 v11, v1
.LBB111_1308:
	s_mov_b64 s[6:7], 0
	s_mov_b64 s[12:13], -1
.LBB111_1309:
	s_andn2_b64 vcc, exec, s[6:7]
	s_mov_b64 s[6:7], 0
	s_cbranch_vccnz .LBB111_1320
; %bb.1310:
	s_cmp_gt_i32 s17, 14
	s_cbranch_scc0 .LBB111_1313
; %bb.1311:
	s_cmp_eq_u32 s17, 15
	s_cbranch_scc0 .LBB111_1316
; %bb.1312:
	global_load_ushort v1, v[14:15], off
	s_mov_b64 s[0:1], 0
	s_mov_b64 s[12:13], -1
	s_waitcnt vmcnt(0)
	v_lshlrev_b32_e32 v1, 16, v1
	v_cvt_i32_f32_e32 v11, v1
	s_branch .LBB111_1317
.LBB111_1313:
	s_mov_b64 s[14:15], -1
                                        ; implicit-def: $vgpr11
	s_branch .LBB111_1318
.LBB111_1314:
	s_andn2_saveexec_b64 s[6:7], s[6:7]
	s_cbranch_execz .LBB111_1295
.LBB111_1315:
	v_cmp_ne_u16_e32 vcc, 0, v1
	s_andn2_b64 s[12:13], s[12:13], exec
	s_and_b64 s[14:15], vcc, exec
	s_or_b64 s[12:13], s[12:13], s[14:15]
	s_or_b64 exec, exec, s[6:7]
	v_mov_b32_e32 v11, 0
	s_and_saveexec_b64 s[6:7], s[12:13]
	s_cbranch_execnz .LBB111_1296
	s_branch .LBB111_1297
.LBB111_1316:
	s_mov_b64 s[0:1], -1
                                        ; implicit-def: $vgpr11
.LBB111_1317:
	s_mov_b64 s[14:15], 0
.LBB111_1318:
	s_and_b64 vcc, exec, s[14:15]
	s_cbranch_vccz .LBB111_1320
; %bb.1319:
	s_cmp_lg_u32 s17, 11
	s_mov_b64 s[6:7], -1
	s_cselect_b64 s[0:1], -1, 0
.LBB111_1320:
	s_and_b64 vcc, exec, s[0:1]
	s_cbranch_vccnz .LBB111_1383
; %bb.1321:
	s_andn2_b64 vcc, exec, s[6:7]
	s_cbranch_vccnz .LBB111_1323
.LBB111_1322:
	global_load_ubyte v1, v[14:15], off
	s_mov_b64 s[12:13], -1
	s_waitcnt vmcnt(0)
	v_cmp_ne_u16_e32 vcc, 0, v1
	v_cndmask_b32_e64 v11, 0, 1, vcc
.LBB111_1323:
	s_branch .LBB111_1254
.LBB111_1324:
	s_and_b32 s6, 0xffff, s16
	s_cmp_lt_i32 s6, 5
	s_cbranch_scc1 .LBB111_1329
; %bb.1325:
	s_cmp_lt_i32 s6, 8
	s_cbranch_scc1 .LBB111_1330
; %bb.1326:
	;; [unrolled: 3-line block ×3, first 2 shown]
	s_cmp_gt_i32 s6, 9
	s_cbranch_scc0 .LBB111_1332
; %bb.1328:
	global_load_dwordx2 v[10:11], v[14:15], off
	s_mov_b64 s[0:1], 0
	s_waitcnt vmcnt(0)
	v_cvt_i32_f64_e32 v11, v[10:11]
	s_branch .LBB111_1333
.LBB111_1329:
                                        ; implicit-def: $vgpr11
	s_branch .LBB111_1351
.LBB111_1330:
	s_mov_b64 s[0:1], -1
                                        ; implicit-def: $vgpr11
	s_branch .LBB111_1339
.LBB111_1331:
	s_mov_b64 s[0:1], -1
                                        ; implicit-def: $vgpr11
	s_branch .LBB111_1336
.LBB111_1332:
	s_mov_b64 s[0:1], -1
                                        ; implicit-def: $vgpr11
.LBB111_1333:
	s_andn2_b64 vcc, exec, s[0:1]
	s_cbranch_vccnz .LBB111_1335
; %bb.1334:
	global_load_dword v1, v[14:15], off
	s_waitcnt vmcnt(0)
	v_cvt_i32_f32_e32 v11, v1
.LBB111_1335:
	s_mov_b64 s[0:1], 0
.LBB111_1336:
	s_andn2_b64 vcc, exec, s[0:1]
	s_cbranch_vccnz .LBB111_1338
; %bb.1337:
	global_load_dword v1, v[14:15], off
	s_waitcnt vmcnt(0)
	v_cvt_i16_f16_e32 v11, v1
.LBB111_1338:
	s_mov_b64 s[0:1], 0
.LBB111_1339:
	s_andn2_b64 vcc, exec, s[0:1]
	s_cbranch_vccnz .LBB111_1350
; %bb.1340:
	s_cmp_lt_i32 s6, 6
	s_cbranch_scc1 .LBB111_1343
; %bb.1341:
	s_cmp_gt_i32 s6, 6
	s_cbranch_scc0 .LBB111_1344
; %bb.1342:
	global_load_dwordx2 v[10:11], v[14:15], off
	s_mov_b64 s[0:1], 0
	s_waitcnt vmcnt(0)
	v_cvt_i32_f64_e32 v11, v[10:11]
	s_branch .LBB111_1345
.LBB111_1343:
	s_mov_b64 s[0:1], -1
                                        ; implicit-def: $vgpr11
	s_branch .LBB111_1348
.LBB111_1344:
	s_mov_b64 s[0:1], -1
                                        ; implicit-def: $vgpr11
.LBB111_1345:
	s_andn2_b64 vcc, exec, s[0:1]
	s_cbranch_vccnz .LBB111_1347
; %bb.1346:
	global_load_dword v1, v[14:15], off
	s_waitcnt vmcnt(0)
	v_cvt_i32_f32_e32 v11, v1
.LBB111_1347:
	s_mov_b64 s[0:1], 0
.LBB111_1348:
	s_andn2_b64 vcc, exec, s[0:1]
	s_cbranch_vccnz .LBB111_1350
; %bb.1349:
	global_load_ushort v1, v[14:15], off
	s_waitcnt vmcnt(0)
	v_cvt_i16_f16_e32 v11, v1
.LBB111_1350:
	s_cbranch_execnz .LBB111_1370
.LBB111_1351:
	s_cmp_lt_i32 s6, 2
	s_cbranch_scc1 .LBB111_1355
; %bb.1352:
	s_cmp_lt_i32 s6, 3
	s_cbranch_scc1 .LBB111_1356
; %bb.1353:
	s_cmp_gt_i32 s6, 3
	s_cbranch_scc0 .LBB111_1357
; %bb.1354:
	global_load_dwordx2 v[11:12], v[14:15], off
	s_mov_b64 s[0:1], 0
	s_branch .LBB111_1358
.LBB111_1355:
	s_mov_b64 s[0:1], -1
                                        ; implicit-def: $vgpr11
	s_branch .LBB111_1364
.LBB111_1356:
	s_mov_b64 s[0:1], -1
                                        ; implicit-def: $vgpr11
	s_branch .LBB111_1361
.LBB111_1357:
	s_mov_b64 s[0:1], -1
                                        ; implicit-def: $vgpr11
.LBB111_1358:
	s_andn2_b64 vcc, exec, s[0:1]
	s_cbranch_vccnz .LBB111_1360
; %bb.1359:
	global_load_dword v11, v[14:15], off
.LBB111_1360:
	s_mov_b64 s[0:1], 0
.LBB111_1361:
	s_andn2_b64 vcc, exec, s[0:1]
	s_cbranch_vccnz .LBB111_1363
; %bb.1362:
	global_load_ushort v11, v[14:15], off
.LBB111_1363:
	s_mov_b64 s[0:1], 0
.LBB111_1364:
	s_andn2_b64 vcc, exec, s[0:1]
	s_cbranch_vccnz .LBB111_1370
; %bb.1365:
	s_cmp_gt_i32 s6, 0
	s_cbranch_scc0 .LBB111_1367
; %bb.1366:
	global_load_sbyte v11, v[14:15], off
	s_mov_b64 s[0:1], 0
	s_branch .LBB111_1368
.LBB111_1367:
	s_mov_b64 s[0:1], -1
                                        ; implicit-def: $vgpr11
.LBB111_1368:
	s_andn2_b64 vcc, exec, s[0:1]
	s_cbranch_vccnz .LBB111_1370
; %bb.1369:
	global_load_ubyte v11, v[14:15], off
.LBB111_1370:
.LBB111_1371:
	v_mov_b32_e32 v1, s11
	v_add_co_u32_e32 v14, vcc, s10, v9
	s_cmp_lt_i32 s16, 11
	v_addc_co_u32_e32 v15, vcc, 0, v1, vcc
	s_cbranch_scc1 .LBB111_1378
; %bb.1372:
	s_and_b32 s17, 0xffff, s16
	s_cmp_gt_i32 s17, 25
	s_mov_b64 s[6:7], 0
	s_cbranch_scc0 .LBB111_1380
; %bb.1373:
	s_cmp_gt_i32 s17, 28
	s_cbranch_scc0 .LBB111_1381
; %bb.1374:
	s_cmp_gt_i32 s17, 43
	;; [unrolled: 3-line block ×3, first 2 shown]
	s_cbranch_scc0 .LBB111_1384
; %bb.1376:
	s_cmp_eq_u32 s17, 46
	s_mov_b64 s[14:15], 0
	s_cbranch_scc0 .LBB111_1385
; %bb.1377:
	global_load_dword v1, v[14:15], off
	s_mov_b64 s[0:1], 0
	s_mov_b64 s[12:13], -1
	s_waitcnt vmcnt(0)
	v_lshlrev_b32_e32 v1, 16, v1
	v_cvt_i32_f32_e32 v9, v1
	s_branch .LBB111_1386
.LBB111_1378:
	s_mov_b64 s[12:13], 0
                                        ; implicit-def: $vgpr9
	s_cbranch_execnz .LBB111_1448
.LBB111_1379:
	s_andn2_b64 vcc, exec, s[12:13]
	s_cbranch_vccnz .LBB111_2055
	s_branch .LBB111_1496
.LBB111_1380:
	s_mov_b64 s[14:15], -1
	s_mov_b64 s[12:13], 0
	s_mov_b64 s[0:1], 0
                                        ; implicit-def: $vgpr9
	s_branch .LBB111_1413
.LBB111_1381:
	s_mov_b64 s[14:15], -1
	s_mov_b64 s[12:13], 0
	s_mov_b64 s[0:1], 0
                                        ; implicit-def: $vgpr9
	s_branch .LBB111_1396
.LBB111_1382:
	s_mov_b64 s[14:15], -1
	s_mov_b64 s[12:13], 0
	s_mov_b64 s[0:1], 0
                                        ; implicit-def: $vgpr9
	s_branch .LBB111_1391
.LBB111_1383:
	s_trap 2
	s_or_b64 s[2:3], s[2:3], exec
	s_cbranch_execz .LBB111_1322
	s_branch .LBB111_1323
.LBB111_1384:
	s_mov_b64 s[14:15], -1
	s_mov_b64 s[12:13], 0
	s_mov_b64 s[0:1], 0
                                        ; implicit-def: $vgpr9
	s_branch .LBB111_1386
.LBB111_1385:
	s_mov_b64 s[0:1], -1
                                        ; implicit-def: $vgpr9
	s_mov_b64 s[12:13], 0
.LBB111_1386:
	s_and_b64 vcc, exec, s[14:15]
	s_cbranch_vccz .LBB111_1390
; %bb.1387:
	s_cmp_eq_u32 s17, 44
	s_cbranch_scc0 .LBB111_1389
; %bb.1388:
	global_load_ubyte v1, v[14:15], off
	s_mov_b64 s[0:1], 0
	s_mov_b64 s[12:13], -1
	s_waitcnt vmcnt(0)
	v_lshlrev_b32_e32 v3, 23, v1
	v_cvt_i32_f32_e32 v3, v3
	v_cmp_ne_u32_e32 vcc, 0, v1
	v_cndmask_b32_e32 v9, 0, v3, vcc
	s_branch .LBB111_1390
.LBB111_1389:
	s_mov_b64 s[0:1], -1
                                        ; implicit-def: $vgpr9
.LBB111_1390:
	s_mov_b64 s[14:15], 0
.LBB111_1391:
	s_and_b64 vcc, exec, s[14:15]
	s_cbranch_vccz .LBB111_1395
; %bb.1392:
	s_cmp_eq_u32 s17, 29
	s_cbranch_scc0 .LBB111_1394
; %bb.1393:
	global_load_dwordx2 v[9:10], v[14:15], off
	s_mov_b64 s[0:1], 0
	s_mov_b64 s[12:13], -1
	s_branch .LBB111_1395
.LBB111_1394:
	s_mov_b64 s[0:1], -1
                                        ; implicit-def: $vgpr9
.LBB111_1395:
	s_mov_b64 s[14:15], 0
.LBB111_1396:
	s_and_b64 vcc, exec, s[14:15]
	s_cbranch_vccz .LBB111_1412
; %bb.1397:
	s_cmp_lt_i32 s17, 27
	s_cbranch_scc1 .LBB111_1400
; %bb.1398:
	s_cmp_gt_i32 s17, 27
	s_cbranch_scc0 .LBB111_1401
; %bb.1399:
	global_load_dword v9, v[14:15], off
	s_mov_b64 s[12:13], 0
	s_branch .LBB111_1402
.LBB111_1400:
	s_mov_b64 s[12:13], -1
                                        ; implicit-def: $vgpr9
	s_branch .LBB111_1405
.LBB111_1401:
	s_mov_b64 s[12:13], -1
                                        ; implicit-def: $vgpr9
.LBB111_1402:
	s_andn2_b64 vcc, exec, s[12:13]
	s_cbranch_vccnz .LBB111_1404
; %bb.1403:
	global_load_ushort v9, v[14:15], off
.LBB111_1404:
	s_mov_b64 s[12:13], 0
.LBB111_1405:
	s_andn2_b64 vcc, exec, s[12:13]
	s_cbranch_vccnz .LBB111_1411
; %bb.1406:
	global_load_ubyte v1, v[14:15], off
	s_movk_i32 s12, 0x7f
	s_mov_b64 s[14:15], 0
	s_waitcnt vmcnt(0)
	v_cmp_lt_i16_e32 vcc, s12, v1
	s_and_saveexec_b64 s[12:13], vcc
	s_xor_b64 s[12:13], exec, s[12:13]
	s_cbranch_execz .LBB111_1423
; %bb.1407:
	s_movk_i32 s14, 0x80
	v_cmp_ne_u16_e32 vcc, s14, v1
	s_and_b64 s[14:15], vcc, exec
	s_andn2_saveexec_b64 s[12:13], s[12:13]
	s_cbranch_execnz .LBB111_1424
.LBB111_1408:
	s_or_b64 exec, exec, s[12:13]
	v_mov_b32_e32 v9, 0
	s_and_saveexec_b64 s[12:13], s[14:15]
	s_cbranch_execz .LBB111_1410
.LBB111_1409:
	v_lshlrev_b32_e32 v3, 24, v1
	v_and_b32_e32 v1, 0xffff, v1
	v_and_b32_e32 v5, 7, v1
	v_ffbh_u32_e32 v9, v5
	v_min_u32_e32 v9, 32, v9
	v_subrev_u32_e32 v10, 28, v9
	v_bfe_u32 v8, v1, 3, 4
	v_lshlrev_b32_e32 v1, v10, v1
	v_sub_u32_e32 v9, 29, v9
	v_and_b32_e32 v1, 7, v1
	v_cmp_eq_u32_e32 vcc, 0, v8
	v_cndmask_b32_e32 v8, v8, v9, vcc
	v_cndmask_b32_e32 v1, v5, v1, vcc
	v_mov_b32_e32 v5, 0x3b800000
	v_lshlrev_b32_e32 v1, 20, v1
	v_and_b32_e32 v3, 0x80000000, v3
	v_lshl_add_u32 v5, v8, 23, v5
	v_or3_b32 v1, v3, v5, v1
	v_cvt_i32_f32_e32 v9, v1
.LBB111_1410:
	s_or_b64 exec, exec, s[12:13]
.LBB111_1411:
	s_mov_b64 s[12:13], -1
.LBB111_1412:
	s_mov_b64 s[14:15], 0
.LBB111_1413:
	s_and_b64 vcc, exec, s[14:15]
	s_cbranch_vccz .LBB111_1444
; %bb.1414:
	s_cmp_gt_i32 s17, 22
	s_cbranch_scc0 .LBB111_1422
; %bb.1415:
	s_cmp_lt_i32 s17, 24
	s_cbranch_scc1 .LBB111_1425
; %bb.1416:
	s_cmp_gt_i32 s17, 24
	s_cbranch_scc0 .LBB111_1426
; %bb.1417:
	global_load_ubyte v1, v[14:15], off
	s_movk_i32 s6, 0x7f
	s_mov_b64 s[12:13], 0
	s_waitcnt vmcnt(0)
	v_cmp_lt_i16_e32 vcc, s6, v1
	s_and_saveexec_b64 s[6:7], vcc
	s_xor_b64 s[6:7], exec, s[6:7]
	s_cbranch_execz .LBB111_1438
; %bb.1418:
	s_movk_i32 s12, 0x80
	v_cmp_ne_u16_e32 vcc, s12, v1
	s_and_b64 s[12:13], vcc, exec
	s_andn2_saveexec_b64 s[6:7], s[6:7]
	s_cbranch_execnz .LBB111_1439
.LBB111_1419:
	s_or_b64 exec, exec, s[6:7]
	v_mov_b32_e32 v9, 0
	s_and_saveexec_b64 s[6:7], s[12:13]
	s_cbranch_execz .LBB111_1421
.LBB111_1420:
	v_lshlrev_b32_e32 v3, 24, v1
	v_and_b32_e32 v1, 0xffff, v1
	v_and_b32_e32 v5, 3, v1
	v_ffbh_u32_e32 v9, v5
	v_min_u32_e32 v9, 32, v9
	v_subrev_u32_e32 v10, 29, v9
	v_bfe_u32 v8, v1, 2, 5
	v_lshlrev_b32_e32 v1, v10, v1
	v_sub_u32_e32 v9, 30, v9
	v_and_b32_e32 v1, 3, v1
	v_cmp_eq_u32_e32 vcc, 0, v8
	v_cndmask_b32_e32 v8, v8, v9, vcc
	v_cndmask_b32_e32 v1, v5, v1, vcc
	v_mov_b32_e32 v5, 0x37800000
	v_lshlrev_b32_e32 v1, 21, v1
	v_and_b32_e32 v3, 0x80000000, v3
	v_lshl_add_u32 v5, v8, 23, v5
	v_or3_b32 v1, v3, v5, v1
	v_cvt_i32_f32_e32 v9, v1
.LBB111_1421:
	s_or_b64 exec, exec, s[6:7]
	s_mov_b64 s[6:7], 0
	s_branch .LBB111_1427
.LBB111_1422:
	s_mov_b64 s[6:7], -1
                                        ; implicit-def: $vgpr9
	s_branch .LBB111_1433
.LBB111_1423:
	s_andn2_saveexec_b64 s[12:13], s[12:13]
	s_cbranch_execz .LBB111_1408
.LBB111_1424:
	v_cmp_ne_u16_e32 vcc, 0, v1
	s_andn2_b64 s[14:15], s[14:15], exec
	s_and_b64 s[18:19], vcc, exec
	s_or_b64 s[14:15], s[14:15], s[18:19]
	s_or_b64 exec, exec, s[12:13]
	v_mov_b32_e32 v9, 0
	s_and_saveexec_b64 s[12:13], s[14:15]
	s_cbranch_execnz .LBB111_1409
	s_branch .LBB111_1410
.LBB111_1425:
	s_mov_b64 s[6:7], -1
                                        ; implicit-def: $vgpr9
	s_branch .LBB111_1430
.LBB111_1426:
	s_mov_b64 s[6:7], -1
                                        ; implicit-def: $vgpr9
.LBB111_1427:
	s_and_b64 vcc, exec, s[6:7]
	s_cbranch_vccz .LBB111_1429
; %bb.1428:
	global_load_ubyte v1, v[14:15], off
	s_mov_b32 s6, 0x7f800000
	s_waitcnt vmcnt(0)
	v_lshlrev_b32_e32 v1, 24, v1
	v_and_b32_e32 v3, 0x7f000000, v1
	v_ffbh_u32_e32 v5, v3
	v_min_u32_e32 v5, 32, v5
	v_sub_u32_e64 v5, v5, 4 clamp
	v_lshlrev_b32_e32 v9, v5, v3
	v_lshlrev_b32_e32 v5, 23, v5
	v_lshrrev_b32_e32 v9, 4, v9
	v_add_u32_e32 v8, 0x1000000, v3
	v_sub_u32_e32 v5, v9, v5
	v_ashrrev_i32_e32 v8, 8, v8
	v_add_u32_e32 v5, 0x3c000000, v5
	v_and_or_b32 v5, v8, s6, v5
	v_cmp_ne_u32_e32 vcc, 0, v3
	v_cndmask_b32_e32 v3, 0, v5, vcc
	s_brev_b32 s6, 1
	v_and_or_b32 v1, v1, s6, v3
	v_cvt_i32_f32_e32 v9, v1
.LBB111_1429:
	s_mov_b64 s[6:7], 0
.LBB111_1430:
	s_andn2_b64 vcc, exec, s[6:7]
	s_cbranch_vccnz .LBB111_1432
; %bb.1431:
	global_load_ubyte v1, v[14:15], off
	s_movk_i32 s6, 0x7f00
	s_brev_b32 s7, 16
	s_waitcnt vmcnt(0)
	v_lshlrev_b16_e32 v3, 8, v1
	v_lshlrev_b32_e32 v1, 25, v1
	v_lshrrev_b32_e32 v5, 4, v1
	v_and_or_b32 v8, v3, s6, 0.5
	v_or_b32_e32 v5, 0x70000000, v5
	v_add_f32_e32 v8, -0.5, v8
	v_mul_f32_e32 v5, 0x7800000, v5
	v_cmp_gt_u32_e32 vcc, s7, v1
	v_bfe_i32 v3, v3, 0, 16
	v_cndmask_b32_e32 v1, v5, v8, vcc
	s_brev_b32 s6, 1
	v_and_or_b32 v1, v3, s6, v1
	v_cvt_i32_f32_e32 v9, v1
.LBB111_1432:
	s_mov_b64 s[6:7], 0
	s_mov_b64 s[12:13], -1
.LBB111_1433:
	s_andn2_b64 vcc, exec, s[6:7]
	s_mov_b64 s[6:7], 0
	s_cbranch_vccnz .LBB111_1444
; %bb.1434:
	s_cmp_gt_i32 s17, 14
	s_cbranch_scc0 .LBB111_1437
; %bb.1435:
	s_cmp_eq_u32 s17, 15
	s_cbranch_scc0 .LBB111_1440
; %bb.1436:
	global_load_ushort v1, v[14:15], off
	s_mov_b64 s[0:1], 0
	s_mov_b64 s[12:13], -1
	s_waitcnt vmcnt(0)
	v_lshlrev_b32_e32 v1, 16, v1
	v_cvt_i32_f32_e32 v9, v1
	s_branch .LBB111_1441
.LBB111_1437:
	s_mov_b64 s[14:15], -1
                                        ; implicit-def: $vgpr9
	s_branch .LBB111_1442
.LBB111_1438:
	s_andn2_saveexec_b64 s[6:7], s[6:7]
	s_cbranch_execz .LBB111_1419
.LBB111_1439:
	v_cmp_ne_u16_e32 vcc, 0, v1
	s_andn2_b64 s[12:13], s[12:13], exec
	s_and_b64 s[14:15], vcc, exec
	s_or_b64 s[12:13], s[12:13], s[14:15]
	s_or_b64 exec, exec, s[6:7]
	v_mov_b32_e32 v9, 0
	s_and_saveexec_b64 s[6:7], s[12:13]
	s_cbranch_execnz .LBB111_1420
	s_branch .LBB111_1421
.LBB111_1440:
	s_mov_b64 s[0:1], -1
                                        ; implicit-def: $vgpr9
.LBB111_1441:
	s_mov_b64 s[14:15], 0
.LBB111_1442:
	s_and_b64 vcc, exec, s[14:15]
	s_cbranch_vccz .LBB111_1444
; %bb.1443:
	s_cmp_lg_u32 s17, 11
	s_mov_b64 s[6:7], -1
	s_cselect_b64 s[0:1], -1, 0
.LBB111_1444:
	s_and_b64 vcc, exec, s[0:1]
	s_cbranch_vccnz .LBB111_1507
; %bb.1445:
	s_andn2_b64 vcc, exec, s[6:7]
	s_cbranch_vccnz .LBB111_1447
.LBB111_1446:
	global_load_ubyte v1, v[14:15], off
	s_mov_b64 s[12:13], -1
	s_waitcnt vmcnt(0)
	v_cmp_ne_u16_e32 vcc, 0, v1
	v_cndmask_b32_e64 v9, 0, 1, vcc
.LBB111_1447:
	s_branch .LBB111_1379
.LBB111_1448:
	s_and_b32 s6, 0xffff, s16
	s_cmp_lt_i32 s6, 5
	s_cbranch_scc1 .LBB111_1453
; %bb.1449:
	s_cmp_lt_i32 s6, 8
	s_cbranch_scc1 .LBB111_1454
; %bb.1450:
	;; [unrolled: 3-line block ×3, first 2 shown]
	s_cmp_gt_i32 s6, 9
	s_cbranch_scc0 .LBB111_1456
; %bb.1452:
	global_load_dwordx2 v[8:9], v[14:15], off
	s_mov_b64 s[0:1], 0
	s_waitcnt vmcnt(0)
	v_cvt_i32_f64_e32 v9, v[8:9]
	s_branch .LBB111_1457
.LBB111_1453:
	s_mov_b64 s[0:1], -1
                                        ; implicit-def: $vgpr9
	s_branch .LBB111_1475
.LBB111_1454:
	s_mov_b64 s[0:1], -1
                                        ; implicit-def: $vgpr9
	s_branch .LBB111_1463
.LBB111_1455:
	s_mov_b64 s[0:1], -1
                                        ; implicit-def: $vgpr9
	s_branch .LBB111_1460
.LBB111_1456:
	s_mov_b64 s[0:1], -1
                                        ; implicit-def: $vgpr9
.LBB111_1457:
	s_andn2_b64 vcc, exec, s[0:1]
	s_cbranch_vccnz .LBB111_1459
; %bb.1458:
	global_load_dword v1, v[14:15], off
	s_waitcnt vmcnt(0)
	v_cvt_i32_f32_e32 v9, v1
.LBB111_1459:
	s_mov_b64 s[0:1], 0
.LBB111_1460:
	s_andn2_b64 vcc, exec, s[0:1]
	s_cbranch_vccnz .LBB111_1462
; %bb.1461:
	global_load_dword v1, v[14:15], off
	s_waitcnt vmcnt(0)
	v_cvt_i16_f16_e32 v9, v1
.LBB111_1462:
	s_mov_b64 s[0:1], 0
.LBB111_1463:
	s_andn2_b64 vcc, exec, s[0:1]
	s_cbranch_vccnz .LBB111_1474
; %bb.1464:
	s_cmp_lt_i32 s6, 6
	s_cbranch_scc1 .LBB111_1467
; %bb.1465:
	s_cmp_gt_i32 s6, 6
	s_cbranch_scc0 .LBB111_1468
; %bb.1466:
	global_load_dwordx2 v[8:9], v[14:15], off
	s_mov_b64 s[0:1], 0
	s_waitcnt vmcnt(0)
	v_cvt_i32_f64_e32 v9, v[8:9]
	s_branch .LBB111_1469
.LBB111_1467:
	s_mov_b64 s[0:1], -1
                                        ; implicit-def: $vgpr9
	s_branch .LBB111_1472
.LBB111_1468:
	s_mov_b64 s[0:1], -1
                                        ; implicit-def: $vgpr9
.LBB111_1469:
	s_andn2_b64 vcc, exec, s[0:1]
	s_cbranch_vccnz .LBB111_1471
; %bb.1470:
	global_load_dword v1, v[14:15], off
	s_waitcnt vmcnt(0)
	v_cvt_i32_f32_e32 v9, v1
.LBB111_1471:
	s_mov_b64 s[0:1], 0
.LBB111_1472:
	s_andn2_b64 vcc, exec, s[0:1]
	s_cbranch_vccnz .LBB111_1474
; %bb.1473:
	global_load_ushort v1, v[14:15], off
	s_waitcnt vmcnt(0)
	v_cvt_i16_f16_e32 v9, v1
.LBB111_1474:
	s_mov_b64 s[0:1], 0
.LBB111_1475:
	s_andn2_b64 vcc, exec, s[0:1]
	s_cbranch_vccnz .LBB111_1495
; %bb.1476:
	s_cmp_lt_i32 s6, 2
	s_cbranch_scc1 .LBB111_1480
; %bb.1477:
	s_cmp_lt_i32 s6, 3
	s_cbranch_scc1 .LBB111_1481
; %bb.1478:
	s_cmp_gt_i32 s6, 3
	s_cbranch_scc0 .LBB111_1482
; %bb.1479:
	global_load_dwordx2 v[9:10], v[14:15], off
	s_mov_b64 s[0:1], 0
	s_branch .LBB111_1483
.LBB111_1480:
	s_mov_b64 s[0:1], -1
                                        ; implicit-def: $vgpr9
	s_branch .LBB111_1489
.LBB111_1481:
	s_mov_b64 s[0:1], -1
                                        ; implicit-def: $vgpr9
	s_branch .LBB111_1486
.LBB111_1482:
	s_mov_b64 s[0:1], -1
                                        ; implicit-def: $vgpr9
.LBB111_1483:
	s_andn2_b64 vcc, exec, s[0:1]
	s_cbranch_vccnz .LBB111_1485
; %bb.1484:
	global_load_dword v9, v[14:15], off
.LBB111_1485:
	s_mov_b64 s[0:1], 0
.LBB111_1486:
	s_andn2_b64 vcc, exec, s[0:1]
	s_cbranch_vccnz .LBB111_1488
; %bb.1487:
	global_load_ushort v9, v[14:15], off
.LBB111_1488:
	s_mov_b64 s[0:1], 0
.LBB111_1489:
	s_andn2_b64 vcc, exec, s[0:1]
	s_cbranch_vccnz .LBB111_1495
; %bb.1490:
	s_cmp_gt_i32 s6, 0
	s_cbranch_scc0 .LBB111_1492
; %bb.1491:
	global_load_sbyte v9, v[14:15], off
	s_mov_b64 s[0:1], 0
	s_branch .LBB111_1493
.LBB111_1492:
	s_mov_b64 s[0:1], -1
                                        ; implicit-def: $vgpr9
.LBB111_1493:
	s_andn2_b64 vcc, exec, s[0:1]
	s_cbranch_vccnz .LBB111_1495
; %bb.1494:
	global_load_ubyte v9, v[14:15], off
.LBB111_1495:
.LBB111_1496:
	v_mov_b32_e32 v1, s11
	v_add_co_u32_e32 v14, vcc, s10, v7
	s_cmp_lt_i32 s16, 11
	v_addc_co_u32_e32 v15, vcc, 0, v1, vcc
	s_cbranch_scc1 .LBB111_1503
; %bb.1497:
	s_and_b32 s14, 0xffff, s16
	s_cmp_gt_i32 s14, 25
	s_mov_b64 s[6:7], 0
	s_cbranch_scc0 .LBB111_1504
; %bb.1498:
	s_cmp_gt_i32 s14, 28
	s_cbranch_scc0 .LBB111_1505
; %bb.1499:
	s_cmp_gt_i32 s14, 43
	;; [unrolled: 3-line block ×3, first 2 shown]
	s_cbranch_scc0 .LBB111_1508
; %bb.1501:
	s_cmp_eq_u32 s14, 46
	s_mov_b64 s[12:13], 0
	s_cbranch_scc0 .LBB111_1509
; %bb.1502:
	global_load_dword v1, v[14:15], off
	s_mov_b64 s[0:1], 0
	s_mov_b64 s[10:11], -1
	s_waitcnt vmcnt(0)
	v_lshlrev_b32_e32 v1, 16, v1
	v_cvt_i32_f32_e32 v7, v1
	s_branch .LBB111_1510
.LBB111_1503:
	s_mov_b64 s[0:1], -1
	s_mov_b64 s[10:11], 0
                                        ; implicit-def: $vgpr7
	s_branch .LBB111_1572
.LBB111_1504:
	s_mov_b64 s[12:13], -1
	s_mov_b64 s[10:11], 0
	s_mov_b64 s[0:1], 0
                                        ; implicit-def: $vgpr7
	s_branch .LBB111_1537
.LBB111_1505:
	s_mov_b64 s[12:13], -1
	s_mov_b64 s[10:11], 0
	s_mov_b64 s[0:1], 0
                                        ; implicit-def: $vgpr7
	s_branch .LBB111_1520
.LBB111_1506:
	s_mov_b64 s[12:13], -1
	s_mov_b64 s[10:11], 0
	s_mov_b64 s[0:1], 0
                                        ; implicit-def: $vgpr7
	s_branch .LBB111_1515
.LBB111_1507:
	s_trap 2
	s_or_b64 s[2:3], s[2:3], exec
	s_cbranch_execz .LBB111_1446
	s_branch .LBB111_1447
.LBB111_1508:
	s_mov_b64 s[12:13], -1
	s_mov_b64 s[10:11], 0
	s_mov_b64 s[0:1], 0
                                        ; implicit-def: $vgpr7
	s_branch .LBB111_1510
.LBB111_1509:
	s_mov_b64 s[0:1], -1
                                        ; implicit-def: $vgpr7
	s_mov_b64 s[10:11], 0
.LBB111_1510:
	s_and_b64 vcc, exec, s[12:13]
	s_cbranch_vccz .LBB111_1514
; %bb.1511:
	s_cmp_eq_u32 s14, 44
	s_cbranch_scc0 .LBB111_1513
; %bb.1512:
	global_load_ubyte v1, v[14:15], off
	s_mov_b64 s[0:1], 0
	s_mov_b64 s[10:11], -1
	s_waitcnt vmcnt(0)
	v_lshlrev_b32_e32 v3, 23, v1
	v_cvt_i32_f32_e32 v3, v3
	v_cmp_ne_u32_e32 vcc, 0, v1
	v_cndmask_b32_e32 v7, 0, v3, vcc
	s_branch .LBB111_1514
.LBB111_1513:
	s_mov_b64 s[0:1], -1
                                        ; implicit-def: $vgpr7
.LBB111_1514:
	s_mov_b64 s[12:13], 0
.LBB111_1515:
	s_and_b64 vcc, exec, s[12:13]
	s_cbranch_vccz .LBB111_1519
; %bb.1516:
	s_cmp_eq_u32 s14, 29
	s_cbranch_scc0 .LBB111_1518
; %bb.1517:
	global_load_dwordx2 v[7:8], v[14:15], off
	s_mov_b64 s[0:1], 0
	s_mov_b64 s[10:11], -1
	s_branch .LBB111_1519
.LBB111_1518:
	s_mov_b64 s[0:1], -1
                                        ; implicit-def: $vgpr7
.LBB111_1519:
	s_mov_b64 s[12:13], 0
.LBB111_1520:
	s_and_b64 vcc, exec, s[12:13]
	s_cbranch_vccz .LBB111_1536
; %bb.1521:
	s_cmp_lt_i32 s14, 27
	s_cbranch_scc1 .LBB111_1524
; %bb.1522:
	s_cmp_gt_i32 s14, 27
	s_cbranch_scc0 .LBB111_1525
; %bb.1523:
	global_load_dword v7, v[14:15], off
	s_mov_b64 s[10:11], 0
	s_branch .LBB111_1526
.LBB111_1524:
	s_mov_b64 s[10:11], -1
                                        ; implicit-def: $vgpr7
	s_branch .LBB111_1529
.LBB111_1525:
	s_mov_b64 s[10:11], -1
                                        ; implicit-def: $vgpr7
.LBB111_1526:
	s_andn2_b64 vcc, exec, s[10:11]
	s_cbranch_vccnz .LBB111_1528
; %bb.1527:
	global_load_ushort v7, v[14:15], off
.LBB111_1528:
	s_mov_b64 s[10:11], 0
.LBB111_1529:
	s_andn2_b64 vcc, exec, s[10:11]
	s_cbranch_vccnz .LBB111_1535
; %bb.1530:
	global_load_ubyte v1, v[14:15], off
	s_movk_i32 s10, 0x7f
	s_mov_b64 s[12:13], 0
	s_waitcnt vmcnt(0)
	v_cmp_lt_i16_e32 vcc, s10, v1
	s_and_saveexec_b64 s[10:11], vcc
	s_xor_b64 s[10:11], exec, s[10:11]
	s_cbranch_execz .LBB111_1547
; %bb.1531:
	s_movk_i32 s12, 0x80
	v_cmp_ne_u16_e32 vcc, s12, v1
	s_and_b64 s[12:13], vcc, exec
	s_andn2_saveexec_b64 s[10:11], s[10:11]
	s_cbranch_execnz .LBB111_1548
.LBB111_1532:
	s_or_b64 exec, exec, s[10:11]
	v_mov_b32_e32 v7, 0
	s_and_saveexec_b64 s[10:11], s[12:13]
	s_cbranch_execz .LBB111_1534
.LBB111_1533:
	v_lshlrev_b32_e32 v3, 24, v1
	v_and_b32_e32 v1, 0xffff, v1
	v_and_b32_e32 v5, 7, v1
	v_ffbh_u32_e32 v8, v5
	v_min_u32_e32 v8, 32, v8
	v_subrev_u32_e32 v10, 28, v8
	v_bfe_u32 v7, v1, 3, 4
	v_lshlrev_b32_e32 v1, v10, v1
	v_sub_u32_e32 v8, 29, v8
	v_and_b32_e32 v1, 7, v1
	v_cmp_eq_u32_e32 vcc, 0, v7
	v_cndmask_b32_e32 v7, v7, v8, vcc
	v_cndmask_b32_e32 v1, v5, v1, vcc
	v_mov_b32_e32 v5, 0x3b800000
	v_lshlrev_b32_e32 v1, 20, v1
	v_and_b32_e32 v3, 0x80000000, v3
	v_lshl_add_u32 v5, v7, 23, v5
	v_or3_b32 v1, v3, v5, v1
	v_cvt_i32_f32_e32 v7, v1
.LBB111_1534:
	s_or_b64 exec, exec, s[10:11]
.LBB111_1535:
	s_mov_b64 s[10:11], -1
.LBB111_1536:
	s_mov_b64 s[12:13], 0
.LBB111_1537:
	s_and_b64 vcc, exec, s[12:13]
	s_cbranch_vccz .LBB111_1568
; %bb.1538:
	s_cmp_gt_i32 s14, 22
	s_cbranch_scc0 .LBB111_1546
; %bb.1539:
	s_cmp_lt_i32 s14, 24
	s_cbranch_scc1 .LBB111_1549
; %bb.1540:
	s_cmp_gt_i32 s14, 24
	s_cbranch_scc0 .LBB111_1550
; %bb.1541:
	global_load_ubyte v1, v[14:15], off
	s_movk_i32 s6, 0x7f
	s_mov_b64 s[10:11], 0
	s_waitcnt vmcnt(0)
	v_cmp_lt_i16_e32 vcc, s6, v1
	s_and_saveexec_b64 s[6:7], vcc
	s_xor_b64 s[6:7], exec, s[6:7]
	s_cbranch_execz .LBB111_1562
; %bb.1542:
	s_movk_i32 s10, 0x80
	v_cmp_ne_u16_e32 vcc, s10, v1
	s_and_b64 s[10:11], vcc, exec
	s_andn2_saveexec_b64 s[6:7], s[6:7]
	s_cbranch_execnz .LBB111_1563
.LBB111_1543:
	s_or_b64 exec, exec, s[6:7]
	v_mov_b32_e32 v7, 0
	s_and_saveexec_b64 s[6:7], s[10:11]
	s_cbranch_execz .LBB111_1545
.LBB111_1544:
	v_lshlrev_b32_e32 v3, 24, v1
	v_and_b32_e32 v1, 0xffff, v1
	v_and_b32_e32 v5, 3, v1
	v_ffbh_u32_e32 v8, v5
	v_min_u32_e32 v8, 32, v8
	v_subrev_u32_e32 v10, 29, v8
	v_bfe_u32 v7, v1, 2, 5
	v_lshlrev_b32_e32 v1, v10, v1
	v_sub_u32_e32 v8, 30, v8
	v_and_b32_e32 v1, 3, v1
	v_cmp_eq_u32_e32 vcc, 0, v7
	v_cndmask_b32_e32 v7, v7, v8, vcc
	v_cndmask_b32_e32 v1, v5, v1, vcc
	v_mov_b32_e32 v5, 0x37800000
	v_lshlrev_b32_e32 v1, 21, v1
	v_and_b32_e32 v3, 0x80000000, v3
	v_lshl_add_u32 v5, v7, 23, v5
	v_or3_b32 v1, v3, v5, v1
	v_cvt_i32_f32_e32 v7, v1
.LBB111_1545:
	s_or_b64 exec, exec, s[6:7]
	s_mov_b64 s[6:7], 0
	s_branch .LBB111_1551
.LBB111_1546:
	s_mov_b64 s[6:7], -1
                                        ; implicit-def: $vgpr7
	s_branch .LBB111_1557
.LBB111_1547:
	s_andn2_saveexec_b64 s[10:11], s[10:11]
	s_cbranch_execz .LBB111_1532
.LBB111_1548:
	v_cmp_ne_u16_e32 vcc, 0, v1
	s_andn2_b64 s[12:13], s[12:13], exec
	s_and_b64 s[18:19], vcc, exec
	s_or_b64 s[12:13], s[12:13], s[18:19]
	s_or_b64 exec, exec, s[10:11]
	v_mov_b32_e32 v7, 0
	s_and_saveexec_b64 s[10:11], s[12:13]
	s_cbranch_execnz .LBB111_1533
	s_branch .LBB111_1534
.LBB111_1549:
	s_mov_b64 s[6:7], -1
                                        ; implicit-def: $vgpr7
	s_branch .LBB111_1554
.LBB111_1550:
	s_mov_b64 s[6:7], -1
                                        ; implicit-def: $vgpr7
.LBB111_1551:
	s_and_b64 vcc, exec, s[6:7]
	s_cbranch_vccz .LBB111_1553
; %bb.1552:
	global_load_ubyte v1, v[14:15], off
	s_mov_b32 s6, 0x7f800000
	s_waitcnt vmcnt(0)
	v_lshlrev_b32_e32 v1, 24, v1
	v_and_b32_e32 v3, 0x7f000000, v1
	v_ffbh_u32_e32 v5, v3
	v_min_u32_e32 v5, 32, v5
	v_sub_u32_e64 v5, v5, 4 clamp
	v_lshlrev_b32_e32 v8, v5, v3
	v_lshlrev_b32_e32 v5, 23, v5
	v_lshrrev_b32_e32 v8, 4, v8
	v_add_u32_e32 v7, 0x1000000, v3
	v_sub_u32_e32 v5, v8, v5
	v_ashrrev_i32_e32 v7, 8, v7
	v_add_u32_e32 v5, 0x3c000000, v5
	v_and_or_b32 v5, v7, s6, v5
	v_cmp_ne_u32_e32 vcc, 0, v3
	v_cndmask_b32_e32 v3, 0, v5, vcc
	s_brev_b32 s6, 1
	v_and_or_b32 v1, v1, s6, v3
	v_cvt_i32_f32_e32 v7, v1
.LBB111_1553:
	s_mov_b64 s[6:7], 0
.LBB111_1554:
	s_andn2_b64 vcc, exec, s[6:7]
	s_cbranch_vccnz .LBB111_1556
; %bb.1555:
	global_load_ubyte v1, v[14:15], off
	s_movk_i32 s6, 0x7f00
	s_brev_b32 s7, 16
	s_waitcnt vmcnt(0)
	v_lshlrev_b16_e32 v3, 8, v1
	v_lshlrev_b32_e32 v1, 25, v1
	v_lshrrev_b32_e32 v5, 4, v1
	v_and_or_b32 v7, v3, s6, 0.5
	v_or_b32_e32 v5, 0x70000000, v5
	v_add_f32_e32 v7, -0.5, v7
	v_mul_f32_e32 v5, 0x7800000, v5
	v_cmp_gt_u32_e32 vcc, s7, v1
	v_bfe_i32 v3, v3, 0, 16
	v_cndmask_b32_e32 v1, v5, v7, vcc
	s_brev_b32 s6, 1
	v_and_or_b32 v1, v3, s6, v1
	v_cvt_i32_f32_e32 v7, v1
.LBB111_1556:
	s_mov_b64 s[6:7], 0
	s_mov_b64 s[10:11], -1
.LBB111_1557:
	s_andn2_b64 vcc, exec, s[6:7]
	s_mov_b64 s[6:7], 0
	s_cbranch_vccnz .LBB111_1568
; %bb.1558:
	s_cmp_gt_i32 s14, 14
	s_cbranch_scc0 .LBB111_1561
; %bb.1559:
	s_cmp_eq_u32 s14, 15
	s_cbranch_scc0 .LBB111_1564
; %bb.1560:
	global_load_ushort v1, v[14:15], off
	s_mov_b64 s[0:1], 0
	s_mov_b64 s[10:11], -1
	s_waitcnt vmcnt(0)
	v_lshlrev_b32_e32 v1, 16, v1
	v_cvt_i32_f32_e32 v7, v1
	s_branch .LBB111_1565
.LBB111_1561:
	s_mov_b64 s[12:13], -1
                                        ; implicit-def: $vgpr7
	s_branch .LBB111_1566
.LBB111_1562:
	s_andn2_saveexec_b64 s[6:7], s[6:7]
	s_cbranch_execz .LBB111_1543
.LBB111_1563:
	v_cmp_ne_u16_e32 vcc, 0, v1
	s_andn2_b64 s[10:11], s[10:11], exec
	s_and_b64 s[12:13], vcc, exec
	s_or_b64 s[10:11], s[10:11], s[12:13]
	s_or_b64 exec, exec, s[6:7]
	v_mov_b32_e32 v7, 0
	s_and_saveexec_b64 s[6:7], s[10:11]
	s_cbranch_execnz .LBB111_1544
	s_branch .LBB111_1545
.LBB111_1564:
	s_mov_b64 s[0:1], -1
                                        ; implicit-def: $vgpr7
.LBB111_1565:
	s_mov_b64 s[12:13], 0
.LBB111_1566:
	s_and_b64 vcc, exec, s[12:13]
	s_cbranch_vccz .LBB111_1568
; %bb.1567:
	s_cmp_lg_u32 s14, 11
	s_mov_b64 s[6:7], -1
	s_cselect_b64 s[0:1], -1, 0
.LBB111_1568:
	s_and_b64 vcc, exec, s[0:1]
	s_cbranch_vccnz .LBB111_2101
; %bb.1569:
	s_andn2_b64 vcc, exec, s[6:7]
	s_cbranch_vccnz .LBB111_1571
.LBB111_1570:
	global_load_ubyte v1, v[14:15], off
	s_mov_b64 s[10:11], -1
	s_waitcnt vmcnt(0)
	v_cmp_ne_u16_e32 vcc, 0, v1
	v_cndmask_b32_e64 v7, 0, 1, vcc
.LBB111_1571:
	s_mov_b64 s[0:1], 0
.LBB111_1572:
	s_and_b64 vcc, exec, s[0:1]
	s_cbranch_vccz .LBB111_1621
; %bb.1573:
	s_and_b32 s6, 0xffff, s16
	s_cmp_lt_i32 s6, 5
	s_cbranch_scc1 .LBB111_1578
; %bb.1574:
	s_cmp_lt_i32 s6, 8
	s_cbranch_scc1 .LBB111_1579
; %bb.1575:
	;; [unrolled: 3-line block ×3, first 2 shown]
	s_cmp_gt_i32 s6, 9
	s_cbranch_scc0 .LBB111_1581
; %bb.1577:
	global_load_dwordx2 v[7:8], v[14:15], off
	s_mov_b64 s[0:1], 0
	s_waitcnt vmcnt(0)
	v_cvt_i32_f64_e32 v7, v[7:8]
	s_branch .LBB111_1582
.LBB111_1578:
	s_mov_b64 s[0:1], -1
                                        ; implicit-def: $vgpr7
	s_branch .LBB111_1600
.LBB111_1579:
	s_mov_b64 s[0:1], -1
                                        ; implicit-def: $vgpr7
	s_branch .LBB111_1588
.LBB111_1580:
	s_mov_b64 s[0:1], -1
                                        ; implicit-def: $vgpr7
	s_branch .LBB111_1585
.LBB111_1581:
	s_mov_b64 s[0:1], -1
                                        ; implicit-def: $vgpr7
.LBB111_1582:
	s_andn2_b64 vcc, exec, s[0:1]
	s_cbranch_vccnz .LBB111_1584
; %bb.1583:
	global_load_dword v1, v[14:15], off
	s_waitcnt vmcnt(0)
	v_cvt_i32_f32_e32 v7, v1
.LBB111_1584:
	s_mov_b64 s[0:1], 0
.LBB111_1585:
	s_andn2_b64 vcc, exec, s[0:1]
	s_cbranch_vccnz .LBB111_1587
; %bb.1586:
	global_load_dword v1, v[14:15], off
	s_waitcnt vmcnt(0)
	v_cvt_i16_f16_e32 v7, v1
.LBB111_1587:
	s_mov_b64 s[0:1], 0
.LBB111_1588:
	s_andn2_b64 vcc, exec, s[0:1]
	s_cbranch_vccnz .LBB111_1599
; %bb.1589:
	s_cmp_lt_i32 s6, 6
	s_cbranch_scc1 .LBB111_1592
; %bb.1590:
	s_cmp_gt_i32 s6, 6
	s_cbranch_scc0 .LBB111_1593
; %bb.1591:
	global_load_dwordx2 v[7:8], v[14:15], off
	s_mov_b64 s[0:1], 0
	s_waitcnt vmcnt(0)
	v_cvt_i32_f64_e32 v7, v[7:8]
	s_branch .LBB111_1594
.LBB111_1592:
	s_mov_b64 s[0:1], -1
                                        ; implicit-def: $vgpr7
	s_branch .LBB111_1597
.LBB111_1593:
	s_mov_b64 s[0:1], -1
                                        ; implicit-def: $vgpr7
.LBB111_1594:
	s_andn2_b64 vcc, exec, s[0:1]
	s_cbranch_vccnz .LBB111_1596
; %bb.1595:
	global_load_dword v1, v[14:15], off
	s_waitcnt vmcnt(0)
	v_cvt_i32_f32_e32 v7, v1
.LBB111_1596:
	s_mov_b64 s[0:1], 0
.LBB111_1597:
	s_andn2_b64 vcc, exec, s[0:1]
	s_cbranch_vccnz .LBB111_1599
; %bb.1598:
	global_load_ushort v1, v[14:15], off
	s_waitcnt vmcnt(0)
	v_cvt_i16_f16_e32 v7, v1
.LBB111_1599:
	s_mov_b64 s[0:1], 0
.LBB111_1600:
	s_andn2_b64 vcc, exec, s[0:1]
	s_cbranch_vccnz .LBB111_1620
; %bb.1601:
	s_cmp_lt_i32 s6, 2
	s_cbranch_scc1 .LBB111_1605
; %bb.1602:
	s_cmp_lt_i32 s6, 3
	s_cbranch_scc1 .LBB111_1606
; %bb.1603:
	s_cmp_gt_i32 s6, 3
	s_cbranch_scc0 .LBB111_1607
; %bb.1604:
	global_load_dwordx2 v[7:8], v[14:15], off
	s_mov_b64 s[0:1], 0
	s_branch .LBB111_1608
.LBB111_1605:
	s_mov_b64 s[0:1], -1
                                        ; implicit-def: $vgpr7
	s_branch .LBB111_1614
.LBB111_1606:
	s_mov_b64 s[0:1], -1
                                        ; implicit-def: $vgpr7
	s_branch .LBB111_1611
.LBB111_1607:
	s_mov_b64 s[0:1], -1
                                        ; implicit-def: $vgpr7
.LBB111_1608:
	s_andn2_b64 vcc, exec, s[0:1]
	s_cbranch_vccnz .LBB111_1610
; %bb.1609:
	global_load_dword v7, v[14:15], off
.LBB111_1610:
	s_mov_b64 s[0:1], 0
.LBB111_1611:
	s_andn2_b64 vcc, exec, s[0:1]
	s_cbranch_vccnz .LBB111_1613
; %bb.1612:
	global_load_ushort v7, v[14:15], off
.LBB111_1613:
	s_mov_b64 s[0:1], 0
.LBB111_1614:
	s_andn2_b64 vcc, exec, s[0:1]
	s_cbranch_vccnz .LBB111_1620
; %bb.1615:
	s_cmp_gt_i32 s6, 0
	s_cbranch_scc0 .LBB111_1617
; %bb.1616:
	global_load_sbyte v7, v[14:15], off
	s_mov_b64 s[0:1], 0
	s_branch .LBB111_1618
.LBB111_1617:
	s_mov_b64 s[0:1], -1
                                        ; implicit-def: $vgpr7
.LBB111_1618:
	s_andn2_b64 vcc, exec, s[0:1]
	s_cbranch_vccnz .LBB111_1620
; %bb.1619:
	global_load_ubyte v7, v[14:15], off
.LBB111_1620:
	s_mov_b64 s[10:11], -1
.LBB111_1621:
	s_andn2_b64 vcc, exec, s[10:11]
	s_cbranch_vccnz .LBB111_2055
; %bb.1622:
	s_load_dword s0, s[4:5], 0x160
	s_load_dword s1, s[34:35], 0x15c
	v_mov_b32_e32 v3, s9
	v_add_co_u32_e32 v5, vcc, s8, v6
	s_waitcnt lgkmcnt(0)
	s_lshr_b32 s0, s0, 16
	s_and_b32 s17, 0xffff, s0
	s_cmp_gt_u32 s17, 15
	v_lshlrev_b32_e32 v1, s17, v13
	s_cselect_b64 s[4:5], -1, 0
	s_and_b32 s16, s1, 0xff
	v_cndmask_b32_e64 v1, v1, 0, s[4:5]
	s_cmp_lt_i32 s16, 11
	v_addc_co_u32_e32 v6, vcc, 0, v3, vcc
	s_cbranch_scc1 .LBB111_1700
; %bb.1623:
	s_and_b32 s18, 0xffff, s16
	s_mov_b64 s[12:13], -1
	s_mov_b64 s[6:7], 0
	s_cmp_gt_i32 s18, 25
	s_mov_b64 s[10:11], 0
	s_mov_b64 s[0:1], 0
	s_cbranch_scc0 .LBB111_1656
; %bb.1624:
	s_cmp_gt_i32 s18, 28
	s_cbranch_scc0 .LBB111_1639
; %bb.1625:
	s_cmp_gt_i32 s18, 43
	;; [unrolled: 3-line block ×3, first 2 shown]
	s_cbranch_scc0 .LBB111_1629
; %bb.1627:
	s_mov_b64 s[0:1], -1
	s_mov_b64 s[12:13], 0
	s_cmp_eq_u32 s18, 46
	s_cbranch_scc0 .LBB111_1629
; %bb.1628:
	v_cvt_f32_i32_sdwa v3, sext(v1) dst_sel:DWORD dst_unused:UNUSED_PAD src0_sel:WORD_0
	s_movk_i32 s10, 0x7fff
	s_mov_b64 s[0:1], 0
	s_waitcnt vmcnt(0)
	v_bfe_u32 v8, v3, 16, 1
	v_add3_u32 v3, v3, v8, s10
	v_lshrrev_b32_e32 v3, 16, v3
	global_store_dword v[5:6], v3, off
	s_mov_b64 s[10:11], -1
.LBB111_1629:
	s_and_b64 vcc, exec, s[12:13]
	s_cbranch_vccz .LBB111_1634
; %bb.1630:
	s_cmp_eq_u32 s18, 44
	s_mov_b64 s[0:1], -1
	s_cbranch_scc0 .LBB111_1634
; %bb.1631:
	v_cvt_f32_i32_sdwa v3, sext(v1) dst_sel:DWORD dst_unused:UNUSED_PAD src0_sel:WORD_0
	s_movk_i32 s0, 0xff
	s_waitcnt vmcnt(0)
	v_mov_b32_e32 v10, 0xff
	v_bfe_u32 v8, v3, 23, 8
	v_cmp_ne_u32_e32 vcc, s0, v8
	s_and_saveexec_b64 s[10:11], vcc
; %bb.1632:
	s_mov_b32 s0, 0x3fffff
	v_lshrrev_b32_e32 v10, 23, v3
	v_and_b32_e32 v12, 0x400000, v3
	v_and_or_b32 v3, v3, s0, v8
	v_cmp_ne_u32_e32 vcc, 0, v12
	v_cmp_ne_u32_e64 s[0:1], 0, v3
	s_and_b64 s[0:1], vcc, s[0:1]
	v_cndmask_b32_e64 v3, 0, 1, s[0:1]
	v_add_u32_e32 v10, v10, v3
; %bb.1633:
	s_or_b64 exec, exec, s[10:11]
	s_mov_b64 s[0:1], 0
	s_mov_b64 s[10:11], -1
	global_store_byte v[5:6], v10, off
.LBB111_1634:
	s_mov_b64 s[12:13], 0
.LBB111_1635:
	s_and_b64 vcc, exec, s[12:13]
	s_cbranch_vccz .LBB111_1638
; %bb.1636:
	s_cmp_eq_u32 s18, 29
	s_mov_b64 s[0:1], -1
	s_cbranch_scc0 .LBB111_1638
; %bb.1637:
	s_waitcnt vmcnt(0)
	v_bfe_i32 v12, v1, 0, 16
	v_ashrrev_i32_e32 v13, 31, v12
	global_store_dwordx2 v[5:6], v[12:13], off
	s_mov_b64 s[0:1], 0
	s_mov_b64 s[10:11], -1
.LBB111_1638:
	s_mov_b64 s[12:13], 0
.LBB111_1639:
	s_and_b64 vcc, exec, s[12:13]
	s_cbranch_vccz .LBB111_1655
; %bb.1640:
	s_cmp_lt_i32 s18, 27
	s_mov_b64 s[10:11], -1
	s_cbranch_scc1 .LBB111_1646
; %bb.1641:
	s_cmp_gt_i32 s18, 27
	s_cbranch_scc0 .LBB111_1643
; %bb.1642:
	v_bfe_i32 v3, v1, 0, 16
	s_mov_b64 s[10:11], 0
	global_store_dword v[5:6], v3, off
.LBB111_1643:
	s_andn2_b64 vcc, exec, s[10:11]
	s_cbranch_vccnz .LBB111_1645
; %bb.1644:
	global_store_short v[5:6], v1, off
.LBB111_1645:
	s_mov_b64 s[10:11], 0
.LBB111_1646:
	s_andn2_b64 vcc, exec, s[10:11]
	s_cbranch_vccnz .LBB111_1654
; %bb.1647:
	v_cvt_f32_i32_sdwa v3, sext(v1) dst_sel:DWORD dst_unused:UNUSED_PAD src0_sel:WORD_0
	s_mov_b32 s10, 0x43800000
	s_waitcnt vmcnt(0)
	v_mov_b32_e32 v10, 0x80
	v_and_b32_e32 v8, 0x7fffffff, v3
	v_cmp_gt_u32_e32 vcc, s10, v8
	s_and_saveexec_b64 s[10:11], vcc
	s_cbranch_execz .LBB111_1653
; %bb.1648:
	s_mov_b32 s12, 0x3bffffff
	v_cmp_lt_u32_e32 vcc, s12, v8
	s_mov_b64 s[12:13], 0
                                        ; implicit-def: $vgpr8
	s_and_saveexec_b64 s[14:15], vcc
	s_xor_b64 s[14:15], exec, s[14:15]
	s_cbranch_execz .LBB111_2102
; %bb.1649:
	v_bfe_u32 v8, v3, 20, 1
	s_mov_b32 s19, 0x487ffff
	v_add3_u32 v8, v3, v8, s19
	s_mov_b64 s[12:13], exec
	v_lshrrev_b32_e32 v8, 20, v8
	s_andn2_saveexec_b64 s[14:15], s[14:15]
	s_cbranch_execnz .LBB111_2103
.LBB111_1650:
	s_or_b64 exec, exec, s[14:15]
	v_mov_b32_e32 v10, 0
	s_and_saveexec_b64 s[14:15], s[12:13]
.LBB111_1651:
	v_lshrrev_b32_e32 v3, 24, v3
	s_movk_i32 s12, 0x80
	v_and_or_b32 v10, v3, s12, v8
.LBB111_1652:
	s_or_b64 exec, exec, s[14:15]
.LBB111_1653:
	s_or_b64 exec, exec, s[10:11]
	global_store_byte v[5:6], v10, off
.LBB111_1654:
	s_mov_b64 s[10:11], -1
.LBB111_1655:
	s_mov_b64 s[12:13], 0
.LBB111_1656:
	s_and_b64 vcc, exec, s[12:13]
	s_cbranch_vccz .LBB111_1696
; %bb.1657:
	s_cmp_gt_i32 s18, 22
	s_mov_b64 s[6:7], -1
	s_cbranch_scc0 .LBB111_1689
; %bb.1658:
	s_cmp_lt_i32 s18, 24
	s_cbranch_scc1 .LBB111_1678
; %bb.1659:
	s_cmp_gt_i32 s18, 24
	s_cbranch_scc0 .LBB111_1667
; %bb.1660:
	v_cvt_f32_i32_sdwa v3, sext(v1) dst_sel:DWORD dst_unused:UNUSED_PAD src0_sel:WORD_0
	s_mov_b32 s6, 0x47800000
	s_waitcnt vmcnt(0)
	v_mov_b32_e32 v10, 0x80
	v_and_b32_e32 v8, 0x7fffffff, v3
	v_cmp_gt_u32_e32 vcc, s6, v8
	s_and_saveexec_b64 s[6:7], vcc
	s_cbranch_execz .LBB111_1666
; %bb.1661:
	s_mov_b32 s10, 0x37ffffff
	v_cmp_lt_u32_e32 vcc, s10, v8
	s_mov_b64 s[10:11], 0
                                        ; implicit-def: $vgpr8
	s_and_saveexec_b64 s[12:13], vcc
	s_xor_b64 s[12:13], exec, s[12:13]
	s_cbranch_execz .LBB111_2105
; %bb.1662:
	v_bfe_u32 v8, v3, 21, 1
	s_mov_b32 s14, 0x88fffff
	v_add3_u32 v8, v3, v8, s14
	s_mov_b64 s[10:11], exec
	v_lshrrev_b32_e32 v8, 21, v8
	s_andn2_saveexec_b64 s[12:13], s[12:13]
	s_cbranch_execnz .LBB111_2106
.LBB111_1663:
	s_or_b64 exec, exec, s[12:13]
	v_mov_b32_e32 v10, 0
	s_and_saveexec_b64 s[12:13], s[10:11]
.LBB111_1664:
	v_lshrrev_b32_e32 v3, 24, v3
	s_movk_i32 s10, 0x80
	v_and_or_b32 v10, v3, s10, v8
.LBB111_1665:
	s_or_b64 exec, exec, s[12:13]
.LBB111_1666:
	s_or_b64 exec, exec, s[6:7]
	s_mov_b64 s[6:7], 0
	global_store_byte v[5:6], v10, off
.LBB111_1667:
	s_and_b64 vcc, exec, s[6:7]
	s_cbranch_vccz .LBB111_1677
; %bb.1668:
	v_cvt_f32_i32_sdwa v3, sext(v1) dst_sel:DWORD dst_unused:UNUSED_PAD src0_sel:WORD_0
	s_mov_b32 s6, 0x43f00000
                                        ; implicit-def: $vgpr8
	s_waitcnt vmcnt(0)
	v_and_b32_e32 v10, 0x7fffffff, v3
	v_cmp_gt_u32_e32 vcc, s6, v10
	s_and_saveexec_b64 s[6:7], vcc
	s_xor_b64 s[6:7], exec, s[6:7]
	s_cbranch_execz .LBB111_1674
; %bb.1669:
	s_mov_b32 s10, 0x3c7fffff
	v_cmp_lt_u32_e32 vcc, s10, v10
                                        ; implicit-def: $vgpr8
	s_and_saveexec_b64 s[10:11], vcc
	s_xor_b64 s[10:11], exec, s[10:11]
; %bb.1670:
	v_bfe_u32 v8, v3, 20, 1
	s_mov_b32 s12, 0x407ffff
	v_add3_u32 v8, v3, v8, s12
	v_lshrrev_b32_e32 v10, 20, v8
	v_and_b32_e32 v8, 0xff00000, v8
	s_mov_b32 s12, 0x7f00000
	v_mov_b32_e32 v12, 0x7e
	v_cmp_ne_u32_e32 vcc, s12, v8
	v_cndmask_b32_e32 v8, v12, v10, vcc
; %bb.1671:
	s_andn2_saveexec_b64 s[10:11], s[10:11]
; %bb.1672:
	s_mov_b32 s12, 0x46800000
	v_add_f32_e64 v8, |v3|, s12
; %bb.1673:
	s_or_b64 exec, exec, s[10:11]
                                        ; implicit-def: $vgpr10
.LBB111_1674:
	s_andn2_saveexec_b64 s[6:7], s[6:7]
; %bb.1675:
	s_mov_b32 s10, 0x7f800000
	v_mov_b32_e32 v8, 0x7e
	v_mov_b32_e32 v12, 0x7f
	v_cmp_lt_u32_e32 vcc, s10, v10
	v_cndmask_b32_e32 v8, v8, v12, vcc
; %bb.1676:
	s_or_b64 exec, exec, s[6:7]
	v_lshrrev_b32_e32 v3, 24, v3
	s_movk_i32 s6, 0x80
	v_and_or_b32 v3, v3, s6, v8
	global_store_byte v[5:6], v3, off
.LBB111_1677:
	s_mov_b64 s[6:7], 0
.LBB111_1678:
	s_andn2_b64 vcc, exec, s[6:7]
	s_cbranch_vccnz .LBB111_1688
; %bb.1679:
	v_cvt_f32_i32_sdwa v3, sext(v1) dst_sel:DWORD dst_unused:UNUSED_PAD src0_sel:WORD_0
	s_mov_b32 s6, 0x47800000
                                        ; implicit-def: $vgpr8
	s_waitcnt vmcnt(0)
	v_and_b32_e32 v10, 0x7fffffff, v3
	v_cmp_gt_u32_e32 vcc, s6, v10
	s_and_saveexec_b64 s[6:7], vcc
	s_xor_b64 s[6:7], exec, s[6:7]
	s_cbranch_execz .LBB111_1685
; %bb.1680:
	s_mov_b32 s10, 0x387fffff
	v_cmp_lt_u32_e32 vcc, s10, v10
                                        ; implicit-def: $vgpr8
	s_and_saveexec_b64 s[10:11], vcc
	s_xor_b64 s[10:11], exec, s[10:11]
; %bb.1681:
	v_bfe_u32 v8, v3, 21, 1
	s_mov_b32 s12, 0x80fffff
	v_add3_u32 v8, v3, v8, s12
	v_lshrrev_b32_e32 v8, 21, v8
; %bb.1682:
	s_andn2_saveexec_b64 s[10:11], s[10:11]
; %bb.1683:
	s_mov_b32 s12, 0x43000000
	v_add_f32_e64 v8, |v3|, s12
; %bb.1684:
	s_or_b64 exec, exec, s[10:11]
                                        ; implicit-def: $vgpr10
.LBB111_1685:
	s_andn2_saveexec_b64 s[6:7], s[6:7]
; %bb.1686:
	s_mov_b32 s10, 0x7f800000
	v_mov_b32_e32 v8, 0x7c
	v_mov_b32_e32 v12, 0x7f
	v_cmp_lt_u32_e32 vcc, s10, v10
	v_cndmask_b32_e32 v8, v8, v12, vcc
; %bb.1687:
	s_or_b64 exec, exec, s[6:7]
	v_lshrrev_b32_e32 v3, 24, v3
	s_movk_i32 s6, 0x80
	v_and_or_b32 v3, v3, s6, v8
	global_store_byte v[5:6], v3, off
.LBB111_1688:
	s_mov_b64 s[6:7], 0
	s_mov_b64 s[10:11], -1
.LBB111_1689:
	s_andn2_b64 vcc, exec, s[6:7]
	s_mov_b64 s[6:7], 0
	s_cbranch_vccnz .LBB111_1696
; %bb.1690:
	s_cmp_gt_i32 s18, 14
	s_mov_b64 s[12:13], -1
	s_cbranch_scc0 .LBB111_1694
; %bb.1691:
	s_cmp_eq_u32 s18, 15
	s_mov_b64 s[0:1], -1
	s_cbranch_scc0 .LBB111_1693
; %bb.1692:
	v_cvt_f32_i32_sdwa v3, sext(v1) dst_sel:DWORD dst_unused:UNUSED_PAD src0_sel:WORD_0
	s_movk_i32 s6, 0x7fff
	s_mov_b64 s[0:1], 0
	s_mov_b64 s[10:11], -1
	s_waitcnt vmcnt(0)
	v_bfe_u32 v8, v3, 16, 1
	v_add3_u32 v3, v3, v8, s6
	global_store_short_d16_hi v[5:6], v3, off
.LBB111_1693:
	s_mov_b64 s[12:13], 0
.LBB111_1694:
	s_mov_b64 s[6:7], 0
	s_and_b64 vcc, exec, s[12:13]
	s_cbranch_vccz .LBB111_1696
; %bb.1695:
	s_cmp_lg_u32 s18, 11
	s_mov_b64 s[6:7], -1
	s_cselect_b64 s[0:1], -1, 0
.LBB111_1696:
	s_and_b64 vcc, exec, s[0:1]
	s_cbranch_vccnz .LBB111_2104
; %bb.1697:
	s_andn2_b64 vcc, exec, s[6:7]
	s_cbranch_vccnz .LBB111_1699
.LBB111_1698:
	v_cmp_ne_u16_e32 vcc, 0, v1
	v_cndmask_b32_e64 v3, 0, 1, vcc
	s_mov_b64 s[10:11], -1
	global_store_byte v[5:6], v3, off
.LBB111_1699:
	s_mov_b64 s[0:1], 0
	s_branch .LBB111_1701
.LBB111_1700:
	s_mov_b64 s[0:1], -1
	s_mov_b64 s[10:11], 0
.LBB111_1701:
	s_and_b64 vcc, exec, s[0:1]
	s_cbranch_vccz .LBB111_1740
; %bb.1702:
	s_and_b32 s6, 0xffff, s16
	s_cmp_lt_i32 s6, 5
	s_mov_b64 s[0:1], -1
	s_cbranch_scc1 .LBB111_1723
; %bb.1703:
	s_cmp_lt_i32 s6, 8
	s_cbranch_scc1 .LBB111_1713
; %bb.1704:
	s_cmp_lt_i32 s6, 9
	s_cbranch_scc1 .LBB111_1710
; %bb.1705:
	s_cmp_gt_i32 s6, 9
	s_cbranch_scc0 .LBB111_1707
; %bb.1706:
	v_bfe_i32 v3, v1, 0, 16
	s_waitcnt vmcnt(0)
	v_cvt_f64_i32_e32 v[12:13], v3
	v_mov_b32_e32 v14, 0
	v_mov_b32_e32 v15, v14
	s_mov_b64 s[0:1], 0
	global_store_dwordx4 v[5:6], v[12:15], off
.LBB111_1707:
	s_andn2_b64 vcc, exec, s[0:1]
	s_cbranch_vccnz .LBB111_1709
; %bb.1708:
	s_waitcnt vmcnt(0)
	v_cvt_f32_i32_sdwa v12, sext(v1) dst_sel:DWORD dst_unused:UNUSED_PAD src0_sel:WORD_0
	v_mov_b32_e32 v13, 0
	global_store_dwordx2 v[5:6], v[12:13], off
.LBB111_1709:
	s_mov_b64 s[0:1], 0
.LBB111_1710:
	s_andn2_b64 vcc, exec, s[0:1]
	s_cbranch_vccnz .LBB111_1712
; %bb.1711:
	v_cvt_f16_i16_e32 v3, v1
	global_store_dword v[5:6], v3, off
.LBB111_1712:
	s_mov_b64 s[0:1], 0
.LBB111_1713:
	s_andn2_b64 vcc, exec, s[0:1]
	s_cbranch_vccnz .LBB111_1722
; %bb.1714:
	s_cmp_lt_i32 s6, 6
	s_mov_b64 s[0:1], -1
	s_cbranch_scc1 .LBB111_1720
; %bb.1715:
	s_cmp_gt_i32 s6, 6
	s_cbranch_scc0 .LBB111_1717
; %bb.1716:
	v_bfe_i32 v3, v1, 0, 16
	s_waitcnt vmcnt(0)
	v_cvt_f64_i32_e32 v[12:13], v3
	s_mov_b64 s[0:1], 0
	global_store_dwordx2 v[5:6], v[12:13], off
.LBB111_1717:
	s_andn2_b64 vcc, exec, s[0:1]
	s_cbranch_vccnz .LBB111_1719
; %bb.1718:
	v_cvt_f32_i32_sdwa v3, sext(v1) dst_sel:DWORD dst_unused:UNUSED_PAD src0_sel:WORD_0
	global_store_dword v[5:6], v3, off
.LBB111_1719:
	s_mov_b64 s[0:1], 0
.LBB111_1720:
	s_andn2_b64 vcc, exec, s[0:1]
	s_cbranch_vccnz .LBB111_1722
; %bb.1721:
	v_cvt_f16_i16_e32 v3, v1
	global_store_short v[5:6], v3, off
.LBB111_1722:
	s_mov_b64 s[0:1], 0
.LBB111_1723:
	s_andn2_b64 vcc, exec, s[0:1]
	s_cbranch_vccnz .LBB111_1739
; %bb.1724:
	s_cmp_lt_i32 s6, 2
	s_mov_b64 s[0:1], -1
	s_cbranch_scc1 .LBB111_1734
; %bb.1725:
	s_cmp_lt_i32 s6, 3
	s_cbranch_scc1 .LBB111_1731
; %bb.1726:
	s_cmp_gt_i32 s6, 3
	s_waitcnt vmcnt(0)
	v_bfe_i32 v12, v1, 0, 16
	s_cbranch_scc0 .LBB111_1728
; %bb.1727:
	v_ashrrev_i32_e32 v13, 31, v12
	global_store_dwordx2 v[5:6], v[12:13], off
	s_mov_b64 s[0:1], 0
.LBB111_1728:
	s_andn2_b64 vcc, exec, s[0:1]
	s_cbranch_vccnz .LBB111_1730
; %bb.1729:
	global_store_dword v[5:6], v12, off
.LBB111_1730:
	s_mov_b64 s[0:1], 0
.LBB111_1731:
	s_andn2_b64 vcc, exec, s[0:1]
	s_cbranch_vccnz .LBB111_1733
; %bb.1732:
	global_store_short v[5:6], v1, off
.LBB111_1733:
	s_mov_b64 s[0:1], 0
.LBB111_1734:
	s_andn2_b64 vcc, exec, s[0:1]
	s_cbranch_vccnz .LBB111_1739
; %bb.1735:
	s_cmp_gt_i32 s6, 0
	s_mov_b64 s[0:1], -1
	s_cbranch_scc0 .LBB111_1737
; %bb.1736:
	global_store_byte v[5:6], v1, off
	s_mov_b64 s[0:1], 0
.LBB111_1737:
	s_andn2_b64 vcc, exec, s[0:1]
	s_cbranch_vccnz .LBB111_1739
; %bb.1738:
	global_store_byte v[5:6], v1, off
.LBB111_1739:
	s_mov_b64 s[10:11], -1
.LBB111_1740:
	s_andn2_b64 vcc, exec, s[10:11]
	s_cbranch_vccnz .LBB111_2055
; %bb.1741:
	s_waitcnt vmcnt(0)
	v_lshlrev_b32_e32 v1, s17, v11
	v_mov_b32_e32 v5, s9
	s_and_b32 s18, 0xffff, s16
	v_add_co_u32_e32 v3, vcc, s8, v4
	v_cndmask_b32_e64 v1, v1, 0, s[4:5]
	s_cmp_lt_i32 s18, 11
	v_addc_co_u32_e32 v4, vcc, 0, v5, vcc
	s_cbranch_scc1 .LBB111_1819
; %bb.1742:
	s_mov_b64 s[12:13], -1
	s_mov_b64 s[6:7], 0
	s_cmp_gt_i32 s18, 25
	s_mov_b64 s[10:11], 0
	s_mov_b64 s[0:1], 0
	s_cbranch_scc0 .LBB111_1775
; %bb.1743:
	s_cmp_gt_i32 s18, 28
	s_cbranch_scc0 .LBB111_1758
; %bb.1744:
	s_cmp_gt_i32 s18, 43
	s_cbranch_scc0 .LBB111_1754
; %bb.1745:
	s_cmp_gt_i32 s18, 45
	s_cbranch_scc0 .LBB111_1748
; %bb.1746:
	s_mov_b64 s[0:1], -1
	s_mov_b64 s[12:13], 0
	s_cmp_eq_u32 s18, 46
	s_cbranch_scc0 .LBB111_1748
; %bb.1747:
	v_cvt_f32_i32_sdwa v5, sext(v1) dst_sel:DWORD dst_unused:UNUSED_PAD src0_sel:WORD_0
	s_movk_i32 s10, 0x7fff
	s_mov_b64 s[0:1], 0
	v_bfe_u32 v6, v5, 16, 1
	v_add3_u32 v5, v5, v6, s10
	v_lshrrev_b32_e32 v5, 16, v5
	global_store_dword v[3:4], v5, off
	s_mov_b64 s[10:11], -1
.LBB111_1748:
	s_and_b64 vcc, exec, s[12:13]
	s_cbranch_vccz .LBB111_1753
; %bb.1749:
	s_cmp_eq_u32 s18, 44
	s_mov_b64 s[0:1], -1
	s_cbranch_scc0 .LBB111_1753
; %bb.1750:
	v_cvt_f32_i32_sdwa v5, sext(v1) dst_sel:DWORD dst_unused:UNUSED_PAD src0_sel:WORD_0
	s_movk_i32 s0, 0xff
	v_mov_b32_e32 v8, 0xff
	v_bfe_u32 v6, v5, 23, 8
	v_cmp_ne_u32_e32 vcc, s0, v6
	s_and_saveexec_b64 s[10:11], vcc
; %bb.1751:
	s_mov_b32 s0, 0x3fffff
	v_lshrrev_b32_e32 v8, 23, v5
	v_and_b32_e32 v10, 0x400000, v5
	v_and_or_b32 v5, v5, s0, v6
	v_cmp_ne_u32_e32 vcc, 0, v10
	v_cmp_ne_u32_e64 s[0:1], 0, v5
	s_and_b64 s[0:1], vcc, s[0:1]
	v_cndmask_b32_e64 v5, 0, 1, s[0:1]
	v_add_u32_e32 v8, v8, v5
; %bb.1752:
	s_or_b64 exec, exec, s[10:11]
	s_mov_b64 s[0:1], 0
	s_mov_b64 s[10:11], -1
	global_store_byte v[3:4], v8, off
.LBB111_1753:
	s_mov_b64 s[12:13], 0
.LBB111_1754:
	s_and_b64 vcc, exec, s[12:13]
	s_cbranch_vccz .LBB111_1757
; %bb.1755:
	s_cmp_eq_u32 s18, 29
	s_mov_b64 s[0:1], -1
	s_cbranch_scc0 .LBB111_1757
; %bb.1756:
	v_bfe_i32 v5, v1, 0, 16
	v_ashrrev_i32_e32 v6, 31, v5
	global_store_dwordx2 v[3:4], v[5:6], off
	s_mov_b64 s[0:1], 0
	s_mov_b64 s[10:11], -1
.LBB111_1757:
	s_mov_b64 s[12:13], 0
.LBB111_1758:
	s_and_b64 vcc, exec, s[12:13]
	s_cbranch_vccz .LBB111_1774
; %bb.1759:
	s_cmp_lt_i32 s18, 27
	s_mov_b64 s[10:11], -1
	s_cbranch_scc1 .LBB111_1765
; %bb.1760:
	s_cmp_gt_i32 s18, 27
	s_cbranch_scc0 .LBB111_1762
; %bb.1761:
	v_bfe_i32 v5, v1, 0, 16
	s_mov_b64 s[10:11], 0
	global_store_dword v[3:4], v5, off
.LBB111_1762:
	s_andn2_b64 vcc, exec, s[10:11]
	s_cbranch_vccnz .LBB111_1764
; %bb.1763:
	global_store_short v[3:4], v1, off
.LBB111_1764:
	s_mov_b64 s[10:11], 0
.LBB111_1765:
	s_andn2_b64 vcc, exec, s[10:11]
	s_cbranch_vccnz .LBB111_1773
; %bb.1766:
	v_cvt_f32_i32_sdwa v5, sext(v1) dst_sel:DWORD dst_unused:UNUSED_PAD src0_sel:WORD_0
	s_mov_b32 s10, 0x43800000
	v_mov_b32_e32 v8, 0x80
	v_and_b32_e32 v6, 0x7fffffff, v5
	v_cmp_gt_u32_e32 vcc, s10, v6
	s_and_saveexec_b64 s[10:11], vcc
	s_cbranch_execz .LBB111_1772
; %bb.1767:
	s_mov_b32 s12, 0x3bffffff
	v_cmp_lt_u32_e32 vcc, s12, v6
	s_mov_b64 s[12:13], 0
                                        ; implicit-def: $vgpr6
	s_and_saveexec_b64 s[14:15], vcc
	s_xor_b64 s[14:15], exec, s[14:15]
	s_cbranch_execz .LBB111_2107
; %bb.1768:
	v_bfe_u32 v6, v5, 20, 1
	s_mov_b32 s19, 0x487ffff
	v_add3_u32 v6, v5, v6, s19
	s_mov_b64 s[12:13], exec
	v_lshrrev_b32_e32 v6, 20, v6
	s_andn2_saveexec_b64 s[14:15], s[14:15]
	s_cbranch_execnz .LBB111_2108
.LBB111_1769:
	s_or_b64 exec, exec, s[14:15]
	v_mov_b32_e32 v8, 0
	s_and_saveexec_b64 s[14:15], s[12:13]
.LBB111_1770:
	v_lshrrev_b32_e32 v5, 24, v5
	s_movk_i32 s12, 0x80
	v_and_or_b32 v8, v5, s12, v6
.LBB111_1771:
	s_or_b64 exec, exec, s[14:15]
.LBB111_1772:
	s_or_b64 exec, exec, s[10:11]
	global_store_byte v[3:4], v8, off
.LBB111_1773:
	s_mov_b64 s[10:11], -1
.LBB111_1774:
	s_mov_b64 s[12:13], 0
.LBB111_1775:
	s_and_b64 vcc, exec, s[12:13]
	s_cbranch_vccz .LBB111_1815
; %bb.1776:
	s_cmp_gt_i32 s18, 22
	s_mov_b64 s[6:7], -1
	s_cbranch_scc0 .LBB111_1808
; %bb.1777:
	s_cmp_lt_i32 s18, 24
	s_cbranch_scc1 .LBB111_1797
; %bb.1778:
	s_cmp_gt_i32 s18, 24
	s_cbranch_scc0 .LBB111_1786
; %bb.1779:
	v_cvt_f32_i32_sdwa v5, sext(v1) dst_sel:DWORD dst_unused:UNUSED_PAD src0_sel:WORD_0
	s_mov_b32 s6, 0x47800000
	v_mov_b32_e32 v8, 0x80
	v_and_b32_e32 v6, 0x7fffffff, v5
	v_cmp_gt_u32_e32 vcc, s6, v6
	s_and_saveexec_b64 s[6:7], vcc
	s_cbranch_execz .LBB111_1785
; %bb.1780:
	s_mov_b32 s10, 0x37ffffff
	v_cmp_lt_u32_e32 vcc, s10, v6
	s_mov_b64 s[10:11], 0
                                        ; implicit-def: $vgpr6
	s_and_saveexec_b64 s[12:13], vcc
	s_xor_b64 s[12:13], exec, s[12:13]
	s_cbranch_execz .LBB111_2110
; %bb.1781:
	v_bfe_u32 v6, v5, 21, 1
	s_mov_b32 s14, 0x88fffff
	v_add3_u32 v6, v5, v6, s14
	s_mov_b64 s[10:11], exec
	v_lshrrev_b32_e32 v6, 21, v6
	s_andn2_saveexec_b64 s[12:13], s[12:13]
	s_cbranch_execnz .LBB111_2111
.LBB111_1782:
	s_or_b64 exec, exec, s[12:13]
	v_mov_b32_e32 v8, 0
	s_and_saveexec_b64 s[12:13], s[10:11]
.LBB111_1783:
	v_lshrrev_b32_e32 v5, 24, v5
	s_movk_i32 s10, 0x80
	v_and_or_b32 v8, v5, s10, v6
.LBB111_1784:
	s_or_b64 exec, exec, s[12:13]
.LBB111_1785:
	s_or_b64 exec, exec, s[6:7]
	s_mov_b64 s[6:7], 0
	global_store_byte v[3:4], v8, off
.LBB111_1786:
	s_and_b64 vcc, exec, s[6:7]
	s_cbranch_vccz .LBB111_1796
; %bb.1787:
	v_cvt_f32_i32_sdwa v5, sext(v1) dst_sel:DWORD dst_unused:UNUSED_PAD src0_sel:WORD_0
	s_mov_b32 s6, 0x43f00000
                                        ; implicit-def: $vgpr6
	v_and_b32_e32 v8, 0x7fffffff, v5
	v_cmp_gt_u32_e32 vcc, s6, v8
	s_and_saveexec_b64 s[6:7], vcc
	s_xor_b64 s[6:7], exec, s[6:7]
	s_cbranch_execz .LBB111_1793
; %bb.1788:
	s_mov_b32 s10, 0x3c7fffff
	v_cmp_lt_u32_e32 vcc, s10, v8
                                        ; implicit-def: $vgpr6
	s_and_saveexec_b64 s[10:11], vcc
	s_xor_b64 s[10:11], exec, s[10:11]
; %bb.1789:
	v_bfe_u32 v6, v5, 20, 1
	s_mov_b32 s12, 0x407ffff
	v_add3_u32 v6, v5, v6, s12
	v_lshrrev_b32_e32 v8, 20, v6
	v_and_b32_e32 v6, 0xff00000, v6
	s_mov_b32 s12, 0x7f00000
	v_mov_b32_e32 v10, 0x7e
	v_cmp_ne_u32_e32 vcc, s12, v6
	v_cndmask_b32_e32 v6, v10, v8, vcc
; %bb.1790:
	s_andn2_saveexec_b64 s[10:11], s[10:11]
; %bb.1791:
	s_mov_b32 s12, 0x46800000
	v_add_f32_e64 v6, |v5|, s12
; %bb.1792:
	s_or_b64 exec, exec, s[10:11]
                                        ; implicit-def: $vgpr8
.LBB111_1793:
	s_andn2_saveexec_b64 s[6:7], s[6:7]
; %bb.1794:
	s_mov_b32 s10, 0x7f800000
	v_mov_b32_e32 v6, 0x7e
	v_mov_b32_e32 v10, 0x7f
	v_cmp_lt_u32_e32 vcc, s10, v8
	v_cndmask_b32_e32 v6, v6, v10, vcc
; %bb.1795:
	s_or_b64 exec, exec, s[6:7]
	v_lshrrev_b32_e32 v5, 24, v5
	s_movk_i32 s6, 0x80
	v_and_or_b32 v5, v5, s6, v6
	global_store_byte v[3:4], v5, off
.LBB111_1796:
	s_mov_b64 s[6:7], 0
.LBB111_1797:
	s_andn2_b64 vcc, exec, s[6:7]
	s_cbranch_vccnz .LBB111_1807
; %bb.1798:
	v_cvt_f32_i32_sdwa v5, sext(v1) dst_sel:DWORD dst_unused:UNUSED_PAD src0_sel:WORD_0
	s_mov_b32 s6, 0x47800000
                                        ; implicit-def: $vgpr6
	v_and_b32_e32 v8, 0x7fffffff, v5
	v_cmp_gt_u32_e32 vcc, s6, v8
	s_and_saveexec_b64 s[6:7], vcc
	s_xor_b64 s[6:7], exec, s[6:7]
	s_cbranch_execz .LBB111_1804
; %bb.1799:
	s_mov_b32 s10, 0x387fffff
	v_cmp_lt_u32_e32 vcc, s10, v8
                                        ; implicit-def: $vgpr6
	s_and_saveexec_b64 s[10:11], vcc
	s_xor_b64 s[10:11], exec, s[10:11]
; %bb.1800:
	v_bfe_u32 v6, v5, 21, 1
	s_mov_b32 s12, 0x80fffff
	v_add3_u32 v6, v5, v6, s12
	v_lshrrev_b32_e32 v6, 21, v6
; %bb.1801:
	s_andn2_saveexec_b64 s[10:11], s[10:11]
; %bb.1802:
	s_mov_b32 s12, 0x43000000
	v_add_f32_e64 v6, |v5|, s12
; %bb.1803:
	s_or_b64 exec, exec, s[10:11]
                                        ; implicit-def: $vgpr8
.LBB111_1804:
	s_andn2_saveexec_b64 s[6:7], s[6:7]
; %bb.1805:
	s_mov_b32 s10, 0x7f800000
	v_mov_b32_e32 v6, 0x7c
	v_mov_b32_e32 v10, 0x7f
	v_cmp_lt_u32_e32 vcc, s10, v8
	v_cndmask_b32_e32 v6, v6, v10, vcc
; %bb.1806:
	s_or_b64 exec, exec, s[6:7]
	v_lshrrev_b32_e32 v5, 24, v5
	s_movk_i32 s6, 0x80
	v_and_or_b32 v5, v5, s6, v6
	global_store_byte v[3:4], v5, off
.LBB111_1807:
	s_mov_b64 s[6:7], 0
	s_mov_b64 s[10:11], -1
.LBB111_1808:
	s_andn2_b64 vcc, exec, s[6:7]
	s_mov_b64 s[6:7], 0
	s_cbranch_vccnz .LBB111_1815
; %bb.1809:
	s_cmp_gt_i32 s18, 14
	s_mov_b64 s[12:13], -1
	s_cbranch_scc0 .LBB111_1813
; %bb.1810:
	s_cmp_eq_u32 s18, 15
	s_mov_b64 s[0:1], -1
	s_cbranch_scc0 .LBB111_1812
; %bb.1811:
	v_cvt_f32_i32_sdwa v5, sext(v1) dst_sel:DWORD dst_unused:UNUSED_PAD src0_sel:WORD_0
	s_movk_i32 s6, 0x7fff
	s_mov_b64 s[0:1], 0
	s_mov_b64 s[10:11], -1
	v_bfe_u32 v6, v5, 16, 1
	v_add3_u32 v5, v5, v6, s6
	global_store_short_d16_hi v[3:4], v5, off
.LBB111_1812:
	s_mov_b64 s[12:13], 0
.LBB111_1813:
	s_mov_b64 s[6:7], 0
	s_and_b64 vcc, exec, s[12:13]
	s_cbranch_vccz .LBB111_1815
; %bb.1814:
	s_cmp_lg_u32 s18, 11
	s_mov_b64 s[6:7], -1
	s_cselect_b64 s[0:1], -1, 0
.LBB111_1815:
	s_and_b64 vcc, exec, s[0:1]
	s_cbranch_vccnz .LBB111_2109
; %bb.1816:
	s_andn2_b64 vcc, exec, s[6:7]
	s_cbranch_vccnz .LBB111_1818
.LBB111_1817:
	v_cmp_ne_u16_e32 vcc, 0, v1
	v_cndmask_b32_e64 v5, 0, 1, vcc
	s_mov_b64 s[10:11], -1
	global_store_byte v[3:4], v5, off
.LBB111_1818:
	s_mov_b64 s[0:1], 0
	s_branch .LBB111_1820
.LBB111_1819:
	s_mov_b64 s[0:1], -1
	s_mov_b64 s[10:11], 0
.LBB111_1820:
	s_and_b64 vcc, exec, s[0:1]
	s_cbranch_vccz .LBB111_1859
; %bb.1821:
	s_cmp_lt_i32 s18, 5
	s_mov_b64 s[0:1], -1
	s_cbranch_scc1 .LBB111_1842
; %bb.1822:
	s_cmp_lt_i32 s18, 8
	s_cbranch_scc1 .LBB111_1832
; %bb.1823:
	s_cmp_lt_i32 s18, 9
	s_cbranch_scc1 .LBB111_1829
; %bb.1824:
	s_cmp_gt_i32 s18, 9
	s_cbranch_scc0 .LBB111_1826
; %bb.1825:
	v_bfe_i32 v5, v1, 0, 16
	v_cvt_f64_i32_e32 v[10:11], v5
	v_mov_b32_e32 v12, 0
	v_mov_b32_e32 v13, v12
	s_mov_b64 s[0:1], 0
	global_store_dwordx4 v[3:4], v[10:13], off
.LBB111_1826:
	s_andn2_b64 vcc, exec, s[0:1]
	s_cbranch_vccnz .LBB111_1828
; %bb.1827:
	v_cvt_f32_i32_sdwa v5, sext(v1) dst_sel:DWORD dst_unused:UNUSED_PAD src0_sel:WORD_0
	v_mov_b32_e32 v6, 0
	global_store_dwordx2 v[3:4], v[5:6], off
.LBB111_1828:
	s_mov_b64 s[0:1], 0
.LBB111_1829:
	s_andn2_b64 vcc, exec, s[0:1]
	s_cbranch_vccnz .LBB111_1831
; %bb.1830:
	v_cvt_f16_i16_e32 v5, v1
	global_store_dword v[3:4], v5, off
.LBB111_1831:
	s_mov_b64 s[0:1], 0
.LBB111_1832:
	s_andn2_b64 vcc, exec, s[0:1]
	s_cbranch_vccnz .LBB111_1841
; %bb.1833:
	s_cmp_lt_i32 s18, 6
	s_mov_b64 s[0:1], -1
	s_cbranch_scc1 .LBB111_1839
; %bb.1834:
	s_cmp_gt_i32 s18, 6
	s_cbranch_scc0 .LBB111_1836
; %bb.1835:
	v_bfe_i32 v5, v1, 0, 16
	v_cvt_f64_i32_e32 v[5:6], v5
	s_mov_b64 s[0:1], 0
	global_store_dwordx2 v[3:4], v[5:6], off
.LBB111_1836:
	s_andn2_b64 vcc, exec, s[0:1]
	s_cbranch_vccnz .LBB111_1838
; %bb.1837:
	v_cvt_f32_i32_sdwa v5, sext(v1) dst_sel:DWORD dst_unused:UNUSED_PAD src0_sel:WORD_0
	global_store_dword v[3:4], v5, off
.LBB111_1838:
	s_mov_b64 s[0:1], 0
.LBB111_1839:
	s_andn2_b64 vcc, exec, s[0:1]
	s_cbranch_vccnz .LBB111_1841
; %bb.1840:
	v_cvt_f16_i16_e32 v5, v1
	global_store_short v[3:4], v5, off
.LBB111_1841:
	s_mov_b64 s[0:1], 0
.LBB111_1842:
	s_andn2_b64 vcc, exec, s[0:1]
	s_cbranch_vccnz .LBB111_1858
; %bb.1843:
	s_cmp_lt_i32 s18, 2
	s_mov_b64 s[0:1], -1
	s_cbranch_scc1 .LBB111_1853
; %bb.1844:
	s_cmp_lt_i32 s18, 3
	s_cbranch_scc1 .LBB111_1850
; %bb.1845:
	s_cmp_gt_i32 s18, 3
	s_cbranch_scc0 .LBB111_1847
; %bb.1846:
	v_bfe_i32 v5, v1, 0, 16
	v_ashrrev_i32_e32 v6, 31, v5
	global_store_dwordx2 v[3:4], v[5:6], off
	s_mov_b64 s[0:1], 0
.LBB111_1847:
	s_andn2_b64 vcc, exec, s[0:1]
	s_cbranch_vccnz .LBB111_1849
; %bb.1848:
	v_bfe_i32 v5, v1, 0, 16
	global_store_dword v[3:4], v5, off
.LBB111_1849:
	s_mov_b64 s[0:1], 0
.LBB111_1850:
	s_andn2_b64 vcc, exec, s[0:1]
	s_cbranch_vccnz .LBB111_1852
; %bb.1851:
	global_store_short v[3:4], v1, off
.LBB111_1852:
	s_mov_b64 s[0:1], 0
.LBB111_1853:
	s_andn2_b64 vcc, exec, s[0:1]
	s_cbranch_vccnz .LBB111_1858
; %bb.1854:
	s_cmp_gt_i32 s18, 0
	s_mov_b64 s[0:1], -1
	s_cbranch_scc0 .LBB111_1856
; %bb.1855:
	global_store_byte v[3:4], v1, off
	s_mov_b64 s[0:1], 0
.LBB111_1856:
	s_andn2_b64 vcc, exec, s[0:1]
	s_cbranch_vccnz .LBB111_1858
; %bb.1857:
	global_store_byte v[3:4], v1, off
.LBB111_1858:
	s_mov_b64 s[10:11], -1
.LBB111_1859:
	s_andn2_b64 vcc, exec, s[10:11]
	s_cbranch_vccnz .LBB111_2055
; %bb.1860:
	v_lshlrev_b32_e32 v1, s17, v9
	v_cndmask_b32_e64 v5, v1, 0, s[4:5]
	v_mov_b32_e32 v3, s9
	v_add_co_u32_e32 v1, vcc, s8, v2
	s_cmp_lt_i32 s18, 11
	v_addc_co_u32_e32 v2, vcc, 0, v3, vcc
	s_cbranch_scc1 .LBB111_1938
; %bb.1861:
	s_mov_b64 s[12:13], -1
	s_mov_b64 s[6:7], 0
	s_cmp_gt_i32 s18, 25
	s_mov_b64 s[10:11], 0
	s_mov_b64 s[0:1], 0
	s_cbranch_scc0 .LBB111_1894
; %bb.1862:
	s_cmp_gt_i32 s18, 28
	s_cbranch_scc0 .LBB111_1877
; %bb.1863:
	s_cmp_gt_i32 s18, 43
	;; [unrolled: 3-line block ×3, first 2 shown]
	s_cbranch_scc0 .LBB111_1867
; %bb.1865:
	s_mov_b64 s[0:1], -1
	s_mov_b64 s[12:13], 0
	s_cmp_eq_u32 s18, 46
	s_cbranch_scc0 .LBB111_1867
; %bb.1866:
	v_cvt_f32_i32_sdwa v3, sext(v5) dst_sel:DWORD dst_unused:UNUSED_PAD src0_sel:WORD_0
	s_movk_i32 s10, 0x7fff
	s_mov_b64 s[0:1], 0
	v_bfe_u32 v4, v3, 16, 1
	v_add3_u32 v3, v3, v4, s10
	v_lshrrev_b32_e32 v3, 16, v3
	global_store_dword v[1:2], v3, off
	s_mov_b64 s[10:11], -1
.LBB111_1867:
	s_and_b64 vcc, exec, s[12:13]
	s_cbranch_vccz .LBB111_1872
; %bb.1868:
	s_cmp_eq_u32 s18, 44
	s_mov_b64 s[0:1], -1
	s_cbranch_scc0 .LBB111_1872
; %bb.1869:
	v_cvt_f32_i32_sdwa v3, sext(v5) dst_sel:DWORD dst_unused:UNUSED_PAD src0_sel:WORD_0
	s_movk_i32 s0, 0xff
	v_mov_b32_e32 v6, 0xff
	v_bfe_u32 v4, v3, 23, 8
	v_cmp_ne_u32_e32 vcc, s0, v4
	s_and_saveexec_b64 s[10:11], vcc
; %bb.1870:
	s_mov_b32 s0, 0x3fffff
	v_lshrrev_b32_e32 v6, 23, v3
	v_and_b32_e32 v8, 0x400000, v3
	v_and_or_b32 v3, v3, s0, v4
	v_cmp_ne_u32_e32 vcc, 0, v8
	v_cmp_ne_u32_e64 s[0:1], 0, v3
	s_and_b64 s[0:1], vcc, s[0:1]
	v_cndmask_b32_e64 v3, 0, 1, s[0:1]
	v_add_u32_e32 v6, v6, v3
; %bb.1871:
	s_or_b64 exec, exec, s[10:11]
	s_mov_b64 s[0:1], 0
	s_mov_b64 s[10:11], -1
	global_store_byte v[1:2], v6, off
.LBB111_1872:
	s_mov_b64 s[12:13], 0
.LBB111_1873:
	s_and_b64 vcc, exec, s[12:13]
	s_cbranch_vccz .LBB111_1876
; %bb.1874:
	s_cmp_eq_u32 s18, 29
	s_mov_b64 s[0:1], -1
	s_cbranch_scc0 .LBB111_1876
; %bb.1875:
	v_bfe_i32 v3, v5, 0, 16
	v_ashrrev_i32_e32 v4, 31, v3
	global_store_dwordx2 v[1:2], v[3:4], off
	s_mov_b64 s[0:1], 0
	s_mov_b64 s[10:11], -1
.LBB111_1876:
	s_mov_b64 s[12:13], 0
.LBB111_1877:
	s_and_b64 vcc, exec, s[12:13]
	s_cbranch_vccz .LBB111_1893
; %bb.1878:
	s_cmp_lt_i32 s18, 27
	s_mov_b64 s[10:11], -1
	s_cbranch_scc1 .LBB111_1884
; %bb.1879:
	s_cmp_gt_i32 s18, 27
	s_cbranch_scc0 .LBB111_1881
; %bb.1880:
	v_bfe_i32 v3, v5, 0, 16
	s_mov_b64 s[10:11], 0
	global_store_dword v[1:2], v3, off
.LBB111_1881:
	s_andn2_b64 vcc, exec, s[10:11]
	s_cbranch_vccnz .LBB111_1883
; %bb.1882:
	global_store_short v[1:2], v5, off
.LBB111_1883:
	s_mov_b64 s[10:11], 0
.LBB111_1884:
	s_andn2_b64 vcc, exec, s[10:11]
	s_cbranch_vccnz .LBB111_1892
; %bb.1885:
	v_cvt_f32_i32_sdwa v3, sext(v5) dst_sel:DWORD dst_unused:UNUSED_PAD src0_sel:WORD_0
	s_mov_b32 s10, 0x43800000
	v_mov_b32_e32 v6, 0x80
	v_and_b32_e32 v4, 0x7fffffff, v3
	v_cmp_gt_u32_e32 vcc, s10, v4
	s_and_saveexec_b64 s[10:11], vcc
	s_cbranch_execz .LBB111_1891
; %bb.1886:
	s_mov_b32 s12, 0x3bffffff
	v_cmp_lt_u32_e32 vcc, s12, v4
	s_mov_b64 s[12:13], 0
                                        ; implicit-def: $vgpr4
	s_and_saveexec_b64 s[14:15], vcc
	s_xor_b64 s[14:15], exec, s[14:15]
	s_cbranch_execz .LBB111_2112
; %bb.1887:
	v_bfe_u32 v4, v3, 20, 1
	s_mov_b32 s19, 0x487ffff
	v_add3_u32 v4, v3, v4, s19
	s_mov_b64 s[12:13], exec
	v_lshrrev_b32_e32 v4, 20, v4
	s_andn2_saveexec_b64 s[14:15], s[14:15]
	s_cbranch_execnz .LBB111_2113
.LBB111_1888:
	s_or_b64 exec, exec, s[14:15]
	v_mov_b32_e32 v6, 0
	s_and_saveexec_b64 s[14:15], s[12:13]
.LBB111_1889:
	v_lshrrev_b32_e32 v3, 24, v3
	s_movk_i32 s12, 0x80
	v_and_or_b32 v6, v3, s12, v4
.LBB111_1890:
	s_or_b64 exec, exec, s[14:15]
.LBB111_1891:
	s_or_b64 exec, exec, s[10:11]
	global_store_byte v[1:2], v6, off
.LBB111_1892:
	s_mov_b64 s[10:11], -1
.LBB111_1893:
	s_mov_b64 s[12:13], 0
.LBB111_1894:
	s_and_b64 vcc, exec, s[12:13]
	s_cbranch_vccz .LBB111_1934
; %bb.1895:
	s_cmp_gt_i32 s18, 22
	s_mov_b64 s[6:7], -1
	s_cbranch_scc0 .LBB111_1927
; %bb.1896:
	s_cmp_lt_i32 s18, 24
	s_cbranch_scc1 .LBB111_1916
; %bb.1897:
	s_cmp_gt_i32 s18, 24
	s_cbranch_scc0 .LBB111_1905
; %bb.1898:
	v_cvt_f32_i32_sdwa v3, sext(v5) dst_sel:DWORD dst_unused:UNUSED_PAD src0_sel:WORD_0
	s_mov_b32 s6, 0x47800000
	v_mov_b32_e32 v6, 0x80
	v_and_b32_e32 v4, 0x7fffffff, v3
	v_cmp_gt_u32_e32 vcc, s6, v4
	s_and_saveexec_b64 s[6:7], vcc
	s_cbranch_execz .LBB111_1904
; %bb.1899:
	s_mov_b32 s10, 0x37ffffff
	v_cmp_lt_u32_e32 vcc, s10, v4
	s_mov_b64 s[10:11], 0
                                        ; implicit-def: $vgpr4
	s_and_saveexec_b64 s[12:13], vcc
	s_xor_b64 s[12:13], exec, s[12:13]
	s_cbranch_execz .LBB111_2115
; %bb.1900:
	v_bfe_u32 v4, v3, 21, 1
	s_mov_b32 s14, 0x88fffff
	v_add3_u32 v4, v3, v4, s14
	s_mov_b64 s[10:11], exec
	v_lshrrev_b32_e32 v4, 21, v4
	s_andn2_saveexec_b64 s[12:13], s[12:13]
	s_cbranch_execnz .LBB111_2116
.LBB111_1901:
	s_or_b64 exec, exec, s[12:13]
	v_mov_b32_e32 v6, 0
	s_and_saveexec_b64 s[12:13], s[10:11]
.LBB111_1902:
	v_lshrrev_b32_e32 v3, 24, v3
	s_movk_i32 s10, 0x80
	v_and_or_b32 v6, v3, s10, v4
.LBB111_1903:
	s_or_b64 exec, exec, s[12:13]
.LBB111_1904:
	s_or_b64 exec, exec, s[6:7]
	s_mov_b64 s[6:7], 0
	global_store_byte v[1:2], v6, off
.LBB111_1905:
	s_and_b64 vcc, exec, s[6:7]
	s_cbranch_vccz .LBB111_1915
; %bb.1906:
	v_cvt_f32_i32_sdwa v3, sext(v5) dst_sel:DWORD dst_unused:UNUSED_PAD src0_sel:WORD_0
	s_mov_b32 s6, 0x43f00000
                                        ; implicit-def: $vgpr4
	v_and_b32_e32 v6, 0x7fffffff, v3
	v_cmp_gt_u32_e32 vcc, s6, v6
	s_and_saveexec_b64 s[6:7], vcc
	s_xor_b64 s[6:7], exec, s[6:7]
	s_cbranch_execz .LBB111_1912
; %bb.1907:
	s_mov_b32 s10, 0x3c7fffff
	v_cmp_lt_u32_e32 vcc, s10, v6
                                        ; implicit-def: $vgpr4
	s_and_saveexec_b64 s[10:11], vcc
	s_xor_b64 s[10:11], exec, s[10:11]
; %bb.1908:
	v_bfe_u32 v4, v3, 20, 1
	s_mov_b32 s12, 0x407ffff
	v_add3_u32 v4, v3, v4, s12
	v_lshrrev_b32_e32 v6, 20, v4
	v_and_b32_e32 v4, 0xff00000, v4
	s_mov_b32 s12, 0x7f00000
	v_mov_b32_e32 v8, 0x7e
	v_cmp_ne_u32_e32 vcc, s12, v4
	v_cndmask_b32_e32 v4, v8, v6, vcc
; %bb.1909:
	s_andn2_saveexec_b64 s[10:11], s[10:11]
; %bb.1910:
	s_mov_b32 s12, 0x46800000
	v_add_f32_e64 v4, |v3|, s12
; %bb.1911:
	s_or_b64 exec, exec, s[10:11]
                                        ; implicit-def: $vgpr6
.LBB111_1912:
	s_andn2_saveexec_b64 s[6:7], s[6:7]
; %bb.1913:
	s_mov_b32 s10, 0x7f800000
	v_mov_b32_e32 v4, 0x7e
	v_mov_b32_e32 v8, 0x7f
	v_cmp_lt_u32_e32 vcc, s10, v6
	v_cndmask_b32_e32 v4, v4, v8, vcc
; %bb.1914:
	s_or_b64 exec, exec, s[6:7]
	v_lshrrev_b32_e32 v3, 24, v3
	s_movk_i32 s6, 0x80
	v_and_or_b32 v3, v3, s6, v4
	global_store_byte v[1:2], v3, off
.LBB111_1915:
	s_mov_b64 s[6:7], 0
.LBB111_1916:
	s_andn2_b64 vcc, exec, s[6:7]
	s_cbranch_vccnz .LBB111_1926
; %bb.1917:
	v_cvt_f32_i32_sdwa v3, sext(v5) dst_sel:DWORD dst_unused:UNUSED_PAD src0_sel:WORD_0
	s_mov_b32 s6, 0x47800000
                                        ; implicit-def: $vgpr4
	v_and_b32_e32 v6, 0x7fffffff, v3
	v_cmp_gt_u32_e32 vcc, s6, v6
	s_and_saveexec_b64 s[6:7], vcc
	s_xor_b64 s[6:7], exec, s[6:7]
	s_cbranch_execz .LBB111_1923
; %bb.1918:
	s_mov_b32 s10, 0x387fffff
	v_cmp_lt_u32_e32 vcc, s10, v6
                                        ; implicit-def: $vgpr4
	s_and_saveexec_b64 s[10:11], vcc
	s_xor_b64 s[10:11], exec, s[10:11]
; %bb.1919:
	v_bfe_u32 v4, v3, 21, 1
	s_mov_b32 s12, 0x80fffff
	v_add3_u32 v4, v3, v4, s12
	v_lshrrev_b32_e32 v4, 21, v4
; %bb.1920:
	s_andn2_saveexec_b64 s[10:11], s[10:11]
; %bb.1921:
	s_mov_b32 s12, 0x43000000
	v_add_f32_e64 v4, |v3|, s12
; %bb.1922:
	s_or_b64 exec, exec, s[10:11]
                                        ; implicit-def: $vgpr6
.LBB111_1923:
	s_andn2_saveexec_b64 s[6:7], s[6:7]
; %bb.1924:
	s_mov_b32 s10, 0x7f800000
	v_mov_b32_e32 v4, 0x7c
	v_mov_b32_e32 v8, 0x7f
	v_cmp_lt_u32_e32 vcc, s10, v6
	v_cndmask_b32_e32 v4, v4, v8, vcc
; %bb.1925:
	s_or_b64 exec, exec, s[6:7]
	v_lshrrev_b32_e32 v3, 24, v3
	s_movk_i32 s6, 0x80
	v_and_or_b32 v3, v3, s6, v4
	global_store_byte v[1:2], v3, off
.LBB111_1926:
	s_mov_b64 s[6:7], 0
	s_mov_b64 s[10:11], -1
.LBB111_1927:
	s_andn2_b64 vcc, exec, s[6:7]
	s_mov_b64 s[6:7], 0
	s_cbranch_vccnz .LBB111_1934
; %bb.1928:
	s_cmp_gt_i32 s18, 14
	s_mov_b64 s[12:13], -1
	s_cbranch_scc0 .LBB111_1932
; %bb.1929:
	s_cmp_eq_u32 s18, 15
	s_mov_b64 s[0:1], -1
	s_cbranch_scc0 .LBB111_1931
; %bb.1930:
	v_cvt_f32_i32_sdwa v3, sext(v5) dst_sel:DWORD dst_unused:UNUSED_PAD src0_sel:WORD_0
	s_movk_i32 s6, 0x7fff
	s_mov_b64 s[0:1], 0
	s_mov_b64 s[10:11], -1
	v_bfe_u32 v4, v3, 16, 1
	v_add3_u32 v3, v3, v4, s6
	global_store_short_d16_hi v[1:2], v3, off
.LBB111_1931:
	s_mov_b64 s[12:13], 0
.LBB111_1932:
	s_mov_b64 s[6:7], 0
	s_and_b64 vcc, exec, s[12:13]
	s_cbranch_vccz .LBB111_1934
; %bb.1933:
	s_cmp_lg_u32 s18, 11
	s_mov_b64 s[6:7], -1
	s_cselect_b64 s[0:1], -1, 0
.LBB111_1934:
	s_and_b64 vcc, exec, s[0:1]
	s_cbranch_vccnz .LBB111_2114
; %bb.1935:
	s_andn2_b64 vcc, exec, s[6:7]
	s_cbranch_vccnz .LBB111_1937
.LBB111_1936:
	v_cmp_ne_u16_e32 vcc, 0, v5
	v_cndmask_b32_e64 v3, 0, 1, vcc
	s_mov_b64 s[10:11], -1
	global_store_byte v[1:2], v3, off
.LBB111_1937:
	s_mov_b64 s[0:1], 0
	s_branch .LBB111_1939
.LBB111_1938:
	s_mov_b64 s[0:1], -1
	s_mov_b64 s[10:11], 0
.LBB111_1939:
	s_and_b64 vcc, exec, s[0:1]
	s_cbranch_vccz .LBB111_1978
; %bb.1940:
	s_cmp_lt_i32 s18, 5
	s_mov_b64 s[0:1], -1
	s_cbranch_scc1 .LBB111_1961
; %bb.1941:
	s_cmp_lt_i32 s18, 8
	s_cbranch_scc1 .LBB111_1951
; %bb.1942:
	s_cmp_lt_i32 s18, 9
	s_cbranch_scc1 .LBB111_1948
; %bb.1943:
	s_cmp_gt_i32 s18, 9
	s_cbranch_scc0 .LBB111_1945
; %bb.1944:
	v_bfe_i32 v3, v5, 0, 16
	v_cvt_f64_i32_e32 v[8:9], v3
	v_mov_b32_e32 v10, 0
	v_mov_b32_e32 v11, v10
	s_mov_b64 s[0:1], 0
	global_store_dwordx4 v[1:2], v[8:11], off
.LBB111_1945:
	s_andn2_b64 vcc, exec, s[0:1]
	s_cbranch_vccnz .LBB111_1947
; %bb.1946:
	v_cvt_f32_i32_sdwa v3, sext(v5) dst_sel:DWORD dst_unused:UNUSED_PAD src0_sel:WORD_0
	v_mov_b32_e32 v4, 0
	global_store_dwordx2 v[1:2], v[3:4], off
.LBB111_1947:
	s_mov_b64 s[0:1], 0
.LBB111_1948:
	s_andn2_b64 vcc, exec, s[0:1]
	s_cbranch_vccnz .LBB111_1950
; %bb.1949:
	v_cvt_f16_i16_e32 v3, v5
	global_store_dword v[1:2], v3, off
.LBB111_1950:
	s_mov_b64 s[0:1], 0
.LBB111_1951:
	s_andn2_b64 vcc, exec, s[0:1]
	s_cbranch_vccnz .LBB111_1960
; %bb.1952:
	s_cmp_lt_i32 s18, 6
	s_mov_b64 s[0:1], -1
	s_cbranch_scc1 .LBB111_1958
; %bb.1953:
	s_cmp_gt_i32 s18, 6
	s_cbranch_scc0 .LBB111_1955
; %bb.1954:
	v_bfe_i32 v3, v5, 0, 16
	v_cvt_f64_i32_e32 v[3:4], v3
	s_mov_b64 s[0:1], 0
	global_store_dwordx2 v[1:2], v[3:4], off
.LBB111_1955:
	s_andn2_b64 vcc, exec, s[0:1]
	s_cbranch_vccnz .LBB111_1957
; %bb.1956:
	v_cvt_f32_i32_sdwa v3, sext(v5) dst_sel:DWORD dst_unused:UNUSED_PAD src0_sel:WORD_0
	global_store_dword v[1:2], v3, off
.LBB111_1957:
	s_mov_b64 s[0:1], 0
.LBB111_1958:
	s_andn2_b64 vcc, exec, s[0:1]
	s_cbranch_vccnz .LBB111_1960
; %bb.1959:
	v_cvt_f16_i16_e32 v3, v5
	global_store_short v[1:2], v3, off
.LBB111_1960:
	s_mov_b64 s[0:1], 0
.LBB111_1961:
	s_andn2_b64 vcc, exec, s[0:1]
	s_cbranch_vccnz .LBB111_1977
; %bb.1962:
	s_cmp_lt_i32 s18, 2
	s_mov_b64 s[0:1], -1
	s_cbranch_scc1 .LBB111_1972
; %bb.1963:
	s_cmp_lt_i32 s18, 3
	s_cbranch_scc1 .LBB111_1969
; %bb.1964:
	s_cmp_gt_i32 s18, 3
	v_bfe_i32 v3, v5, 0, 16
	s_cbranch_scc0 .LBB111_1966
; %bb.1965:
	v_ashrrev_i32_e32 v4, 31, v3
	global_store_dwordx2 v[1:2], v[3:4], off
	s_mov_b64 s[0:1], 0
.LBB111_1966:
	s_andn2_b64 vcc, exec, s[0:1]
	s_cbranch_vccnz .LBB111_1968
; %bb.1967:
	global_store_dword v[1:2], v3, off
.LBB111_1968:
	s_mov_b64 s[0:1], 0
.LBB111_1969:
	s_andn2_b64 vcc, exec, s[0:1]
	s_cbranch_vccnz .LBB111_1971
; %bb.1970:
	global_store_short v[1:2], v5, off
.LBB111_1971:
	s_mov_b64 s[0:1], 0
.LBB111_1972:
	s_andn2_b64 vcc, exec, s[0:1]
	s_cbranch_vccnz .LBB111_1977
; %bb.1973:
	s_cmp_gt_i32 s18, 0
	s_mov_b64 s[0:1], -1
	s_cbranch_scc0 .LBB111_1975
; %bb.1974:
	global_store_byte v[1:2], v5, off
	s_mov_b64 s[0:1], 0
.LBB111_1975:
	s_andn2_b64 vcc, exec, s[0:1]
	s_cbranch_vccnz .LBB111_1977
; %bb.1976:
	global_store_byte v[1:2], v5, off
.LBB111_1977:
	s_mov_b64 s[10:11], -1
.LBB111_1978:
	s_andn2_b64 vcc, exec, s[10:11]
	s_cbranch_vccnz .LBB111_2055
; %bb.1979:
	v_lshlrev_b32_e32 v1, s17, v7
	v_cndmask_b32_e64 v2, v1, 0, s[4:5]
	v_mov_b32_e32 v1, s9
	v_add_co_u32_e32 v0, vcc, s8, v0
	s_cmp_lt_i32 s18, 11
	v_addc_co_u32_e32 v1, vcc, 0, v1, vcc
	s_cbranch_scc1 .LBB111_2100
; %bb.1980:
	s_mov_b64 s[6:7], -1
	s_mov_b64 s[4:5], 0
	s_cmp_gt_i32 s18, 25
	s_mov_b64 s[0:1], 0
	s_cbranch_scc0 .LBB111_2013
; %bb.1981:
	s_cmp_gt_i32 s18, 28
	s_cbranch_scc0 .LBB111_1997
; %bb.1982:
	s_cmp_gt_i32 s18, 43
	;; [unrolled: 3-line block ×3, first 2 shown]
	s_cbranch_scc0 .LBB111_1987
; %bb.1984:
	s_cmp_eq_u32 s18, 46
	s_mov_b64 s[0:1], -1
	s_cbranch_scc0 .LBB111_1986
; %bb.1985:
	v_cvt_f32_i32_sdwa v3, sext(v2) dst_sel:DWORD dst_unused:UNUSED_PAD src0_sel:WORD_0
	s_movk_i32 s0, 0x7fff
	v_bfe_u32 v4, v3, 16, 1
	v_add3_u32 v3, v3, v4, s0
	v_lshrrev_b32_e32 v3, 16, v3
	global_store_dword v[0:1], v3, off
	s_mov_b64 s[0:1], 0
.LBB111_1986:
	s_mov_b64 s[6:7], 0
.LBB111_1987:
	s_and_b64 vcc, exec, s[6:7]
	s_cbranch_vccz .LBB111_1992
; %bb.1988:
	s_cmp_eq_u32 s18, 44
	s_mov_b64 s[0:1], -1
	s_cbranch_scc0 .LBB111_1992
; %bb.1989:
	v_cvt_f32_i32_sdwa v3, sext(v2) dst_sel:DWORD dst_unused:UNUSED_PAD src0_sel:WORD_0
	s_movk_i32 s0, 0xff
	v_mov_b32_e32 v5, 0xff
	v_bfe_u32 v4, v3, 23, 8
	v_cmp_ne_u32_e32 vcc, s0, v4
	s_and_saveexec_b64 s[6:7], vcc
; %bb.1990:
	s_mov_b32 s0, 0x3fffff
	v_lshrrev_b32_e32 v5, 23, v3
	v_and_b32_e32 v6, 0x400000, v3
	v_and_or_b32 v3, v3, s0, v4
	v_cmp_ne_u32_e32 vcc, 0, v6
	v_cmp_ne_u32_e64 s[0:1], 0, v3
	s_and_b64 s[0:1], vcc, s[0:1]
	v_cndmask_b32_e64 v3, 0, 1, s[0:1]
	v_add_u32_e32 v5, v5, v3
; %bb.1991:
	s_or_b64 exec, exec, s[6:7]
	s_mov_b64 s[0:1], 0
	global_store_byte v[0:1], v5, off
.LBB111_1992:
	s_mov_b64 s[6:7], 0
.LBB111_1993:
	s_and_b64 vcc, exec, s[6:7]
	s_cbranch_vccz .LBB111_1996
; %bb.1994:
	s_cmp_eq_u32 s18, 29
	s_mov_b64 s[0:1], -1
	s_cbranch_scc0 .LBB111_1996
; %bb.1995:
	v_bfe_i32 v3, v2, 0, 16
	v_ashrrev_i32_e32 v4, 31, v3
	global_store_dwordx2 v[0:1], v[3:4], off
	s_mov_b64 s[0:1], 0
.LBB111_1996:
	s_mov_b64 s[6:7], 0
.LBB111_1997:
	s_and_b64 vcc, exec, s[6:7]
	s_cbranch_vccz .LBB111_2012
; %bb.1998:
	s_cmp_lt_i32 s18, 27
	s_mov_b64 s[6:7], -1
	s_cbranch_scc1 .LBB111_2004
; %bb.1999:
	s_cmp_gt_i32 s18, 27
	s_cbranch_scc0 .LBB111_2001
; %bb.2000:
	v_bfe_i32 v3, v2, 0, 16
	global_store_dword v[0:1], v3, off
	s_mov_b64 s[6:7], 0
.LBB111_2001:
	s_andn2_b64 vcc, exec, s[6:7]
	s_cbranch_vccnz .LBB111_2003
; %bb.2002:
	global_store_short v[0:1], v2, off
.LBB111_2003:
	s_mov_b64 s[6:7], 0
.LBB111_2004:
	s_andn2_b64 vcc, exec, s[6:7]
	s_cbranch_vccnz .LBB111_2012
; %bb.2005:
	v_cvt_f32_i32_sdwa v3, sext(v2) dst_sel:DWORD dst_unused:UNUSED_PAD src0_sel:WORD_0
	s_mov_b32 s6, 0x43800000
	v_mov_b32_e32 v5, 0x80
	v_and_b32_e32 v4, 0x7fffffff, v3
	v_cmp_gt_u32_e32 vcc, s6, v4
	s_and_saveexec_b64 s[6:7], vcc
	s_cbranch_execz .LBB111_2011
; %bb.2006:
	s_mov_b32 s8, 0x3bffffff
	v_cmp_lt_u32_e32 vcc, s8, v4
	s_mov_b64 s[8:9], 0
                                        ; implicit-def: $vgpr4
	s_and_saveexec_b64 s[10:11], vcc
	s_xor_b64 s[10:11], exec, s[10:11]
	s_cbranch_execz .LBB111_2117
; %bb.2007:
	v_bfe_u32 v4, v3, 20, 1
	s_mov_b32 s12, 0x487ffff
	v_add3_u32 v4, v3, v4, s12
	s_mov_b64 s[8:9], exec
	v_lshrrev_b32_e32 v4, 20, v4
	s_andn2_saveexec_b64 s[10:11], s[10:11]
	s_cbranch_execnz .LBB111_2118
.LBB111_2008:
	s_or_b64 exec, exec, s[10:11]
	v_mov_b32_e32 v5, 0
	s_and_saveexec_b64 s[10:11], s[8:9]
.LBB111_2009:
	v_lshrrev_b32_e32 v3, 24, v3
	s_movk_i32 s8, 0x80
	v_and_or_b32 v5, v3, s8, v4
.LBB111_2010:
	s_or_b64 exec, exec, s[10:11]
.LBB111_2011:
	s_or_b64 exec, exec, s[6:7]
	global_store_byte v[0:1], v5, off
.LBB111_2012:
	s_mov_b64 s[6:7], 0
.LBB111_2013:
	s_and_b64 vcc, exec, s[6:7]
	s_cbranch_vccz .LBB111_2053
; %bb.2014:
	s_cmp_gt_i32 s18, 22
	s_mov_b64 s[4:5], -1
	s_cbranch_scc0 .LBB111_2046
; %bb.2015:
	s_cmp_lt_i32 s18, 24
	s_cbranch_scc1 .LBB111_2035
; %bb.2016:
	s_cmp_gt_i32 s18, 24
	s_cbranch_scc0 .LBB111_2024
; %bb.2017:
	v_cvt_f32_i32_sdwa v3, sext(v2) dst_sel:DWORD dst_unused:UNUSED_PAD src0_sel:WORD_0
	s_mov_b32 s4, 0x47800000
	v_mov_b32_e32 v5, 0x80
	v_and_b32_e32 v4, 0x7fffffff, v3
	v_cmp_gt_u32_e32 vcc, s4, v4
	s_and_saveexec_b64 s[4:5], vcc
	s_cbranch_execz .LBB111_2023
; %bb.2018:
	s_mov_b32 s6, 0x37ffffff
	v_cmp_lt_u32_e32 vcc, s6, v4
	s_mov_b64 s[6:7], 0
                                        ; implicit-def: $vgpr4
	s_and_saveexec_b64 s[8:9], vcc
	s_xor_b64 s[8:9], exec, s[8:9]
	s_cbranch_execz .LBB111_2120
; %bb.2019:
	v_bfe_u32 v4, v3, 21, 1
	s_mov_b32 s10, 0x88fffff
	v_add3_u32 v4, v3, v4, s10
	s_mov_b64 s[6:7], exec
	v_lshrrev_b32_e32 v4, 21, v4
	s_andn2_saveexec_b64 s[8:9], s[8:9]
	s_cbranch_execnz .LBB111_2121
.LBB111_2020:
	s_or_b64 exec, exec, s[8:9]
	v_mov_b32_e32 v5, 0
	s_and_saveexec_b64 s[8:9], s[6:7]
.LBB111_2021:
	v_lshrrev_b32_e32 v3, 24, v3
	s_movk_i32 s6, 0x80
	v_and_or_b32 v5, v3, s6, v4
.LBB111_2022:
	s_or_b64 exec, exec, s[8:9]
.LBB111_2023:
	s_or_b64 exec, exec, s[4:5]
	s_mov_b64 s[4:5], 0
	global_store_byte v[0:1], v5, off
.LBB111_2024:
	s_and_b64 vcc, exec, s[4:5]
	s_cbranch_vccz .LBB111_2034
; %bb.2025:
	v_cvt_f32_i32_sdwa v3, sext(v2) dst_sel:DWORD dst_unused:UNUSED_PAD src0_sel:WORD_0
	s_mov_b32 s4, 0x43f00000
                                        ; implicit-def: $vgpr4
	v_and_b32_e32 v5, 0x7fffffff, v3
	v_cmp_gt_u32_e32 vcc, s4, v5
	s_and_saveexec_b64 s[4:5], vcc
	s_xor_b64 s[4:5], exec, s[4:5]
	s_cbranch_execz .LBB111_2031
; %bb.2026:
	s_mov_b32 s6, 0x3c7fffff
	v_cmp_lt_u32_e32 vcc, s6, v5
                                        ; implicit-def: $vgpr4
	s_and_saveexec_b64 s[6:7], vcc
	s_xor_b64 s[6:7], exec, s[6:7]
; %bb.2027:
	v_bfe_u32 v4, v3, 20, 1
	s_mov_b32 s8, 0x407ffff
	v_add3_u32 v4, v3, v4, s8
	v_lshrrev_b32_e32 v5, 20, v4
	v_and_b32_e32 v4, 0xff00000, v4
	s_mov_b32 s8, 0x7f00000
	v_mov_b32_e32 v6, 0x7e
	v_cmp_ne_u32_e32 vcc, s8, v4
	v_cndmask_b32_e32 v4, v6, v5, vcc
; %bb.2028:
	s_andn2_saveexec_b64 s[6:7], s[6:7]
; %bb.2029:
	s_mov_b32 s8, 0x46800000
	v_add_f32_e64 v4, |v3|, s8
; %bb.2030:
	s_or_b64 exec, exec, s[6:7]
                                        ; implicit-def: $vgpr5
.LBB111_2031:
	s_andn2_saveexec_b64 s[4:5], s[4:5]
; %bb.2032:
	s_mov_b32 s6, 0x7f800000
	v_mov_b32_e32 v4, 0x7e
	v_mov_b32_e32 v6, 0x7f
	v_cmp_lt_u32_e32 vcc, s6, v5
	v_cndmask_b32_e32 v4, v4, v6, vcc
; %bb.2033:
	s_or_b64 exec, exec, s[4:5]
	v_lshrrev_b32_e32 v3, 24, v3
	s_movk_i32 s4, 0x80
	v_and_or_b32 v3, v3, s4, v4
	global_store_byte v[0:1], v3, off
.LBB111_2034:
	s_mov_b64 s[4:5], 0
.LBB111_2035:
	s_andn2_b64 vcc, exec, s[4:5]
	s_cbranch_vccnz .LBB111_2045
; %bb.2036:
	v_cvt_f32_i32_sdwa v3, sext(v2) dst_sel:DWORD dst_unused:UNUSED_PAD src0_sel:WORD_0
	s_mov_b32 s4, 0x47800000
                                        ; implicit-def: $vgpr4
	v_and_b32_e32 v5, 0x7fffffff, v3
	v_cmp_gt_u32_e32 vcc, s4, v5
	s_and_saveexec_b64 s[4:5], vcc
	s_xor_b64 s[4:5], exec, s[4:5]
	s_cbranch_execz .LBB111_2042
; %bb.2037:
	s_mov_b32 s6, 0x387fffff
	v_cmp_lt_u32_e32 vcc, s6, v5
                                        ; implicit-def: $vgpr4
	s_and_saveexec_b64 s[6:7], vcc
	s_xor_b64 s[6:7], exec, s[6:7]
; %bb.2038:
	v_bfe_u32 v4, v3, 21, 1
	s_mov_b32 s8, 0x80fffff
	v_add3_u32 v4, v3, v4, s8
	v_lshrrev_b32_e32 v4, 21, v4
; %bb.2039:
	s_andn2_saveexec_b64 s[6:7], s[6:7]
; %bb.2040:
	s_mov_b32 s8, 0x43000000
	v_add_f32_e64 v4, |v3|, s8
; %bb.2041:
	s_or_b64 exec, exec, s[6:7]
                                        ; implicit-def: $vgpr5
.LBB111_2042:
	s_andn2_saveexec_b64 s[4:5], s[4:5]
; %bb.2043:
	s_mov_b32 s6, 0x7f800000
	v_mov_b32_e32 v4, 0x7c
	v_mov_b32_e32 v6, 0x7f
	v_cmp_lt_u32_e32 vcc, s6, v5
	v_cndmask_b32_e32 v4, v4, v6, vcc
; %bb.2044:
	s_or_b64 exec, exec, s[4:5]
	v_lshrrev_b32_e32 v3, 24, v3
	s_movk_i32 s4, 0x80
	v_and_or_b32 v3, v3, s4, v4
	global_store_byte v[0:1], v3, off
.LBB111_2045:
	s_mov_b64 s[4:5], 0
.LBB111_2046:
	s_andn2_b64 vcc, exec, s[4:5]
	s_mov_b64 s[4:5], 0
	s_cbranch_vccnz .LBB111_2053
; %bb.2047:
	s_cmp_gt_i32 s18, 14
	s_mov_b64 s[6:7], -1
	s_cbranch_scc0 .LBB111_2051
; %bb.2048:
	s_cmp_eq_u32 s18, 15
	s_mov_b64 s[0:1], -1
	s_cbranch_scc0 .LBB111_2050
; %bb.2049:
	v_cvt_f32_i32_sdwa v3, sext(v2) dst_sel:DWORD dst_unused:UNUSED_PAD src0_sel:WORD_0
	s_movk_i32 s0, 0x7fff
	v_bfe_u32 v4, v3, 16, 1
	v_add3_u32 v3, v3, v4, s0
	global_store_short_d16_hi v[0:1], v3, off
	s_mov_b64 s[0:1], 0
.LBB111_2050:
	s_mov_b64 s[6:7], 0
.LBB111_2051:
	s_and_b64 vcc, exec, s[6:7]
	s_cbranch_vccz .LBB111_2053
; %bb.2052:
	s_cmp_lg_u32 s18, 11
	s_mov_b64 s[4:5], -1
	s_cselect_b64 s[0:1], -1, 0
.LBB111_2053:
	s_and_b64 vcc, exec, s[0:1]
	s_cbranch_vccnz .LBB111_2119
.LBB111_2054:
	s_mov_b64 s[0:1], 0
	s_branch .LBB111_2056
.LBB111_2055:
	s_mov_b64 s[0:1], 0
	s_mov_b64 s[4:5], 0
                                        ; implicit-def: $vgpr0_vgpr1
                                        ; implicit-def: $sgpr16
                                        ; implicit-def: $vgpr2
.LBB111_2056:
	s_and_b64 s[6:7], s[4:5], exec
	s_andn2_b64 s[4:5], s[28:29], exec
	s_and_b64 s[2:3], s[2:3], exec
	s_and_b64 s[0:1], s[0:1], exec
	s_or_b64 s[28:29], s[4:5], s[2:3]
.LBB111_2057:
	s_or_b64 exec, exec, s[30:31]
	s_and_saveexec_b64 s[2:3], s[28:29]
	s_cbranch_execz .LBB111_2060
; %bb.2058:
	; divergent unreachable
	s_or_b64 exec, exec, s[2:3]
	s_and_saveexec_b64 s[2:3], s[6:7]
	s_xor_b64 s[2:3], exec, s[2:3]
	s_cbranch_execnz .LBB111_2061
.LBB111_2059:
	s_or_b64 exec, exec, s[2:3]
	s_and_saveexec_b64 s[2:3], s[0:1]
	s_cbranch_execnz .LBB111_2062
	s_branch .LBB111_2099
.LBB111_2060:
	s_or_b64 exec, exec, s[2:3]
	s_and_saveexec_b64 s[2:3], s[6:7]
	s_xor_b64 s[2:3], exec, s[2:3]
	s_cbranch_execz .LBB111_2059
.LBB111_2061:
	v_cmp_ne_u16_e32 vcc, 0, v2
	s_waitcnt vmcnt(0)
	v_cndmask_b32_e64 v3, 0, 1, vcc
	global_store_byte v[0:1], v3, off
	s_or_b64 exec, exec, s[2:3]
	s_and_saveexec_b64 s[2:3], s[0:1]
	s_cbranch_execz .LBB111_2099
.LBB111_2062:
	s_sext_i32_i16 s2, s16
	s_cmp_lt_i32 s2, 5
	s_mov_b64 s[0:1], -1
	s_cbranch_scc1 .LBB111_2083
; %bb.2063:
	s_cmp_lt_i32 s2, 8
	s_cbranch_scc1 .LBB111_2073
; %bb.2064:
	s_cmp_lt_i32 s2, 9
	s_cbranch_scc1 .LBB111_2070
; %bb.2065:
	s_cmp_gt_i32 s2, 9
	s_cbranch_scc0 .LBB111_2067
; %bb.2066:
	s_waitcnt vmcnt(0)
	v_bfe_i32 v3, v2, 0, 16
	v_cvt_f64_i32_e32 v[3:4], v3
	v_mov_b32_e32 v5, 0
	v_mov_b32_e32 v6, v5
	s_mov_b64 s[0:1], 0
	global_store_dwordx4 v[0:1], v[3:6], off
.LBB111_2067:
	s_andn2_b64 vcc, exec, s[0:1]
	s_cbranch_vccnz .LBB111_2069
; %bb.2068:
	s_waitcnt vmcnt(0)
	v_cvt_f32_i32_sdwa v3, sext(v2) dst_sel:DWORD dst_unused:UNUSED_PAD src0_sel:WORD_0
	v_mov_b32_e32 v4, 0
	global_store_dwordx2 v[0:1], v[3:4], off
.LBB111_2069:
	s_mov_b64 s[0:1], 0
.LBB111_2070:
	s_andn2_b64 vcc, exec, s[0:1]
	s_cbranch_vccnz .LBB111_2072
; %bb.2071:
	s_waitcnt vmcnt(0)
	v_cvt_f16_i16_e32 v3, v2
	global_store_dword v[0:1], v3, off
.LBB111_2072:
	s_mov_b64 s[0:1], 0
.LBB111_2073:
	s_andn2_b64 vcc, exec, s[0:1]
	s_cbranch_vccnz .LBB111_2082
; %bb.2074:
	s_sext_i32_i16 s2, s16
	s_cmp_lt_i32 s2, 6
	s_mov_b64 s[0:1], -1
	s_cbranch_scc1 .LBB111_2080
; %bb.2075:
	s_cmp_gt_i32 s2, 6
	s_cbranch_scc0 .LBB111_2077
; %bb.2076:
	s_waitcnt vmcnt(0)
	v_bfe_i32 v3, v2, 0, 16
	v_cvt_f64_i32_e32 v[3:4], v3
	s_mov_b64 s[0:1], 0
	global_store_dwordx2 v[0:1], v[3:4], off
.LBB111_2077:
	s_andn2_b64 vcc, exec, s[0:1]
	s_cbranch_vccnz .LBB111_2079
; %bb.2078:
	s_waitcnt vmcnt(0)
	v_cvt_f32_i32_sdwa v3, sext(v2) dst_sel:DWORD dst_unused:UNUSED_PAD src0_sel:WORD_0
	global_store_dword v[0:1], v3, off
.LBB111_2079:
	s_mov_b64 s[0:1], 0
.LBB111_2080:
	s_andn2_b64 vcc, exec, s[0:1]
	s_cbranch_vccnz .LBB111_2082
; %bb.2081:
	s_waitcnt vmcnt(0)
	v_cvt_f16_i16_e32 v3, v2
	global_store_short v[0:1], v3, off
.LBB111_2082:
	s_mov_b64 s[0:1], 0
.LBB111_2083:
	s_andn2_b64 vcc, exec, s[0:1]
	s_cbranch_vccnz .LBB111_2099
; %bb.2084:
	s_sext_i32_i16 s2, s16
	s_cmp_lt_i32 s2, 2
	s_mov_b64 s[0:1], -1
	s_cbranch_scc1 .LBB111_2094
; %bb.2085:
	s_cmp_lt_i32 s2, 3
	s_cbranch_scc1 .LBB111_2091
; %bb.2086:
	s_cmp_gt_i32 s2, 3
	s_cbranch_scc0 .LBB111_2088
; %bb.2087:
	s_waitcnt vmcnt(0)
	v_bfe_i32 v3, v2, 0, 16
	v_ashrrev_i32_e32 v4, 31, v3
	global_store_dwordx2 v[0:1], v[3:4], off
	s_mov_b64 s[0:1], 0
.LBB111_2088:
	s_andn2_b64 vcc, exec, s[0:1]
	s_cbranch_vccnz .LBB111_2090
; %bb.2089:
	s_waitcnt vmcnt(0)
	v_bfe_i32 v3, v2, 0, 16
	global_store_dword v[0:1], v3, off
.LBB111_2090:
	s_mov_b64 s[0:1], 0
.LBB111_2091:
	s_andn2_b64 vcc, exec, s[0:1]
	s_cbranch_vccnz .LBB111_2093
; %bb.2092:
	global_store_short v[0:1], v2, off
.LBB111_2093:
	s_mov_b64 s[0:1], 0
.LBB111_2094:
	s_andn2_b64 vcc, exec, s[0:1]
	s_cbranch_vccnz .LBB111_2099
; %bb.2095:
	s_sext_i32_i16 s0, s16
	s_cmp_gt_i32 s0, 0
	s_mov_b64 s[0:1], -1
	s_cbranch_scc0 .LBB111_2097
; %bb.2096:
	global_store_byte v[0:1], v2, off
	s_mov_b64 s[0:1], 0
.LBB111_2097:
	s_andn2_b64 vcc, exec, s[0:1]
	s_cbranch_vccnz .LBB111_2099
; %bb.2098:
	global_store_byte v[0:1], v2, off
	s_endpgm
.LBB111_2099:
	s_endpgm
.LBB111_2100:
	s_mov_b64 s[4:5], 0
	s_mov_b64 s[0:1], -1
	s_branch .LBB111_2056
.LBB111_2101:
	s_trap 2
	s_or_b64 s[2:3], s[2:3], exec
	s_cbranch_execz .LBB111_1570
	s_branch .LBB111_1571
.LBB111_2102:
	s_andn2_saveexec_b64 s[14:15], s[14:15]
	s_cbranch_execz .LBB111_1650
.LBB111_2103:
	s_mov_b32 s19, 0x46000000
	v_add_f32_e64 v8, |v3|, s19
	v_and_b32_e32 v8, 0xff, v8
	v_cmp_ne_u32_e32 vcc, 0, v8
	s_andn2_b64 s[12:13], s[12:13], exec
	s_and_b64 s[20:21], vcc, exec
	s_or_b64 s[12:13], s[12:13], s[20:21]
	s_or_b64 exec, exec, s[14:15]
	v_mov_b32_e32 v10, 0
	s_and_saveexec_b64 s[14:15], s[12:13]
	s_cbranch_execnz .LBB111_1651
	s_branch .LBB111_1652
.LBB111_2104:
	s_trap 2
	s_or_b64 s[2:3], s[2:3], exec
	s_cbranch_execz .LBB111_1698
	s_branch .LBB111_1699
.LBB111_2105:
	s_andn2_saveexec_b64 s[12:13], s[12:13]
	s_cbranch_execz .LBB111_1663
.LBB111_2106:
	s_mov_b32 s14, 0x42800000
	v_add_f32_e64 v8, |v3|, s14
	v_and_b32_e32 v8, 0xff, v8
	v_cmp_ne_u32_e32 vcc, 0, v8
	s_andn2_b64 s[10:11], s[10:11], exec
	s_and_b64 s[14:15], vcc, exec
	s_or_b64 s[10:11], s[10:11], s[14:15]
	s_or_b64 exec, exec, s[12:13]
	v_mov_b32_e32 v10, 0
	s_and_saveexec_b64 s[12:13], s[10:11]
	s_cbranch_execnz .LBB111_1664
	s_branch .LBB111_1665
.LBB111_2107:
	s_andn2_saveexec_b64 s[14:15], s[14:15]
	s_cbranch_execz .LBB111_1769
.LBB111_2108:
	s_mov_b32 s19, 0x46000000
	v_add_f32_e64 v6, |v5|, s19
	v_and_b32_e32 v6, 0xff, v6
	v_cmp_ne_u32_e32 vcc, 0, v6
	s_andn2_b64 s[12:13], s[12:13], exec
	s_and_b64 s[20:21], vcc, exec
	s_or_b64 s[12:13], s[12:13], s[20:21]
	s_or_b64 exec, exec, s[14:15]
	v_mov_b32_e32 v8, 0
	s_and_saveexec_b64 s[14:15], s[12:13]
	s_cbranch_execnz .LBB111_1770
	s_branch .LBB111_1771
.LBB111_2109:
	s_trap 2
	s_or_b64 s[2:3], s[2:3], exec
	s_cbranch_execz .LBB111_1817
	s_branch .LBB111_1818
.LBB111_2110:
	s_andn2_saveexec_b64 s[12:13], s[12:13]
	s_cbranch_execz .LBB111_1782
.LBB111_2111:
	s_mov_b32 s14, 0x42800000
	v_add_f32_e64 v6, |v5|, s14
	v_and_b32_e32 v6, 0xff, v6
	v_cmp_ne_u32_e32 vcc, 0, v6
	s_andn2_b64 s[10:11], s[10:11], exec
	s_and_b64 s[14:15], vcc, exec
	s_or_b64 s[10:11], s[10:11], s[14:15]
	s_or_b64 exec, exec, s[12:13]
	v_mov_b32_e32 v8, 0
	s_and_saveexec_b64 s[12:13], s[10:11]
	s_cbranch_execnz .LBB111_1783
	s_branch .LBB111_1784
.LBB111_2112:
	s_andn2_saveexec_b64 s[14:15], s[14:15]
	s_cbranch_execz .LBB111_1888
.LBB111_2113:
	s_mov_b32 s19, 0x46000000
	v_add_f32_e64 v4, |v3|, s19
	v_and_b32_e32 v4, 0xff, v4
	v_cmp_ne_u32_e32 vcc, 0, v4
	s_andn2_b64 s[12:13], s[12:13], exec
	s_and_b64 s[20:21], vcc, exec
	s_or_b64 s[12:13], s[12:13], s[20:21]
	s_or_b64 exec, exec, s[14:15]
	v_mov_b32_e32 v6, 0
	s_and_saveexec_b64 s[14:15], s[12:13]
	s_cbranch_execnz .LBB111_1889
	s_branch .LBB111_1890
.LBB111_2114:
	s_trap 2
	s_or_b64 s[2:3], s[2:3], exec
	s_cbranch_execz .LBB111_1936
	s_branch .LBB111_1937
.LBB111_2115:
	s_andn2_saveexec_b64 s[12:13], s[12:13]
	s_cbranch_execz .LBB111_1901
.LBB111_2116:
	s_mov_b32 s14, 0x42800000
	v_add_f32_e64 v4, |v3|, s14
	v_and_b32_e32 v4, 0xff, v4
	v_cmp_ne_u32_e32 vcc, 0, v4
	s_andn2_b64 s[10:11], s[10:11], exec
	s_and_b64 s[14:15], vcc, exec
	s_or_b64 s[10:11], s[10:11], s[14:15]
	s_or_b64 exec, exec, s[12:13]
	v_mov_b32_e32 v6, 0
	s_and_saveexec_b64 s[12:13], s[10:11]
	s_cbranch_execnz .LBB111_1902
	s_branch .LBB111_1903
.LBB111_2117:
	s_andn2_saveexec_b64 s[10:11], s[10:11]
	s_cbranch_execz .LBB111_2008
.LBB111_2118:
	s_mov_b32 s12, 0x46000000
	v_add_f32_e64 v4, |v3|, s12
	v_and_b32_e32 v4, 0xff, v4
	v_cmp_ne_u32_e32 vcc, 0, v4
	s_andn2_b64 s[8:9], s[8:9], exec
	s_and_b64 s[12:13], vcc, exec
	s_or_b64 s[8:9], s[8:9], s[12:13]
	s_or_b64 exec, exec, s[10:11]
	v_mov_b32_e32 v5, 0
	s_and_saveexec_b64 s[10:11], s[8:9]
	s_cbranch_execnz .LBB111_2009
	s_branch .LBB111_2010
.LBB111_2119:
	s_mov_b64 s[4:5], 0
	s_or_b64 s[2:3], s[2:3], exec
	s_trap 2
	s_branch .LBB111_2054
.LBB111_2120:
	s_andn2_saveexec_b64 s[8:9], s[8:9]
	s_cbranch_execz .LBB111_2020
.LBB111_2121:
	s_mov_b32 s10, 0x42800000
	v_add_f32_e64 v4, |v3|, s10
	v_and_b32_e32 v4, 0xff, v4
	v_cmp_ne_u32_e32 vcc, 0, v4
	s_andn2_b64 s[6:7], s[6:7], exec
	s_and_b64 s[10:11], vcc, exec
	s_or_b64 s[6:7], s[6:7], s[10:11]
	s_or_b64 exec, exec, s[8:9]
	v_mov_b32_e32 v5, 0
	s_and_saveexec_b64 s[8:9], s[6:7]
	s_cbranch_execnz .LBB111_2021
	s_branch .LBB111_2022
	.section	.rodata,"a",@progbits
	.p2align	6, 0x0
	.amdhsa_kernel _ZN2at6native32elementwise_kernel_manual_unrollILi128ELi4EZNS0_15gpu_kernel_implINS0_13BUnaryFunctorIsssZZZNS0_18lshift_kernel_cudaERNS_18TensorIteratorBaseEENKUlvE_clEvENKUlvE3_clEvEUlssE_EEEEvS5_RKT_EUlibE0_EEviT1_
		.amdhsa_group_segment_fixed_size 0
		.amdhsa_private_segment_fixed_size 0
		.amdhsa_kernarg_size 360
		.amdhsa_user_sgpr_count 6
		.amdhsa_user_sgpr_private_segment_buffer 1
		.amdhsa_user_sgpr_dispatch_ptr 0
		.amdhsa_user_sgpr_queue_ptr 0
		.amdhsa_user_sgpr_kernarg_segment_ptr 1
		.amdhsa_user_sgpr_dispatch_id 0
		.amdhsa_user_sgpr_flat_scratch_init 0
		.amdhsa_user_sgpr_private_segment_size 0
		.amdhsa_uses_dynamic_stack 0
		.amdhsa_system_sgpr_private_segment_wavefront_offset 0
		.amdhsa_system_sgpr_workgroup_id_x 1
		.amdhsa_system_sgpr_workgroup_id_y 0
		.amdhsa_system_sgpr_workgroup_id_z 0
		.amdhsa_system_sgpr_workgroup_info 0
		.amdhsa_system_vgpr_workitem_id 0
		.amdhsa_next_free_vgpr 18
		.amdhsa_next_free_sgpr 81
		.amdhsa_reserve_vcc 1
		.amdhsa_reserve_flat_scratch 0
		.amdhsa_float_round_mode_32 0
		.amdhsa_float_round_mode_16_64 0
		.amdhsa_float_denorm_mode_32 3
		.amdhsa_float_denorm_mode_16_64 3
		.amdhsa_dx10_clamp 1
		.amdhsa_ieee_mode 1
		.amdhsa_fp16_overflow 0
		.amdhsa_exception_fp_ieee_invalid_op 0
		.amdhsa_exception_fp_denorm_src 0
		.amdhsa_exception_fp_ieee_div_zero 0
		.amdhsa_exception_fp_ieee_overflow 0
		.amdhsa_exception_fp_ieee_underflow 0
		.amdhsa_exception_fp_ieee_inexact 0
		.amdhsa_exception_int_div_zero 0
	.end_amdhsa_kernel
	.section	.text._ZN2at6native32elementwise_kernel_manual_unrollILi128ELi4EZNS0_15gpu_kernel_implINS0_13BUnaryFunctorIsssZZZNS0_18lshift_kernel_cudaERNS_18TensorIteratorBaseEENKUlvE_clEvENKUlvE3_clEvEUlssE_EEEEvS5_RKT_EUlibE0_EEviT1_,"axG",@progbits,_ZN2at6native32elementwise_kernel_manual_unrollILi128ELi4EZNS0_15gpu_kernel_implINS0_13BUnaryFunctorIsssZZZNS0_18lshift_kernel_cudaERNS_18TensorIteratorBaseEENKUlvE_clEvENKUlvE3_clEvEUlssE_EEEEvS5_RKT_EUlibE0_EEviT1_,comdat
.Lfunc_end111:
	.size	_ZN2at6native32elementwise_kernel_manual_unrollILi128ELi4EZNS0_15gpu_kernel_implINS0_13BUnaryFunctorIsssZZZNS0_18lshift_kernel_cudaERNS_18TensorIteratorBaseEENKUlvE_clEvENKUlvE3_clEvEUlssE_EEEEvS5_RKT_EUlibE0_EEviT1_, .Lfunc_end111-_ZN2at6native32elementwise_kernel_manual_unrollILi128ELi4EZNS0_15gpu_kernel_implINS0_13BUnaryFunctorIsssZZZNS0_18lshift_kernel_cudaERNS_18TensorIteratorBaseEENKUlvE_clEvENKUlvE3_clEvEUlssE_EEEEvS5_RKT_EUlibE0_EEviT1_
                                        ; -- End function
	.set _ZN2at6native32elementwise_kernel_manual_unrollILi128ELi4EZNS0_15gpu_kernel_implINS0_13BUnaryFunctorIsssZZZNS0_18lshift_kernel_cudaERNS_18TensorIteratorBaseEENKUlvE_clEvENKUlvE3_clEvEUlssE_EEEEvS5_RKT_EUlibE0_EEviT1_.num_vgpr, 18
	.set _ZN2at6native32elementwise_kernel_manual_unrollILi128ELi4EZNS0_15gpu_kernel_implINS0_13BUnaryFunctorIsssZZZNS0_18lshift_kernel_cudaERNS_18TensorIteratorBaseEENKUlvE_clEvENKUlvE3_clEvEUlssE_EEEEvS5_RKT_EUlibE0_EEviT1_.num_agpr, 0
	.set _ZN2at6native32elementwise_kernel_manual_unrollILi128ELi4EZNS0_15gpu_kernel_implINS0_13BUnaryFunctorIsssZZZNS0_18lshift_kernel_cudaERNS_18TensorIteratorBaseEENKUlvE_clEvENKUlvE3_clEvEUlssE_EEEEvS5_RKT_EUlibE0_EEviT1_.numbered_sgpr, 81
	.set _ZN2at6native32elementwise_kernel_manual_unrollILi128ELi4EZNS0_15gpu_kernel_implINS0_13BUnaryFunctorIsssZZZNS0_18lshift_kernel_cudaERNS_18TensorIteratorBaseEENKUlvE_clEvENKUlvE3_clEvEUlssE_EEEEvS5_RKT_EUlibE0_EEviT1_.num_named_barrier, 0
	.set _ZN2at6native32elementwise_kernel_manual_unrollILi128ELi4EZNS0_15gpu_kernel_implINS0_13BUnaryFunctorIsssZZZNS0_18lshift_kernel_cudaERNS_18TensorIteratorBaseEENKUlvE_clEvENKUlvE3_clEvEUlssE_EEEEvS5_RKT_EUlibE0_EEviT1_.private_seg_size, 0
	.set _ZN2at6native32elementwise_kernel_manual_unrollILi128ELi4EZNS0_15gpu_kernel_implINS0_13BUnaryFunctorIsssZZZNS0_18lshift_kernel_cudaERNS_18TensorIteratorBaseEENKUlvE_clEvENKUlvE3_clEvEUlssE_EEEEvS5_RKT_EUlibE0_EEviT1_.uses_vcc, 1
	.set _ZN2at6native32elementwise_kernel_manual_unrollILi128ELi4EZNS0_15gpu_kernel_implINS0_13BUnaryFunctorIsssZZZNS0_18lshift_kernel_cudaERNS_18TensorIteratorBaseEENKUlvE_clEvENKUlvE3_clEvEUlssE_EEEEvS5_RKT_EUlibE0_EEviT1_.uses_flat_scratch, 0
	.set _ZN2at6native32elementwise_kernel_manual_unrollILi128ELi4EZNS0_15gpu_kernel_implINS0_13BUnaryFunctorIsssZZZNS0_18lshift_kernel_cudaERNS_18TensorIteratorBaseEENKUlvE_clEvENKUlvE3_clEvEUlssE_EEEEvS5_RKT_EUlibE0_EEviT1_.has_dyn_sized_stack, 0
	.set _ZN2at6native32elementwise_kernel_manual_unrollILi128ELi4EZNS0_15gpu_kernel_implINS0_13BUnaryFunctorIsssZZZNS0_18lshift_kernel_cudaERNS_18TensorIteratorBaseEENKUlvE_clEvENKUlvE3_clEvEUlssE_EEEEvS5_RKT_EUlibE0_EEviT1_.has_recursion, 0
	.set _ZN2at6native32elementwise_kernel_manual_unrollILi128ELi4EZNS0_15gpu_kernel_implINS0_13BUnaryFunctorIsssZZZNS0_18lshift_kernel_cudaERNS_18TensorIteratorBaseEENKUlvE_clEvENKUlvE3_clEvEUlssE_EEEEvS5_RKT_EUlibE0_EEviT1_.has_indirect_call, 0
	.section	.AMDGPU.csdata,"",@progbits
; Kernel info:
; codeLenInByte = 35240
; TotalNumSgprs: 85
; NumVgprs: 18
; ScratchSize: 0
; MemoryBound: 1
; FloatMode: 240
; IeeeMode: 1
; LDSByteSize: 0 bytes/workgroup (compile time only)
; SGPRBlocks: 10
; VGPRBlocks: 4
; NumSGPRsForWavesPerEU: 85
; NumVGPRsForWavesPerEU: 18
; Occupancy: 9
; WaveLimiterHint : 1
; COMPUTE_PGM_RSRC2:SCRATCH_EN: 0
; COMPUTE_PGM_RSRC2:USER_SGPR: 6
; COMPUTE_PGM_RSRC2:TRAP_HANDLER: 0
; COMPUTE_PGM_RSRC2:TGID_X_EN: 1
; COMPUTE_PGM_RSRC2:TGID_Y_EN: 0
; COMPUTE_PGM_RSRC2:TGID_Z_EN: 0
; COMPUTE_PGM_RSRC2:TIDIG_COMP_CNT: 0
	.section	.text._ZN2at6native29vectorized_elementwise_kernelILi16ENS0_13BinaryFunctorIsssZZZNS0_18lshift_kernel_cudaERNS_18TensorIteratorBaseEENKUlvE_clEvENKUlvE3_clEvEUlssE_EESt5arrayIPcLm3EEEEviT0_T1_,"axG",@progbits,_ZN2at6native29vectorized_elementwise_kernelILi16ENS0_13BinaryFunctorIsssZZZNS0_18lshift_kernel_cudaERNS_18TensorIteratorBaseEENKUlvE_clEvENKUlvE3_clEvEUlssE_EESt5arrayIPcLm3EEEEviT0_T1_,comdat
	.globl	_ZN2at6native29vectorized_elementwise_kernelILi16ENS0_13BinaryFunctorIsssZZZNS0_18lshift_kernel_cudaERNS_18TensorIteratorBaseEENKUlvE_clEvENKUlvE3_clEvEUlssE_EESt5arrayIPcLm3EEEEviT0_T1_ ; -- Begin function _ZN2at6native29vectorized_elementwise_kernelILi16ENS0_13BinaryFunctorIsssZZZNS0_18lshift_kernel_cudaERNS_18TensorIteratorBaseEENKUlvE_clEvENKUlvE3_clEvEUlssE_EESt5arrayIPcLm3EEEEviT0_T1_
	.p2align	8
	.type	_ZN2at6native29vectorized_elementwise_kernelILi16ENS0_13BinaryFunctorIsssZZZNS0_18lshift_kernel_cudaERNS_18TensorIteratorBaseEENKUlvE_clEvENKUlvE3_clEvEUlssE_EESt5arrayIPcLm3EEEEviT0_T1_,@function
_ZN2at6native29vectorized_elementwise_kernelILi16ENS0_13BinaryFunctorIsssZZZNS0_18lshift_kernel_cudaERNS_18TensorIteratorBaseEENKUlvE_clEvENKUlvE3_clEvEUlssE_EESt5arrayIPcLm3EEEEviT0_T1_: ; @_ZN2at6native29vectorized_elementwise_kernelILi16ENS0_13BinaryFunctorIsssZZZNS0_18lshift_kernel_cudaERNS_18TensorIteratorBaseEENKUlvE_clEvENKUlvE3_clEvEUlssE_EESt5arrayIPcLm3EEEEviT0_T1_
; %bb.0:
	s_load_dword s0, s[4:5], 0x0
	s_load_dwordx4 s[8:11], s[4:5], 0x8
	s_load_dwordx2 s[12:13], s[4:5], 0x18
	s_lshl_b32 s2, s6, 11
	s_waitcnt lgkmcnt(0)
	s_sub_i32 s6, s0, s2
	s_cmpk_gt_i32 s6, 0x7ff
	s_mov_b64 s[0:1], -1
	s_cbranch_scc0 .LBB112_2
; %bb.1:
	s_ashr_i32 s3, s2, 31
	s_lshl_b64 s[0:1], s[2:3], 1
	s_add_u32 s4, s10, s0
	s_addc_u32 s5, s11, s1
	v_lshlrev_b32_e32 v9, 4, v0
	s_add_u32 s14, s12, s0
	s_addc_u32 s15, s13, s1
	global_load_dwordx4 v[1:4], v9, s[4:5]
	global_load_dwordx4 v[5:8], v9, s[14:15]
	v_mov_b32_e32 v10, 16
	s_mov_b32 s3, 0x5040100
	s_add_u32 s0, s8, s0
	s_addc_u32 s1, s9, s1
	s_waitcnt vmcnt(0)
	v_lshlrev_b32_e32 v11, v5, v1
	v_cmp_gt_u16_e32 vcc, 16, v5
	v_lshlrev_b32_sdwa v1, v5, v1 dst_sel:DWORD dst_unused:UNUSED_PAD src0_sel:WORD_1 src1_sel:WORD_1
	v_cndmask_b32_e32 v11, 0, v11, vcc
	v_cmp_lt_u16_sdwa vcc, v5, v10 src0_sel:WORD_1 src1_sel:DWORD
	v_lshlrev_b32_e32 v12, v6, v2
	v_cndmask_b32_e32 v1, 0, v1, vcc
	v_cmp_gt_u16_e32 vcc, 16, v6
	v_lshlrev_b32_sdwa v2, v6, v2 dst_sel:DWORD dst_unused:UNUSED_PAD src0_sel:WORD_1 src1_sel:WORD_1
	v_cndmask_b32_e32 v5, 0, v12, vcc
	v_cmp_lt_u16_sdwa vcc, v6, v10 src0_sel:WORD_1 src1_sel:DWORD
	v_lshlrev_b32_e32 v13, v7, v3
	v_cndmask_b32_e32 v2, 0, v2, vcc
	;; [unrolled: 6-line block ×3, first 2 shown]
	v_cmp_gt_u16_e32 vcc, 16, v8
	v_lshlrev_b32_sdwa v4, v8, v4 dst_sel:DWORD dst_unused:UNUSED_PAD src0_sel:WORD_1 src1_sel:WORD_1
	v_cndmask_b32_e32 v7, 0, v14, vcc
	v_cmp_lt_u16_sdwa vcc, v8, v10 src0_sel:WORD_1 src1_sel:DWORD
	v_cndmask_b32_e32 v4, 0, v4, vcc
	v_perm_b32 v4, v4, v7, s3
	v_perm_b32 v3, v3, v6, s3
	;; [unrolled: 1-line block ×4, first 2 shown]
	global_store_dwordx4 v9, v[1:4], s[0:1]
	s_mov_b64 s[0:1], 0
.LBB112_2:
	s_andn2_b64 vcc, exec, s[0:1]
	s_cbranch_vccnz .LBB112_28
; %bb.3:
	v_cmp_gt_i32_e32 vcc, s6, v0
	v_mov_b32_e32 v2, 0
	v_mov_b32_e32 v3, 0
	v_or_b32_e32 v1, s2, v0
	v_mov_b32_e32 v4, 0
	v_mov_b32_e32 v6, v0
	s_and_saveexec_b64 s[4:5], vcc
	s_cbranch_execz .LBB112_5
; %bb.4:
	v_mov_b32_e32 v2, 0
	v_lshlrev_b64 v[4:5], 1, v[1:2]
	v_mov_b32_e32 v2, s13
	v_add_co_u32_e64 v6, s[0:1], s12, v4
	v_addc_co_u32_e64 v7, s[0:1], v2, v5, s[0:1]
	v_mov_b32_e32 v2, s11
	v_add_co_u32_e64 v8, s[0:1], s10, v4
	v_addc_co_u32_e64 v9, s[0:1], v2, v5, s[0:1]
	global_load_ushort v4, v[8:9], off
	global_load_ushort v2, v[6:7], off
	v_or_b32_e32 v6, 0x100, v0
.LBB112_5:
	s_or_b64 exec, exec, s[4:5]
	v_cmp_gt_i32_e64 s[0:1], s6, v6
	v_mov_b32_e32 v5, 0
	s_and_saveexec_b64 s[4:5], s[0:1]
	s_cbranch_execz .LBB112_7
; %bb.6:
	v_add_u32_e32 v7, s2, v6
	v_mov_b32_e32 v8, 0
	v_lshlrev_b64 v[7:8], 1, v[7:8]
	v_mov_b32_e32 v3, s13
	v_add_co_u32_e64 v9, s[0:1], s12, v7
	v_addc_co_u32_e64 v10, s[0:1], v3, v8, s[0:1]
	v_mov_b32_e32 v3, s11
	v_add_co_u32_e64 v7, s[0:1], s10, v7
	v_addc_co_u32_e64 v8, s[0:1], v3, v8, s[0:1]
	global_load_ushort v3, v[7:8], off
	global_load_ushort v5, v[9:10], off
	v_add_u32_e32 v6, 0x100, v6
.LBB112_7:
	s_or_b64 exec, exec, s[4:5]
	v_cmp_gt_i32_e64 s[0:1], s6, v6
	v_mov_b32_e32 v8, 0
	v_mov_b32_e32 v7, 0
	v_mov_b32_e32 v9, 0
	s_and_saveexec_b64 s[4:5], s[0:1]
	s_cbranch_execz .LBB112_9
; %bb.8:
	v_add_u32_e32 v8, s2, v6
	v_mov_b32_e32 v9, 0
	v_lshlrev_b64 v[8:9], 1, v[8:9]
	v_mov_b32_e32 v11, s13
	v_add_co_u32_e64 v10, s[0:1], s12, v8
	v_addc_co_u32_e64 v11, s[0:1], v11, v9, s[0:1]
	v_mov_b32_e32 v13, s11
	v_add_co_u32_e64 v12, s[0:1], s10, v8
	v_addc_co_u32_e64 v13, s[0:1], v13, v9, s[0:1]
	global_load_ushort v9, v[12:13], off
	global_load_ushort v8, v[10:11], off
	v_add_u32_e32 v6, 0x100, v6
.LBB112_9:
	s_or_b64 exec, exec, s[4:5]
	v_cmp_gt_i32_e64 s[0:1], s6, v6
	v_mov_b32_e32 v10, 0
	s_and_saveexec_b64 s[4:5], s[0:1]
	s_cbranch_execz .LBB112_11
; %bb.10:
	v_add_u32_e32 v10, s2, v6
	v_mov_b32_e32 v11, 0
	v_lshlrev_b64 v[10:11], 1, v[10:11]
	v_mov_b32_e32 v7, s13
	v_add_co_u32_e64 v12, s[0:1], s12, v10
	v_addc_co_u32_e64 v13, s[0:1], v7, v11, s[0:1]
	v_mov_b32_e32 v7, s11
	v_add_co_u32_e64 v14, s[0:1], s10, v10
	v_addc_co_u32_e64 v15, s[0:1], v7, v11, s[0:1]
	global_load_ushort v7, v[14:15], off
	global_load_ushort v10, v[12:13], off
	v_add_u32_e32 v6, 0x100, v6
.LBB112_11:
	s_or_b64 exec, exec, s[4:5]
	v_cmp_gt_i32_e64 s[0:1], s6, v6
	v_mov_b32_e32 v12, 0
	v_mov_b32_e32 v11, 0
	v_mov_b32_e32 v13, 0
	s_and_saveexec_b64 s[4:5], s[0:1]
	s_cbranch_execz .LBB112_13
; %bb.12:
	v_add_u32_e32 v12, s2, v6
	v_mov_b32_e32 v13, 0
	v_lshlrev_b64 v[12:13], 1, v[12:13]
	v_mov_b32_e32 v15, s13
	v_add_co_u32_e64 v14, s[0:1], s12, v12
	v_addc_co_u32_e64 v15, s[0:1], v15, v13, s[0:1]
	v_mov_b32_e32 v17, s11
	v_add_co_u32_e64 v16, s[0:1], s10, v12
	v_addc_co_u32_e64 v17, s[0:1], v17, v13, s[0:1]
	global_load_ushort v13, v[16:17], off
	global_load_ushort v12, v[14:15], off
	v_add_u32_e32 v6, 0x100, v6
.LBB112_13:
	;; [unrolled: 40-line block ×3, first 2 shown]
	s_or_b64 exec, exec, s[4:5]
	v_cmp_gt_i32_e64 s[0:1], s6, v6
	v_mov_b32_e32 v19, 0
	s_and_saveexec_b64 s[4:5], s[0:1]
	s_cbranch_execz .LBB112_19
; %bb.18:
	v_add_u32_e32 v18, s2, v6
	v_mov_b32_e32 v19, 0
	v_lshlrev_b64 v[18:19], 1, v[18:19]
	v_mov_b32_e32 v6, s13
	v_add_co_u32_e64 v20, s[0:1], s12, v18
	v_addc_co_u32_e64 v21, s[0:1], v6, v19, s[0:1]
	v_mov_b32_e32 v6, s11
	v_add_co_u32_e64 v22, s[0:1], s10, v18
	v_addc_co_u32_e64 v23, s[0:1], v6, v19, s[0:1]
	global_load_ushort v15, v[22:23], off
	global_load_ushort v19, v[20:21], off
.LBB112_19:
	s_or_b64 exec, exec, s[4:5]
	s_waitcnt vmcnt(0)
	v_lshlrev_b32_sdwa v4, v2, v4 dst_sel:DWORD dst_unused:UNUSED_PAD src0_sel:WORD_0 src1_sel:DWORD
	v_cmp_gt_u16_e64 s[0:1], 16, v2
	v_cndmask_b32_e64 v4, 0, v4, s[0:1]
	v_mov_b32_e32 v2, 0
	v_lshlrev_b32_sdwa v3, v5, v3 dst_sel:DWORD dst_unused:UNUSED_PAD src0_sel:WORD_0 src1_sel:DWORD
	v_cmp_gt_u16_e64 s[0:1], 16, v5
	v_cndmask_b32_sdwa v4, v2, v4, vcc dst_sel:DWORD dst_unused:UNUSED_PAD src0_sel:DWORD src1_sel:WORD_0
	v_or_b32_e32 v18, 0x100, v0
	v_cndmask_b32_e64 v3, 0, v3, s[0:1]
	s_mov_b32 s3, 0x5040100
	v_perm_b32 v3, v3, v4, s3
	v_cmp_gt_i32_e64 s[0:1], s6, v18
	v_cndmask_b32_e64 v6, v4, v3, s[0:1]
	v_lshlrev_b32_sdwa v4, v8, v9 dst_sel:DWORD dst_unused:UNUSED_PAD src0_sel:WORD_0 src1_sel:DWORD
	v_cmp_gt_u16_e64 s[0:1], 16, v8
	v_or_b32_e32 v3, 0x200, v0
	v_cndmask_b32_e64 v4, 0, v4, s[0:1]
	v_and_b32_e32 v4, 0xffff, v4
	v_cmp_gt_i32_e64 s[0:1], s6, v3
	v_cndmask_b32_e64 v3, 0, v4, s[0:1]
	v_lshlrev_b32_sdwa v5, v10, v7 dst_sel:DWORD dst_unused:UNUSED_PAD src0_sel:WORD_0 src1_sel:DWORD
	v_cmp_gt_u16_e64 s[0:1], 16, v10
	v_or_b32_e32 v4, 0x300, v0
	v_cndmask_b32_e64 v5, 0, v5, s[0:1]
	v_perm_b32 v5, v5, v3, s3
	v_cmp_gt_i32_e64 s[0:1], s6, v4
	v_cndmask_b32_e64 v5, v3, v5, s[0:1]
	v_lshlrev_b32_sdwa v4, v12, v13 dst_sel:DWORD dst_unused:UNUSED_PAD src0_sel:WORD_0 src1_sel:DWORD
	v_cmp_gt_u16_e64 s[0:1], 16, v12
	v_or_b32_e32 v3, 0x400, v0
	v_cndmask_b32_e64 v4, 0, v4, s[0:1]
	v_and_b32_e32 v4, 0xffff, v4
	v_cmp_gt_i32_e64 s[0:1], s6, v3
	v_cndmask_b32_e64 v3, 0, v4, s[0:1]
	v_lshlrev_b32_sdwa v7, v14, v11 dst_sel:DWORD dst_unused:UNUSED_PAD src0_sel:WORD_0 src1_sel:DWORD
	v_cmp_gt_u16_e64 s[0:1], 16, v14
	v_or_b32_e32 v4, 0x500, v0
	v_cndmask_b32_e64 v7, 0, v7, s[0:1]
	;; [unrolled: 14-line block ×3, first 2 shown]
	v_perm_b32 v8, v8, v3, s3
	v_cmp_gt_i32_e64 s[0:1], s6, v7
	v_cndmask_b32_e64 v3, v3, v8, s[0:1]
	s_and_saveexec_b64 s[0:1], vcc
	s_cbranch_execnz .LBB112_29
; %bb.20:
	s_or_b64 exec, exec, s[0:1]
	v_cmp_gt_i32_e32 vcc, s6, v0
	s_and_saveexec_b64 s[0:1], vcc
	s_cbranch_execnz .LBB112_30
.LBB112_21:
	s_or_b64 exec, exec, s[0:1]
	v_cmp_gt_i32_e32 vcc, s6, v0
	s_and_saveexec_b64 s[0:1], vcc
	s_cbranch_execnz .LBB112_31
.LBB112_22:
	s_or_b64 exec, exec, s[0:1]
	v_cmp_gt_i32_e32 vcc, s6, v0
	s_and_saveexec_b64 s[0:1], vcc
	s_cbranch_execnz .LBB112_32
.LBB112_23:
	s_or_b64 exec, exec, s[0:1]
	v_cmp_gt_i32_e32 vcc, s6, v0
	s_and_saveexec_b64 s[0:1], vcc
	s_cbranch_execnz .LBB112_33
.LBB112_24:
	s_or_b64 exec, exec, s[0:1]
	v_cmp_gt_i32_e32 vcc, s6, v0
	s_and_saveexec_b64 s[0:1], vcc
	s_cbranch_execnz .LBB112_34
.LBB112_25:
	s_or_b64 exec, exec, s[0:1]
	v_cmp_gt_i32_e32 vcc, s6, v0
	s_and_saveexec_b64 s[0:1], vcc
	s_cbranch_execnz .LBB112_35
.LBB112_26:
	s_or_b64 exec, exec, s[0:1]
	v_cmp_gt_i32_e32 vcc, s6, v0
	s_and_saveexec_b64 s[0:1], vcc
	s_cbranch_execz .LBB112_28
.LBB112_27:
	v_add_u32_e32 v0, s2, v0
	v_mov_b32_e32 v1, 0
	v_lshlrev_b64 v[0:1], 1, v[0:1]
	v_mov_b32_e32 v2, s9
	v_add_co_u32_e32 v0, vcc, s8, v0
	v_addc_co_u32_e32 v1, vcc, v2, v1, vcc
	global_store_short_d16_hi v[0:1], v3, off
.LBB112_28:
	s_endpgm
.LBB112_29:
	v_lshlrev_b64 v[0:1], 1, v[1:2]
	v_mov_b32_e32 v2, s9
	v_add_co_u32_e32 v0, vcc, s8, v0
	v_addc_co_u32_e32 v1, vcc, v2, v1, vcc
	global_store_short v[0:1], v6, off
	v_mov_b32_e32 v0, v18
	s_or_b64 exec, exec, s[0:1]
	v_cmp_gt_i32_e32 vcc, s6, v0
	s_and_saveexec_b64 s[0:1], vcc
	s_cbranch_execz .LBB112_21
.LBB112_30:
	v_add_u32_e32 v1, s2, v0
	v_mov_b32_e32 v2, 0
	v_lshlrev_b64 v[1:2], 1, v[1:2]
	v_mov_b32_e32 v7, s9
	v_add_co_u32_e32 v1, vcc, s8, v1
	v_addc_co_u32_e32 v2, vcc, v7, v2, vcc
	v_add_u32_e32 v0, 0x100, v0
	global_store_short_d16_hi v[1:2], v6, off
	s_or_b64 exec, exec, s[0:1]
	v_cmp_gt_i32_e32 vcc, s6, v0
	s_and_saveexec_b64 s[0:1], vcc
	s_cbranch_execz .LBB112_22
.LBB112_31:
	v_add_u32_e32 v1, s2, v0
	v_mov_b32_e32 v2, 0
	v_lshlrev_b64 v[1:2], 1, v[1:2]
	v_mov_b32_e32 v6, s9
	v_add_co_u32_e32 v1, vcc, s8, v1
	v_addc_co_u32_e32 v2, vcc, v6, v2, vcc
	v_add_u32_e32 v0, 0x100, v0
	global_store_short v[1:2], v5, off
	s_or_b64 exec, exec, s[0:1]
	v_cmp_gt_i32_e32 vcc, s6, v0
	s_and_saveexec_b64 s[0:1], vcc
	s_cbranch_execz .LBB112_23
.LBB112_32:
	v_add_u32_e32 v1, s2, v0
	v_mov_b32_e32 v2, 0
	v_lshlrev_b64 v[1:2], 1, v[1:2]
	v_mov_b32_e32 v6, s9
	v_add_co_u32_e32 v1, vcc, s8, v1
	v_addc_co_u32_e32 v2, vcc, v6, v2, vcc
	v_add_u32_e32 v0, 0x100, v0
	global_store_short_d16_hi v[1:2], v5, off
	s_or_b64 exec, exec, s[0:1]
	v_cmp_gt_i32_e32 vcc, s6, v0
	s_and_saveexec_b64 s[0:1], vcc
	s_cbranch_execz .LBB112_24
.LBB112_33:
	v_add_u32_e32 v1, s2, v0
	v_mov_b32_e32 v2, 0
	v_lshlrev_b64 v[1:2], 1, v[1:2]
	v_mov_b32_e32 v5, s9
	v_add_co_u32_e32 v1, vcc, s8, v1
	v_addc_co_u32_e32 v2, vcc, v5, v2, vcc
	v_add_u32_e32 v0, 0x100, v0
	global_store_short v[1:2], v4, off
	s_or_b64 exec, exec, s[0:1]
	v_cmp_gt_i32_e32 vcc, s6, v0
	s_and_saveexec_b64 s[0:1], vcc
	s_cbranch_execz .LBB112_25
.LBB112_34:
	v_add_u32_e32 v1, s2, v0
	v_mov_b32_e32 v2, 0
	v_lshlrev_b64 v[1:2], 1, v[1:2]
	v_mov_b32_e32 v5, s9
	v_add_co_u32_e32 v1, vcc, s8, v1
	v_addc_co_u32_e32 v2, vcc, v5, v2, vcc
	v_add_u32_e32 v0, 0x100, v0
	global_store_short_d16_hi v[1:2], v4, off
	s_or_b64 exec, exec, s[0:1]
	v_cmp_gt_i32_e32 vcc, s6, v0
	s_and_saveexec_b64 s[0:1], vcc
	s_cbranch_execz .LBB112_26
.LBB112_35:
	v_add_u32_e32 v1, s2, v0
	v_mov_b32_e32 v2, 0
	v_lshlrev_b64 v[1:2], 1, v[1:2]
	v_mov_b32_e32 v4, s9
	v_add_co_u32_e32 v1, vcc, s8, v1
	v_addc_co_u32_e32 v2, vcc, v4, v2, vcc
	v_add_u32_e32 v0, 0x100, v0
	global_store_short v[1:2], v3, off
	s_or_b64 exec, exec, s[0:1]
	v_cmp_gt_i32_e32 vcc, s6, v0
	s_and_saveexec_b64 s[0:1], vcc
	s_cbranch_execnz .LBB112_27
	s_branch .LBB112_28
	.section	.rodata,"a",@progbits
	.p2align	6, 0x0
	.amdhsa_kernel _ZN2at6native29vectorized_elementwise_kernelILi16ENS0_13BinaryFunctorIsssZZZNS0_18lshift_kernel_cudaERNS_18TensorIteratorBaseEENKUlvE_clEvENKUlvE3_clEvEUlssE_EESt5arrayIPcLm3EEEEviT0_T1_
		.amdhsa_group_segment_fixed_size 0
		.amdhsa_private_segment_fixed_size 0
		.amdhsa_kernarg_size 32
		.amdhsa_user_sgpr_count 6
		.amdhsa_user_sgpr_private_segment_buffer 1
		.amdhsa_user_sgpr_dispatch_ptr 0
		.amdhsa_user_sgpr_queue_ptr 0
		.amdhsa_user_sgpr_kernarg_segment_ptr 1
		.amdhsa_user_sgpr_dispatch_id 0
		.amdhsa_user_sgpr_flat_scratch_init 0
		.amdhsa_user_sgpr_private_segment_size 0
		.amdhsa_uses_dynamic_stack 0
		.amdhsa_system_sgpr_private_segment_wavefront_offset 0
		.amdhsa_system_sgpr_workgroup_id_x 1
		.amdhsa_system_sgpr_workgroup_id_y 0
		.amdhsa_system_sgpr_workgroup_id_z 0
		.amdhsa_system_sgpr_workgroup_info 0
		.amdhsa_system_vgpr_workitem_id 0
		.amdhsa_next_free_vgpr 24
		.amdhsa_next_free_sgpr 16
		.amdhsa_reserve_vcc 1
		.amdhsa_reserve_flat_scratch 0
		.amdhsa_float_round_mode_32 0
		.amdhsa_float_round_mode_16_64 0
		.amdhsa_float_denorm_mode_32 3
		.amdhsa_float_denorm_mode_16_64 3
		.amdhsa_dx10_clamp 1
		.amdhsa_ieee_mode 1
		.amdhsa_fp16_overflow 0
		.amdhsa_exception_fp_ieee_invalid_op 0
		.amdhsa_exception_fp_denorm_src 0
		.amdhsa_exception_fp_ieee_div_zero 0
		.amdhsa_exception_fp_ieee_overflow 0
		.amdhsa_exception_fp_ieee_underflow 0
		.amdhsa_exception_fp_ieee_inexact 0
		.amdhsa_exception_int_div_zero 0
	.end_amdhsa_kernel
	.section	.text._ZN2at6native29vectorized_elementwise_kernelILi16ENS0_13BinaryFunctorIsssZZZNS0_18lshift_kernel_cudaERNS_18TensorIteratorBaseEENKUlvE_clEvENKUlvE3_clEvEUlssE_EESt5arrayIPcLm3EEEEviT0_T1_,"axG",@progbits,_ZN2at6native29vectorized_elementwise_kernelILi16ENS0_13BinaryFunctorIsssZZZNS0_18lshift_kernel_cudaERNS_18TensorIteratorBaseEENKUlvE_clEvENKUlvE3_clEvEUlssE_EESt5arrayIPcLm3EEEEviT0_T1_,comdat
.Lfunc_end112:
	.size	_ZN2at6native29vectorized_elementwise_kernelILi16ENS0_13BinaryFunctorIsssZZZNS0_18lshift_kernel_cudaERNS_18TensorIteratorBaseEENKUlvE_clEvENKUlvE3_clEvEUlssE_EESt5arrayIPcLm3EEEEviT0_T1_, .Lfunc_end112-_ZN2at6native29vectorized_elementwise_kernelILi16ENS0_13BinaryFunctorIsssZZZNS0_18lshift_kernel_cudaERNS_18TensorIteratorBaseEENKUlvE_clEvENKUlvE3_clEvEUlssE_EESt5arrayIPcLm3EEEEviT0_T1_
                                        ; -- End function
	.set _ZN2at6native29vectorized_elementwise_kernelILi16ENS0_13BinaryFunctorIsssZZZNS0_18lshift_kernel_cudaERNS_18TensorIteratorBaseEENKUlvE_clEvENKUlvE3_clEvEUlssE_EESt5arrayIPcLm3EEEEviT0_T1_.num_vgpr, 24
	.set _ZN2at6native29vectorized_elementwise_kernelILi16ENS0_13BinaryFunctorIsssZZZNS0_18lshift_kernel_cudaERNS_18TensorIteratorBaseEENKUlvE_clEvENKUlvE3_clEvEUlssE_EESt5arrayIPcLm3EEEEviT0_T1_.num_agpr, 0
	.set _ZN2at6native29vectorized_elementwise_kernelILi16ENS0_13BinaryFunctorIsssZZZNS0_18lshift_kernel_cudaERNS_18TensorIteratorBaseEENKUlvE_clEvENKUlvE3_clEvEUlssE_EESt5arrayIPcLm3EEEEviT0_T1_.numbered_sgpr, 16
	.set _ZN2at6native29vectorized_elementwise_kernelILi16ENS0_13BinaryFunctorIsssZZZNS0_18lshift_kernel_cudaERNS_18TensorIteratorBaseEENKUlvE_clEvENKUlvE3_clEvEUlssE_EESt5arrayIPcLm3EEEEviT0_T1_.num_named_barrier, 0
	.set _ZN2at6native29vectorized_elementwise_kernelILi16ENS0_13BinaryFunctorIsssZZZNS0_18lshift_kernel_cudaERNS_18TensorIteratorBaseEENKUlvE_clEvENKUlvE3_clEvEUlssE_EESt5arrayIPcLm3EEEEviT0_T1_.private_seg_size, 0
	.set _ZN2at6native29vectorized_elementwise_kernelILi16ENS0_13BinaryFunctorIsssZZZNS0_18lshift_kernel_cudaERNS_18TensorIteratorBaseEENKUlvE_clEvENKUlvE3_clEvEUlssE_EESt5arrayIPcLm3EEEEviT0_T1_.uses_vcc, 1
	.set _ZN2at6native29vectorized_elementwise_kernelILi16ENS0_13BinaryFunctorIsssZZZNS0_18lshift_kernel_cudaERNS_18TensorIteratorBaseEENKUlvE_clEvENKUlvE3_clEvEUlssE_EESt5arrayIPcLm3EEEEviT0_T1_.uses_flat_scratch, 0
	.set _ZN2at6native29vectorized_elementwise_kernelILi16ENS0_13BinaryFunctorIsssZZZNS0_18lshift_kernel_cudaERNS_18TensorIteratorBaseEENKUlvE_clEvENKUlvE3_clEvEUlssE_EESt5arrayIPcLm3EEEEviT0_T1_.has_dyn_sized_stack, 0
	.set _ZN2at6native29vectorized_elementwise_kernelILi16ENS0_13BinaryFunctorIsssZZZNS0_18lshift_kernel_cudaERNS_18TensorIteratorBaseEENKUlvE_clEvENKUlvE3_clEvEUlssE_EESt5arrayIPcLm3EEEEviT0_T1_.has_recursion, 0
	.set _ZN2at6native29vectorized_elementwise_kernelILi16ENS0_13BinaryFunctorIsssZZZNS0_18lshift_kernel_cudaERNS_18TensorIteratorBaseEENKUlvE_clEvENKUlvE3_clEvEUlssE_EESt5arrayIPcLm3EEEEviT0_T1_.has_indirect_call, 0
	.section	.AMDGPU.csdata,"",@progbits
; Kernel info:
; codeLenInByte = 2164
; TotalNumSgprs: 20
; NumVgprs: 24
; ScratchSize: 0
; MemoryBound: 0
; FloatMode: 240
; IeeeMode: 1
; LDSByteSize: 0 bytes/workgroup (compile time only)
; SGPRBlocks: 2
; VGPRBlocks: 5
; NumSGPRsForWavesPerEU: 20
; NumVGPRsForWavesPerEU: 24
; Occupancy: 10
; WaveLimiterHint : 0
; COMPUTE_PGM_RSRC2:SCRATCH_EN: 0
; COMPUTE_PGM_RSRC2:USER_SGPR: 6
; COMPUTE_PGM_RSRC2:TRAP_HANDLER: 0
; COMPUTE_PGM_RSRC2:TGID_X_EN: 1
; COMPUTE_PGM_RSRC2:TGID_Y_EN: 0
; COMPUTE_PGM_RSRC2:TGID_Z_EN: 0
; COMPUTE_PGM_RSRC2:TIDIG_COMP_CNT: 0
	.section	.text._ZN2at6native29vectorized_elementwise_kernelILi8ENS0_13BinaryFunctorIsssZZZNS0_18lshift_kernel_cudaERNS_18TensorIteratorBaseEENKUlvE_clEvENKUlvE3_clEvEUlssE_EESt5arrayIPcLm3EEEEviT0_T1_,"axG",@progbits,_ZN2at6native29vectorized_elementwise_kernelILi8ENS0_13BinaryFunctorIsssZZZNS0_18lshift_kernel_cudaERNS_18TensorIteratorBaseEENKUlvE_clEvENKUlvE3_clEvEUlssE_EESt5arrayIPcLm3EEEEviT0_T1_,comdat
	.globl	_ZN2at6native29vectorized_elementwise_kernelILi8ENS0_13BinaryFunctorIsssZZZNS0_18lshift_kernel_cudaERNS_18TensorIteratorBaseEENKUlvE_clEvENKUlvE3_clEvEUlssE_EESt5arrayIPcLm3EEEEviT0_T1_ ; -- Begin function _ZN2at6native29vectorized_elementwise_kernelILi8ENS0_13BinaryFunctorIsssZZZNS0_18lshift_kernel_cudaERNS_18TensorIteratorBaseEENKUlvE_clEvENKUlvE3_clEvEUlssE_EESt5arrayIPcLm3EEEEviT0_T1_
	.p2align	8
	.type	_ZN2at6native29vectorized_elementwise_kernelILi8ENS0_13BinaryFunctorIsssZZZNS0_18lshift_kernel_cudaERNS_18TensorIteratorBaseEENKUlvE_clEvENKUlvE3_clEvEUlssE_EESt5arrayIPcLm3EEEEviT0_T1_,@function
_ZN2at6native29vectorized_elementwise_kernelILi8ENS0_13BinaryFunctorIsssZZZNS0_18lshift_kernel_cudaERNS_18TensorIteratorBaseEENKUlvE_clEvENKUlvE3_clEvEUlssE_EESt5arrayIPcLm3EEEEviT0_T1_: ; @_ZN2at6native29vectorized_elementwise_kernelILi8ENS0_13BinaryFunctorIsssZZZNS0_18lshift_kernel_cudaERNS_18TensorIteratorBaseEENKUlvE_clEvENKUlvE3_clEvEUlssE_EESt5arrayIPcLm3EEEEviT0_T1_
; %bb.0:
	s_load_dword s0, s[4:5], 0x0
	s_load_dwordx4 s[8:11], s[4:5], 0x8
	s_load_dwordx2 s[12:13], s[4:5], 0x18
	s_lshl_b32 s2, s6, 11
	s_waitcnt lgkmcnt(0)
	s_sub_i32 s6, s0, s2
	s_cmpk_gt_i32 s6, 0x7ff
	s_mov_b64 s[0:1], -1
	s_cbranch_scc0 .LBB113_2
; %bb.1:
	s_ashr_i32 s3, s2, 31
	s_lshl_b64 s[0:1], s[2:3], 1
	s_add_u32 s4, s10, s0
	s_addc_u32 s5, s11, s1
	v_lshlrev_b32_e32 v9, 4, v0
	s_add_u32 s14, s12, s0
	s_addc_u32 s15, s13, s1
	global_load_dwordx4 v[1:4], v9, s[4:5]
	global_load_dwordx4 v[5:8], v9, s[14:15]
	v_mov_b32_e32 v10, 16
	s_mov_b32 s3, 0x5040100
	s_add_u32 s0, s8, s0
	s_addc_u32 s1, s9, s1
	s_waitcnt vmcnt(0)
	v_lshlrev_b32_e32 v11, v5, v1
	v_cmp_gt_u16_e32 vcc, 16, v5
	v_lshlrev_b32_sdwa v1, v5, v1 dst_sel:DWORD dst_unused:UNUSED_PAD src0_sel:WORD_1 src1_sel:WORD_1
	v_cndmask_b32_e32 v11, 0, v11, vcc
	v_cmp_lt_u16_sdwa vcc, v5, v10 src0_sel:WORD_1 src1_sel:DWORD
	v_lshlrev_b32_e32 v12, v6, v2
	v_cndmask_b32_e32 v1, 0, v1, vcc
	v_cmp_gt_u16_e32 vcc, 16, v6
	v_lshlrev_b32_sdwa v2, v6, v2 dst_sel:DWORD dst_unused:UNUSED_PAD src0_sel:WORD_1 src1_sel:WORD_1
	v_cndmask_b32_e32 v5, 0, v12, vcc
	v_cmp_lt_u16_sdwa vcc, v6, v10 src0_sel:WORD_1 src1_sel:DWORD
	v_lshlrev_b32_e32 v13, v7, v3
	v_cndmask_b32_e32 v2, 0, v2, vcc
	;; [unrolled: 6-line block ×3, first 2 shown]
	v_cmp_gt_u16_e32 vcc, 16, v8
	v_lshlrev_b32_sdwa v4, v8, v4 dst_sel:DWORD dst_unused:UNUSED_PAD src0_sel:WORD_1 src1_sel:WORD_1
	v_cndmask_b32_e32 v7, 0, v14, vcc
	v_cmp_lt_u16_sdwa vcc, v8, v10 src0_sel:WORD_1 src1_sel:DWORD
	v_cndmask_b32_e32 v4, 0, v4, vcc
	v_perm_b32 v4, v4, v7, s3
	v_perm_b32 v3, v3, v6, s3
	;; [unrolled: 1-line block ×4, first 2 shown]
	global_store_dwordx4 v9, v[1:4], s[0:1]
	s_mov_b64 s[0:1], 0
.LBB113_2:
	s_andn2_b64 vcc, exec, s[0:1]
	s_cbranch_vccnz .LBB113_28
; %bb.3:
	v_cmp_gt_i32_e32 vcc, s6, v0
	v_mov_b32_e32 v2, 0
	v_mov_b32_e32 v3, 0
	v_or_b32_e32 v1, s2, v0
	v_mov_b32_e32 v4, 0
	v_mov_b32_e32 v6, v0
	s_and_saveexec_b64 s[4:5], vcc
	s_cbranch_execz .LBB113_5
; %bb.4:
	v_mov_b32_e32 v2, 0
	v_lshlrev_b64 v[4:5], 1, v[1:2]
	v_mov_b32_e32 v2, s13
	v_add_co_u32_e64 v6, s[0:1], s12, v4
	v_addc_co_u32_e64 v7, s[0:1], v2, v5, s[0:1]
	v_mov_b32_e32 v2, s11
	v_add_co_u32_e64 v8, s[0:1], s10, v4
	v_addc_co_u32_e64 v9, s[0:1], v2, v5, s[0:1]
	global_load_ushort v4, v[8:9], off
	global_load_ushort v2, v[6:7], off
	v_or_b32_e32 v6, 0x100, v0
.LBB113_5:
	s_or_b64 exec, exec, s[4:5]
	v_cmp_gt_i32_e64 s[0:1], s6, v6
	v_mov_b32_e32 v5, 0
	s_and_saveexec_b64 s[4:5], s[0:1]
	s_cbranch_execz .LBB113_7
; %bb.6:
	v_add_u32_e32 v7, s2, v6
	v_mov_b32_e32 v8, 0
	v_lshlrev_b64 v[7:8], 1, v[7:8]
	v_mov_b32_e32 v3, s13
	v_add_co_u32_e64 v9, s[0:1], s12, v7
	v_addc_co_u32_e64 v10, s[0:1], v3, v8, s[0:1]
	v_mov_b32_e32 v3, s11
	v_add_co_u32_e64 v7, s[0:1], s10, v7
	v_addc_co_u32_e64 v8, s[0:1], v3, v8, s[0:1]
	global_load_ushort v3, v[7:8], off
	global_load_ushort v5, v[9:10], off
	v_add_u32_e32 v6, 0x100, v6
.LBB113_7:
	s_or_b64 exec, exec, s[4:5]
	v_cmp_gt_i32_e64 s[0:1], s6, v6
	v_mov_b32_e32 v8, 0
	v_mov_b32_e32 v7, 0
	v_mov_b32_e32 v9, 0
	s_and_saveexec_b64 s[4:5], s[0:1]
	s_cbranch_execz .LBB113_9
; %bb.8:
	v_add_u32_e32 v8, s2, v6
	v_mov_b32_e32 v9, 0
	v_lshlrev_b64 v[8:9], 1, v[8:9]
	v_mov_b32_e32 v11, s13
	v_add_co_u32_e64 v10, s[0:1], s12, v8
	v_addc_co_u32_e64 v11, s[0:1], v11, v9, s[0:1]
	v_mov_b32_e32 v13, s11
	v_add_co_u32_e64 v12, s[0:1], s10, v8
	v_addc_co_u32_e64 v13, s[0:1], v13, v9, s[0:1]
	global_load_ushort v9, v[12:13], off
	global_load_ushort v8, v[10:11], off
	v_add_u32_e32 v6, 0x100, v6
.LBB113_9:
	s_or_b64 exec, exec, s[4:5]
	v_cmp_gt_i32_e64 s[0:1], s6, v6
	v_mov_b32_e32 v10, 0
	s_and_saveexec_b64 s[4:5], s[0:1]
	s_cbranch_execz .LBB113_11
; %bb.10:
	v_add_u32_e32 v10, s2, v6
	v_mov_b32_e32 v11, 0
	v_lshlrev_b64 v[10:11], 1, v[10:11]
	v_mov_b32_e32 v7, s13
	v_add_co_u32_e64 v12, s[0:1], s12, v10
	v_addc_co_u32_e64 v13, s[0:1], v7, v11, s[0:1]
	v_mov_b32_e32 v7, s11
	v_add_co_u32_e64 v14, s[0:1], s10, v10
	v_addc_co_u32_e64 v15, s[0:1], v7, v11, s[0:1]
	global_load_ushort v7, v[14:15], off
	global_load_ushort v10, v[12:13], off
	v_add_u32_e32 v6, 0x100, v6
.LBB113_11:
	s_or_b64 exec, exec, s[4:5]
	v_cmp_gt_i32_e64 s[0:1], s6, v6
	v_mov_b32_e32 v12, 0
	v_mov_b32_e32 v11, 0
	v_mov_b32_e32 v13, 0
	s_and_saveexec_b64 s[4:5], s[0:1]
	s_cbranch_execz .LBB113_13
; %bb.12:
	v_add_u32_e32 v12, s2, v6
	v_mov_b32_e32 v13, 0
	v_lshlrev_b64 v[12:13], 1, v[12:13]
	v_mov_b32_e32 v15, s13
	v_add_co_u32_e64 v14, s[0:1], s12, v12
	v_addc_co_u32_e64 v15, s[0:1], v15, v13, s[0:1]
	v_mov_b32_e32 v17, s11
	v_add_co_u32_e64 v16, s[0:1], s10, v12
	v_addc_co_u32_e64 v17, s[0:1], v17, v13, s[0:1]
	global_load_ushort v13, v[16:17], off
	global_load_ushort v12, v[14:15], off
	v_add_u32_e32 v6, 0x100, v6
.LBB113_13:
	;; [unrolled: 40-line block ×3, first 2 shown]
	s_or_b64 exec, exec, s[4:5]
	v_cmp_gt_i32_e64 s[0:1], s6, v6
	v_mov_b32_e32 v19, 0
	s_and_saveexec_b64 s[4:5], s[0:1]
	s_cbranch_execz .LBB113_19
; %bb.18:
	v_add_u32_e32 v18, s2, v6
	v_mov_b32_e32 v19, 0
	v_lshlrev_b64 v[18:19], 1, v[18:19]
	v_mov_b32_e32 v6, s13
	v_add_co_u32_e64 v20, s[0:1], s12, v18
	v_addc_co_u32_e64 v21, s[0:1], v6, v19, s[0:1]
	v_mov_b32_e32 v6, s11
	v_add_co_u32_e64 v22, s[0:1], s10, v18
	v_addc_co_u32_e64 v23, s[0:1], v6, v19, s[0:1]
	global_load_ushort v15, v[22:23], off
	global_load_ushort v19, v[20:21], off
.LBB113_19:
	s_or_b64 exec, exec, s[4:5]
	s_waitcnt vmcnt(0)
	v_lshlrev_b32_sdwa v4, v2, v4 dst_sel:DWORD dst_unused:UNUSED_PAD src0_sel:WORD_0 src1_sel:DWORD
	v_cmp_gt_u16_e64 s[0:1], 16, v2
	v_cndmask_b32_e64 v4, 0, v4, s[0:1]
	v_mov_b32_e32 v2, 0
	v_lshlrev_b32_sdwa v3, v5, v3 dst_sel:DWORD dst_unused:UNUSED_PAD src0_sel:WORD_0 src1_sel:DWORD
	v_cmp_gt_u16_e64 s[0:1], 16, v5
	v_cndmask_b32_sdwa v4, v2, v4, vcc dst_sel:DWORD dst_unused:UNUSED_PAD src0_sel:DWORD src1_sel:WORD_0
	v_or_b32_e32 v18, 0x100, v0
	v_cndmask_b32_e64 v3, 0, v3, s[0:1]
	s_mov_b32 s3, 0x5040100
	v_perm_b32 v3, v3, v4, s3
	v_cmp_gt_i32_e64 s[0:1], s6, v18
	v_cndmask_b32_e64 v6, v4, v3, s[0:1]
	v_lshlrev_b32_sdwa v4, v8, v9 dst_sel:DWORD dst_unused:UNUSED_PAD src0_sel:WORD_0 src1_sel:DWORD
	v_cmp_gt_u16_e64 s[0:1], 16, v8
	v_or_b32_e32 v3, 0x200, v0
	v_cndmask_b32_e64 v4, 0, v4, s[0:1]
	v_and_b32_e32 v4, 0xffff, v4
	v_cmp_gt_i32_e64 s[0:1], s6, v3
	v_cndmask_b32_e64 v3, 0, v4, s[0:1]
	v_lshlrev_b32_sdwa v5, v10, v7 dst_sel:DWORD dst_unused:UNUSED_PAD src0_sel:WORD_0 src1_sel:DWORD
	v_cmp_gt_u16_e64 s[0:1], 16, v10
	v_or_b32_e32 v4, 0x300, v0
	v_cndmask_b32_e64 v5, 0, v5, s[0:1]
	v_perm_b32 v5, v5, v3, s3
	v_cmp_gt_i32_e64 s[0:1], s6, v4
	v_cndmask_b32_e64 v5, v3, v5, s[0:1]
	v_lshlrev_b32_sdwa v4, v12, v13 dst_sel:DWORD dst_unused:UNUSED_PAD src0_sel:WORD_0 src1_sel:DWORD
	v_cmp_gt_u16_e64 s[0:1], 16, v12
	v_or_b32_e32 v3, 0x400, v0
	v_cndmask_b32_e64 v4, 0, v4, s[0:1]
	v_and_b32_e32 v4, 0xffff, v4
	v_cmp_gt_i32_e64 s[0:1], s6, v3
	v_cndmask_b32_e64 v3, 0, v4, s[0:1]
	v_lshlrev_b32_sdwa v7, v14, v11 dst_sel:DWORD dst_unused:UNUSED_PAD src0_sel:WORD_0 src1_sel:DWORD
	v_cmp_gt_u16_e64 s[0:1], 16, v14
	v_or_b32_e32 v4, 0x500, v0
	v_cndmask_b32_e64 v7, 0, v7, s[0:1]
	;; [unrolled: 14-line block ×3, first 2 shown]
	v_perm_b32 v8, v8, v3, s3
	v_cmp_gt_i32_e64 s[0:1], s6, v7
	v_cndmask_b32_e64 v3, v3, v8, s[0:1]
	s_and_saveexec_b64 s[0:1], vcc
	s_cbranch_execnz .LBB113_29
; %bb.20:
	s_or_b64 exec, exec, s[0:1]
	v_cmp_gt_i32_e32 vcc, s6, v0
	s_and_saveexec_b64 s[0:1], vcc
	s_cbranch_execnz .LBB113_30
.LBB113_21:
	s_or_b64 exec, exec, s[0:1]
	v_cmp_gt_i32_e32 vcc, s6, v0
	s_and_saveexec_b64 s[0:1], vcc
	s_cbranch_execnz .LBB113_31
.LBB113_22:
	s_or_b64 exec, exec, s[0:1]
	v_cmp_gt_i32_e32 vcc, s6, v0
	s_and_saveexec_b64 s[0:1], vcc
	s_cbranch_execnz .LBB113_32
.LBB113_23:
	s_or_b64 exec, exec, s[0:1]
	v_cmp_gt_i32_e32 vcc, s6, v0
	s_and_saveexec_b64 s[0:1], vcc
	s_cbranch_execnz .LBB113_33
.LBB113_24:
	s_or_b64 exec, exec, s[0:1]
	v_cmp_gt_i32_e32 vcc, s6, v0
	s_and_saveexec_b64 s[0:1], vcc
	s_cbranch_execnz .LBB113_34
.LBB113_25:
	s_or_b64 exec, exec, s[0:1]
	v_cmp_gt_i32_e32 vcc, s6, v0
	s_and_saveexec_b64 s[0:1], vcc
	s_cbranch_execnz .LBB113_35
.LBB113_26:
	s_or_b64 exec, exec, s[0:1]
	v_cmp_gt_i32_e32 vcc, s6, v0
	s_and_saveexec_b64 s[0:1], vcc
	s_cbranch_execz .LBB113_28
.LBB113_27:
	v_add_u32_e32 v0, s2, v0
	v_mov_b32_e32 v1, 0
	v_lshlrev_b64 v[0:1], 1, v[0:1]
	v_mov_b32_e32 v2, s9
	v_add_co_u32_e32 v0, vcc, s8, v0
	v_addc_co_u32_e32 v1, vcc, v2, v1, vcc
	global_store_short_d16_hi v[0:1], v3, off
.LBB113_28:
	s_endpgm
.LBB113_29:
	v_lshlrev_b64 v[0:1], 1, v[1:2]
	v_mov_b32_e32 v2, s9
	v_add_co_u32_e32 v0, vcc, s8, v0
	v_addc_co_u32_e32 v1, vcc, v2, v1, vcc
	global_store_short v[0:1], v6, off
	v_mov_b32_e32 v0, v18
	s_or_b64 exec, exec, s[0:1]
	v_cmp_gt_i32_e32 vcc, s6, v0
	s_and_saveexec_b64 s[0:1], vcc
	s_cbranch_execz .LBB113_21
.LBB113_30:
	v_add_u32_e32 v1, s2, v0
	v_mov_b32_e32 v2, 0
	v_lshlrev_b64 v[1:2], 1, v[1:2]
	v_mov_b32_e32 v7, s9
	v_add_co_u32_e32 v1, vcc, s8, v1
	v_addc_co_u32_e32 v2, vcc, v7, v2, vcc
	v_add_u32_e32 v0, 0x100, v0
	global_store_short_d16_hi v[1:2], v6, off
	s_or_b64 exec, exec, s[0:1]
	v_cmp_gt_i32_e32 vcc, s6, v0
	s_and_saveexec_b64 s[0:1], vcc
	s_cbranch_execz .LBB113_22
.LBB113_31:
	v_add_u32_e32 v1, s2, v0
	v_mov_b32_e32 v2, 0
	v_lshlrev_b64 v[1:2], 1, v[1:2]
	v_mov_b32_e32 v6, s9
	v_add_co_u32_e32 v1, vcc, s8, v1
	v_addc_co_u32_e32 v2, vcc, v6, v2, vcc
	v_add_u32_e32 v0, 0x100, v0
	global_store_short v[1:2], v5, off
	s_or_b64 exec, exec, s[0:1]
	v_cmp_gt_i32_e32 vcc, s6, v0
	s_and_saveexec_b64 s[0:1], vcc
	s_cbranch_execz .LBB113_23
.LBB113_32:
	v_add_u32_e32 v1, s2, v0
	v_mov_b32_e32 v2, 0
	v_lshlrev_b64 v[1:2], 1, v[1:2]
	v_mov_b32_e32 v6, s9
	v_add_co_u32_e32 v1, vcc, s8, v1
	v_addc_co_u32_e32 v2, vcc, v6, v2, vcc
	v_add_u32_e32 v0, 0x100, v0
	global_store_short_d16_hi v[1:2], v5, off
	s_or_b64 exec, exec, s[0:1]
	v_cmp_gt_i32_e32 vcc, s6, v0
	s_and_saveexec_b64 s[0:1], vcc
	s_cbranch_execz .LBB113_24
.LBB113_33:
	v_add_u32_e32 v1, s2, v0
	v_mov_b32_e32 v2, 0
	v_lshlrev_b64 v[1:2], 1, v[1:2]
	v_mov_b32_e32 v5, s9
	v_add_co_u32_e32 v1, vcc, s8, v1
	v_addc_co_u32_e32 v2, vcc, v5, v2, vcc
	v_add_u32_e32 v0, 0x100, v0
	global_store_short v[1:2], v4, off
	s_or_b64 exec, exec, s[0:1]
	v_cmp_gt_i32_e32 vcc, s6, v0
	s_and_saveexec_b64 s[0:1], vcc
	s_cbranch_execz .LBB113_25
.LBB113_34:
	v_add_u32_e32 v1, s2, v0
	v_mov_b32_e32 v2, 0
	v_lshlrev_b64 v[1:2], 1, v[1:2]
	v_mov_b32_e32 v5, s9
	v_add_co_u32_e32 v1, vcc, s8, v1
	v_addc_co_u32_e32 v2, vcc, v5, v2, vcc
	v_add_u32_e32 v0, 0x100, v0
	global_store_short_d16_hi v[1:2], v4, off
	s_or_b64 exec, exec, s[0:1]
	v_cmp_gt_i32_e32 vcc, s6, v0
	s_and_saveexec_b64 s[0:1], vcc
	s_cbranch_execz .LBB113_26
.LBB113_35:
	v_add_u32_e32 v1, s2, v0
	v_mov_b32_e32 v2, 0
	v_lshlrev_b64 v[1:2], 1, v[1:2]
	v_mov_b32_e32 v4, s9
	v_add_co_u32_e32 v1, vcc, s8, v1
	v_addc_co_u32_e32 v2, vcc, v4, v2, vcc
	v_add_u32_e32 v0, 0x100, v0
	global_store_short v[1:2], v3, off
	s_or_b64 exec, exec, s[0:1]
	v_cmp_gt_i32_e32 vcc, s6, v0
	s_and_saveexec_b64 s[0:1], vcc
	s_cbranch_execnz .LBB113_27
	s_branch .LBB113_28
	.section	.rodata,"a",@progbits
	.p2align	6, 0x0
	.amdhsa_kernel _ZN2at6native29vectorized_elementwise_kernelILi8ENS0_13BinaryFunctorIsssZZZNS0_18lshift_kernel_cudaERNS_18TensorIteratorBaseEENKUlvE_clEvENKUlvE3_clEvEUlssE_EESt5arrayIPcLm3EEEEviT0_T1_
		.amdhsa_group_segment_fixed_size 0
		.amdhsa_private_segment_fixed_size 0
		.amdhsa_kernarg_size 32
		.amdhsa_user_sgpr_count 6
		.amdhsa_user_sgpr_private_segment_buffer 1
		.amdhsa_user_sgpr_dispatch_ptr 0
		.amdhsa_user_sgpr_queue_ptr 0
		.amdhsa_user_sgpr_kernarg_segment_ptr 1
		.amdhsa_user_sgpr_dispatch_id 0
		.amdhsa_user_sgpr_flat_scratch_init 0
		.amdhsa_user_sgpr_private_segment_size 0
		.amdhsa_uses_dynamic_stack 0
		.amdhsa_system_sgpr_private_segment_wavefront_offset 0
		.amdhsa_system_sgpr_workgroup_id_x 1
		.amdhsa_system_sgpr_workgroup_id_y 0
		.amdhsa_system_sgpr_workgroup_id_z 0
		.amdhsa_system_sgpr_workgroup_info 0
		.amdhsa_system_vgpr_workitem_id 0
		.amdhsa_next_free_vgpr 24
		.amdhsa_next_free_sgpr 16
		.amdhsa_reserve_vcc 1
		.amdhsa_reserve_flat_scratch 0
		.amdhsa_float_round_mode_32 0
		.amdhsa_float_round_mode_16_64 0
		.amdhsa_float_denorm_mode_32 3
		.amdhsa_float_denorm_mode_16_64 3
		.amdhsa_dx10_clamp 1
		.amdhsa_ieee_mode 1
		.amdhsa_fp16_overflow 0
		.amdhsa_exception_fp_ieee_invalid_op 0
		.amdhsa_exception_fp_denorm_src 0
		.amdhsa_exception_fp_ieee_div_zero 0
		.amdhsa_exception_fp_ieee_overflow 0
		.amdhsa_exception_fp_ieee_underflow 0
		.amdhsa_exception_fp_ieee_inexact 0
		.amdhsa_exception_int_div_zero 0
	.end_amdhsa_kernel
	.section	.text._ZN2at6native29vectorized_elementwise_kernelILi8ENS0_13BinaryFunctorIsssZZZNS0_18lshift_kernel_cudaERNS_18TensorIteratorBaseEENKUlvE_clEvENKUlvE3_clEvEUlssE_EESt5arrayIPcLm3EEEEviT0_T1_,"axG",@progbits,_ZN2at6native29vectorized_elementwise_kernelILi8ENS0_13BinaryFunctorIsssZZZNS0_18lshift_kernel_cudaERNS_18TensorIteratorBaseEENKUlvE_clEvENKUlvE3_clEvEUlssE_EESt5arrayIPcLm3EEEEviT0_T1_,comdat
.Lfunc_end113:
	.size	_ZN2at6native29vectorized_elementwise_kernelILi8ENS0_13BinaryFunctorIsssZZZNS0_18lshift_kernel_cudaERNS_18TensorIteratorBaseEENKUlvE_clEvENKUlvE3_clEvEUlssE_EESt5arrayIPcLm3EEEEviT0_T1_, .Lfunc_end113-_ZN2at6native29vectorized_elementwise_kernelILi8ENS0_13BinaryFunctorIsssZZZNS0_18lshift_kernel_cudaERNS_18TensorIteratorBaseEENKUlvE_clEvENKUlvE3_clEvEUlssE_EESt5arrayIPcLm3EEEEviT0_T1_
                                        ; -- End function
	.set _ZN2at6native29vectorized_elementwise_kernelILi8ENS0_13BinaryFunctorIsssZZZNS0_18lshift_kernel_cudaERNS_18TensorIteratorBaseEENKUlvE_clEvENKUlvE3_clEvEUlssE_EESt5arrayIPcLm3EEEEviT0_T1_.num_vgpr, 24
	.set _ZN2at6native29vectorized_elementwise_kernelILi8ENS0_13BinaryFunctorIsssZZZNS0_18lshift_kernel_cudaERNS_18TensorIteratorBaseEENKUlvE_clEvENKUlvE3_clEvEUlssE_EESt5arrayIPcLm3EEEEviT0_T1_.num_agpr, 0
	.set _ZN2at6native29vectorized_elementwise_kernelILi8ENS0_13BinaryFunctorIsssZZZNS0_18lshift_kernel_cudaERNS_18TensorIteratorBaseEENKUlvE_clEvENKUlvE3_clEvEUlssE_EESt5arrayIPcLm3EEEEviT0_T1_.numbered_sgpr, 16
	.set _ZN2at6native29vectorized_elementwise_kernelILi8ENS0_13BinaryFunctorIsssZZZNS0_18lshift_kernel_cudaERNS_18TensorIteratorBaseEENKUlvE_clEvENKUlvE3_clEvEUlssE_EESt5arrayIPcLm3EEEEviT0_T1_.num_named_barrier, 0
	.set _ZN2at6native29vectorized_elementwise_kernelILi8ENS0_13BinaryFunctorIsssZZZNS0_18lshift_kernel_cudaERNS_18TensorIteratorBaseEENKUlvE_clEvENKUlvE3_clEvEUlssE_EESt5arrayIPcLm3EEEEviT0_T1_.private_seg_size, 0
	.set _ZN2at6native29vectorized_elementwise_kernelILi8ENS0_13BinaryFunctorIsssZZZNS0_18lshift_kernel_cudaERNS_18TensorIteratorBaseEENKUlvE_clEvENKUlvE3_clEvEUlssE_EESt5arrayIPcLm3EEEEviT0_T1_.uses_vcc, 1
	.set _ZN2at6native29vectorized_elementwise_kernelILi8ENS0_13BinaryFunctorIsssZZZNS0_18lshift_kernel_cudaERNS_18TensorIteratorBaseEENKUlvE_clEvENKUlvE3_clEvEUlssE_EESt5arrayIPcLm3EEEEviT0_T1_.uses_flat_scratch, 0
	.set _ZN2at6native29vectorized_elementwise_kernelILi8ENS0_13BinaryFunctorIsssZZZNS0_18lshift_kernel_cudaERNS_18TensorIteratorBaseEENKUlvE_clEvENKUlvE3_clEvEUlssE_EESt5arrayIPcLm3EEEEviT0_T1_.has_dyn_sized_stack, 0
	.set _ZN2at6native29vectorized_elementwise_kernelILi8ENS0_13BinaryFunctorIsssZZZNS0_18lshift_kernel_cudaERNS_18TensorIteratorBaseEENKUlvE_clEvENKUlvE3_clEvEUlssE_EESt5arrayIPcLm3EEEEviT0_T1_.has_recursion, 0
	.set _ZN2at6native29vectorized_elementwise_kernelILi8ENS0_13BinaryFunctorIsssZZZNS0_18lshift_kernel_cudaERNS_18TensorIteratorBaseEENKUlvE_clEvENKUlvE3_clEvEUlssE_EESt5arrayIPcLm3EEEEviT0_T1_.has_indirect_call, 0
	.section	.AMDGPU.csdata,"",@progbits
; Kernel info:
; codeLenInByte = 2164
; TotalNumSgprs: 20
; NumVgprs: 24
; ScratchSize: 0
; MemoryBound: 0
; FloatMode: 240
; IeeeMode: 1
; LDSByteSize: 0 bytes/workgroup (compile time only)
; SGPRBlocks: 2
; VGPRBlocks: 5
; NumSGPRsForWavesPerEU: 20
; NumVGPRsForWavesPerEU: 24
; Occupancy: 10
; WaveLimiterHint : 0
; COMPUTE_PGM_RSRC2:SCRATCH_EN: 0
; COMPUTE_PGM_RSRC2:USER_SGPR: 6
; COMPUTE_PGM_RSRC2:TRAP_HANDLER: 0
; COMPUTE_PGM_RSRC2:TGID_X_EN: 1
; COMPUTE_PGM_RSRC2:TGID_Y_EN: 0
; COMPUTE_PGM_RSRC2:TGID_Z_EN: 0
; COMPUTE_PGM_RSRC2:TIDIG_COMP_CNT: 0
	.section	.text._ZN2at6native29vectorized_elementwise_kernelILi4ENS0_13BinaryFunctorIsssZZZNS0_18lshift_kernel_cudaERNS_18TensorIteratorBaseEENKUlvE_clEvENKUlvE3_clEvEUlssE_EESt5arrayIPcLm3EEEEviT0_T1_,"axG",@progbits,_ZN2at6native29vectorized_elementwise_kernelILi4ENS0_13BinaryFunctorIsssZZZNS0_18lshift_kernel_cudaERNS_18TensorIteratorBaseEENKUlvE_clEvENKUlvE3_clEvEUlssE_EESt5arrayIPcLm3EEEEviT0_T1_,comdat
	.globl	_ZN2at6native29vectorized_elementwise_kernelILi4ENS0_13BinaryFunctorIsssZZZNS0_18lshift_kernel_cudaERNS_18TensorIteratorBaseEENKUlvE_clEvENKUlvE3_clEvEUlssE_EESt5arrayIPcLm3EEEEviT0_T1_ ; -- Begin function _ZN2at6native29vectorized_elementwise_kernelILi4ENS0_13BinaryFunctorIsssZZZNS0_18lshift_kernel_cudaERNS_18TensorIteratorBaseEENKUlvE_clEvENKUlvE3_clEvEUlssE_EESt5arrayIPcLm3EEEEviT0_T1_
	.p2align	8
	.type	_ZN2at6native29vectorized_elementwise_kernelILi4ENS0_13BinaryFunctorIsssZZZNS0_18lshift_kernel_cudaERNS_18TensorIteratorBaseEENKUlvE_clEvENKUlvE3_clEvEUlssE_EESt5arrayIPcLm3EEEEviT0_T1_,@function
_ZN2at6native29vectorized_elementwise_kernelILi4ENS0_13BinaryFunctorIsssZZZNS0_18lshift_kernel_cudaERNS_18TensorIteratorBaseEENKUlvE_clEvENKUlvE3_clEvEUlssE_EESt5arrayIPcLm3EEEEviT0_T1_: ; @_ZN2at6native29vectorized_elementwise_kernelILi4ENS0_13BinaryFunctorIsssZZZNS0_18lshift_kernel_cudaERNS_18TensorIteratorBaseEENKUlvE_clEvENKUlvE3_clEvEUlssE_EESt5arrayIPcLm3EEEEviT0_T1_
; %bb.0:
	s_load_dword s0, s[4:5], 0x0
	s_load_dwordx4 s[8:11], s[4:5], 0x8
	s_load_dwordx2 s[12:13], s[4:5], 0x18
	s_lshl_b32 s2, s6, 11
	s_waitcnt lgkmcnt(0)
	s_sub_i32 s6, s0, s2
	s_cmpk_gt_i32 s6, 0x7ff
	s_mov_b64 s[0:1], -1
	s_cbranch_scc0 .LBB114_2
; %bb.1:
	s_ashr_i32 s3, s2, 31
	s_lshl_b64 s[0:1], s[2:3], 1
	s_add_u32 s4, s10, s0
	s_addc_u32 s5, s11, s1
	s_add_u32 s14, s12, s0
	v_lshlrev_b32_e32 v9, 3, v0
	s_addc_u32 s15, s13, s1
	global_load_dwordx2 v[1:2], v9, s[14:15]
	global_load_dwordx2 v[3:4], v9, s[4:5]
	global_load_dwordx2 v[5:6], v9, s[14:15] offset:2048
	global_load_dwordx2 v[7:8], v9, s[4:5] offset:2048
	s_mov_b32 s3, 0x100000
	s_mov_b32 s4, 0x5040100
	s_add_u32 s0, s8, s0
	s_addc_u32 s1, s9, s1
	s_waitcnt vmcnt(3)
	v_and_b32_e32 v10, 0xfff0, v1
	s_waitcnt vmcnt(2)
	v_lshlrev_b32_e32 v11, v1, v3
	v_cmp_eq_u32_e32 vcc, 0, v10
	v_lshlrev_b32_sdwa v3, v1, v3 dst_sel:DWORD dst_unused:UNUSED_PAD src0_sel:WORD_1 src1_sel:WORD_1
	v_and_b32_e32 v12, 0xfff0, v2
	v_cndmask_b32_e32 v10, 0, v11, vcc
	v_cmp_gt_u32_e32 vcc, s3, v1
	v_lshlrev_b32_e32 v13, v2, v4
	v_cndmask_b32_e32 v3, 0, v3, vcc
	v_cmp_eq_u32_e32 vcc, 0, v12
	v_lshlrev_b32_sdwa v4, v2, v4 dst_sel:DWORD dst_unused:UNUSED_PAD src0_sel:WORD_1 src1_sel:WORD_1
	s_waitcnt vmcnt(1)
	v_and_b32_e32 v14, 0xfff0, v5
	v_cndmask_b32_e32 v11, 0, v13, vcc
	v_cmp_gt_u32_e32 vcc, s3, v2
	s_waitcnt vmcnt(0)
	v_lshlrev_b32_e32 v15, v5, v7
	v_cndmask_b32_e32 v4, 0, v4, vcc
	v_cmp_eq_u32_e32 vcc, 0, v14
	v_lshlrev_b32_sdwa v7, v5, v7 dst_sel:DWORD dst_unused:UNUSED_PAD src0_sel:WORD_1 src1_sel:WORD_1
	v_and_b32_e32 v16, 0xfff0, v6
	v_cndmask_b32_e32 v1, 0, v15, vcc
	v_cmp_gt_u32_e32 vcc, s3, v5
	v_lshlrev_b32_e32 v17, v6, v8
	v_cndmask_b32_e32 v5, 0, v7, vcc
	v_cmp_eq_u32_e32 vcc, 0, v16
	v_lshlrev_b32_sdwa v8, v6, v8 dst_sel:DWORD dst_unused:UNUSED_PAD src0_sel:WORD_1 src1_sel:WORD_1
	v_cndmask_b32_e32 v2, 0, v17, vcc
	v_cmp_gt_u32_e32 vcc, s3, v6
	v_cndmask_b32_e32 v6, 0, v8, vcc
	v_perm_b32 v4, v4, v11, s4
	v_perm_b32 v3, v3, v10, s4
	;; [unrolled: 1-line block ×4, first 2 shown]
	global_store_dwordx2 v9, v[3:4], s[0:1]
	global_store_dwordx2 v9, v[1:2], s[0:1] offset:2048
	s_mov_b64 s[0:1], 0
.LBB114_2:
	s_andn2_b64 vcc, exec, s[0:1]
	s_cbranch_vccnz .LBB114_28
; %bb.3:
	v_cmp_gt_i32_e32 vcc, s6, v0
	v_mov_b32_e32 v2, 0
	v_mov_b32_e32 v3, 0
	v_or_b32_e32 v1, s2, v0
	v_mov_b32_e32 v4, 0
	v_mov_b32_e32 v6, v0
	s_and_saveexec_b64 s[4:5], vcc
	s_cbranch_execz .LBB114_5
; %bb.4:
	v_mov_b32_e32 v2, 0
	v_lshlrev_b64 v[4:5], 1, v[1:2]
	v_mov_b32_e32 v2, s13
	v_add_co_u32_e64 v6, s[0:1], s12, v4
	v_addc_co_u32_e64 v7, s[0:1], v2, v5, s[0:1]
	v_mov_b32_e32 v2, s11
	v_add_co_u32_e64 v8, s[0:1], s10, v4
	v_addc_co_u32_e64 v9, s[0:1], v2, v5, s[0:1]
	global_load_ushort v4, v[8:9], off
	global_load_ushort v2, v[6:7], off
	v_or_b32_e32 v6, 0x100, v0
.LBB114_5:
	s_or_b64 exec, exec, s[4:5]
	v_cmp_gt_i32_e64 s[0:1], s6, v6
	v_mov_b32_e32 v5, 0
	s_and_saveexec_b64 s[4:5], s[0:1]
	s_cbranch_execz .LBB114_7
; %bb.6:
	v_add_u32_e32 v7, s2, v6
	v_mov_b32_e32 v8, 0
	v_lshlrev_b64 v[7:8], 1, v[7:8]
	v_mov_b32_e32 v3, s13
	v_add_co_u32_e64 v9, s[0:1], s12, v7
	v_addc_co_u32_e64 v10, s[0:1], v3, v8, s[0:1]
	v_mov_b32_e32 v3, s11
	v_add_co_u32_e64 v7, s[0:1], s10, v7
	v_addc_co_u32_e64 v8, s[0:1], v3, v8, s[0:1]
	global_load_ushort v3, v[7:8], off
	global_load_ushort v5, v[9:10], off
	v_add_u32_e32 v6, 0x100, v6
.LBB114_7:
	s_or_b64 exec, exec, s[4:5]
	v_cmp_gt_i32_e64 s[0:1], s6, v6
	v_mov_b32_e32 v8, 0
	v_mov_b32_e32 v7, 0
	v_mov_b32_e32 v9, 0
	s_and_saveexec_b64 s[4:5], s[0:1]
	s_cbranch_execz .LBB114_9
; %bb.8:
	v_add_u32_e32 v8, s2, v6
	v_mov_b32_e32 v9, 0
	v_lshlrev_b64 v[8:9], 1, v[8:9]
	v_mov_b32_e32 v11, s13
	v_add_co_u32_e64 v10, s[0:1], s12, v8
	v_addc_co_u32_e64 v11, s[0:1], v11, v9, s[0:1]
	v_mov_b32_e32 v13, s11
	v_add_co_u32_e64 v12, s[0:1], s10, v8
	v_addc_co_u32_e64 v13, s[0:1], v13, v9, s[0:1]
	global_load_ushort v9, v[12:13], off
	global_load_ushort v8, v[10:11], off
	v_add_u32_e32 v6, 0x100, v6
.LBB114_9:
	s_or_b64 exec, exec, s[4:5]
	v_cmp_gt_i32_e64 s[0:1], s6, v6
	v_mov_b32_e32 v10, 0
	s_and_saveexec_b64 s[4:5], s[0:1]
	s_cbranch_execz .LBB114_11
; %bb.10:
	v_add_u32_e32 v10, s2, v6
	v_mov_b32_e32 v11, 0
	v_lshlrev_b64 v[10:11], 1, v[10:11]
	v_mov_b32_e32 v7, s13
	v_add_co_u32_e64 v12, s[0:1], s12, v10
	v_addc_co_u32_e64 v13, s[0:1], v7, v11, s[0:1]
	v_mov_b32_e32 v7, s11
	v_add_co_u32_e64 v14, s[0:1], s10, v10
	v_addc_co_u32_e64 v15, s[0:1], v7, v11, s[0:1]
	global_load_ushort v7, v[14:15], off
	global_load_ushort v10, v[12:13], off
	v_add_u32_e32 v6, 0x100, v6
.LBB114_11:
	s_or_b64 exec, exec, s[4:5]
	v_cmp_gt_i32_e64 s[0:1], s6, v6
	v_mov_b32_e32 v12, 0
	v_mov_b32_e32 v11, 0
	v_mov_b32_e32 v13, 0
	s_and_saveexec_b64 s[4:5], s[0:1]
	s_cbranch_execz .LBB114_13
; %bb.12:
	v_add_u32_e32 v12, s2, v6
	v_mov_b32_e32 v13, 0
	v_lshlrev_b64 v[12:13], 1, v[12:13]
	v_mov_b32_e32 v15, s13
	v_add_co_u32_e64 v14, s[0:1], s12, v12
	v_addc_co_u32_e64 v15, s[0:1], v15, v13, s[0:1]
	v_mov_b32_e32 v17, s11
	v_add_co_u32_e64 v16, s[0:1], s10, v12
	v_addc_co_u32_e64 v17, s[0:1], v17, v13, s[0:1]
	global_load_ushort v13, v[16:17], off
	global_load_ushort v12, v[14:15], off
	v_add_u32_e32 v6, 0x100, v6
.LBB114_13:
	;; [unrolled: 40-line block ×3, first 2 shown]
	s_or_b64 exec, exec, s[4:5]
	v_cmp_gt_i32_e64 s[0:1], s6, v6
	v_mov_b32_e32 v19, 0
	s_and_saveexec_b64 s[4:5], s[0:1]
	s_cbranch_execz .LBB114_19
; %bb.18:
	v_add_u32_e32 v18, s2, v6
	v_mov_b32_e32 v19, 0
	v_lshlrev_b64 v[18:19], 1, v[18:19]
	v_mov_b32_e32 v6, s13
	v_add_co_u32_e64 v20, s[0:1], s12, v18
	v_addc_co_u32_e64 v21, s[0:1], v6, v19, s[0:1]
	v_mov_b32_e32 v6, s11
	v_add_co_u32_e64 v22, s[0:1], s10, v18
	v_addc_co_u32_e64 v23, s[0:1], v6, v19, s[0:1]
	global_load_ushort v15, v[22:23], off
	global_load_ushort v19, v[20:21], off
.LBB114_19:
	s_or_b64 exec, exec, s[4:5]
	s_waitcnt vmcnt(0)
	v_lshlrev_b32_sdwa v4, v2, v4 dst_sel:DWORD dst_unused:UNUSED_PAD src0_sel:WORD_0 src1_sel:DWORD
	v_cmp_gt_u16_e64 s[0:1], 16, v2
	v_cndmask_b32_e64 v4, 0, v4, s[0:1]
	v_mov_b32_e32 v2, 0
	v_lshlrev_b32_sdwa v3, v5, v3 dst_sel:DWORD dst_unused:UNUSED_PAD src0_sel:WORD_0 src1_sel:DWORD
	v_cmp_gt_u16_e64 s[0:1], 16, v5
	v_cndmask_b32_sdwa v4, v2, v4, vcc dst_sel:DWORD dst_unused:UNUSED_PAD src0_sel:DWORD src1_sel:WORD_0
	v_or_b32_e32 v18, 0x100, v0
	v_cndmask_b32_e64 v3, 0, v3, s[0:1]
	s_mov_b32 s3, 0x5040100
	v_perm_b32 v3, v3, v4, s3
	v_cmp_gt_i32_e64 s[0:1], s6, v18
	v_cndmask_b32_e64 v6, v4, v3, s[0:1]
	v_lshlrev_b32_sdwa v4, v8, v9 dst_sel:DWORD dst_unused:UNUSED_PAD src0_sel:WORD_0 src1_sel:DWORD
	v_cmp_gt_u16_e64 s[0:1], 16, v8
	v_or_b32_e32 v3, 0x200, v0
	v_cndmask_b32_e64 v4, 0, v4, s[0:1]
	v_and_b32_e32 v4, 0xffff, v4
	v_cmp_gt_i32_e64 s[0:1], s6, v3
	v_cndmask_b32_e64 v3, 0, v4, s[0:1]
	v_lshlrev_b32_sdwa v5, v10, v7 dst_sel:DWORD dst_unused:UNUSED_PAD src0_sel:WORD_0 src1_sel:DWORD
	v_cmp_gt_u16_e64 s[0:1], 16, v10
	v_or_b32_e32 v4, 0x300, v0
	v_cndmask_b32_e64 v5, 0, v5, s[0:1]
	v_perm_b32 v5, v5, v3, s3
	v_cmp_gt_i32_e64 s[0:1], s6, v4
	v_cndmask_b32_e64 v5, v3, v5, s[0:1]
	v_lshlrev_b32_sdwa v4, v12, v13 dst_sel:DWORD dst_unused:UNUSED_PAD src0_sel:WORD_0 src1_sel:DWORD
	v_cmp_gt_u16_e64 s[0:1], 16, v12
	v_or_b32_e32 v3, 0x400, v0
	v_cndmask_b32_e64 v4, 0, v4, s[0:1]
	v_and_b32_e32 v4, 0xffff, v4
	v_cmp_gt_i32_e64 s[0:1], s6, v3
	v_cndmask_b32_e64 v3, 0, v4, s[0:1]
	v_lshlrev_b32_sdwa v7, v14, v11 dst_sel:DWORD dst_unused:UNUSED_PAD src0_sel:WORD_0 src1_sel:DWORD
	v_cmp_gt_u16_e64 s[0:1], 16, v14
	v_or_b32_e32 v4, 0x500, v0
	v_cndmask_b32_e64 v7, 0, v7, s[0:1]
	;; [unrolled: 14-line block ×3, first 2 shown]
	v_perm_b32 v8, v8, v3, s3
	v_cmp_gt_i32_e64 s[0:1], s6, v7
	v_cndmask_b32_e64 v3, v3, v8, s[0:1]
	s_and_saveexec_b64 s[0:1], vcc
	s_cbranch_execnz .LBB114_29
; %bb.20:
	s_or_b64 exec, exec, s[0:1]
	v_cmp_gt_i32_e32 vcc, s6, v0
	s_and_saveexec_b64 s[0:1], vcc
	s_cbranch_execnz .LBB114_30
.LBB114_21:
	s_or_b64 exec, exec, s[0:1]
	v_cmp_gt_i32_e32 vcc, s6, v0
	s_and_saveexec_b64 s[0:1], vcc
	s_cbranch_execnz .LBB114_31
.LBB114_22:
	s_or_b64 exec, exec, s[0:1]
	v_cmp_gt_i32_e32 vcc, s6, v0
	s_and_saveexec_b64 s[0:1], vcc
	s_cbranch_execnz .LBB114_32
.LBB114_23:
	s_or_b64 exec, exec, s[0:1]
	v_cmp_gt_i32_e32 vcc, s6, v0
	s_and_saveexec_b64 s[0:1], vcc
	s_cbranch_execnz .LBB114_33
.LBB114_24:
	s_or_b64 exec, exec, s[0:1]
	v_cmp_gt_i32_e32 vcc, s6, v0
	s_and_saveexec_b64 s[0:1], vcc
	s_cbranch_execnz .LBB114_34
.LBB114_25:
	s_or_b64 exec, exec, s[0:1]
	v_cmp_gt_i32_e32 vcc, s6, v0
	s_and_saveexec_b64 s[0:1], vcc
	s_cbranch_execnz .LBB114_35
.LBB114_26:
	s_or_b64 exec, exec, s[0:1]
	v_cmp_gt_i32_e32 vcc, s6, v0
	s_and_saveexec_b64 s[0:1], vcc
	s_cbranch_execz .LBB114_28
.LBB114_27:
	v_add_u32_e32 v0, s2, v0
	v_mov_b32_e32 v1, 0
	v_lshlrev_b64 v[0:1], 1, v[0:1]
	v_mov_b32_e32 v2, s9
	v_add_co_u32_e32 v0, vcc, s8, v0
	v_addc_co_u32_e32 v1, vcc, v2, v1, vcc
	global_store_short_d16_hi v[0:1], v3, off
.LBB114_28:
	s_endpgm
.LBB114_29:
	v_lshlrev_b64 v[0:1], 1, v[1:2]
	v_mov_b32_e32 v2, s9
	v_add_co_u32_e32 v0, vcc, s8, v0
	v_addc_co_u32_e32 v1, vcc, v2, v1, vcc
	global_store_short v[0:1], v6, off
	v_mov_b32_e32 v0, v18
	s_or_b64 exec, exec, s[0:1]
	v_cmp_gt_i32_e32 vcc, s6, v0
	s_and_saveexec_b64 s[0:1], vcc
	s_cbranch_execz .LBB114_21
.LBB114_30:
	v_add_u32_e32 v1, s2, v0
	v_mov_b32_e32 v2, 0
	v_lshlrev_b64 v[1:2], 1, v[1:2]
	v_mov_b32_e32 v7, s9
	v_add_co_u32_e32 v1, vcc, s8, v1
	v_addc_co_u32_e32 v2, vcc, v7, v2, vcc
	v_add_u32_e32 v0, 0x100, v0
	global_store_short_d16_hi v[1:2], v6, off
	s_or_b64 exec, exec, s[0:1]
	v_cmp_gt_i32_e32 vcc, s6, v0
	s_and_saveexec_b64 s[0:1], vcc
	s_cbranch_execz .LBB114_22
.LBB114_31:
	v_add_u32_e32 v1, s2, v0
	v_mov_b32_e32 v2, 0
	v_lshlrev_b64 v[1:2], 1, v[1:2]
	v_mov_b32_e32 v6, s9
	v_add_co_u32_e32 v1, vcc, s8, v1
	v_addc_co_u32_e32 v2, vcc, v6, v2, vcc
	v_add_u32_e32 v0, 0x100, v0
	global_store_short v[1:2], v5, off
	s_or_b64 exec, exec, s[0:1]
	v_cmp_gt_i32_e32 vcc, s6, v0
	s_and_saveexec_b64 s[0:1], vcc
	s_cbranch_execz .LBB114_23
.LBB114_32:
	v_add_u32_e32 v1, s2, v0
	v_mov_b32_e32 v2, 0
	v_lshlrev_b64 v[1:2], 1, v[1:2]
	v_mov_b32_e32 v6, s9
	v_add_co_u32_e32 v1, vcc, s8, v1
	v_addc_co_u32_e32 v2, vcc, v6, v2, vcc
	v_add_u32_e32 v0, 0x100, v0
	global_store_short_d16_hi v[1:2], v5, off
	s_or_b64 exec, exec, s[0:1]
	v_cmp_gt_i32_e32 vcc, s6, v0
	s_and_saveexec_b64 s[0:1], vcc
	s_cbranch_execz .LBB114_24
.LBB114_33:
	v_add_u32_e32 v1, s2, v0
	v_mov_b32_e32 v2, 0
	v_lshlrev_b64 v[1:2], 1, v[1:2]
	v_mov_b32_e32 v5, s9
	v_add_co_u32_e32 v1, vcc, s8, v1
	v_addc_co_u32_e32 v2, vcc, v5, v2, vcc
	v_add_u32_e32 v0, 0x100, v0
	global_store_short v[1:2], v4, off
	s_or_b64 exec, exec, s[0:1]
	v_cmp_gt_i32_e32 vcc, s6, v0
	s_and_saveexec_b64 s[0:1], vcc
	s_cbranch_execz .LBB114_25
.LBB114_34:
	v_add_u32_e32 v1, s2, v0
	v_mov_b32_e32 v2, 0
	v_lshlrev_b64 v[1:2], 1, v[1:2]
	v_mov_b32_e32 v5, s9
	v_add_co_u32_e32 v1, vcc, s8, v1
	v_addc_co_u32_e32 v2, vcc, v5, v2, vcc
	v_add_u32_e32 v0, 0x100, v0
	global_store_short_d16_hi v[1:2], v4, off
	s_or_b64 exec, exec, s[0:1]
	v_cmp_gt_i32_e32 vcc, s6, v0
	s_and_saveexec_b64 s[0:1], vcc
	s_cbranch_execz .LBB114_26
.LBB114_35:
	v_add_u32_e32 v1, s2, v0
	v_mov_b32_e32 v2, 0
	v_lshlrev_b64 v[1:2], 1, v[1:2]
	v_mov_b32_e32 v4, s9
	v_add_co_u32_e32 v1, vcc, s8, v1
	v_addc_co_u32_e32 v2, vcc, v4, v2, vcc
	v_add_u32_e32 v0, 0x100, v0
	global_store_short v[1:2], v3, off
	s_or_b64 exec, exec, s[0:1]
	v_cmp_gt_i32_e32 vcc, s6, v0
	s_and_saveexec_b64 s[0:1], vcc
	s_cbranch_execnz .LBB114_27
	s_branch .LBB114_28
	.section	.rodata,"a",@progbits
	.p2align	6, 0x0
	.amdhsa_kernel _ZN2at6native29vectorized_elementwise_kernelILi4ENS0_13BinaryFunctorIsssZZZNS0_18lshift_kernel_cudaERNS_18TensorIteratorBaseEENKUlvE_clEvENKUlvE3_clEvEUlssE_EESt5arrayIPcLm3EEEEviT0_T1_
		.amdhsa_group_segment_fixed_size 0
		.amdhsa_private_segment_fixed_size 0
		.amdhsa_kernarg_size 32
		.amdhsa_user_sgpr_count 6
		.amdhsa_user_sgpr_private_segment_buffer 1
		.amdhsa_user_sgpr_dispatch_ptr 0
		.amdhsa_user_sgpr_queue_ptr 0
		.amdhsa_user_sgpr_kernarg_segment_ptr 1
		.amdhsa_user_sgpr_dispatch_id 0
		.amdhsa_user_sgpr_flat_scratch_init 0
		.amdhsa_user_sgpr_private_segment_size 0
		.amdhsa_uses_dynamic_stack 0
		.amdhsa_system_sgpr_private_segment_wavefront_offset 0
		.amdhsa_system_sgpr_workgroup_id_x 1
		.amdhsa_system_sgpr_workgroup_id_y 0
		.amdhsa_system_sgpr_workgroup_id_z 0
		.amdhsa_system_sgpr_workgroup_info 0
		.amdhsa_system_vgpr_workitem_id 0
		.amdhsa_next_free_vgpr 24
		.amdhsa_next_free_sgpr 16
		.amdhsa_reserve_vcc 1
		.amdhsa_reserve_flat_scratch 0
		.amdhsa_float_round_mode_32 0
		.amdhsa_float_round_mode_16_64 0
		.amdhsa_float_denorm_mode_32 3
		.amdhsa_float_denorm_mode_16_64 3
		.amdhsa_dx10_clamp 1
		.amdhsa_ieee_mode 1
		.amdhsa_fp16_overflow 0
		.amdhsa_exception_fp_ieee_invalid_op 0
		.amdhsa_exception_fp_denorm_src 0
		.amdhsa_exception_fp_ieee_div_zero 0
		.amdhsa_exception_fp_ieee_overflow 0
		.amdhsa_exception_fp_ieee_underflow 0
		.amdhsa_exception_fp_ieee_inexact 0
		.amdhsa_exception_int_div_zero 0
	.end_amdhsa_kernel
	.section	.text._ZN2at6native29vectorized_elementwise_kernelILi4ENS0_13BinaryFunctorIsssZZZNS0_18lshift_kernel_cudaERNS_18TensorIteratorBaseEENKUlvE_clEvENKUlvE3_clEvEUlssE_EESt5arrayIPcLm3EEEEviT0_T1_,"axG",@progbits,_ZN2at6native29vectorized_elementwise_kernelILi4ENS0_13BinaryFunctorIsssZZZNS0_18lshift_kernel_cudaERNS_18TensorIteratorBaseEENKUlvE_clEvENKUlvE3_clEvEUlssE_EESt5arrayIPcLm3EEEEviT0_T1_,comdat
.Lfunc_end114:
	.size	_ZN2at6native29vectorized_elementwise_kernelILi4ENS0_13BinaryFunctorIsssZZZNS0_18lshift_kernel_cudaERNS_18TensorIteratorBaseEENKUlvE_clEvENKUlvE3_clEvEUlssE_EESt5arrayIPcLm3EEEEviT0_T1_, .Lfunc_end114-_ZN2at6native29vectorized_elementwise_kernelILi4ENS0_13BinaryFunctorIsssZZZNS0_18lshift_kernel_cudaERNS_18TensorIteratorBaseEENKUlvE_clEvENKUlvE3_clEvEUlssE_EESt5arrayIPcLm3EEEEviT0_T1_
                                        ; -- End function
	.set _ZN2at6native29vectorized_elementwise_kernelILi4ENS0_13BinaryFunctorIsssZZZNS0_18lshift_kernel_cudaERNS_18TensorIteratorBaseEENKUlvE_clEvENKUlvE3_clEvEUlssE_EESt5arrayIPcLm3EEEEviT0_T1_.num_vgpr, 24
	.set _ZN2at6native29vectorized_elementwise_kernelILi4ENS0_13BinaryFunctorIsssZZZNS0_18lshift_kernel_cudaERNS_18TensorIteratorBaseEENKUlvE_clEvENKUlvE3_clEvEUlssE_EESt5arrayIPcLm3EEEEviT0_T1_.num_agpr, 0
	.set _ZN2at6native29vectorized_elementwise_kernelILi4ENS0_13BinaryFunctorIsssZZZNS0_18lshift_kernel_cudaERNS_18TensorIteratorBaseEENKUlvE_clEvENKUlvE3_clEvEUlssE_EESt5arrayIPcLm3EEEEviT0_T1_.numbered_sgpr, 16
	.set _ZN2at6native29vectorized_elementwise_kernelILi4ENS0_13BinaryFunctorIsssZZZNS0_18lshift_kernel_cudaERNS_18TensorIteratorBaseEENKUlvE_clEvENKUlvE3_clEvEUlssE_EESt5arrayIPcLm3EEEEviT0_T1_.num_named_barrier, 0
	.set _ZN2at6native29vectorized_elementwise_kernelILi4ENS0_13BinaryFunctorIsssZZZNS0_18lshift_kernel_cudaERNS_18TensorIteratorBaseEENKUlvE_clEvENKUlvE3_clEvEUlssE_EESt5arrayIPcLm3EEEEviT0_T1_.private_seg_size, 0
	.set _ZN2at6native29vectorized_elementwise_kernelILi4ENS0_13BinaryFunctorIsssZZZNS0_18lshift_kernel_cudaERNS_18TensorIteratorBaseEENKUlvE_clEvENKUlvE3_clEvEUlssE_EESt5arrayIPcLm3EEEEviT0_T1_.uses_vcc, 1
	.set _ZN2at6native29vectorized_elementwise_kernelILi4ENS0_13BinaryFunctorIsssZZZNS0_18lshift_kernel_cudaERNS_18TensorIteratorBaseEENKUlvE_clEvENKUlvE3_clEvEUlssE_EESt5arrayIPcLm3EEEEviT0_T1_.uses_flat_scratch, 0
	.set _ZN2at6native29vectorized_elementwise_kernelILi4ENS0_13BinaryFunctorIsssZZZNS0_18lshift_kernel_cudaERNS_18TensorIteratorBaseEENKUlvE_clEvENKUlvE3_clEvEUlssE_EESt5arrayIPcLm3EEEEviT0_T1_.has_dyn_sized_stack, 0
	.set _ZN2at6native29vectorized_elementwise_kernelILi4ENS0_13BinaryFunctorIsssZZZNS0_18lshift_kernel_cudaERNS_18TensorIteratorBaseEENKUlvE_clEvENKUlvE3_clEvEUlssE_EESt5arrayIPcLm3EEEEviT0_T1_.has_recursion, 0
	.set _ZN2at6native29vectorized_elementwise_kernelILi4ENS0_13BinaryFunctorIsssZZZNS0_18lshift_kernel_cudaERNS_18TensorIteratorBaseEENKUlvE_clEvENKUlvE3_clEvEUlssE_EESt5arrayIPcLm3EEEEviT0_T1_.has_indirect_call, 0
	.section	.AMDGPU.csdata,"",@progbits
; Kernel info:
; codeLenInByte = 2220
; TotalNumSgprs: 20
; NumVgprs: 24
; ScratchSize: 0
; MemoryBound: 0
; FloatMode: 240
; IeeeMode: 1
; LDSByteSize: 0 bytes/workgroup (compile time only)
; SGPRBlocks: 2
; VGPRBlocks: 5
; NumSGPRsForWavesPerEU: 20
; NumVGPRsForWavesPerEU: 24
; Occupancy: 10
; WaveLimiterHint : 1
; COMPUTE_PGM_RSRC2:SCRATCH_EN: 0
; COMPUTE_PGM_RSRC2:USER_SGPR: 6
; COMPUTE_PGM_RSRC2:TRAP_HANDLER: 0
; COMPUTE_PGM_RSRC2:TGID_X_EN: 1
; COMPUTE_PGM_RSRC2:TGID_Y_EN: 0
; COMPUTE_PGM_RSRC2:TGID_Z_EN: 0
; COMPUTE_PGM_RSRC2:TIDIG_COMP_CNT: 0
	.section	.text._ZN2at6native29vectorized_elementwise_kernelILi2ENS0_13BinaryFunctorIsssZZZNS0_18lshift_kernel_cudaERNS_18TensorIteratorBaseEENKUlvE_clEvENKUlvE3_clEvEUlssE_EESt5arrayIPcLm3EEEEviT0_T1_,"axG",@progbits,_ZN2at6native29vectorized_elementwise_kernelILi2ENS0_13BinaryFunctorIsssZZZNS0_18lshift_kernel_cudaERNS_18TensorIteratorBaseEENKUlvE_clEvENKUlvE3_clEvEUlssE_EESt5arrayIPcLm3EEEEviT0_T1_,comdat
	.globl	_ZN2at6native29vectorized_elementwise_kernelILi2ENS0_13BinaryFunctorIsssZZZNS0_18lshift_kernel_cudaERNS_18TensorIteratorBaseEENKUlvE_clEvENKUlvE3_clEvEUlssE_EESt5arrayIPcLm3EEEEviT0_T1_ ; -- Begin function _ZN2at6native29vectorized_elementwise_kernelILi2ENS0_13BinaryFunctorIsssZZZNS0_18lshift_kernel_cudaERNS_18TensorIteratorBaseEENKUlvE_clEvENKUlvE3_clEvEUlssE_EESt5arrayIPcLm3EEEEviT0_T1_
	.p2align	8
	.type	_ZN2at6native29vectorized_elementwise_kernelILi2ENS0_13BinaryFunctorIsssZZZNS0_18lshift_kernel_cudaERNS_18TensorIteratorBaseEENKUlvE_clEvENKUlvE3_clEvEUlssE_EESt5arrayIPcLm3EEEEviT0_T1_,@function
_ZN2at6native29vectorized_elementwise_kernelILi2ENS0_13BinaryFunctorIsssZZZNS0_18lshift_kernel_cudaERNS_18TensorIteratorBaseEENKUlvE_clEvENKUlvE3_clEvEUlssE_EESt5arrayIPcLm3EEEEviT0_T1_: ; @_ZN2at6native29vectorized_elementwise_kernelILi2ENS0_13BinaryFunctorIsssZZZNS0_18lshift_kernel_cudaERNS_18TensorIteratorBaseEENKUlvE_clEvENKUlvE3_clEvEUlssE_EESt5arrayIPcLm3EEEEviT0_T1_
; %bb.0:
	s_load_dword s0, s[4:5], 0x0
	s_load_dwordx4 s[8:11], s[4:5], 0x8
	s_load_dwordx2 s[12:13], s[4:5], 0x18
	s_lshl_b32 s2, s6, 11
	s_waitcnt lgkmcnt(0)
	s_sub_i32 s6, s0, s2
	s_cmpk_gt_i32 s6, 0x7ff
	s_mov_b64 s[0:1], -1
	s_cbranch_scc0 .LBB115_2
; %bb.1:
	s_ashr_i32 s3, s2, 31
	s_lshl_b64 s[0:1], s[2:3], 1
	s_add_u32 s4, s10, s0
	s_addc_u32 s5, s11, s1
	s_add_u32 s14, s12, s0
	v_lshlrev_b32_e32 v1, 2, v0
	s_addc_u32 s15, s13, s1
	global_load_dword v2, v1, s[14:15]
	global_load_dword v3, v1, s[4:5]
	global_load_dword v4, v1, s[14:15] offset:1024
	global_load_dword v5, v1, s[4:5] offset:1024
	;; [unrolled: 1-line block ×6, first 2 shown]
	s_mov_b32 s3, 0x100000
	s_mov_b32 s4, 0x5040100
	s_add_u32 s0, s8, s0
	s_addc_u32 s1, s9, s1
	s_waitcnt vmcnt(7)
	v_and_b32_e32 v10, 0xfff0, v2
	s_waitcnt vmcnt(6)
	v_lshlrev_b32_e32 v11, v2, v3
	v_cmp_eq_u32_e32 vcc, 0, v10
	v_lshlrev_b32_sdwa v3, v2, v3 dst_sel:DWORD dst_unused:UNUSED_PAD src0_sel:WORD_1 src1_sel:WORD_1
	s_waitcnt vmcnt(5)
	v_and_b32_e32 v12, 0xfff0, v4
	v_cndmask_b32_e32 v10, 0, v11, vcc
	v_cmp_gt_u32_e32 vcc, s3, v2
	s_waitcnt vmcnt(4)
	v_lshlrev_b32_e32 v13, v4, v5
	v_cndmask_b32_e32 v2, 0, v3, vcc
	v_cmp_eq_u32_e32 vcc, 0, v12
	v_lshlrev_b32_sdwa v5, v4, v5 dst_sel:DWORD dst_unused:UNUSED_PAD src0_sel:WORD_1 src1_sel:WORD_1
	s_waitcnt vmcnt(3)
	v_and_b32_e32 v14, 0xfff0, v6
	v_cndmask_b32_e32 v3, 0, v13, vcc
	v_cmp_gt_u32_e32 vcc, s3, v4
	s_waitcnt vmcnt(2)
	v_lshlrev_b32_e32 v15, v6, v7
	v_cndmask_b32_e32 v4, 0, v5, vcc
	;; [unrolled: 9-line block ×3, first 2 shown]
	v_cmp_eq_u32_e32 vcc, 0, v16
	v_lshlrev_b32_sdwa v9, v8, v9 dst_sel:DWORD dst_unused:UNUSED_PAD src0_sel:WORD_1 src1_sel:WORD_1
	v_cndmask_b32_e32 v7, 0, v17, vcc
	v_cmp_gt_u32_e32 vcc, s3, v8
	v_cndmask_b32_e32 v8, 0, v9, vcc
	v_perm_b32 v2, v2, v10, s4
	v_perm_b32 v7, v8, v7, s4
	;; [unrolled: 1-line block ×4, first 2 shown]
	global_store_dword v1, v2, s[0:1]
	global_store_dword v1, v3, s[0:1] offset:1024
	global_store_dword v1, v5, s[0:1] offset:2048
	;; [unrolled: 1-line block ×3, first 2 shown]
	s_mov_b64 s[0:1], 0
.LBB115_2:
	s_andn2_b64 vcc, exec, s[0:1]
	s_cbranch_vccnz .LBB115_28
; %bb.3:
	v_cmp_gt_i32_e32 vcc, s6, v0
	v_mov_b32_e32 v2, 0
	v_mov_b32_e32 v3, 0
	v_or_b32_e32 v1, s2, v0
	v_mov_b32_e32 v4, 0
	v_mov_b32_e32 v6, v0
	s_and_saveexec_b64 s[4:5], vcc
	s_cbranch_execz .LBB115_5
; %bb.4:
	v_mov_b32_e32 v2, 0
	v_lshlrev_b64 v[4:5], 1, v[1:2]
	v_mov_b32_e32 v2, s13
	v_add_co_u32_e64 v6, s[0:1], s12, v4
	v_addc_co_u32_e64 v7, s[0:1], v2, v5, s[0:1]
	v_mov_b32_e32 v2, s11
	v_add_co_u32_e64 v8, s[0:1], s10, v4
	v_addc_co_u32_e64 v9, s[0:1], v2, v5, s[0:1]
	global_load_ushort v4, v[8:9], off
	global_load_ushort v2, v[6:7], off
	v_or_b32_e32 v6, 0x100, v0
.LBB115_5:
	s_or_b64 exec, exec, s[4:5]
	v_cmp_gt_i32_e64 s[0:1], s6, v6
	v_mov_b32_e32 v5, 0
	s_and_saveexec_b64 s[4:5], s[0:1]
	s_cbranch_execz .LBB115_7
; %bb.6:
	v_add_u32_e32 v7, s2, v6
	v_mov_b32_e32 v8, 0
	v_lshlrev_b64 v[7:8], 1, v[7:8]
	v_mov_b32_e32 v3, s13
	v_add_co_u32_e64 v9, s[0:1], s12, v7
	v_addc_co_u32_e64 v10, s[0:1], v3, v8, s[0:1]
	v_mov_b32_e32 v3, s11
	v_add_co_u32_e64 v7, s[0:1], s10, v7
	v_addc_co_u32_e64 v8, s[0:1], v3, v8, s[0:1]
	global_load_ushort v3, v[7:8], off
	global_load_ushort v5, v[9:10], off
	v_add_u32_e32 v6, 0x100, v6
.LBB115_7:
	s_or_b64 exec, exec, s[4:5]
	v_cmp_gt_i32_e64 s[0:1], s6, v6
	v_mov_b32_e32 v8, 0
	v_mov_b32_e32 v7, 0
	v_mov_b32_e32 v9, 0
	s_and_saveexec_b64 s[4:5], s[0:1]
	s_cbranch_execz .LBB115_9
; %bb.8:
	v_add_u32_e32 v8, s2, v6
	v_mov_b32_e32 v9, 0
	v_lshlrev_b64 v[8:9], 1, v[8:9]
	v_mov_b32_e32 v11, s13
	v_add_co_u32_e64 v10, s[0:1], s12, v8
	v_addc_co_u32_e64 v11, s[0:1], v11, v9, s[0:1]
	v_mov_b32_e32 v13, s11
	v_add_co_u32_e64 v12, s[0:1], s10, v8
	v_addc_co_u32_e64 v13, s[0:1], v13, v9, s[0:1]
	global_load_ushort v9, v[12:13], off
	global_load_ushort v8, v[10:11], off
	v_add_u32_e32 v6, 0x100, v6
.LBB115_9:
	s_or_b64 exec, exec, s[4:5]
	v_cmp_gt_i32_e64 s[0:1], s6, v6
	v_mov_b32_e32 v10, 0
	s_and_saveexec_b64 s[4:5], s[0:1]
	s_cbranch_execz .LBB115_11
; %bb.10:
	v_add_u32_e32 v10, s2, v6
	v_mov_b32_e32 v11, 0
	v_lshlrev_b64 v[10:11], 1, v[10:11]
	v_mov_b32_e32 v7, s13
	v_add_co_u32_e64 v12, s[0:1], s12, v10
	v_addc_co_u32_e64 v13, s[0:1], v7, v11, s[0:1]
	v_mov_b32_e32 v7, s11
	v_add_co_u32_e64 v14, s[0:1], s10, v10
	v_addc_co_u32_e64 v15, s[0:1], v7, v11, s[0:1]
	global_load_ushort v7, v[14:15], off
	global_load_ushort v10, v[12:13], off
	v_add_u32_e32 v6, 0x100, v6
.LBB115_11:
	s_or_b64 exec, exec, s[4:5]
	v_cmp_gt_i32_e64 s[0:1], s6, v6
	v_mov_b32_e32 v12, 0
	v_mov_b32_e32 v11, 0
	v_mov_b32_e32 v13, 0
	s_and_saveexec_b64 s[4:5], s[0:1]
	s_cbranch_execz .LBB115_13
; %bb.12:
	v_add_u32_e32 v12, s2, v6
	v_mov_b32_e32 v13, 0
	v_lshlrev_b64 v[12:13], 1, v[12:13]
	v_mov_b32_e32 v15, s13
	v_add_co_u32_e64 v14, s[0:1], s12, v12
	v_addc_co_u32_e64 v15, s[0:1], v15, v13, s[0:1]
	v_mov_b32_e32 v17, s11
	v_add_co_u32_e64 v16, s[0:1], s10, v12
	v_addc_co_u32_e64 v17, s[0:1], v17, v13, s[0:1]
	global_load_ushort v13, v[16:17], off
	global_load_ushort v12, v[14:15], off
	v_add_u32_e32 v6, 0x100, v6
.LBB115_13:
	s_or_b64 exec, exec, s[4:5]
	v_cmp_gt_i32_e64 s[0:1], s6, v6
	v_mov_b32_e32 v14, 0
	s_and_saveexec_b64 s[4:5], s[0:1]
	s_cbranch_execz .LBB115_15
; %bb.14:
	v_add_u32_e32 v14, s2, v6
	v_mov_b32_e32 v15, 0
	v_lshlrev_b64 v[14:15], 1, v[14:15]
	v_mov_b32_e32 v11, s13
	v_add_co_u32_e64 v16, s[0:1], s12, v14
	v_addc_co_u32_e64 v17, s[0:1], v11, v15, s[0:1]
	v_mov_b32_e32 v11, s11
	v_add_co_u32_e64 v18, s[0:1], s10, v14
	v_addc_co_u32_e64 v19, s[0:1], v11, v15, s[0:1]
	global_load_ushort v11, v[18:19], off
	global_load_ushort v14, v[16:17], off
	v_add_u32_e32 v6, 0x100, v6
.LBB115_15:
	s_or_b64 exec, exec, s[4:5]
	v_cmp_gt_i32_e64 s[0:1], s6, v6
	v_mov_b32_e32 v16, 0
	v_mov_b32_e32 v15, 0
	v_mov_b32_e32 v17, 0
	s_and_saveexec_b64 s[4:5], s[0:1]
	s_cbranch_execz .LBB115_17
; %bb.16:
	v_add_u32_e32 v16, s2, v6
	v_mov_b32_e32 v17, 0
	v_lshlrev_b64 v[16:17], 1, v[16:17]
	v_mov_b32_e32 v19, s13
	v_add_co_u32_e64 v18, s[0:1], s12, v16
	v_addc_co_u32_e64 v19, s[0:1], v19, v17, s[0:1]
	v_mov_b32_e32 v21, s11
	v_add_co_u32_e64 v20, s[0:1], s10, v16
	v_addc_co_u32_e64 v21, s[0:1], v21, v17, s[0:1]
	global_load_ushort v17, v[20:21], off
	global_load_ushort v16, v[18:19], off
	v_add_u32_e32 v6, 0x100, v6
.LBB115_17:
	s_or_b64 exec, exec, s[4:5]
	v_cmp_gt_i32_e64 s[0:1], s6, v6
	v_mov_b32_e32 v19, 0
	s_and_saveexec_b64 s[4:5], s[0:1]
	s_cbranch_execz .LBB115_19
; %bb.18:
	v_add_u32_e32 v18, s2, v6
	v_mov_b32_e32 v19, 0
	v_lshlrev_b64 v[18:19], 1, v[18:19]
	v_mov_b32_e32 v6, s13
	v_add_co_u32_e64 v20, s[0:1], s12, v18
	v_addc_co_u32_e64 v21, s[0:1], v6, v19, s[0:1]
	v_mov_b32_e32 v6, s11
	v_add_co_u32_e64 v22, s[0:1], s10, v18
	v_addc_co_u32_e64 v23, s[0:1], v6, v19, s[0:1]
	global_load_ushort v15, v[22:23], off
	global_load_ushort v19, v[20:21], off
.LBB115_19:
	s_or_b64 exec, exec, s[4:5]
	s_waitcnt vmcnt(0)
	v_lshlrev_b32_sdwa v4, v2, v4 dst_sel:DWORD dst_unused:UNUSED_PAD src0_sel:WORD_0 src1_sel:DWORD
	v_cmp_gt_u16_e64 s[0:1], 16, v2
	v_cndmask_b32_e64 v4, 0, v4, s[0:1]
	v_mov_b32_e32 v2, 0
	v_lshlrev_b32_sdwa v3, v5, v3 dst_sel:DWORD dst_unused:UNUSED_PAD src0_sel:WORD_0 src1_sel:DWORD
	v_cmp_gt_u16_e64 s[0:1], 16, v5
	v_cndmask_b32_sdwa v4, v2, v4, vcc dst_sel:DWORD dst_unused:UNUSED_PAD src0_sel:DWORD src1_sel:WORD_0
	v_or_b32_e32 v18, 0x100, v0
	v_cndmask_b32_e64 v3, 0, v3, s[0:1]
	s_mov_b32 s3, 0x5040100
	v_perm_b32 v3, v3, v4, s3
	v_cmp_gt_i32_e64 s[0:1], s6, v18
	v_cndmask_b32_e64 v6, v4, v3, s[0:1]
	v_lshlrev_b32_sdwa v4, v8, v9 dst_sel:DWORD dst_unused:UNUSED_PAD src0_sel:WORD_0 src1_sel:DWORD
	v_cmp_gt_u16_e64 s[0:1], 16, v8
	v_or_b32_e32 v3, 0x200, v0
	v_cndmask_b32_e64 v4, 0, v4, s[0:1]
	v_and_b32_e32 v4, 0xffff, v4
	v_cmp_gt_i32_e64 s[0:1], s6, v3
	v_cndmask_b32_e64 v3, 0, v4, s[0:1]
	v_lshlrev_b32_sdwa v5, v10, v7 dst_sel:DWORD dst_unused:UNUSED_PAD src0_sel:WORD_0 src1_sel:DWORD
	v_cmp_gt_u16_e64 s[0:1], 16, v10
	v_or_b32_e32 v4, 0x300, v0
	v_cndmask_b32_e64 v5, 0, v5, s[0:1]
	v_perm_b32 v5, v5, v3, s3
	v_cmp_gt_i32_e64 s[0:1], s6, v4
	v_cndmask_b32_e64 v5, v3, v5, s[0:1]
	v_lshlrev_b32_sdwa v4, v12, v13 dst_sel:DWORD dst_unused:UNUSED_PAD src0_sel:WORD_0 src1_sel:DWORD
	v_cmp_gt_u16_e64 s[0:1], 16, v12
	v_or_b32_e32 v3, 0x400, v0
	v_cndmask_b32_e64 v4, 0, v4, s[0:1]
	v_and_b32_e32 v4, 0xffff, v4
	v_cmp_gt_i32_e64 s[0:1], s6, v3
	v_cndmask_b32_e64 v3, 0, v4, s[0:1]
	v_lshlrev_b32_sdwa v7, v14, v11 dst_sel:DWORD dst_unused:UNUSED_PAD src0_sel:WORD_0 src1_sel:DWORD
	v_cmp_gt_u16_e64 s[0:1], 16, v14
	v_or_b32_e32 v4, 0x500, v0
	v_cndmask_b32_e64 v7, 0, v7, s[0:1]
	;; [unrolled: 14-line block ×3, first 2 shown]
	v_perm_b32 v8, v8, v3, s3
	v_cmp_gt_i32_e64 s[0:1], s6, v7
	v_cndmask_b32_e64 v3, v3, v8, s[0:1]
	s_and_saveexec_b64 s[0:1], vcc
	s_cbranch_execnz .LBB115_29
; %bb.20:
	s_or_b64 exec, exec, s[0:1]
	v_cmp_gt_i32_e32 vcc, s6, v0
	s_and_saveexec_b64 s[0:1], vcc
	s_cbranch_execnz .LBB115_30
.LBB115_21:
	s_or_b64 exec, exec, s[0:1]
	v_cmp_gt_i32_e32 vcc, s6, v0
	s_and_saveexec_b64 s[0:1], vcc
	s_cbranch_execnz .LBB115_31
.LBB115_22:
	s_or_b64 exec, exec, s[0:1]
	v_cmp_gt_i32_e32 vcc, s6, v0
	s_and_saveexec_b64 s[0:1], vcc
	s_cbranch_execnz .LBB115_32
.LBB115_23:
	s_or_b64 exec, exec, s[0:1]
	v_cmp_gt_i32_e32 vcc, s6, v0
	s_and_saveexec_b64 s[0:1], vcc
	s_cbranch_execnz .LBB115_33
.LBB115_24:
	s_or_b64 exec, exec, s[0:1]
	v_cmp_gt_i32_e32 vcc, s6, v0
	s_and_saveexec_b64 s[0:1], vcc
	s_cbranch_execnz .LBB115_34
.LBB115_25:
	s_or_b64 exec, exec, s[0:1]
	v_cmp_gt_i32_e32 vcc, s6, v0
	s_and_saveexec_b64 s[0:1], vcc
	s_cbranch_execnz .LBB115_35
.LBB115_26:
	s_or_b64 exec, exec, s[0:1]
	v_cmp_gt_i32_e32 vcc, s6, v0
	s_and_saveexec_b64 s[0:1], vcc
	s_cbranch_execz .LBB115_28
.LBB115_27:
	v_add_u32_e32 v0, s2, v0
	v_mov_b32_e32 v1, 0
	v_lshlrev_b64 v[0:1], 1, v[0:1]
	v_mov_b32_e32 v2, s9
	v_add_co_u32_e32 v0, vcc, s8, v0
	v_addc_co_u32_e32 v1, vcc, v2, v1, vcc
	global_store_short_d16_hi v[0:1], v3, off
.LBB115_28:
	s_endpgm
.LBB115_29:
	v_lshlrev_b64 v[0:1], 1, v[1:2]
	v_mov_b32_e32 v2, s9
	v_add_co_u32_e32 v0, vcc, s8, v0
	v_addc_co_u32_e32 v1, vcc, v2, v1, vcc
	global_store_short v[0:1], v6, off
	v_mov_b32_e32 v0, v18
	s_or_b64 exec, exec, s[0:1]
	v_cmp_gt_i32_e32 vcc, s6, v0
	s_and_saveexec_b64 s[0:1], vcc
	s_cbranch_execz .LBB115_21
.LBB115_30:
	v_add_u32_e32 v1, s2, v0
	v_mov_b32_e32 v2, 0
	v_lshlrev_b64 v[1:2], 1, v[1:2]
	v_mov_b32_e32 v7, s9
	v_add_co_u32_e32 v1, vcc, s8, v1
	v_addc_co_u32_e32 v2, vcc, v7, v2, vcc
	v_add_u32_e32 v0, 0x100, v0
	global_store_short_d16_hi v[1:2], v6, off
	s_or_b64 exec, exec, s[0:1]
	v_cmp_gt_i32_e32 vcc, s6, v0
	s_and_saveexec_b64 s[0:1], vcc
	s_cbranch_execz .LBB115_22
.LBB115_31:
	v_add_u32_e32 v1, s2, v0
	v_mov_b32_e32 v2, 0
	v_lshlrev_b64 v[1:2], 1, v[1:2]
	v_mov_b32_e32 v6, s9
	v_add_co_u32_e32 v1, vcc, s8, v1
	v_addc_co_u32_e32 v2, vcc, v6, v2, vcc
	v_add_u32_e32 v0, 0x100, v0
	global_store_short v[1:2], v5, off
	s_or_b64 exec, exec, s[0:1]
	v_cmp_gt_i32_e32 vcc, s6, v0
	s_and_saveexec_b64 s[0:1], vcc
	s_cbranch_execz .LBB115_23
.LBB115_32:
	v_add_u32_e32 v1, s2, v0
	v_mov_b32_e32 v2, 0
	v_lshlrev_b64 v[1:2], 1, v[1:2]
	v_mov_b32_e32 v6, s9
	v_add_co_u32_e32 v1, vcc, s8, v1
	v_addc_co_u32_e32 v2, vcc, v6, v2, vcc
	v_add_u32_e32 v0, 0x100, v0
	global_store_short_d16_hi v[1:2], v5, off
	s_or_b64 exec, exec, s[0:1]
	v_cmp_gt_i32_e32 vcc, s6, v0
	s_and_saveexec_b64 s[0:1], vcc
	s_cbranch_execz .LBB115_24
.LBB115_33:
	v_add_u32_e32 v1, s2, v0
	v_mov_b32_e32 v2, 0
	v_lshlrev_b64 v[1:2], 1, v[1:2]
	v_mov_b32_e32 v5, s9
	v_add_co_u32_e32 v1, vcc, s8, v1
	v_addc_co_u32_e32 v2, vcc, v5, v2, vcc
	v_add_u32_e32 v0, 0x100, v0
	global_store_short v[1:2], v4, off
	s_or_b64 exec, exec, s[0:1]
	v_cmp_gt_i32_e32 vcc, s6, v0
	s_and_saveexec_b64 s[0:1], vcc
	s_cbranch_execz .LBB115_25
.LBB115_34:
	v_add_u32_e32 v1, s2, v0
	v_mov_b32_e32 v2, 0
	v_lshlrev_b64 v[1:2], 1, v[1:2]
	v_mov_b32_e32 v5, s9
	v_add_co_u32_e32 v1, vcc, s8, v1
	v_addc_co_u32_e32 v2, vcc, v5, v2, vcc
	v_add_u32_e32 v0, 0x100, v0
	global_store_short_d16_hi v[1:2], v4, off
	s_or_b64 exec, exec, s[0:1]
	v_cmp_gt_i32_e32 vcc, s6, v0
	s_and_saveexec_b64 s[0:1], vcc
	s_cbranch_execz .LBB115_26
.LBB115_35:
	v_add_u32_e32 v1, s2, v0
	v_mov_b32_e32 v2, 0
	v_lshlrev_b64 v[1:2], 1, v[1:2]
	v_mov_b32_e32 v4, s9
	v_add_co_u32_e32 v1, vcc, s8, v1
	v_addc_co_u32_e32 v2, vcc, v4, v2, vcc
	v_add_u32_e32 v0, 0x100, v0
	global_store_short v[1:2], v3, off
	s_or_b64 exec, exec, s[0:1]
	v_cmp_gt_i32_e32 vcc, s6, v0
	s_and_saveexec_b64 s[0:1], vcc
	s_cbranch_execnz .LBB115_27
	s_branch .LBB115_28
	.section	.rodata,"a",@progbits
	.p2align	6, 0x0
	.amdhsa_kernel _ZN2at6native29vectorized_elementwise_kernelILi2ENS0_13BinaryFunctorIsssZZZNS0_18lshift_kernel_cudaERNS_18TensorIteratorBaseEENKUlvE_clEvENKUlvE3_clEvEUlssE_EESt5arrayIPcLm3EEEEviT0_T1_
		.amdhsa_group_segment_fixed_size 0
		.amdhsa_private_segment_fixed_size 0
		.amdhsa_kernarg_size 32
		.amdhsa_user_sgpr_count 6
		.amdhsa_user_sgpr_private_segment_buffer 1
		.amdhsa_user_sgpr_dispatch_ptr 0
		.amdhsa_user_sgpr_queue_ptr 0
		.amdhsa_user_sgpr_kernarg_segment_ptr 1
		.amdhsa_user_sgpr_dispatch_id 0
		.amdhsa_user_sgpr_flat_scratch_init 0
		.amdhsa_user_sgpr_private_segment_size 0
		.amdhsa_uses_dynamic_stack 0
		.amdhsa_system_sgpr_private_segment_wavefront_offset 0
		.amdhsa_system_sgpr_workgroup_id_x 1
		.amdhsa_system_sgpr_workgroup_id_y 0
		.amdhsa_system_sgpr_workgroup_id_z 0
		.amdhsa_system_sgpr_workgroup_info 0
		.amdhsa_system_vgpr_workitem_id 0
		.amdhsa_next_free_vgpr 24
		.amdhsa_next_free_sgpr 16
		.amdhsa_reserve_vcc 1
		.amdhsa_reserve_flat_scratch 0
		.amdhsa_float_round_mode_32 0
		.amdhsa_float_round_mode_16_64 0
		.amdhsa_float_denorm_mode_32 3
		.amdhsa_float_denorm_mode_16_64 3
		.amdhsa_dx10_clamp 1
		.amdhsa_ieee_mode 1
		.amdhsa_fp16_overflow 0
		.amdhsa_exception_fp_ieee_invalid_op 0
		.amdhsa_exception_fp_denorm_src 0
		.amdhsa_exception_fp_ieee_div_zero 0
		.amdhsa_exception_fp_ieee_overflow 0
		.amdhsa_exception_fp_ieee_underflow 0
		.amdhsa_exception_fp_ieee_inexact 0
		.amdhsa_exception_int_div_zero 0
	.end_amdhsa_kernel
	.section	.text._ZN2at6native29vectorized_elementwise_kernelILi2ENS0_13BinaryFunctorIsssZZZNS0_18lshift_kernel_cudaERNS_18TensorIteratorBaseEENKUlvE_clEvENKUlvE3_clEvEUlssE_EESt5arrayIPcLm3EEEEviT0_T1_,"axG",@progbits,_ZN2at6native29vectorized_elementwise_kernelILi2ENS0_13BinaryFunctorIsssZZZNS0_18lshift_kernel_cudaERNS_18TensorIteratorBaseEENKUlvE_clEvENKUlvE3_clEvEUlssE_EESt5arrayIPcLm3EEEEviT0_T1_,comdat
.Lfunc_end115:
	.size	_ZN2at6native29vectorized_elementwise_kernelILi2ENS0_13BinaryFunctorIsssZZZNS0_18lshift_kernel_cudaERNS_18TensorIteratorBaseEENKUlvE_clEvENKUlvE3_clEvEUlssE_EESt5arrayIPcLm3EEEEviT0_T1_, .Lfunc_end115-_ZN2at6native29vectorized_elementwise_kernelILi2ENS0_13BinaryFunctorIsssZZZNS0_18lshift_kernel_cudaERNS_18TensorIteratorBaseEENKUlvE_clEvENKUlvE3_clEvEUlssE_EESt5arrayIPcLm3EEEEviT0_T1_
                                        ; -- End function
	.set _ZN2at6native29vectorized_elementwise_kernelILi2ENS0_13BinaryFunctorIsssZZZNS0_18lshift_kernel_cudaERNS_18TensorIteratorBaseEENKUlvE_clEvENKUlvE3_clEvEUlssE_EESt5arrayIPcLm3EEEEviT0_T1_.num_vgpr, 24
	.set _ZN2at6native29vectorized_elementwise_kernelILi2ENS0_13BinaryFunctorIsssZZZNS0_18lshift_kernel_cudaERNS_18TensorIteratorBaseEENKUlvE_clEvENKUlvE3_clEvEUlssE_EESt5arrayIPcLm3EEEEviT0_T1_.num_agpr, 0
	.set _ZN2at6native29vectorized_elementwise_kernelILi2ENS0_13BinaryFunctorIsssZZZNS0_18lshift_kernel_cudaERNS_18TensorIteratorBaseEENKUlvE_clEvENKUlvE3_clEvEUlssE_EESt5arrayIPcLm3EEEEviT0_T1_.numbered_sgpr, 16
	.set _ZN2at6native29vectorized_elementwise_kernelILi2ENS0_13BinaryFunctorIsssZZZNS0_18lshift_kernel_cudaERNS_18TensorIteratorBaseEENKUlvE_clEvENKUlvE3_clEvEUlssE_EESt5arrayIPcLm3EEEEviT0_T1_.num_named_barrier, 0
	.set _ZN2at6native29vectorized_elementwise_kernelILi2ENS0_13BinaryFunctorIsssZZZNS0_18lshift_kernel_cudaERNS_18TensorIteratorBaseEENKUlvE_clEvENKUlvE3_clEvEUlssE_EESt5arrayIPcLm3EEEEviT0_T1_.private_seg_size, 0
	.set _ZN2at6native29vectorized_elementwise_kernelILi2ENS0_13BinaryFunctorIsssZZZNS0_18lshift_kernel_cudaERNS_18TensorIteratorBaseEENKUlvE_clEvENKUlvE3_clEvEUlssE_EESt5arrayIPcLm3EEEEviT0_T1_.uses_vcc, 1
	.set _ZN2at6native29vectorized_elementwise_kernelILi2ENS0_13BinaryFunctorIsssZZZNS0_18lshift_kernel_cudaERNS_18TensorIteratorBaseEENKUlvE_clEvENKUlvE3_clEvEUlssE_EESt5arrayIPcLm3EEEEviT0_T1_.uses_flat_scratch, 0
	.set _ZN2at6native29vectorized_elementwise_kernelILi2ENS0_13BinaryFunctorIsssZZZNS0_18lshift_kernel_cudaERNS_18TensorIteratorBaseEENKUlvE_clEvENKUlvE3_clEvEUlssE_EESt5arrayIPcLm3EEEEviT0_T1_.has_dyn_sized_stack, 0
	.set _ZN2at6native29vectorized_elementwise_kernelILi2ENS0_13BinaryFunctorIsssZZZNS0_18lshift_kernel_cudaERNS_18TensorIteratorBaseEENKUlvE_clEvENKUlvE3_clEvEUlssE_EESt5arrayIPcLm3EEEEviT0_T1_.has_recursion, 0
	.set _ZN2at6native29vectorized_elementwise_kernelILi2ENS0_13BinaryFunctorIsssZZZNS0_18lshift_kernel_cudaERNS_18TensorIteratorBaseEENKUlvE_clEvENKUlvE3_clEvEUlssE_EESt5arrayIPcLm3EEEEviT0_T1_.has_indirect_call, 0
	.section	.AMDGPU.csdata,"",@progbits
; Kernel info:
; codeLenInByte = 2284
; TotalNumSgprs: 20
; NumVgprs: 24
; ScratchSize: 0
; MemoryBound: 0
; FloatMode: 240
; IeeeMode: 1
; LDSByteSize: 0 bytes/workgroup (compile time only)
; SGPRBlocks: 2
; VGPRBlocks: 5
; NumSGPRsForWavesPerEU: 20
; NumVGPRsForWavesPerEU: 24
; Occupancy: 10
; WaveLimiterHint : 1
; COMPUTE_PGM_RSRC2:SCRATCH_EN: 0
; COMPUTE_PGM_RSRC2:USER_SGPR: 6
; COMPUTE_PGM_RSRC2:TRAP_HANDLER: 0
; COMPUTE_PGM_RSRC2:TGID_X_EN: 1
; COMPUTE_PGM_RSRC2:TGID_Y_EN: 0
; COMPUTE_PGM_RSRC2:TGID_Z_EN: 0
; COMPUTE_PGM_RSRC2:TIDIG_COMP_CNT: 0
	.section	.text._ZN2at6native27unrolled_elementwise_kernelINS0_13BinaryFunctorIsssZZZNS0_18lshift_kernel_cudaERNS_18TensorIteratorBaseEENKUlvE_clEvENKUlvE3_clEvEUlssE_EESt5arrayIPcLm3EELi4E23TrivialOffsetCalculatorILi2EjESC_ILi1EjENS0_6memory15LoadWithoutCastENSF_16StoreWithoutCastEEEviT_T0_T2_T3_T4_T5_,"axG",@progbits,_ZN2at6native27unrolled_elementwise_kernelINS0_13BinaryFunctorIsssZZZNS0_18lshift_kernel_cudaERNS_18TensorIteratorBaseEENKUlvE_clEvENKUlvE3_clEvEUlssE_EESt5arrayIPcLm3EELi4E23TrivialOffsetCalculatorILi2EjESC_ILi1EjENS0_6memory15LoadWithoutCastENSF_16StoreWithoutCastEEEviT_T0_T2_T3_T4_T5_,comdat
	.globl	_ZN2at6native27unrolled_elementwise_kernelINS0_13BinaryFunctorIsssZZZNS0_18lshift_kernel_cudaERNS_18TensorIteratorBaseEENKUlvE_clEvENKUlvE3_clEvEUlssE_EESt5arrayIPcLm3EELi4E23TrivialOffsetCalculatorILi2EjESC_ILi1EjENS0_6memory15LoadWithoutCastENSF_16StoreWithoutCastEEEviT_T0_T2_T3_T4_T5_ ; -- Begin function _ZN2at6native27unrolled_elementwise_kernelINS0_13BinaryFunctorIsssZZZNS0_18lshift_kernel_cudaERNS_18TensorIteratorBaseEENKUlvE_clEvENKUlvE3_clEvEUlssE_EESt5arrayIPcLm3EELi4E23TrivialOffsetCalculatorILi2EjESC_ILi1EjENS0_6memory15LoadWithoutCastENSF_16StoreWithoutCastEEEviT_T0_T2_T3_T4_T5_
	.p2align	8
	.type	_ZN2at6native27unrolled_elementwise_kernelINS0_13BinaryFunctorIsssZZZNS0_18lshift_kernel_cudaERNS_18TensorIteratorBaseEENKUlvE_clEvENKUlvE3_clEvEUlssE_EESt5arrayIPcLm3EELi4E23TrivialOffsetCalculatorILi2EjESC_ILi1EjENS0_6memory15LoadWithoutCastENSF_16StoreWithoutCastEEEviT_T0_T2_T3_T4_T5_,@function
_ZN2at6native27unrolled_elementwise_kernelINS0_13BinaryFunctorIsssZZZNS0_18lshift_kernel_cudaERNS_18TensorIteratorBaseEENKUlvE_clEvENKUlvE3_clEvEUlssE_EESt5arrayIPcLm3EELi4E23TrivialOffsetCalculatorILi2EjESC_ILi1EjENS0_6memory15LoadWithoutCastENSF_16StoreWithoutCastEEEviT_T0_T2_T3_T4_T5_: ; @_ZN2at6native27unrolled_elementwise_kernelINS0_13BinaryFunctorIsssZZZNS0_18lshift_kernel_cudaERNS_18TensorIteratorBaseEENKUlvE_clEvENKUlvE3_clEvEUlssE_EESt5arrayIPcLm3EELi4E23TrivialOffsetCalculatorILi2EjESC_ILi1EjENS0_6memory15LoadWithoutCastENSF_16StoreWithoutCastEEEviT_T0_T2_T3_T4_T5_
; %bb.0:
	s_load_dword s0, s[4:5], 0x0
	s_load_dwordx4 s[8:11], s[4:5], 0x8
	s_load_dwordx2 s[2:3], s[4:5], 0x18
	s_lshl_b32 s6, s6, 10
	v_mov_b32_e32 v2, 0
	s_waitcnt lgkmcnt(0)
	s_sub_i32 s7, s0, s6
	v_cmp_gt_i32_e32 vcc, s7, v0
	v_mov_b32_e32 v3, 0
	v_or_b32_e32 v1, s6, v0
	v_mov_b32_e32 v4, 0
	v_mov_b32_e32 v6, v0
	s_and_saveexec_b64 s[4:5], vcc
	s_cbranch_execz .LBB116_2
; %bb.1:
	v_mov_b32_e32 v2, 0
	v_lshlrev_b64 v[4:5], 1, v[1:2]
	v_mov_b32_e32 v2, s11
	v_add_co_u32_e64 v6, s[0:1], s10, v4
	v_addc_co_u32_e64 v7, s[0:1], v2, v5, s[0:1]
	v_mov_b32_e32 v2, s3
	v_add_co_u32_e64 v8, s[0:1], s2, v4
	v_addc_co_u32_e64 v9, s[0:1], v2, v5, s[0:1]
	global_load_ushort v4, v[6:7], off
	global_load_ushort v2, v[8:9], off
	v_or_b32_e32 v6, 0x100, v0
.LBB116_2:
	s_or_b64 exec, exec, s[4:5]
	v_cmp_gt_i32_e64 s[0:1], s7, v6
	v_mov_b32_e32 v5, 0
	s_and_saveexec_b64 s[4:5], s[0:1]
	s_cbranch_execz .LBB116_4
; %bb.3:
	v_add_u32_e32 v7, s6, v6
	v_mov_b32_e32 v8, 0
	v_lshlrev_b64 v[7:8], 1, v[7:8]
	v_mov_b32_e32 v3, s11
	v_add_co_u32_e64 v9, s[0:1], s10, v7
	v_addc_co_u32_e64 v10, s[0:1], v3, v8, s[0:1]
	v_mov_b32_e32 v3, s3
	v_add_co_u32_e64 v7, s[0:1], s2, v7
	v_addc_co_u32_e64 v8, s[0:1], v3, v8, s[0:1]
	global_load_ushort v3, v[9:10], off
	global_load_ushort v5, v[7:8], off
	v_add_u32_e32 v6, 0x100, v6
.LBB116_4:
	s_or_b64 exec, exec, s[4:5]
	v_cmp_gt_i32_e64 s[0:1], s7, v6
	v_mov_b32_e32 v8, 0
	v_mov_b32_e32 v7, 0
	;; [unrolled: 1-line block ×3, first 2 shown]
	s_and_saveexec_b64 s[4:5], s[0:1]
	s_cbranch_execz .LBB116_6
; %bb.5:
	v_add_u32_e32 v8, s6, v6
	v_mov_b32_e32 v9, 0
	v_lshlrev_b64 v[8:9], 1, v[8:9]
	v_mov_b32_e32 v11, s11
	v_add_co_u32_e64 v10, s[0:1], s10, v8
	v_addc_co_u32_e64 v11, s[0:1], v11, v9, s[0:1]
	v_mov_b32_e32 v13, s3
	v_add_co_u32_e64 v12, s[0:1], s2, v8
	v_addc_co_u32_e64 v13, s[0:1], v13, v9, s[0:1]
	global_load_ushort v9, v[10:11], off
	global_load_ushort v8, v[12:13], off
	v_add_u32_e32 v6, 0x100, v6
.LBB116_6:
	s_or_b64 exec, exec, s[4:5]
	v_cmp_gt_i32_e64 s[0:1], s7, v6
	v_mov_b32_e32 v10, 0
	s_and_saveexec_b64 s[4:5], s[0:1]
	s_cbranch_execz .LBB116_8
; %bb.7:
	v_add_u32_e32 v6, s6, v6
	v_mov_b32_e32 v7, 0
	v_lshlrev_b64 v[6:7], 1, v[6:7]
	v_mov_b32_e32 v10, s11
	v_add_co_u32_e64 v11, s[0:1], s10, v6
	v_addc_co_u32_e64 v12, s[0:1], v10, v7, s[0:1]
	v_mov_b32_e32 v10, s3
	v_add_co_u32_e64 v13, s[0:1], s2, v6
	v_addc_co_u32_e64 v14, s[0:1], v10, v7, s[0:1]
	global_load_ushort v7, v[11:12], off
	global_load_ushort v10, v[13:14], off
.LBB116_8:
	s_or_b64 exec, exec, s[4:5]
	s_waitcnt vmcnt(0)
	v_lshlrev_b32_sdwa v4, v2, v4 dst_sel:DWORD dst_unused:UNUSED_PAD src0_sel:WORD_0 src1_sel:DWORD
	v_cmp_gt_u16_e64 s[0:1], 16, v2
	v_cndmask_b32_e64 v4, 0, v4, s[0:1]
	v_mov_b32_e32 v2, 0
	v_lshlrev_b32_sdwa v3, v5, v3 dst_sel:DWORD dst_unused:UNUSED_PAD src0_sel:WORD_0 src1_sel:DWORD
	v_cmp_gt_u16_e64 s[0:1], 16, v5
	v_cndmask_b32_sdwa v4, v2, v4, vcc dst_sel:DWORD dst_unused:UNUSED_PAD src0_sel:DWORD src1_sel:WORD_0
	v_or_b32_e32 v6, 0x100, v0
	v_cndmask_b32_e64 v3, 0, v3, s[0:1]
	s_mov_b32 s2, 0x5040100
	v_perm_b32 v3, v3, v4, s2
	v_cmp_gt_i32_e64 s[0:1], s7, v6
	v_cndmask_b32_e64 v4, v4, v3, s[0:1]
	v_lshlrev_b32_sdwa v5, v8, v9 dst_sel:DWORD dst_unused:UNUSED_PAD src0_sel:WORD_0 src1_sel:DWORD
	v_cmp_gt_u16_e64 s[0:1], 16, v8
	v_or_b32_e32 v3, 0x200, v0
	v_cndmask_b32_e64 v5, 0, v5, s[0:1]
	v_and_b32_e32 v5, 0xffff, v5
	v_cmp_gt_i32_e64 s[0:1], s7, v3
	v_cndmask_b32_e64 v3, 0, v5, s[0:1]
	v_lshlrev_b32_sdwa v7, v10, v7 dst_sel:DWORD dst_unused:UNUSED_PAD src0_sel:WORD_0 src1_sel:DWORD
	v_cmp_gt_u16_e64 s[0:1], 16, v10
	v_or_b32_e32 v5, 0x300, v0
	v_cndmask_b32_e64 v7, 0, v7, s[0:1]
	v_perm_b32 v7, v7, v3, s2
	v_cmp_gt_i32_e64 s[0:1], s7, v5
	v_cndmask_b32_e64 v3, v3, v7, s[0:1]
	s_and_saveexec_b64 s[0:1], vcc
	s_cbranch_execnz .LBB116_13
; %bb.9:
	s_or_b64 exec, exec, s[0:1]
	v_cmp_gt_i32_e32 vcc, s7, v0
	s_and_saveexec_b64 s[0:1], vcc
	s_cbranch_execnz .LBB116_14
.LBB116_10:
	s_or_b64 exec, exec, s[0:1]
	v_cmp_gt_i32_e32 vcc, s7, v0
	s_and_saveexec_b64 s[0:1], vcc
	s_cbranch_execnz .LBB116_15
.LBB116_11:
	s_or_b64 exec, exec, s[0:1]
	v_cmp_gt_i32_e32 vcc, s7, v0
	s_and_saveexec_b64 s[0:1], vcc
	s_cbranch_execnz .LBB116_16
.LBB116_12:
	s_endpgm
.LBB116_13:
	v_lshlrev_b64 v[0:1], 1, v[1:2]
	v_mov_b32_e32 v2, s9
	v_add_co_u32_e32 v0, vcc, s8, v0
	v_addc_co_u32_e32 v1, vcc, v2, v1, vcc
	global_store_short v[0:1], v4, off
	v_mov_b32_e32 v0, v6
	s_or_b64 exec, exec, s[0:1]
	v_cmp_gt_i32_e32 vcc, s7, v0
	s_and_saveexec_b64 s[0:1], vcc
	s_cbranch_execz .LBB116_10
.LBB116_14:
	v_add_u32_e32 v2, 0x100, v0
	v_add_u32_e32 v0, s6, v0
	v_mov_b32_e32 v1, 0
	v_lshlrev_b64 v[0:1], 1, v[0:1]
	v_mov_b32_e32 v5, s9
	v_add_co_u32_e32 v0, vcc, s8, v0
	v_addc_co_u32_e32 v1, vcc, v5, v1, vcc
	global_store_short_d16_hi v[0:1], v4, off
	v_mov_b32_e32 v0, v2
	s_or_b64 exec, exec, s[0:1]
	v_cmp_gt_i32_e32 vcc, s7, v0
	s_and_saveexec_b64 s[0:1], vcc
	s_cbranch_execz .LBB116_11
.LBB116_15:
	v_add_u32_e32 v2, 0x100, v0
	v_add_u32_e32 v0, s6, v0
	v_mov_b32_e32 v1, 0
	v_lshlrev_b64 v[0:1], 1, v[0:1]
	v_mov_b32_e32 v4, s9
	v_add_co_u32_e32 v0, vcc, s8, v0
	v_addc_co_u32_e32 v1, vcc, v4, v1, vcc
	global_store_short v[0:1], v3, off
	v_mov_b32_e32 v0, v2
	s_or_b64 exec, exec, s[0:1]
	v_cmp_gt_i32_e32 vcc, s7, v0
	s_and_saveexec_b64 s[0:1], vcc
	s_cbranch_execz .LBB116_12
.LBB116_16:
	v_add_u32_e32 v0, s6, v0
	v_mov_b32_e32 v1, 0
	v_lshlrev_b64 v[0:1], 1, v[0:1]
	v_mov_b32_e32 v2, s9
	v_add_co_u32_e32 v0, vcc, s8, v0
	v_addc_co_u32_e32 v1, vcc, v2, v1, vcc
	global_store_short_d16_hi v[0:1], v3, off
	s_endpgm
	.section	.rodata,"a",@progbits
	.p2align	6, 0x0
	.amdhsa_kernel _ZN2at6native27unrolled_elementwise_kernelINS0_13BinaryFunctorIsssZZZNS0_18lshift_kernel_cudaERNS_18TensorIteratorBaseEENKUlvE_clEvENKUlvE3_clEvEUlssE_EESt5arrayIPcLm3EELi4E23TrivialOffsetCalculatorILi2EjESC_ILi1EjENS0_6memory15LoadWithoutCastENSF_16StoreWithoutCastEEEviT_T0_T2_T3_T4_T5_
		.amdhsa_group_segment_fixed_size 0
		.amdhsa_private_segment_fixed_size 0
		.amdhsa_kernarg_size 36
		.amdhsa_user_sgpr_count 6
		.amdhsa_user_sgpr_private_segment_buffer 1
		.amdhsa_user_sgpr_dispatch_ptr 0
		.amdhsa_user_sgpr_queue_ptr 0
		.amdhsa_user_sgpr_kernarg_segment_ptr 1
		.amdhsa_user_sgpr_dispatch_id 0
		.amdhsa_user_sgpr_flat_scratch_init 0
		.amdhsa_user_sgpr_private_segment_size 0
		.amdhsa_uses_dynamic_stack 0
		.amdhsa_system_sgpr_private_segment_wavefront_offset 0
		.amdhsa_system_sgpr_workgroup_id_x 1
		.amdhsa_system_sgpr_workgroup_id_y 0
		.amdhsa_system_sgpr_workgroup_id_z 0
		.amdhsa_system_sgpr_workgroup_info 0
		.amdhsa_system_vgpr_workitem_id 0
		.amdhsa_next_free_vgpr 15
		.amdhsa_next_free_sgpr 12
		.amdhsa_reserve_vcc 1
		.amdhsa_reserve_flat_scratch 0
		.amdhsa_float_round_mode_32 0
		.amdhsa_float_round_mode_16_64 0
		.amdhsa_float_denorm_mode_32 3
		.amdhsa_float_denorm_mode_16_64 3
		.amdhsa_dx10_clamp 1
		.amdhsa_ieee_mode 1
		.amdhsa_fp16_overflow 0
		.amdhsa_exception_fp_ieee_invalid_op 0
		.amdhsa_exception_fp_denorm_src 0
		.amdhsa_exception_fp_ieee_div_zero 0
		.amdhsa_exception_fp_ieee_overflow 0
		.amdhsa_exception_fp_ieee_underflow 0
		.amdhsa_exception_fp_ieee_inexact 0
		.amdhsa_exception_int_div_zero 0
	.end_amdhsa_kernel
	.section	.text._ZN2at6native27unrolled_elementwise_kernelINS0_13BinaryFunctorIsssZZZNS0_18lshift_kernel_cudaERNS_18TensorIteratorBaseEENKUlvE_clEvENKUlvE3_clEvEUlssE_EESt5arrayIPcLm3EELi4E23TrivialOffsetCalculatorILi2EjESC_ILi1EjENS0_6memory15LoadWithoutCastENSF_16StoreWithoutCastEEEviT_T0_T2_T3_T4_T5_,"axG",@progbits,_ZN2at6native27unrolled_elementwise_kernelINS0_13BinaryFunctorIsssZZZNS0_18lshift_kernel_cudaERNS_18TensorIteratorBaseEENKUlvE_clEvENKUlvE3_clEvEUlssE_EESt5arrayIPcLm3EELi4E23TrivialOffsetCalculatorILi2EjESC_ILi1EjENS0_6memory15LoadWithoutCastENSF_16StoreWithoutCastEEEviT_T0_T2_T3_T4_T5_,comdat
.Lfunc_end116:
	.size	_ZN2at6native27unrolled_elementwise_kernelINS0_13BinaryFunctorIsssZZZNS0_18lshift_kernel_cudaERNS_18TensorIteratorBaseEENKUlvE_clEvENKUlvE3_clEvEUlssE_EESt5arrayIPcLm3EELi4E23TrivialOffsetCalculatorILi2EjESC_ILi1EjENS0_6memory15LoadWithoutCastENSF_16StoreWithoutCastEEEviT_T0_T2_T3_T4_T5_, .Lfunc_end116-_ZN2at6native27unrolled_elementwise_kernelINS0_13BinaryFunctorIsssZZZNS0_18lshift_kernel_cudaERNS_18TensorIteratorBaseEENKUlvE_clEvENKUlvE3_clEvEUlssE_EESt5arrayIPcLm3EELi4E23TrivialOffsetCalculatorILi2EjESC_ILi1EjENS0_6memory15LoadWithoutCastENSF_16StoreWithoutCastEEEviT_T0_T2_T3_T4_T5_
                                        ; -- End function
	.set _ZN2at6native27unrolled_elementwise_kernelINS0_13BinaryFunctorIsssZZZNS0_18lshift_kernel_cudaERNS_18TensorIteratorBaseEENKUlvE_clEvENKUlvE3_clEvEUlssE_EESt5arrayIPcLm3EELi4E23TrivialOffsetCalculatorILi2EjESC_ILi1EjENS0_6memory15LoadWithoutCastENSF_16StoreWithoutCastEEEviT_T0_T2_T3_T4_T5_.num_vgpr, 15
	.set _ZN2at6native27unrolled_elementwise_kernelINS0_13BinaryFunctorIsssZZZNS0_18lshift_kernel_cudaERNS_18TensorIteratorBaseEENKUlvE_clEvENKUlvE3_clEvEUlssE_EESt5arrayIPcLm3EELi4E23TrivialOffsetCalculatorILi2EjESC_ILi1EjENS0_6memory15LoadWithoutCastENSF_16StoreWithoutCastEEEviT_T0_T2_T3_T4_T5_.num_agpr, 0
	.set _ZN2at6native27unrolled_elementwise_kernelINS0_13BinaryFunctorIsssZZZNS0_18lshift_kernel_cudaERNS_18TensorIteratorBaseEENKUlvE_clEvENKUlvE3_clEvEUlssE_EESt5arrayIPcLm3EELi4E23TrivialOffsetCalculatorILi2EjESC_ILi1EjENS0_6memory15LoadWithoutCastENSF_16StoreWithoutCastEEEviT_T0_T2_T3_T4_T5_.numbered_sgpr, 12
	.set _ZN2at6native27unrolled_elementwise_kernelINS0_13BinaryFunctorIsssZZZNS0_18lshift_kernel_cudaERNS_18TensorIteratorBaseEENKUlvE_clEvENKUlvE3_clEvEUlssE_EESt5arrayIPcLm3EELi4E23TrivialOffsetCalculatorILi2EjESC_ILi1EjENS0_6memory15LoadWithoutCastENSF_16StoreWithoutCastEEEviT_T0_T2_T3_T4_T5_.num_named_barrier, 0
	.set _ZN2at6native27unrolled_elementwise_kernelINS0_13BinaryFunctorIsssZZZNS0_18lshift_kernel_cudaERNS_18TensorIteratorBaseEENKUlvE_clEvENKUlvE3_clEvEUlssE_EESt5arrayIPcLm3EELi4E23TrivialOffsetCalculatorILi2EjESC_ILi1EjENS0_6memory15LoadWithoutCastENSF_16StoreWithoutCastEEEviT_T0_T2_T3_T4_T5_.private_seg_size, 0
	.set _ZN2at6native27unrolled_elementwise_kernelINS0_13BinaryFunctorIsssZZZNS0_18lshift_kernel_cudaERNS_18TensorIteratorBaseEENKUlvE_clEvENKUlvE3_clEvEUlssE_EESt5arrayIPcLm3EELi4E23TrivialOffsetCalculatorILi2EjESC_ILi1EjENS0_6memory15LoadWithoutCastENSF_16StoreWithoutCastEEEviT_T0_T2_T3_T4_T5_.uses_vcc, 1
	.set _ZN2at6native27unrolled_elementwise_kernelINS0_13BinaryFunctorIsssZZZNS0_18lshift_kernel_cudaERNS_18TensorIteratorBaseEENKUlvE_clEvENKUlvE3_clEvEUlssE_EESt5arrayIPcLm3EELi4E23TrivialOffsetCalculatorILi2EjESC_ILi1EjENS0_6memory15LoadWithoutCastENSF_16StoreWithoutCastEEEviT_T0_T2_T3_T4_T5_.uses_flat_scratch, 0
	.set _ZN2at6native27unrolled_elementwise_kernelINS0_13BinaryFunctorIsssZZZNS0_18lshift_kernel_cudaERNS_18TensorIteratorBaseEENKUlvE_clEvENKUlvE3_clEvEUlssE_EESt5arrayIPcLm3EELi4E23TrivialOffsetCalculatorILi2EjESC_ILi1EjENS0_6memory15LoadWithoutCastENSF_16StoreWithoutCastEEEviT_T0_T2_T3_T4_T5_.has_dyn_sized_stack, 0
	.set _ZN2at6native27unrolled_elementwise_kernelINS0_13BinaryFunctorIsssZZZNS0_18lshift_kernel_cudaERNS_18TensorIteratorBaseEENKUlvE_clEvENKUlvE3_clEvEUlssE_EESt5arrayIPcLm3EELi4E23TrivialOffsetCalculatorILi2EjESC_ILi1EjENS0_6memory15LoadWithoutCastENSF_16StoreWithoutCastEEEviT_T0_T2_T3_T4_T5_.has_recursion, 0
	.set _ZN2at6native27unrolled_elementwise_kernelINS0_13BinaryFunctorIsssZZZNS0_18lshift_kernel_cudaERNS_18TensorIteratorBaseEENKUlvE_clEvENKUlvE3_clEvEUlssE_EESt5arrayIPcLm3EELi4E23TrivialOffsetCalculatorILi2EjESC_ILi1EjENS0_6memory15LoadWithoutCastENSF_16StoreWithoutCastEEEviT_T0_T2_T3_T4_T5_.has_indirect_call, 0
	.section	.AMDGPU.csdata,"",@progbits
; Kernel info:
; codeLenInByte = 952
; TotalNumSgprs: 16
; NumVgprs: 15
; ScratchSize: 0
; MemoryBound: 0
; FloatMode: 240
; IeeeMode: 1
; LDSByteSize: 0 bytes/workgroup (compile time only)
; SGPRBlocks: 1
; VGPRBlocks: 3
; NumSGPRsForWavesPerEU: 16
; NumVGPRsForWavesPerEU: 15
; Occupancy: 10
; WaveLimiterHint : 0
; COMPUTE_PGM_RSRC2:SCRATCH_EN: 0
; COMPUTE_PGM_RSRC2:USER_SGPR: 6
; COMPUTE_PGM_RSRC2:TRAP_HANDLER: 0
; COMPUTE_PGM_RSRC2:TGID_X_EN: 1
; COMPUTE_PGM_RSRC2:TGID_Y_EN: 0
; COMPUTE_PGM_RSRC2:TGID_Z_EN: 0
; COMPUTE_PGM_RSRC2:TIDIG_COMP_CNT: 0
	.section	.text._ZN2at6native32elementwise_kernel_manual_unrollILi128ELi8EZNS0_22gpu_kernel_impl_nocastINS0_13BinaryFunctorIsssZZZNS0_18lshift_kernel_cudaERNS_18TensorIteratorBaseEENKUlvE_clEvENKUlvE3_clEvEUlssE_EEEEvS5_RKT_EUlibE_EEviT1_,"axG",@progbits,_ZN2at6native32elementwise_kernel_manual_unrollILi128ELi8EZNS0_22gpu_kernel_impl_nocastINS0_13BinaryFunctorIsssZZZNS0_18lshift_kernel_cudaERNS_18TensorIteratorBaseEENKUlvE_clEvENKUlvE3_clEvEUlssE_EEEEvS5_RKT_EUlibE_EEviT1_,comdat
	.globl	_ZN2at6native32elementwise_kernel_manual_unrollILi128ELi8EZNS0_22gpu_kernel_impl_nocastINS0_13BinaryFunctorIsssZZZNS0_18lshift_kernel_cudaERNS_18TensorIteratorBaseEENKUlvE_clEvENKUlvE3_clEvEUlssE_EEEEvS5_RKT_EUlibE_EEviT1_ ; -- Begin function _ZN2at6native32elementwise_kernel_manual_unrollILi128ELi8EZNS0_22gpu_kernel_impl_nocastINS0_13BinaryFunctorIsssZZZNS0_18lshift_kernel_cudaERNS_18TensorIteratorBaseEENKUlvE_clEvENKUlvE3_clEvEUlssE_EEEEvS5_RKT_EUlibE_EEviT1_
	.p2align	8
	.type	_ZN2at6native32elementwise_kernel_manual_unrollILi128ELi8EZNS0_22gpu_kernel_impl_nocastINS0_13BinaryFunctorIsssZZZNS0_18lshift_kernel_cudaERNS_18TensorIteratorBaseEENKUlvE_clEvENKUlvE3_clEvEUlssE_EEEEvS5_RKT_EUlibE_EEviT1_,@function
_ZN2at6native32elementwise_kernel_manual_unrollILi128ELi8EZNS0_22gpu_kernel_impl_nocastINS0_13BinaryFunctorIsssZZZNS0_18lshift_kernel_cudaERNS_18TensorIteratorBaseEENKUlvE_clEvENKUlvE3_clEvEUlssE_EEEEvS5_RKT_EUlibE_EEviT1_: ; @_ZN2at6native32elementwise_kernel_manual_unrollILi128ELi8EZNS0_22gpu_kernel_impl_nocastINS0_13BinaryFunctorIsssZZZNS0_18lshift_kernel_cudaERNS_18TensorIteratorBaseEENKUlvE_clEvENKUlvE3_clEvEUlssE_EEEEvS5_RKT_EUlibE_EEviT1_
; %bb.0:
	s_load_dword s36, s[4:5], 0x0
	s_load_dword s33, s[4:5], 0x8
	s_add_u32 s12, s4, 8
	s_addc_u32 s13, s5, 0
	v_lshl_or_b32 v31, s6, 10, v0
	v_or_b32_e32 v41, 0x380, v31
	s_waitcnt lgkmcnt(0)
	s_add_i32 s34, s33, -1
	s_cmp_gt_u32 s34, 1
	v_cmp_le_i32_e32 vcc, s36, v41
	s_cselect_b64 s[14:15], -1, 0
	s_and_saveexec_b64 s[0:1], vcc
	s_xor_b64 s[16:17], exec, s[0:1]
	s_cbranch_execz .LBB117_106
; %bb.1:
	s_load_dwordx4 s[8:11], s[12:13], 0x4
	s_load_dwordx2 s[22:23], s[12:13], 0x14
	s_load_dwordx4 s[4:7], s[12:13], 0xc4
	s_load_dwordx2 s[20:21], s[12:13], 0xd4
	s_load_dwordx2 s[18:19], s[12:13], 0x198
	s_load_dwordx4 s[0:3], s[12:13], 0x188
	s_cmp_lg_u32 s33, 0
	s_cselect_b64 s[26:27], -1, 0
	s_min_u32 s35, s34, 15
	s_cmp_gt_u32 s33, 1
	s_cselect_b64 s[24:25], -1, 0
	v_cmp_gt_i32_e32 vcc, s36, v31
	s_and_saveexec_b64 s[28:29], vcc
	s_cbranch_execnz .LBB117_9
; %bb.2:
	s_or_b64 exec, exec, s[28:29]
	v_cmp_gt_i32_e32 vcc, s36, v31
	s_and_saveexec_b64 s[28:29], vcc
	s_cbranch_execnz .LBB117_21
.LBB117_3:
	s_or_b64 exec, exec, s[28:29]
	v_cmp_gt_i32_e32 vcc, s36, v31
	s_and_saveexec_b64 s[28:29], vcc
	s_cbranch_execnz .LBB117_33
.LBB117_4:
	s_or_b64 exec, exec, s[28:29]
	v_cmp_gt_i32_e32 vcc, s36, v31
	s_and_saveexec_b64 s[28:29], vcc
	s_cbranch_execnz .LBB117_45
.LBB117_5:
	s_or_b64 exec, exec, s[28:29]
	v_cmp_gt_i32_e32 vcc, s36, v31
	s_and_saveexec_b64 s[28:29], vcc
	s_cbranch_execnz .LBB117_57
.LBB117_6:
	s_or_b64 exec, exec, s[28:29]
	v_cmp_gt_i32_e32 vcc, s36, v31
	s_and_saveexec_b64 s[28:29], vcc
	s_cbranch_execnz .LBB117_69
.LBB117_7:
	s_or_b64 exec, exec, s[28:29]
	v_cmp_gt_i32_e32 vcc, s36, v31
	s_and_saveexec_b64 s[28:29], vcc
	s_cbranch_execnz .LBB117_81
.LBB117_8:
	s_or_b64 exec, exec, s[28:29]
	v_cmp_gt_i32_e32 vcc, s36, v31
	s_and_saveexec_b64 s[28:29], vcc
	s_cbranch_execnz .LBB117_93
	s_branch .LBB117_105
.LBB117_9:
	s_andn2_b64 vcc, exec, s[14:15]
	s_cbranch_vccnz .LBB117_15
; %bb.10:
	s_andn2_b64 vcc, exec, s[26:27]
	s_cbranch_vccnz .LBB117_16
; %bb.11:
	s_add_i32 s30, s35, 1
	s_and_b32 s37, s30, 30
	s_add_u32 s30, s12, 0xffffffe8
	s_addc_u32 s31, s13, -1
	v_mov_b32_e32 v2, 0
	v_mov_b32_e32 v4, 0
	;; [unrolled: 1-line block ×4, first 2 shown]
.LBB117_12:                             ; =>This Inner Loop Header: Depth=1
	s_load_dwordx4 s[40:43], s[30:31], 0x1c
	s_load_dwordx2 s[38:39], s[30:31], 0x2c
	s_load_dwordx2 s[48:49], s[30:31], 0xec
	s_load_dwordx4 s[44:47], s[30:31], 0xdc
	s_add_u32 s30, s30, 24
	s_waitcnt lgkmcnt(0)
	v_mul_hi_u32 v3, s41, v1
	s_addc_u32 s31, s31, 0
	s_add_i32 s37, s37, -2
	s_cmp_lg_u32 s37, 0
	v_add_u32_e32 v3, v1, v3
	v_lshrrev_b32_e32 v3, s42, v3
	v_mul_lo_u32 v5, v3, s40
	v_mul_hi_u32 v6, s38, v3
	v_sub_u32_e32 v5, v1, v5
	v_add_u32_e32 v1, v3, v6
	v_lshrrev_b32_e32 v1, s39, v1
	v_mul_lo_u32 v8, v1, s43
	v_mul_lo_u32 v6, v5, s44
	;; [unrolled: 1-line block ×4, first 2 shown]
	v_sub_u32_e32 v3, v3, v8
	v_mul_lo_u32 v8, v3, s47
	v_mul_lo_u32 v9, v3, s48
	v_mul_lo_u32 v3, v3, s49
	v_add3_u32 v0, v6, v0, v8
	v_add3_u32 v4, v7, v4, v9
	;; [unrolled: 1-line block ×3, first 2 shown]
	s_cbranch_scc1 .LBB117_12
; %bb.13:
	s_bitcmp1_b32 s35, 0
	s_cselect_b64 s[38:39], -1, 0
	s_and_b64 vcc, exec, s[38:39]
	s_cbranch_vccnz .LBB117_17
; %bb.14:
	s_load_dwordx2 s[38:39], s[30:31], 0x1c
	s_load_dword s37, s[30:31], 0x24
	s_load_dwordx2 s[40:41], s[30:31], 0xdc
	s_waitcnt lgkmcnt(0)
	v_mul_hi_u32 v3, s39, v1
	v_add_u32_e32 v3, v1, v3
	v_lshrrev_b32_e32 v3, s37, v3
	v_mul_lo_u32 v3, v3, s38
	s_load_dword s37, s[30:31], 0xe4
	v_sub_u32_e32 v3, v1, v3
	v_mad_u64_u32 v[0:1], s[30:31], v3, s40, v[0:1]
	v_mad_u64_u32 v[4:5], s[30:31], v3, s41, v[4:5]
	s_waitcnt lgkmcnt(0)
	v_mad_u64_u32 v[2:3], s[30:31], v3, s37, v[2:3]
	s_cbranch_execz .LBB117_18
	s_branch .LBB117_20
.LBB117_15:
                                        ; implicit-def: $vgpr0
                                        ; implicit-def: $vgpr4
                                        ; implicit-def: $vgpr2
	s_branch .LBB117_18
.LBB117_16:
	v_mov_b32_e32 v0, 0
	v_mov_b32_e32 v4, 0
	;; [unrolled: 1-line block ×3, first 2 shown]
.LBB117_17:
	s_cbranch_execnz .LBB117_20
.LBB117_18:
	s_waitcnt lgkmcnt(0)
	v_mul_hi_u32 v0, s9, v31
	s_andn2_b64 vcc, exec, s[24:25]
	v_add_u32_e32 v0, v31, v0
	v_lshrrev_b32_e32 v1, s10, v0
	v_mul_lo_u32 v0, v1, s8
	v_sub_u32_e32 v2, v31, v0
	v_mul_lo_u32 v0, v2, s4
	v_mul_lo_u32 v4, v2, s5
	;; [unrolled: 1-line block ×3, first 2 shown]
	s_cbranch_vccnz .LBB117_20
; %bb.19:
	v_mul_hi_u32 v3, s22, v1
	v_add_u32_e32 v3, v1, v3
	v_lshrrev_b32_e32 v3, s23, v3
	v_mul_lo_u32 v3, v3, s11
	v_sub_u32_e32 v3, v1, v3
	v_mad_u64_u32 v[0:1], s[30:31], v3, s7, v[0:1]
	v_mad_u64_u32 v[4:5], s[30:31], v3, s20, v[4:5]
	v_mad_u64_u32 v[2:3], s[30:31], v3, s21, v[2:3]
.LBB117_20:
	s_waitcnt lgkmcnt(0)
	global_load_ushort v1, v2, s[18:19]
	global_load_ushort v3, v4, s[2:3]
	v_add_u32_e32 v31, 0x80, v31
	s_waitcnt vmcnt(1)
	v_cmp_gt_u32_e32 vcc, 16, v1
	s_waitcnt vmcnt(0)
	v_lshlrev_b32_e32 v2, v1, v3
	v_cndmask_b32_e32 v1, 0, v2, vcc
	global_store_short v0, v1, s[0:1]
	s_or_b64 exec, exec, s[28:29]
	v_cmp_gt_i32_e32 vcc, s36, v31
	s_and_saveexec_b64 s[28:29], vcc
	s_cbranch_execz .LBB117_3
.LBB117_21:
	s_andn2_b64 vcc, exec, s[14:15]
	s_cbranch_vccnz .LBB117_27
; %bb.22:
	s_andn2_b64 vcc, exec, s[26:27]
	s_cbranch_vccnz .LBB117_28
; %bb.23:
	s_add_i32 s30, s35, 1
	s_and_b32 s37, s30, 30
	s_add_u32 s30, s12, 0xffffffe8
	s_addc_u32 s31, s13, -1
	v_mov_b32_e32 v2, 0
	v_mov_b32_e32 v4, 0
	;; [unrolled: 1-line block ×4, first 2 shown]
.LBB117_24:                             ; =>This Inner Loop Header: Depth=1
	s_load_dwordx4 s[40:43], s[30:31], 0x1c
	s_load_dwordx2 s[38:39], s[30:31], 0x2c
	s_load_dwordx2 s[48:49], s[30:31], 0xec
	s_load_dwordx4 s[44:47], s[30:31], 0xdc
	s_add_u32 s30, s30, 24
	s_waitcnt lgkmcnt(0)
	v_mul_hi_u32 v3, s41, v1
	s_addc_u32 s31, s31, 0
	s_add_i32 s37, s37, -2
	s_cmp_eq_u32 s37, 0
	v_add_u32_e32 v3, v1, v3
	v_lshrrev_b32_e32 v3, s42, v3
	v_mul_lo_u32 v5, v3, s40
	v_mul_hi_u32 v6, s38, v3
	v_sub_u32_e32 v5, v1, v5
	v_add_u32_e32 v1, v3, v6
	v_lshrrev_b32_e32 v1, s39, v1
	v_mul_lo_u32 v8, v1, s43
	v_mul_lo_u32 v6, v5, s44
	;; [unrolled: 1-line block ×4, first 2 shown]
	v_sub_u32_e32 v3, v3, v8
	v_mul_lo_u32 v8, v3, s47
	v_mul_lo_u32 v9, v3, s48
	;; [unrolled: 1-line block ×3, first 2 shown]
	v_add3_u32 v0, v6, v0, v8
	v_add3_u32 v4, v7, v4, v9
	;; [unrolled: 1-line block ×3, first 2 shown]
	s_cbranch_scc0 .LBB117_24
; %bb.25:
	s_bitcmp1_b32 s35, 0
	s_cselect_b64 s[38:39], -1, 0
	s_and_b64 vcc, exec, s[38:39]
	s_cbranch_vccnz .LBB117_29
; %bb.26:
	s_load_dwordx2 s[38:39], s[30:31], 0x1c
	s_load_dword s37, s[30:31], 0x24
	s_load_dwordx2 s[40:41], s[30:31], 0xdc
	s_waitcnt lgkmcnt(0)
	v_mul_hi_u32 v3, s39, v1
	v_add_u32_e32 v3, v1, v3
	v_lshrrev_b32_e32 v3, s37, v3
	v_mul_lo_u32 v3, v3, s38
	s_load_dword s37, s[30:31], 0xe4
	v_sub_u32_e32 v3, v1, v3
	v_mad_u64_u32 v[0:1], s[30:31], v3, s40, v[0:1]
	v_mad_u64_u32 v[4:5], s[30:31], v3, s41, v[4:5]
	s_waitcnt lgkmcnt(0)
	v_mad_u64_u32 v[2:3], s[30:31], v3, s37, v[2:3]
	s_branch .LBB117_29
.LBB117_27:
                                        ; implicit-def: $vgpr0
                                        ; implicit-def: $vgpr4
                                        ; implicit-def: $vgpr2
	s_branch .LBB117_30
.LBB117_28:
	v_mov_b32_e32 v0, 0
	v_mov_b32_e32 v4, 0
	;; [unrolled: 1-line block ×3, first 2 shown]
.LBB117_29:
	s_cbranch_execnz .LBB117_32
.LBB117_30:
	s_waitcnt lgkmcnt(0)
	v_mul_hi_u32 v0, s9, v31
	s_andn2_b64 vcc, exec, s[24:25]
	v_add_u32_e32 v0, v31, v0
	v_lshrrev_b32_e32 v1, s10, v0
	v_mul_lo_u32 v0, v1, s8
	v_sub_u32_e32 v2, v31, v0
	v_mul_lo_u32 v0, v2, s4
	v_mul_lo_u32 v4, v2, s5
	;; [unrolled: 1-line block ×3, first 2 shown]
	s_cbranch_vccnz .LBB117_32
; %bb.31:
	v_mul_hi_u32 v3, s22, v1
	v_add_u32_e32 v3, v1, v3
	v_lshrrev_b32_e32 v3, s23, v3
	v_mul_lo_u32 v3, v3, s11
	v_sub_u32_e32 v3, v1, v3
	v_mad_u64_u32 v[0:1], s[30:31], v3, s7, v[0:1]
	v_mad_u64_u32 v[4:5], s[30:31], v3, s20, v[4:5]
	;; [unrolled: 1-line block ×3, first 2 shown]
.LBB117_32:
	s_waitcnt lgkmcnt(0)
	global_load_ushort v1, v2, s[18:19]
	global_load_ushort v3, v4, s[2:3]
	v_add_u32_e32 v31, 0x80, v31
	s_waitcnt vmcnt(1)
	v_cmp_gt_u32_e32 vcc, 16, v1
	s_waitcnt vmcnt(0)
	v_lshlrev_b32_e32 v2, v1, v3
	v_cndmask_b32_e32 v1, 0, v2, vcc
	global_store_short v0, v1, s[0:1]
	s_or_b64 exec, exec, s[28:29]
	v_cmp_gt_i32_e32 vcc, s36, v31
	s_and_saveexec_b64 s[28:29], vcc
	s_cbranch_execz .LBB117_4
.LBB117_33:
	s_andn2_b64 vcc, exec, s[14:15]
	s_cbranch_vccnz .LBB117_39
; %bb.34:
	s_andn2_b64 vcc, exec, s[26:27]
	s_cbranch_vccnz .LBB117_40
; %bb.35:
	s_add_i32 s30, s35, 1
	s_and_b32 s37, s30, 30
	s_add_u32 s30, s12, 0xffffffe8
	s_addc_u32 s31, s13, -1
	v_mov_b32_e32 v2, 0
	v_mov_b32_e32 v4, 0
	;; [unrolled: 1-line block ×4, first 2 shown]
.LBB117_36:                             ; =>This Inner Loop Header: Depth=1
	s_load_dwordx4 s[40:43], s[30:31], 0x1c
	s_load_dwordx2 s[38:39], s[30:31], 0x2c
	s_load_dwordx2 s[48:49], s[30:31], 0xec
	s_load_dwordx4 s[44:47], s[30:31], 0xdc
	s_add_u32 s30, s30, 24
	s_waitcnt lgkmcnt(0)
	v_mul_hi_u32 v3, s41, v1
	s_addc_u32 s31, s31, 0
	s_add_i32 s37, s37, -2
	s_cmp_eq_u32 s37, 0
	v_add_u32_e32 v3, v1, v3
	v_lshrrev_b32_e32 v3, s42, v3
	v_mul_lo_u32 v5, v3, s40
	v_mul_hi_u32 v6, s38, v3
	v_sub_u32_e32 v5, v1, v5
	v_add_u32_e32 v1, v3, v6
	v_lshrrev_b32_e32 v1, s39, v1
	v_mul_lo_u32 v8, v1, s43
	v_mul_lo_u32 v6, v5, s44
	;; [unrolled: 1-line block ×4, first 2 shown]
	v_sub_u32_e32 v3, v3, v8
	v_mul_lo_u32 v8, v3, s47
	v_mul_lo_u32 v9, v3, s48
	;; [unrolled: 1-line block ×3, first 2 shown]
	v_add3_u32 v0, v6, v0, v8
	v_add3_u32 v4, v7, v4, v9
	;; [unrolled: 1-line block ×3, first 2 shown]
	s_cbranch_scc0 .LBB117_36
; %bb.37:
	s_bitcmp1_b32 s35, 0
	s_cselect_b64 s[38:39], -1, 0
	s_and_b64 vcc, exec, s[38:39]
	s_cbranch_vccnz .LBB117_41
; %bb.38:
	s_load_dwordx2 s[38:39], s[30:31], 0x1c
	s_load_dword s37, s[30:31], 0x24
	s_load_dwordx2 s[40:41], s[30:31], 0xdc
	s_waitcnt lgkmcnt(0)
	v_mul_hi_u32 v3, s39, v1
	v_add_u32_e32 v3, v1, v3
	v_lshrrev_b32_e32 v3, s37, v3
	v_mul_lo_u32 v3, v3, s38
	s_load_dword s37, s[30:31], 0xe4
	v_sub_u32_e32 v3, v1, v3
	v_mad_u64_u32 v[0:1], s[30:31], v3, s40, v[0:1]
	v_mad_u64_u32 v[4:5], s[30:31], v3, s41, v[4:5]
	s_waitcnt lgkmcnt(0)
	v_mad_u64_u32 v[2:3], s[30:31], v3, s37, v[2:3]
	s_branch .LBB117_41
.LBB117_39:
                                        ; implicit-def: $vgpr0
                                        ; implicit-def: $vgpr4
                                        ; implicit-def: $vgpr2
	s_branch .LBB117_42
.LBB117_40:
	v_mov_b32_e32 v0, 0
	v_mov_b32_e32 v4, 0
	;; [unrolled: 1-line block ×3, first 2 shown]
.LBB117_41:
	s_cbranch_execnz .LBB117_44
.LBB117_42:
	s_waitcnt lgkmcnt(0)
	v_mul_hi_u32 v0, s9, v31
	s_andn2_b64 vcc, exec, s[24:25]
	v_add_u32_e32 v0, v31, v0
	v_lshrrev_b32_e32 v1, s10, v0
	v_mul_lo_u32 v0, v1, s8
	v_sub_u32_e32 v2, v31, v0
	v_mul_lo_u32 v0, v2, s4
	v_mul_lo_u32 v4, v2, s5
	;; [unrolled: 1-line block ×3, first 2 shown]
	s_cbranch_vccnz .LBB117_44
; %bb.43:
	v_mul_hi_u32 v3, s22, v1
	v_add_u32_e32 v3, v1, v3
	v_lshrrev_b32_e32 v3, s23, v3
	v_mul_lo_u32 v3, v3, s11
	v_sub_u32_e32 v3, v1, v3
	v_mad_u64_u32 v[0:1], s[30:31], v3, s7, v[0:1]
	v_mad_u64_u32 v[4:5], s[30:31], v3, s20, v[4:5]
	;; [unrolled: 1-line block ×3, first 2 shown]
.LBB117_44:
	s_waitcnt lgkmcnt(0)
	global_load_ushort v1, v2, s[18:19]
	global_load_ushort v3, v4, s[2:3]
	v_add_u32_e32 v31, 0x80, v31
	s_waitcnt vmcnt(1)
	v_cmp_gt_u32_e32 vcc, 16, v1
	s_waitcnt vmcnt(0)
	v_lshlrev_b32_e32 v2, v1, v3
	v_cndmask_b32_e32 v1, 0, v2, vcc
	global_store_short v0, v1, s[0:1]
	s_or_b64 exec, exec, s[28:29]
	v_cmp_gt_i32_e32 vcc, s36, v31
	s_and_saveexec_b64 s[28:29], vcc
	s_cbranch_execz .LBB117_5
.LBB117_45:
	s_andn2_b64 vcc, exec, s[14:15]
	s_cbranch_vccnz .LBB117_51
; %bb.46:
	s_andn2_b64 vcc, exec, s[26:27]
	s_cbranch_vccnz .LBB117_52
; %bb.47:
	s_add_i32 s30, s35, 1
	s_and_b32 s37, s30, 30
	s_add_u32 s30, s12, 0xffffffe8
	s_addc_u32 s31, s13, -1
	v_mov_b32_e32 v2, 0
	v_mov_b32_e32 v4, 0
	;; [unrolled: 1-line block ×4, first 2 shown]
.LBB117_48:                             ; =>This Inner Loop Header: Depth=1
	s_load_dwordx4 s[40:43], s[30:31], 0x1c
	s_load_dwordx2 s[38:39], s[30:31], 0x2c
	s_load_dwordx2 s[48:49], s[30:31], 0xec
	s_load_dwordx4 s[44:47], s[30:31], 0xdc
	s_add_u32 s30, s30, 24
	s_waitcnt lgkmcnt(0)
	v_mul_hi_u32 v3, s41, v1
	s_addc_u32 s31, s31, 0
	s_add_i32 s37, s37, -2
	s_cmp_eq_u32 s37, 0
	v_add_u32_e32 v3, v1, v3
	v_lshrrev_b32_e32 v3, s42, v3
	v_mul_lo_u32 v5, v3, s40
	v_mul_hi_u32 v6, s38, v3
	v_sub_u32_e32 v5, v1, v5
	v_add_u32_e32 v1, v3, v6
	v_lshrrev_b32_e32 v1, s39, v1
	v_mul_lo_u32 v8, v1, s43
	v_mul_lo_u32 v6, v5, s44
	;; [unrolled: 1-line block ×4, first 2 shown]
	v_sub_u32_e32 v3, v3, v8
	v_mul_lo_u32 v8, v3, s47
	v_mul_lo_u32 v9, v3, s48
	;; [unrolled: 1-line block ×3, first 2 shown]
	v_add3_u32 v0, v6, v0, v8
	v_add3_u32 v4, v7, v4, v9
	;; [unrolled: 1-line block ×3, first 2 shown]
	s_cbranch_scc0 .LBB117_48
; %bb.49:
	s_bitcmp1_b32 s35, 0
	s_cselect_b64 s[38:39], -1, 0
	s_and_b64 vcc, exec, s[38:39]
	s_cbranch_vccnz .LBB117_53
; %bb.50:
	s_load_dwordx2 s[38:39], s[30:31], 0x1c
	s_load_dword s37, s[30:31], 0x24
	s_load_dwordx2 s[40:41], s[30:31], 0xdc
	s_waitcnt lgkmcnt(0)
	v_mul_hi_u32 v3, s39, v1
	v_add_u32_e32 v3, v1, v3
	v_lshrrev_b32_e32 v3, s37, v3
	v_mul_lo_u32 v3, v3, s38
	s_load_dword s37, s[30:31], 0xe4
	v_sub_u32_e32 v3, v1, v3
	v_mad_u64_u32 v[0:1], s[30:31], v3, s40, v[0:1]
	v_mad_u64_u32 v[4:5], s[30:31], v3, s41, v[4:5]
	s_waitcnt lgkmcnt(0)
	v_mad_u64_u32 v[2:3], s[30:31], v3, s37, v[2:3]
	s_branch .LBB117_53
.LBB117_51:
                                        ; implicit-def: $vgpr0
                                        ; implicit-def: $vgpr4
                                        ; implicit-def: $vgpr2
	s_branch .LBB117_54
.LBB117_52:
	v_mov_b32_e32 v0, 0
	v_mov_b32_e32 v4, 0
	;; [unrolled: 1-line block ×3, first 2 shown]
.LBB117_53:
	s_cbranch_execnz .LBB117_56
.LBB117_54:
	s_waitcnt lgkmcnt(0)
	v_mul_hi_u32 v0, s9, v31
	s_andn2_b64 vcc, exec, s[24:25]
	v_add_u32_e32 v0, v31, v0
	v_lshrrev_b32_e32 v1, s10, v0
	v_mul_lo_u32 v0, v1, s8
	v_sub_u32_e32 v2, v31, v0
	v_mul_lo_u32 v0, v2, s4
	v_mul_lo_u32 v4, v2, s5
	;; [unrolled: 1-line block ×3, first 2 shown]
	s_cbranch_vccnz .LBB117_56
; %bb.55:
	v_mul_hi_u32 v3, s22, v1
	v_add_u32_e32 v3, v1, v3
	v_lshrrev_b32_e32 v3, s23, v3
	v_mul_lo_u32 v3, v3, s11
	v_sub_u32_e32 v3, v1, v3
	v_mad_u64_u32 v[0:1], s[30:31], v3, s7, v[0:1]
	v_mad_u64_u32 v[4:5], s[30:31], v3, s20, v[4:5]
	;; [unrolled: 1-line block ×3, first 2 shown]
.LBB117_56:
	s_waitcnt lgkmcnt(0)
	global_load_ushort v1, v2, s[18:19]
	global_load_ushort v3, v4, s[2:3]
	v_add_u32_e32 v31, 0x80, v31
	s_waitcnt vmcnt(1)
	v_cmp_gt_u32_e32 vcc, 16, v1
	s_waitcnt vmcnt(0)
	v_lshlrev_b32_e32 v2, v1, v3
	v_cndmask_b32_e32 v1, 0, v2, vcc
	global_store_short v0, v1, s[0:1]
	s_or_b64 exec, exec, s[28:29]
	v_cmp_gt_i32_e32 vcc, s36, v31
	s_and_saveexec_b64 s[28:29], vcc
	s_cbranch_execz .LBB117_6
.LBB117_57:
	s_andn2_b64 vcc, exec, s[14:15]
	s_cbranch_vccnz .LBB117_63
; %bb.58:
	s_andn2_b64 vcc, exec, s[26:27]
	s_cbranch_vccnz .LBB117_64
; %bb.59:
	s_add_i32 s30, s35, 1
	s_and_b32 s37, s30, 30
	s_add_u32 s30, s12, 0xffffffe8
	s_addc_u32 s31, s13, -1
	v_mov_b32_e32 v2, 0
	v_mov_b32_e32 v4, 0
	;; [unrolled: 1-line block ×4, first 2 shown]
.LBB117_60:                             ; =>This Inner Loop Header: Depth=1
	s_load_dwordx4 s[40:43], s[30:31], 0x1c
	s_load_dwordx2 s[38:39], s[30:31], 0x2c
	s_load_dwordx2 s[48:49], s[30:31], 0xec
	s_load_dwordx4 s[44:47], s[30:31], 0xdc
	s_add_u32 s30, s30, 24
	s_waitcnt lgkmcnt(0)
	v_mul_hi_u32 v3, s41, v1
	s_addc_u32 s31, s31, 0
	s_add_i32 s37, s37, -2
	s_cmp_eq_u32 s37, 0
	v_add_u32_e32 v3, v1, v3
	v_lshrrev_b32_e32 v3, s42, v3
	v_mul_lo_u32 v5, v3, s40
	v_mul_hi_u32 v6, s38, v3
	v_sub_u32_e32 v5, v1, v5
	v_add_u32_e32 v1, v3, v6
	v_lshrrev_b32_e32 v1, s39, v1
	v_mul_lo_u32 v8, v1, s43
	v_mul_lo_u32 v6, v5, s44
	;; [unrolled: 1-line block ×4, first 2 shown]
	v_sub_u32_e32 v3, v3, v8
	v_mul_lo_u32 v8, v3, s47
	v_mul_lo_u32 v9, v3, s48
	;; [unrolled: 1-line block ×3, first 2 shown]
	v_add3_u32 v0, v6, v0, v8
	v_add3_u32 v4, v7, v4, v9
	;; [unrolled: 1-line block ×3, first 2 shown]
	s_cbranch_scc0 .LBB117_60
; %bb.61:
	s_bitcmp1_b32 s35, 0
	s_cselect_b64 s[38:39], -1, 0
	s_and_b64 vcc, exec, s[38:39]
	s_cbranch_vccnz .LBB117_65
; %bb.62:
	s_load_dwordx2 s[38:39], s[30:31], 0x1c
	s_load_dword s37, s[30:31], 0x24
	s_load_dwordx2 s[40:41], s[30:31], 0xdc
	s_waitcnt lgkmcnt(0)
	v_mul_hi_u32 v3, s39, v1
	v_add_u32_e32 v3, v1, v3
	v_lshrrev_b32_e32 v3, s37, v3
	v_mul_lo_u32 v3, v3, s38
	s_load_dword s37, s[30:31], 0xe4
	v_sub_u32_e32 v3, v1, v3
	v_mad_u64_u32 v[0:1], s[30:31], v3, s40, v[0:1]
	v_mad_u64_u32 v[4:5], s[30:31], v3, s41, v[4:5]
	s_waitcnt lgkmcnt(0)
	v_mad_u64_u32 v[2:3], s[30:31], v3, s37, v[2:3]
	s_branch .LBB117_65
.LBB117_63:
                                        ; implicit-def: $vgpr0
                                        ; implicit-def: $vgpr4
                                        ; implicit-def: $vgpr2
	s_branch .LBB117_66
.LBB117_64:
	v_mov_b32_e32 v0, 0
	v_mov_b32_e32 v4, 0
	;; [unrolled: 1-line block ×3, first 2 shown]
.LBB117_65:
	s_cbranch_execnz .LBB117_68
.LBB117_66:
	s_waitcnt lgkmcnt(0)
	v_mul_hi_u32 v0, s9, v31
	s_andn2_b64 vcc, exec, s[24:25]
	v_add_u32_e32 v0, v31, v0
	v_lshrrev_b32_e32 v1, s10, v0
	v_mul_lo_u32 v0, v1, s8
	v_sub_u32_e32 v2, v31, v0
	v_mul_lo_u32 v0, v2, s4
	v_mul_lo_u32 v4, v2, s5
	;; [unrolled: 1-line block ×3, first 2 shown]
	s_cbranch_vccnz .LBB117_68
; %bb.67:
	v_mul_hi_u32 v3, s22, v1
	v_add_u32_e32 v3, v1, v3
	v_lshrrev_b32_e32 v3, s23, v3
	v_mul_lo_u32 v3, v3, s11
	v_sub_u32_e32 v3, v1, v3
	v_mad_u64_u32 v[0:1], s[30:31], v3, s7, v[0:1]
	v_mad_u64_u32 v[4:5], s[30:31], v3, s20, v[4:5]
	;; [unrolled: 1-line block ×3, first 2 shown]
.LBB117_68:
	s_waitcnt lgkmcnt(0)
	global_load_ushort v1, v2, s[18:19]
	global_load_ushort v3, v4, s[2:3]
	v_add_u32_e32 v31, 0x80, v31
	s_waitcnt vmcnt(1)
	v_cmp_gt_u32_e32 vcc, 16, v1
	s_waitcnt vmcnt(0)
	v_lshlrev_b32_e32 v2, v1, v3
	v_cndmask_b32_e32 v1, 0, v2, vcc
	global_store_short v0, v1, s[0:1]
	s_or_b64 exec, exec, s[28:29]
	v_cmp_gt_i32_e32 vcc, s36, v31
	s_and_saveexec_b64 s[28:29], vcc
	s_cbranch_execz .LBB117_7
.LBB117_69:
	s_andn2_b64 vcc, exec, s[14:15]
	s_cbranch_vccnz .LBB117_75
; %bb.70:
	s_andn2_b64 vcc, exec, s[26:27]
	s_cbranch_vccnz .LBB117_76
; %bb.71:
	s_add_i32 s30, s35, 1
	s_and_b32 s37, s30, 30
	s_add_u32 s30, s12, 0xffffffe8
	s_addc_u32 s31, s13, -1
	v_mov_b32_e32 v2, 0
	v_mov_b32_e32 v4, 0
	;; [unrolled: 1-line block ×4, first 2 shown]
.LBB117_72:                             ; =>This Inner Loop Header: Depth=1
	s_load_dwordx4 s[40:43], s[30:31], 0x1c
	s_load_dwordx2 s[38:39], s[30:31], 0x2c
	s_load_dwordx2 s[48:49], s[30:31], 0xec
	s_load_dwordx4 s[44:47], s[30:31], 0xdc
	s_add_u32 s30, s30, 24
	s_waitcnt lgkmcnt(0)
	v_mul_hi_u32 v3, s41, v1
	s_addc_u32 s31, s31, 0
	s_add_i32 s37, s37, -2
	s_cmp_eq_u32 s37, 0
	v_add_u32_e32 v3, v1, v3
	v_lshrrev_b32_e32 v3, s42, v3
	v_mul_lo_u32 v5, v3, s40
	v_mul_hi_u32 v6, s38, v3
	v_sub_u32_e32 v5, v1, v5
	v_add_u32_e32 v1, v3, v6
	v_lshrrev_b32_e32 v1, s39, v1
	v_mul_lo_u32 v8, v1, s43
	v_mul_lo_u32 v6, v5, s44
	;; [unrolled: 1-line block ×4, first 2 shown]
	v_sub_u32_e32 v3, v3, v8
	v_mul_lo_u32 v8, v3, s47
	v_mul_lo_u32 v9, v3, s48
	;; [unrolled: 1-line block ×3, first 2 shown]
	v_add3_u32 v0, v6, v0, v8
	v_add3_u32 v4, v7, v4, v9
	;; [unrolled: 1-line block ×3, first 2 shown]
	s_cbranch_scc0 .LBB117_72
; %bb.73:
	s_bitcmp1_b32 s35, 0
	s_cselect_b64 s[38:39], -1, 0
	s_and_b64 vcc, exec, s[38:39]
	s_cbranch_vccnz .LBB117_77
; %bb.74:
	s_load_dwordx2 s[38:39], s[30:31], 0x1c
	s_load_dword s37, s[30:31], 0x24
	s_load_dwordx2 s[40:41], s[30:31], 0xdc
	s_waitcnt lgkmcnt(0)
	v_mul_hi_u32 v3, s39, v1
	v_add_u32_e32 v3, v1, v3
	v_lshrrev_b32_e32 v3, s37, v3
	v_mul_lo_u32 v3, v3, s38
	s_load_dword s37, s[30:31], 0xe4
	v_sub_u32_e32 v3, v1, v3
	v_mad_u64_u32 v[0:1], s[30:31], v3, s40, v[0:1]
	v_mad_u64_u32 v[4:5], s[30:31], v3, s41, v[4:5]
	s_waitcnt lgkmcnt(0)
	v_mad_u64_u32 v[2:3], s[30:31], v3, s37, v[2:3]
	s_branch .LBB117_77
.LBB117_75:
                                        ; implicit-def: $vgpr0
                                        ; implicit-def: $vgpr4
                                        ; implicit-def: $vgpr2
	s_branch .LBB117_78
.LBB117_76:
	v_mov_b32_e32 v0, 0
	v_mov_b32_e32 v4, 0
	;; [unrolled: 1-line block ×3, first 2 shown]
.LBB117_77:
	s_cbranch_execnz .LBB117_80
.LBB117_78:
	s_waitcnt lgkmcnt(0)
	v_mul_hi_u32 v0, s9, v31
	s_andn2_b64 vcc, exec, s[24:25]
	v_add_u32_e32 v0, v31, v0
	v_lshrrev_b32_e32 v1, s10, v0
	v_mul_lo_u32 v0, v1, s8
	v_sub_u32_e32 v2, v31, v0
	v_mul_lo_u32 v0, v2, s4
	v_mul_lo_u32 v4, v2, s5
	v_mul_lo_u32 v2, v2, s6
	s_cbranch_vccnz .LBB117_80
; %bb.79:
	v_mul_hi_u32 v3, s22, v1
	v_add_u32_e32 v3, v1, v3
	v_lshrrev_b32_e32 v3, s23, v3
	v_mul_lo_u32 v3, v3, s11
	v_sub_u32_e32 v3, v1, v3
	v_mad_u64_u32 v[0:1], s[30:31], v3, s7, v[0:1]
	v_mad_u64_u32 v[4:5], s[30:31], v3, s20, v[4:5]
	;; [unrolled: 1-line block ×3, first 2 shown]
.LBB117_80:
	s_waitcnt lgkmcnt(0)
	global_load_ushort v1, v2, s[18:19]
	global_load_ushort v3, v4, s[2:3]
	v_add_u32_e32 v31, 0x80, v31
	s_waitcnt vmcnt(1)
	v_cmp_gt_u32_e32 vcc, 16, v1
	s_waitcnt vmcnt(0)
	v_lshlrev_b32_e32 v2, v1, v3
	v_cndmask_b32_e32 v1, 0, v2, vcc
	global_store_short v0, v1, s[0:1]
	s_or_b64 exec, exec, s[28:29]
	v_cmp_gt_i32_e32 vcc, s36, v31
	s_and_saveexec_b64 s[28:29], vcc
	s_cbranch_execz .LBB117_8
.LBB117_81:
	s_andn2_b64 vcc, exec, s[14:15]
	s_cbranch_vccnz .LBB117_87
; %bb.82:
	s_andn2_b64 vcc, exec, s[26:27]
	s_cbranch_vccnz .LBB117_88
; %bb.83:
	s_add_i32 s30, s35, 1
	s_and_b32 s37, s30, 30
	s_add_u32 s30, s12, 0xffffffe8
	s_addc_u32 s31, s13, -1
	v_mov_b32_e32 v2, 0
	v_mov_b32_e32 v4, 0
	;; [unrolled: 1-line block ×4, first 2 shown]
.LBB117_84:                             ; =>This Inner Loop Header: Depth=1
	s_load_dwordx4 s[40:43], s[30:31], 0x1c
	s_load_dwordx2 s[38:39], s[30:31], 0x2c
	s_load_dwordx2 s[48:49], s[30:31], 0xec
	s_load_dwordx4 s[44:47], s[30:31], 0xdc
	s_add_u32 s30, s30, 24
	s_waitcnt lgkmcnt(0)
	v_mul_hi_u32 v3, s41, v1
	s_addc_u32 s31, s31, 0
	s_add_i32 s37, s37, -2
	s_cmp_eq_u32 s37, 0
	v_add_u32_e32 v3, v1, v3
	v_lshrrev_b32_e32 v3, s42, v3
	v_mul_lo_u32 v5, v3, s40
	v_mul_hi_u32 v6, s38, v3
	v_sub_u32_e32 v5, v1, v5
	v_add_u32_e32 v1, v3, v6
	v_lshrrev_b32_e32 v1, s39, v1
	v_mul_lo_u32 v8, v1, s43
	v_mul_lo_u32 v6, v5, s44
	;; [unrolled: 1-line block ×4, first 2 shown]
	v_sub_u32_e32 v3, v3, v8
	v_mul_lo_u32 v8, v3, s47
	v_mul_lo_u32 v9, v3, s48
	;; [unrolled: 1-line block ×3, first 2 shown]
	v_add3_u32 v0, v6, v0, v8
	v_add3_u32 v4, v7, v4, v9
	;; [unrolled: 1-line block ×3, first 2 shown]
	s_cbranch_scc0 .LBB117_84
; %bb.85:
	s_bitcmp1_b32 s35, 0
	s_cselect_b64 s[38:39], -1, 0
	s_and_b64 vcc, exec, s[38:39]
	s_cbranch_vccnz .LBB117_89
; %bb.86:
	s_load_dwordx2 s[38:39], s[30:31], 0x1c
	s_load_dword s37, s[30:31], 0x24
	s_load_dwordx2 s[40:41], s[30:31], 0xdc
	s_waitcnt lgkmcnt(0)
	v_mul_hi_u32 v3, s39, v1
	v_add_u32_e32 v3, v1, v3
	v_lshrrev_b32_e32 v3, s37, v3
	v_mul_lo_u32 v3, v3, s38
	s_load_dword s37, s[30:31], 0xe4
	v_sub_u32_e32 v3, v1, v3
	v_mad_u64_u32 v[0:1], s[30:31], v3, s40, v[0:1]
	v_mad_u64_u32 v[4:5], s[30:31], v3, s41, v[4:5]
	s_waitcnt lgkmcnt(0)
	v_mad_u64_u32 v[2:3], s[30:31], v3, s37, v[2:3]
	s_branch .LBB117_89
.LBB117_87:
                                        ; implicit-def: $vgpr0
                                        ; implicit-def: $vgpr4
                                        ; implicit-def: $vgpr2
	s_branch .LBB117_90
.LBB117_88:
	v_mov_b32_e32 v0, 0
	v_mov_b32_e32 v4, 0
	v_mov_b32_e32 v2, 0
.LBB117_89:
	s_cbranch_execnz .LBB117_92
.LBB117_90:
	s_waitcnt lgkmcnt(0)
	v_mul_hi_u32 v0, s9, v31
	s_andn2_b64 vcc, exec, s[24:25]
	v_add_u32_e32 v0, v31, v0
	v_lshrrev_b32_e32 v1, s10, v0
	v_mul_lo_u32 v0, v1, s8
	v_sub_u32_e32 v2, v31, v0
	v_mul_lo_u32 v0, v2, s4
	v_mul_lo_u32 v4, v2, s5
	;; [unrolled: 1-line block ×3, first 2 shown]
	s_cbranch_vccnz .LBB117_92
; %bb.91:
	v_mul_hi_u32 v3, s22, v1
	v_add_u32_e32 v3, v1, v3
	v_lshrrev_b32_e32 v3, s23, v3
	v_mul_lo_u32 v3, v3, s11
	v_sub_u32_e32 v3, v1, v3
	v_mad_u64_u32 v[0:1], s[30:31], v3, s7, v[0:1]
	v_mad_u64_u32 v[4:5], s[30:31], v3, s20, v[4:5]
	;; [unrolled: 1-line block ×3, first 2 shown]
.LBB117_92:
	s_waitcnt lgkmcnt(0)
	global_load_ushort v1, v2, s[18:19]
	global_load_ushort v3, v4, s[2:3]
	v_add_u32_e32 v31, 0x80, v31
	s_waitcnt vmcnt(1)
	v_cmp_gt_u32_e32 vcc, 16, v1
	s_waitcnt vmcnt(0)
	v_lshlrev_b32_e32 v2, v1, v3
	v_cndmask_b32_e32 v1, 0, v2, vcc
	global_store_short v0, v1, s[0:1]
	s_or_b64 exec, exec, s[28:29]
	v_cmp_gt_i32_e32 vcc, s36, v31
	s_and_saveexec_b64 s[28:29], vcc
	s_cbranch_execz .LBB117_105
.LBB117_93:
	s_andn2_b64 vcc, exec, s[14:15]
	s_cbranch_vccnz .LBB117_99
; %bb.94:
	s_andn2_b64 vcc, exec, s[26:27]
	s_cbranch_vccnz .LBB117_100
; %bb.95:
	s_add_i32 s26, s35, 1
	s_and_b32 s30, s26, 30
	s_add_u32 s26, s12, 0xffffffe8
	s_addc_u32 s27, s13, -1
	v_mov_b32_e32 v2, 0
	v_mov_b32_e32 v4, 0
	;; [unrolled: 1-line block ×4, first 2 shown]
.LBB117_96:                             ; =>This Inner Loop Header: Depth=1
	s_load_dwordx4 s[36:39], s[26:27], 0x1c
	s_load_dwordx2 s[44:45], s[26:27], 0x2c
	s_load_dwordx2 s[46:47], s[26:27], 0xec
	s_load_dwordx4 s[40:43], s[26:27], 0xdc
	s_add_u32 s26, s26, 24
	s_waitcnt lgkmcnt(0)
	v_mul_hi_u32 v3, s37, v1
	s_addc_u32 s27, s27, 0
	s_add_i32 s30, s30, -2
	s_cmp_eq_u32 s30, 0
	v_add_u32_e32 v3, v1, v3
	v_lshrrev_b32_e32 v3, s38, v3
	v_mul_lo_u32 v5, v3, s36
	v_mul_hi_u32 v6, s44, v3
	v_sub_u32_e32 v5, v1, v5
	v_add_u32_e32 v1, v3, v6
	v_lshrrev_b32_e32 v1, s45, v1
	v_mul_lo_u32 v8, v1, s39
	v_mul_lo_u32 v6, v5, s40
	;; [unrolled: 1-line block ×4, first 2 shown]
	v_sub_u32_e32 v3, v3, v8
	v_mul_lo_u32 v8, v3, s43
	v_mul_lo_u32 v9, v3, s46
	;; [unrolled: 1-line block ×3, first 2 shown]
	v_add3_u32 v0, v6, v0, v8
	v_add3_u32 v4, v7, v4, v9
	;; [unrolled: 1-line block ×3, first 2 shown]
	s_cbranch_scc0 .LBB117_96
; %bb.97:
	s_bitcmp1_b32 s35, 0
	s_cselect_b64 s[30:31], -1, 0
	s_and_b64 vcc, exec, s[30:31]
	s_cbranch_vccnz .LBB117_101
; %bb.98:
	s_load_dwordx2 s[30:31], s[26:27], 0x1c
	s_load_dword s35, s[26:27], 0x24
	s_load_dwordx2 s[36:37], s[26:27], 0xdc
	s_waitcnt lgkmcnt(0)
	v_mul_hi_u32 v3, s31, v1
	v_add_u32_e32 v3, v1, v3
	v_lshrrev_b32_e32 v3, s35, v3
	v_mul_lo_u32 v3, v3, s30
	s_load_dword s30, s[26:27], 0xe4
	v_sub_u32_e32 v3, v1, v3
	v_mad_u64_u32 v[0:1], s[26:27], v3, s36, v[0:1]
	v_mad_u64_u32 v[4:5], s[26:27], v3, s37, v[4:5]
	s_waitcnt lgkmcnt(0)
	v_mad_u64_u32 v[2:3], s[26:27], v3, s30, v[2:3]
	s_branch .LBB117_101
.LBB117_99:
                                        ; implicit-def: $vgpr0
                                        ; implicit-def: $vgpr4
                                        ; implicit-def: $vgpr2
	s_branch .LBB117_102
.LBB117_100:
	v_mov_b32_e32 v0, 0
	v_mov_b32_e32 v4, 0
	;; [unrolled: 1-line block ×3, first 2 shown]
.LBB117_101:
	s_cbranch_execnz .LBB117_104
.LBB117_102:
	s_waitcnt lgkmcnt(0)
	v_mul_hi_u32 v0, s9, v31
	s_andn2_b64 vcc, exec, s[24:25]
	v_add_u32_e32 v0, v31, v0
	v_lshrrev_b32_e32 v1, s10, v0
	v_mul_lo_u32 v0, v1, s8
	v_sub_u32_e32 v2, v31, v0
	v_mul_lo_u32 v0, v2, s4
	v_mul_lo_u32 v4, v2, s5
	;; [unrolled: 1-line block ×3, first 2 shown]
	s_cbranch_vccnz .LBB117_104
; %bb.103:
	v_mul_hi_u32 v3, s22, v1
	v_add_u32_e32 v3, v1, v3
	v_lshrrev_b32_e32 v3, s23, v3
	v_mul_lo_u32 v3, v3, s11
	v_sub_u32_e32 v3, v1, v3
	v_mad_u64_u32 v[0:1], s[4:5], v3, s7, v[0:1]
	v_mad_u64_u32 v[4:5], s[4:5], v3, s20, v[4:5]
	;; [unrolled: 1-line block ×3, first 2 shown]
.LBB117_104:
	s_waitcnt lgkmcnt(0)
	global_load_ushort v1, v2, s[18:19]
	global_load_ushort v3, v4, s[2:3]
	s_waitcnt vmcnt(1)
	v_cmp_gt_u32_e32 vcc, 16, v1
	s_waitcnt vmcnt(0)
	v_lshlrev_b32_e32 v2, v1, v3
	v_cndmask_b32_e32 v1, 0, v2, vcc
	global_store_short v0, v1, s[0:1]
.LBB117_105:
	s_or_b64 exec, exec, s[28:29]
                                        ; implicit-def: $vgpr41
                                        ; implicit-def: $vgpr31
.LBB117_106:
	s_waitcnt lgkmcnt(0)
	s_andn2_saveexec_b64 s[0:1], s[16:17]
	s_cbranch_execz .LBB117_113
; %bb.107:
	v_cndmask_b32_e64 v0, 0, 1, s[14:15]
	v_cmp_ne_u32_e64 s[0:1], 1, v0
	s_andn2_b64 vcc, exec, s[14:15]
	s_cbranch_vccnz .LBB117_114
; %bb.108:
	s_cmp_lg_u32 s33, 0
	s_cbranch_scc0 .LBB117_115
; %bb.109:
	s_min_u32 s4, s34, 15
	s_add_i32 s2, s4, 1
	s_and_b32 s5, s2, 30
	s_add_u32 s2, s12, 0xffffffe8
	s_addc_u32 s3, s13, -1
	v_mov_b32_e32 v4, 0
	v_mov_b32_e32 v2, 0
	;; [unrolled: 1-line block ×4, first 2 shown]
.LBB117_110:                            ; =>This Inner Loop Header: Depth=1
	s_load_dwordx4 s[8:11], s[2:3], 0x1c
	s_load_dwordx2 s[6:7], s[2:3], 0x2c
	s_load_dwordx2 s[14:15], s[2:3], 0xec
	s_load_dwordx4 s[16:19], s[2:3], 0xdc
	s_add_u32 s2, s2, 24
	s_waitcnt lgkmcnt(0)
	v_mul_hi_u32 v3, s9, v1
	s_addc_u32 s3, s3, 0
	s_add_i32 s5, s5, -2
	s_cmp_lg_u32 s5, 0
	v_add_u32_e32 v3, v1, v3
	v_lshrrev_b32_e32 v3, s10, v3
	v_mul_lo_u32 v5, v3, s8
	v_mul_hi_u32 v6, s6, v3
	v_sub_u32_e32 v5, v1, v5
	v_add_u32_e32 v1, v3, v6
	v_lshrrev_b32_e32 v1, s7, v1
	v_mul_lo_u32 v8, v1, s11
	v_mul_lo_u32 v6, v5, s16
	;; [unrolled: 1-line block ×4, first 2 shown]
	v_sub_u32_e32 v3, v3, v8
	v_mul_lo_u32 v8, v3, s19
	v_mul_lo_u32 v9, v3, s14
	;; [unrolled: 1-line block ×3, first 2 shown]
	v_add3_u32 v0, v6, v0, v8
	v_add3_u32 v2, v7, v2, v9
	;; [unrolled: 1-line block ×3, first 2 shown]
	s_cbranch_scc1 .LBB117_110
; %bb.111:
	s_bitcmp1_b32 s4, 0
	s_cselect_b64 s[4:5], -1, 0
	s_and_b64 vcc, exec, s[4:5]
	s_cbranch_vccnz .LBB117_116
; %bb.112:
	s_load_dwordx2 s[4:5], s[2:3], 0x1c
	s_load_dword s8, s[2:3], 0x24
	s_load_dwordx2 s[6:7], s[2:3], 0xdc
	s_waitcnt lgkmcnt(0)
	v_mul_hi_u32 v3, s5, v1
	v_add_u32_e32 v3, v1, v3
	v_lshrrev_b32_e32 v3, s8, v3
	v_mul_lo_u32 v3, v3, s4
	s_load_dword s4, s[2:3], 0xe4
	v_sub_u32_e32 v5, v1, v3
	v_mad_u64_u32 v[0:1], s[2:3], v5, s6, v[0:1]
	v_mad_u64_u32 v[2:3], s[2:3], v5, s7, v[2:3]
	s_waitcnt lgkmcnt(0)
	v_mad_u64_u32 v[4:5], s[2:3], v5, s4, v[4:5]
	s_cbranch_execz .LBB117_117
	s_branch .LBB117_119
.LBB117_113:
	s_endpgm
.LBB117_114:
                                        ; implicit-def: $vgpr0
                                        ; implicit-def: $vgpr2
                                        ; implicit-def: $vgpr4
	s_branch .LBB117_117
.LBB117_115:
	v_mov_b32_e32 v0, 0
	v_mov_b32_e32 v2, 0
	;; [unrolled: 1-line block ×3, first 2 shown]
.LBB117_116:
	s_cbranch_execnz .LBB117_119
.LBB117_117:
	s_load_dwordx4 s[4:7], s[12:13], 0x4
	s_load_dwordx4 s[8:11], s[12:13], 0xc4
	s_cmp_lt_u32 s33, 2
	s_waitcnt lgkmcnt(0)
	v_mul_hi_u32 v0, s5, v31
	v_add_u32_e32 v0, v31, v0
	v_lshrrev_b32_e32 v1, s6, v0
	v_mul_lo_u32 v0, v1, s4
	v_sub_u32_e32 v3, v31, v0
	v_mul_lo_u32 v0, v3, s8
	v_mul_lo_u32 v2, v3, s9
	;; [unrolled: 1-line block ×3, first 2 shown]
	s_cbranch_scc1 .LBB117_119
; %bb.118:
	s_load_dwordx4 s[4:7], s[12:13], 0x10
	s_load_dwordx4 s[8:11], s[12:13], 0xd0
	s_waitcnt lgkmcnt(0)
	v_mul_hi_u32 v3, s5, v1
	v_add_u32_e32 v3, v1, v3
	v_lshrrev_b32_e32 v3, s6, v3
	v_mul_lo_u32 v3, v3, s4
	v_sub_u32_e32 v5, v1, v3
	v_mad_u64_u32 v[0:1], s[2:3], v5, s8, v[0:1]
	v_mad_u64_u32 v[2:3], s[2:3], v5, s9, v[2:3]
	;; [unrolled: 1-line block ×3, first 2 shown]
.LBB117_119:
	s_and_b64 vcc, exec, s[0:1]
	v_add_u32_e32 v1, 0x80, v31
	s_cbranch_vccnz .LBB117_125
; %bb.120:
	s_cmp_lg_u32 s33, 0
	s_cbranch_scc0 .LBB117_126
; %bb.121:
	s_min_u32 s4, s34, 15
	s_add_i32 s2, s4, 1
	s_and_b32 s5, s2, 30
	s_add_u32 s2, s12, 0xffffffe8
	s_addc_u32 s3, s13, -1
	v_mov_b32_e32 v9, 0
	v_mov_b32_e32 v7, 0
	;; [unrolled: 1-line block ×4, first 2 shown]
.LBB117_122:                            ; =>This Inner Loop Header: Depth=1
	s_load_dwordx4 s[8:11], s[2:3], 0x1c
	s_load_dwordx2 s[6:7], s[2:3], 0x2c
	s_load_dwordx2 s[14:15], s[2:3], 0xec
	s_load_dwordx4 s[16:19], s[2:3], 0xdc
	s_add_u32 s2, s2, 24
	s_waitcnt lgkmcnt(0)
	v_mul_hi_u32 v6, s9, v3
	s_addc_u32 s3, s3, 0
	s_add_i32 s5, s5, -2
	s_cmp_lg_u32 s5, 0
	v_add_u32_e32 v6, v3, v6
	v_lshrrev_b32_e32 v6, s10, v6
	v_mul_lo_u32 v8, v6, s8
	v_mul_hi_u32 v10, s6, v6
	v_sub_u32_e32 v8, v3, v8
	v_add_u32_e32 v3, v6, v10
	v_lshrrev_b32_e32 v3, s7, v3
	v_mul_lo_u32 v12, v3, s11
	v_mul_lo_u32 v10, v8, s16
	;; [unrolled: 1-line block ×4, first 2 shown]
	v_sub_u32_e32 v6, v6, v12
	v_mul_lo_u32 v12, v6, s19
	v_mul_lo_u32 v13, v6, s14
	;; [unrolled: 1-line block ×3, first 2 shown]
	v_add3_u32 v5, v10, v5, v12
	v_add3_u32 v7, v11, v7, v13
	;; [unrolled: 1-line block ×3, first 2 shown]
	s_cbranch_scc1 .LBB117_122
; %bb.123:
	s_bitcmp1_b32 s4, 0
	s_cselect_b64 s[4:5], -1, 0
	s_and_b64 vcc, exec, s[4:5]
	s_cbranch_vccnz .LBB117_127
; %bb.124:
	s_load_dwordx2 s[4:5], s[2:3], 0x1c
	s_load_dword s8, s[2:3], 0x24
	s_load_dwordx2 s[6:7], s[2:3], 0xdc
	s_waitcnt lgkmcnt(0)
	v_mul_hi_u32 v6, s5, v3
	v_add_u32_e32 v6, v3, v6
	v_lshrrev_b32_e32 v6, s8, v6
	v_mul_lo_u32 v6, v6, s4
	s_load_dword s4, s[2:3], 0xe4
	v_sub_u32_e32 v3, v3, v6
	v_mad_u64_u32 v[5:6], s[2:3], v3, s6, v[5:6]
	v_mad_u64_u32 v[7:8], s[2:3], v3, s7, v[7:8]
	s_waitcnt lgkmcnt(0)
	v_mad_u64_u32 v[9:10], s[2:3], v3, s4, v[9:10]
	s_cbranch_execz .LBB117_128
	s_branch .LBB117_130
.LBB117_125:
                                        ; implicit-def: $vgpr5
                                        ; implicit-def: $vgpr7
                                        ; implicit-def: $vgpr9
	s_branch .LBB117_128
.LBB117_126:
	v_mov_b32_e32 v5, 0
	v_mov_b32_e32 v7, 0
	v_mov_b32_e32 v9, 0
.LBB117_127:
	s_cbranch_execnz .LBB117_130
.LBB117_128:
	s_load_dwordx4 s[4:7], s[12:13], 0x4
	s_load_dwordx4 s[8:11], s[12:13], 0xc4
	s_cmp_lt_u32 s33, 2
	s_waitcnt lgkmcnt(0)
	v_mul_hi_u32 v3, s5, v1
	v_add_u32_e32 v3, v1, v3
	v_lshrrev_b32_e32 v3, s6, v3
	v_mul_lo_u32 v5, v3, s4
	v_sub_u32_e32 v1, v1, v5
	v_mul_lo_u32 v5, v1, s8
	v_mul_lo_u32 v7, v1, s9
	;; [unrolled: 1-line block ×3, first 2 shown]
	s_cbranch_scc1 .LBB117_130
; %bb.129:
	s_load_dwordx4 s[4:7], s[12:13], 0x10
	s_load_dwordx4 s[8:11], s[12:13], 0xd0
	s_waitcnt lgkmcnt(0)
	v_mul_hi_u32 v1, s5, v3
	v_add_u32_e32 v1, v3, v1
	v_lshrrev_b32_e32 v1, s6, v1
	v_mul_lo_u32 v1, v1, s4
	v_sub_u32_e32 v1, v3, v1
	v_mad_u64_u32 v[5:6], s[2:3], v1, s8, v[5:6]
	v_mad_u64_u32 v[7:8], s[2:3], v1, s9, v[7:8]
	;; [unrolled: 1-line block ×3, first 2 shown]
.LBB117_130:
	s_and_b64 vcc, exec, s[0:1]
	v_add_u32_e32 v1, 0x100, v31
	s_cbranch_vccnz .LBB117_136
; %bb.131:
	s_cmp_lg_u32 s33, 0
	s_cbranch_scc0 .LBB117_137
; %bb.132:
	s_min_u32 s4, s34, 15
	s_add_i32 s2, s4, 1
	s_and_b32 s5, s2, 30
	s_add_u32 s2, s12, 0xffffffe8
	s_addc_u32 s3, s13, -1
	v_mov_b32_e32 v12, 0
	v_mov_b32_e32 v14, 0
	;; [unrolled: 1-line block ×4, first 2 shown]
.LBB117_133:                            ; =>This Inner Loop Header: Depth=1
	s_load_dwordx4 s[8:11], s[2:3], 0x1c
	s_load_dwordx2 s[6:7], s[2:3], 0x2c
	s_load_dwordx2 s[14:15], s[2:3], 0xec
	s_load_dwordx4 s[16:19], s[2:3], 0xdc
	s_add_u32 s2, s2, 24
	s_waitcnt lgkmcnt(0)
	v_mul_hi_u32 v6, s9, v3
	s_addc_u32 s3, s3, 0
	s_add_i32 s5, s5, -2
	s_cmp_lg_u32 s5, 0
	v_add_u32_e32 v6, v3, v6
	v_lshrrev_b32_e32 v6, s10, v6
	v_mul_lo_u32 v8, v6, s8
	v_mul_hi_u32 v11, s6, v6
	v_sub_u32_e32 v8, v3, v8
	v_add_u32_e32 v3, v6, v11
	v_lshrrev_b32_e32 v3, s7, v3
	v_mul_lo_u32 v15, v3, s11
	v_mul_lo_u32 v11, v8, s16
	;; [unrolled: 1-line block ×4, first 2 shown]
	v_sub_u32_e32 v6, v6, v15
	v_mul_lo_u32 v15, v6, s19
	v_mul_lo_u32 v16, v6, s14
	;; [unrolled: 1-line block ×3, first 2 shown]
	v_add3_u32 v10, v11, v10, v15
	v_add3_u32 v14, v13, v14, v16
	;; [unrolled: 1-line block ×3, first 2 shown]
	s_cbranch_scc1 .LBB117_133
; %bb.134:
	s_bitcmp1_b32 s4, 0
	s_cselect_b64 s[4:5], -1, 0
	s_and_b64 vcc, exec, s[4:5]
	s_cbranch_vccnz .LBB117_138
; %bb.135:
	s_load_dwordx2 s[4:5], s[2:3], 0x1c
	s_load_dword s8, s[2:3], 0x24
	s_load_dwordx2 s[6:7], s[2:3], 0xdc
	s_waitcnt lgkmcnt(0)
	v_mul_hi_u32 v6, s5, v3
	v_add_u32_e32 v6, v3, v6
	v_lshrrev_b32_e32 v6, s8, v6
	v_mul_lo_u32 v6, v6, s4
	s_load_dword s4, s[2:3], 0xe4
	v_sub_u32_e32 v3, v3, v6
	v_mad_u64_u32 v[10:11], s[2:3], v3, s6, v[10:11]
	v_mad_u64_u32 v[14:15], s[2:3], v3, s7, v[14:15]
	s_waitcnt lgkmcnt(0)
	v_mad_u64_u32 v[12:13], s[2:3], v3, s4, v[12:13]
	s_cbranch_execz .LBB117_139
	s_branch .LBB117_141
.LBB117_136:
                                        ; implicit-def: $vgpr10
                                        ; implicit-def: $vgpr14
                                        ; implicit-def: $vgpr12
	s_branch .LBB117_139
.LBB117_137:
	v_mov_b32_e32 v10, 0
	v_mov_b32_e32 v14, 0
	;; [unrolled: 1-line block ×3, first 2 shown]
.LBB117_138:
	s_cbranch_execnz .LBB117_141
.LBB117_139:
	s_load_dwordx4 s[4:7], s[12:13], 0x4
	s_load_dwordx4 s[8:11], s[12:13], 0xc4
	s_cmp_lt_u32 s33, 2
	s_waitcnt lgkmcnt(0)
	v_mul_hi_u32 v3, s5, v1
	v_add_u32_e32 v3, v1, v3
	v_lshrrev_b32_e32 v3, s6, v3
	v_mul_lo_u32 v6, v3, s4
	v_sub_u32_e32 v1, v1, v6
	v_mul_lo_u32 v10, v1, s8
	v_mul_lo_u32 v14, v1, s9
	;; [unrolled: 1-line block ×3, first 2 shown]
	s_cbranch_scc1 .LBB117_141
; %bb.140:
	s_load_dwordx4 s[4:7], s[12:13], 0x10
	s_load_dwordx4 s[8:11], s[12:13], 0xd0
	s_waitcnt lgkmcnt(0)
	v_mul_hi_u32 v1, s5, v3
	v_add_u32_e32 v1, v3, v1
	v_lshrrev_b32_e32 v1, s6, v1
	v_mul_lo_u32 v1, v1, s4
	v_sub_u32_e32 v1, v3, v1
	v_mad_u64_u32 v[10:11], s[2:3], v1, s8, v[10:11]
	v_mad_u64_u32 v[14:15], s[2:3], v1, s9, v[14:15]
	;; [unrolled: 1-line block ×3, first 2 shown]
.LBB117_141:
	s_and_b64 vcc, exec, s[0:1]
	v_add_u32_e32 v1, 0x180, v31
	s_cbranch_vccnz .LBB117_147
; %bb.142:
	s_cmp_lg_u32 s33, 0
	s_cbranch_scc0 .LBB117_148
; %bb.143:
	s_min_u32 s4, s34, 15
	s_add_i32 s2, s4, 1
	s_and_b32 s5, s2, 30
	s_add_u32 s2, s12, 0xffffffe8
	s_addc_u32 s3, s13, -1
	v_mov_b32_e32 v17, 0
	v_mov_b32_e32 v19, 0
	;; [unrolled: 1-line block ×4, first 2 shown]
.LBB117_144:                            ; =>This Inner Loop Header: Depth=1
	s_load_dwordx4 s[8:11], s[2:3], 0x1c
	s_load_dwordx2 s[6:7], s[2:3], 0x2c
	s_load_dwordx2 s[14:15], s[2:3], 0xec
	s_load_dwordx4 s[16:19], s[2:3], 0xdc
	s_add_u32 s2, s2, 24
	s_waitcnt lgkmcnt(0)
	v_mul_hi_u32 v6, s9, v3
	s_addc_u32 s3, s3, 0
	s_add_i32 s5, s5, -2
	s_cmp_lg_u32 s5, 0
	v_add_u32_e32 v6, v3, v6
	v_lshrrev_b32_e32 v6, s10, v6
	v_mul_lo_u32 v8, v6, s8
	v_mul_hi_u32 v11, s6, v6
	v_sub_u32_e32 v8, v3, v8
	v_add_u32_e32 v3, v6, v11
	v_lshrrev_b32_e32 v3, s7, v3
	v_mul_lo_u32 v16, v3, s11
	v_mul_lo_u32 v11, v8, s16
	;; [unrolled: 1-line block ×4, first 2 shown]
	v_sub_u32_e32 v6, v6, v16
	v_mul_lo_u32 v16, v6, s19
	v_mul_lo_u32 v18, v6, s14
	;; [unrolled: 1-line block ×3, first 2 shown]
	v_add3_u32 v15, v11, v15, v16
	v_add3_u32 v19, v13, v19, v18
	;; [unrolled: 1-line block ×3, first 2 shown]
	s_cbranch_scc1 .LBB117_144
; %bb.145:
	s_bitcmp1_b32 s4, 0
	s_cselect_b64 s[4:5], -1, 0
	s_and_b64 vcc, exec, s[4:5]
	s_cbranch_vccnz .LBB117_149
; %bb.146:
	s_load_dwordx2 s[4:5], s[2:3], 0x1c
	s_load_dword s8, s[2:3], 0x24
	s_load_dwordx2 s[6:7], s[2:3], 0xdc
	s_waitcnt lgkmcnt(0)
	v_mul_hi_u32 v6, s5, v3
	v_add_u32_e32 v6, v3, v6
	v_lshrrev_b32_e32 v6, s8, v6
	v_mul_lo_u32 v6, v6, s4
	s_load_dword s4, s[2:3], 0xe4
	v_sub_u32_e32 v3, v3, v6
	v_mad_u64_u32 v[15:16], s[2:3], v3, s6, v[15:16]
	v_mad_u64_u32 v[19:20], s[2:3], v3, s7, v[19:20]
	s_waitcnt lgkmcnt(0)
	v_mad_u64_u32 v[17:18], s[2:3], v3, s4, v[17:18]
	s_cbranch_execz .LBB117_150
	s_branch .LBB117_152
.LBB117_147:
                                        ; implicit-def: $vgpr15
                                        ; implicit-def: $vgpr19
                                        ; implicit-def: $vgpr17
	s_branch .LBB117_150
.LBB117_148:
	v_mov_b32_e32 v15, 0
	v_mov_b32_e32 v19, 0
	;; [unrolled: 1-line block ×3, first 2 shown]
.LBB117_149:
	s_cbranch_execnz .LBB117_152
.LBB117_150:
	s_load_dwordx4 s[4:7], s[12:13], 0x4
	s_load_dwordx4 s[8:11], s[12:13], 0xc4
	s_cmp_lt_u32 s33, 2
	s_waitcnt lgkmcnt(0)
	v_mul_hi_u32 v3, s5, v1
	v_add_u32_e32 v3, v1, v3
	v_lshrrev_b32_e32 v3, s6, v3
	v_mul_lo_u32 v6, v3, s4
	v_sub_u32_e32 v1, v1, v6
	v_mul_lo_u32 v15, v1, s8
	v_mul_lo_u32 v19, v1, s9
	;; [unrolled: 1-line block ×3, first 2 shown]
	s_cbranch_scc1 .LBB117_152
; %bb.151:
	s_load_dwordx4 s[4:7], s[12:13], 0x10
	s_load_dwordx4 s[8:11], s[12:13], 0xd0
	s_waitcnt lgkmcnt(0)
	v_mul_hi_u32 v1, s5, v3
	v_add_u32_e32 v1, v3, v1
	v_lshrrev_b32_e32 v1, s6, v1
	v_mul_lo_u32 v1, v1, s4
	v_sub_u32_e32 v1, v3, v1
	v_mad_u64_u32 v[15:16], s[2:3], v1, s8, v[15:16]
	v_mad_u64_u32 v[19:20], s[2:3], v1, s9, v[19:20]
	;; [unrolled: 1-line block ×3, first 2 shown]
.LBB117_152:
	s_and_b64 vcc, exec, s[0:1]
	v_add_u32_e32 v1, 0x200, v31
	s_cbranch_vccnz .LBB117_158
; %bb.153:
	s_cmp_lg_u32 s33, 0
	s_cbranch_scc0 .LBB117_159
; %bb.154:
	s_min_u32 s4, s34, 15
	s_add_i32 s2, s4, 1
	s_and_b32 s5, s2, 30
	s_add_u32 s2, s12, 0xffffffe8
	s_addc_u32 s3, s13, -1
	v_mov_b32_e32 v22, 0
	v_mov_b32_e32 v24, 0
	;; [unrolled: 1-line block ×4, first 2 shown]
.LBB117_155:                            ; =>This Inner Loop Header: Depth=1
	s_load_dwordx4 s[8:11], s[2:3], 0x1c
	s_load_dwordx2 s[6:7], s[2:3], 0x2c
	s_load_dwordx2 s[14:15], s[2:3], 0xec
	s_load_dwordx4 s[16:19], s[2:3], 0xdc
	s_add_u32 s2, s2, 24
	s_waitcnt lgkmcnt(0)
	v_mul_hi_u32 v6, s9, v3
	s_addc_u32 s3, s3, 0
	s_add_i32 s5, s5, -2
	s_cmp_lg_u32 s5, 0
	v_add_u32_e32 v6, v3, v6
	v_lshrrev_b32_e32 v6, s10, v6
	v_mul_lo_u32 v8, v6, s8
	v_mul_hi_u32 v11, s6, v6
	v_sub_u32_e32 v8, v3, v8
	v_add_u32_e32 v3, v6, v11
	v_lshrrev_b32_e32 v3, s7, v3
	v_mul_lo_u32 v16, v3, s11
	v_mul_lo_u32 v11, v8, s16
	;; [unrolled: 1-line block ×4, first 2 shown]
	v_sub_u32_e32 v6, v6, v16
	v_mul_lo_u32 v16, v6, s19
	v_mul_lo_u32 v18, v6, s14
	;; [unrolled: 1-line block ×3, first 2 shown]
	v_add3_u32 v20, v11, v20, v16
	v_add3_u32 v24, v13, v24, v18
	;; [unrolled: 1-line block ×3, first 2 shown]
	s_cbranch_scc1 .LBB117_155
; %bb.156:
	s_bitcmp1_b32 s4, 0
	s_cselect_b64 s[4:5], -1, 0
	s_and_b64 vcc, exec, s[4:5]
	s_cbranch_vccnz .LBB117_160
; %bb.157:
	s_load_dwordx2 s[4:5], s[2:3], 0x1c
	s_load_dword s8, s[2:3], 0x24
	s_load_dwordx2 s[6:7], s[2:3], 0xdc
	s_waitcnt lgkmcnt(0)
	v_mul_hi_u32 v6, s5, v3
	v_add_u32_e32 v6, v3, v6
	v_lshrrev_b32_e32 v6, s8, v6
	v_mul_lo_u32 v6, v6, s4
	s_load_dword s4, s[2:3], 0xe4
	v_sub_u32_e32 v3, v3, v6
	v_mad_u64_u32 v[20:21], s[2:3], v3, s6, v[20:21]
	v_mad_u64_u32 v[24:25], s[2:3], v3, s7, v[24:25]
	s_waitcnt lgkmcnt(0)
	v_mad_u64_u32 v[22:23], s[2:3], v3, s4, v[22:23]
	s_cbranch_execz .LBB117_161
	s_branch .LBB117_163
.LBB117_158:
                                        ; implicit-def: $vgpr20
                                        ; implicit-def: $vgpr24
                                        ; implicit-def: $vgpr22
	s_branch .LBB117_161
.LBB117_159:
	v_mov_b32_e32 v20, 0
	v_mov_b32_e32 v24, 0
	;; [unrolled: 1-line block ×3, first 2 shown]
.LBB117_160:
	s_cbranch_execnz .LBB117_163
.LBB117_161:
	s_load_dwordx4 s[4:7], s[12:13], 0x4
	s_load_dwordx4 s[8:11], s[12:13], 0xc4
	s_cmp_lt_u32 s33, 2
	s_waitcnt lgkmcnt(0)
	v_mul_hi_u32 v3, s5, v1
	v_add_u32_e32 v3, v1, v3
	v_lshrrev_b32_e32 v3, s6, v3
	v_mul_lo_u32 v6, v3, s4
	v_sub_u32_e32 v1, v1, v6
	v_mul_lo_u32 v20, v1, s8
	v_mul_lo_u32 v24, v1, s9
	;; [unrolled: 1-line block ×3, first 2 shown]
	s_cbranch_scc1 .LBB117_163
; %bb.162:
	s_load_dwordx4 s[4:7], s[12:13], 0x10
	s_load_dwordx4 s[8:11], s[12:13], 0xd0
	s_waitcnt lgkmcnt(0)
	v_mul_hi_u32 v1, s5, v3
	v_add_u32_e32 v1, v3, v1
	v_lshrrev_b32_e32 v1, s6, v1
	v_mul_lo_u32 v1, v1, s4
	v_sub_u32_e32 v1, v3, v1
	v_mad_u64_u32 v[20:21], s[2:3], v1, s8, v[20:21]
	v_mad_u64_u32 v[24:25], s[2:3], v1, s9, v[24:25]
	;; [unrolled: 1-line block ×3, first 2 shown]
.LBB117_163:
	s_and_b64 vcc, exec, s[0:1]
	v_add_u32_e32 v1, 0x280, v31
	s_cbranch_vccnz .LBB117_169
; %bb.164:
	s_cmp_lg_u32 s33, 0
	s_cbranch_scc0 .LBB117_170
; %bb.165:
	s_min_u32 s4, s34, 15
	s_add_i32 s2, s4, 1
	s_and_b32 s5, s2, 30
	s_add_u32 s2, s12, 0xffffffe8
	s_addc_u32 s3, s13, -1
	v_mov_b32_e32 v27, 0
	v_mov_b32_e32 v29, 0
	;; [unrolled: 1-line block ×4, first 2 shown]
.LBB117_166:                            ; =>This Inner Loop Header: Depth=1
	s_load_dwordx4 s[8:11], s[2:3], 0x1c
	s_load_dwordx2 s[6:7], s[2:3], 0x2c
	s_load_dwordx2 s[14:15], s[2:3], 0xec
	s_load_dwordx4 s[16:19], s[2:3], 0xdc
	s_add_u32 s2, s2, 24
	s_waitcnt lgkmcnt(0)
	v_mul_hi_u32 v6, s9, v3
	s_addc_u32 s3, s3, 0
	s_add_i32 s5, s5, -2
	s_cmp_lg_u32 s5, 0
	v_add_u32_e32 v6, v3, v6
	v_lshrrev_b32_e32 v6, s10, v6
	v_mul_lo_u32 v8, v6, s8
	v_mul_hi_u32 v11, s6, v6
	v_sub_u32_e32 v8, v3, v8
	v_add_u32_e32 v3, v6, v11
	v_lshrrev_b32_e32 v3, s7, v3
	v_mul_lo_u32 v16, v3, s11
	v_mul_lo_u32 v11, v8, s16
	;; [unrolled: 1-line block ×4, first 2 shown]
	v_sub_u32_e32 v6, v6, v16
	v_mul_lo_u32 v16, v6, s19
	v_mul_lo_u32 v18, v6, s14
	;; [unrolled: 1-line block ×3, first 2 shown]
	v_add3_u32 v25, v11, v25, v16
	v_add3_u32 v29, v13, v29, v18
	;; [unrolled: 1-line block ×3, first 2 shown]
	s_cbranch_scc1 .LBB117_166
; %bb.167:
	s_bitcmp1_b32 s4, 0
	s_cselect_b64 s[4:5], -1, 0
	s_and_b64 vcc, exec, s[4:5]
	s_cbranch_vccnz .LBB117_171
; %bb.168:
	s_load_dwordx2 s[4:5], s[2:3], 0x1c
	s_load_dword s8, s[2:3], 0x24
	s_load_dwordx2 s[6:7], s[2:3], 0xdc
	s_waitcnt lgkmcnt(0)
	v_mul_hi_u32 v6, s5, v3
	v_add_u32_e32 v6, v3, v6
	v_lshrrev_b32_e32 v6, s8, v6
	v_mul_lo_u32 v6, v6, s4
	s_load_dword s4, s[2:3], 0xe4
	v_sub_u32_e32 v3, v3, v6
	v_mad_u64_u32 v[25:26], s[2:3], v3, s6, v[25:26]
	v_mad_u64_u32 v[29:30], s[2:3], v3, s7, v[29:30]
	s_waitcnt lgkmcnt(0)
	v_mad_u64_u32 v[27:28], s[2:3], v3, s4, v[27:28]
	s_cbranch_execz .LBB117_172
	s_branch .LBB117_174
.LBB117_169:
                                        ; implicit-def: $vgpr25
                                        ; implicit-def: $vgpr29
                                        ; implicit-def: $vgpr27
	s_branch .LBB117_172
.LBB117_170:
	v_mov_b32_e32 v25, 0
	v_mov_b32_e32 v29, 0
	;; [unrolled: 1-line block ×3, first 2 shown]
.LBB117_171:
	s_cbranch_execnz .LBB117_174
.LBB117_172:
	s_load_dwordx4 s[4:7], s[12:13], 0x4
	s_load_dwordx4 s[8:11], s[12:13], 0xc4
	s_cmp_lt_u32 s33, 2
	s_waitcnt lgkmcnt(0)
	v_mul_hi_u32 v3, s5, v1
	v_add_u32_e32 v3, v1, v3
	v_lshrrev_b32_e32 v3, s6, v3
	v_mul_lo_u32 v6, v3, s4
	v_sub_u32_e32 v1, v1, v6
	v_mul_lo_u32 v25, v1, s8
	v_mul_lo_u32 v29, v1, s9
	;; [unrolled: 1-line block ×3, first 2 shown]
	s_cbranch_scc1 .LBB117_174
; %bb.173:
	s_load_dwordx4 s[4:7], s[12:13], 0x10
	s_load_dwordx4 s[8:11], s[12:13], 0xd0
	s_waitcnt lgkmcnt(0)
	v_mul_hi_u32 v1, s5, v3
	v_add_u32_e32 v1, v3, v1
	v_lshrrev_b32_e32 v1, s6, v1
	v_mul_lo_u32 v1, v1, s4
	v_sub_u32_e32 v1, v3, v1
	v_mad_u64_u32 v[25:26], s[2:3], v1, s8, v[25:26]
	v_mad_u64_u32 v[29:30], s[2:3], v1, s9, v[29:30]
	;; [unrolled: 1-line block ×3, first 2 shown]
.LBB117_174:
	s_and_b64 vcc, exec, s[0:1]
	v_add_u32_e32 v1, 0x300, v31
	s_cbranch_vccnz .LBB117_180
; %bb.175:
	s_cmp_lg_u32 s33, 0
	s_cbranch_scc0 .LBB117_181
; %bb.176:
	s_min_u32 s4, s34, 15
	s_add_i32 s2, s4, 1
	s_and_b32 s5, s2, 30
	s_add_u32 s2, s12, 0xffffffe8
	s_addc_u32 s3, s13, -1
	v_mov_b32_e32 v32, 0
	v_mov_b32_e32 v34, 0
	;; [unrolled: 1-line block ×4, first 2 shown]
.LBB117_177:                            ; =>This Inner Loop Header: Depth=1
	s_load_dwordx4 s[8:11], s[2:3], 0x1c
	s_load_dwordx2 s[6:7], s[2:3], 0x2c
	s_load_dwordx2 s[14:15], s[2:3], 0xec
	s_load_dwordx4 s[16:19], s[2:3], 0xdc
	s_add_u32 s2, s2, 24
	s_waitcnt lgkmcnt(0)
	v_mul_hi_u32 v6, s9, v3
	s_addc_u32 s3, s3, 0
	s_add_i32 s5, s5, -2
	s_cmp_lg_u32 s5, 0
	v_add_u32_e32 v6, v3, v6
	v_lshrrev_b32_e32 v6, s10, v6
	v_mul_lo_u32 v8, v6, s8
	v_mul_hi_u32 v11, s6, v6
	v_sub_u32_e32 v8, v3, v8
	v_add_u32_e32 v3, v6, v11
	v_lshrrev_b32_e32 v3, s7, v3
	v_mul_lo_u32 v16, v3, s11
	v_mul_lo_u32 v11, v8, s16
	;; [unrolled: 1-line block ×4, first 2 shown]
	v_sub_u32_e32 v6, v6, v16
	v_mul_lo_u32 v16, v6, s19
	v_mul_lo_u32 v18, v6, s14
	;; [unrolled: 1-line block ×3, first 2 shown]
	v_add3_u32 v30, v11, v30, v16
	v_add3_u32 v34, v13, v34, v18
	;; [unrolled: 1-line block ×3, first 2 shown]
	s_cbranch_scc1 .LBB117_177
; %bb.178:
	s_bitcmp1_b32 s4, 0
	s_cselect_b64 s[4:5], -1, 0
	s_and_b64 vcc, exec, s[4:5]
	s_cbranch_vccnz .LBB117_182
; %bb.179:
	s_load_dwordx2 s[4:5], s[2:3], 0x1c
	s_load_dword s8, s[2:3], 0x24
	s_load_dwordx2 s[6:7], s[2:3], 0xdc
	s_waitcnt lgkmcnt(0)
	v_mul_hi_u32 v6, s5, v3
	v_add_u32_e32 v6, v3, v6
	v_lshrrev_b32_e32 v6, s8, v6
	v_mul_lo_u32 v6, v6, s4
	s_load_dword s4, s[2:3], 0xe4
	v_sub_u32_e32 v3, v3, v6
	v_mad_u64_u32 v[30:31], s[2:3], v3, s6, v[30:31]
	v_mad_u64_u32 v[34:35], s[2:3], v3, s7, v[34:35]
	s_waitcnt lgkmcnt(0)
	v_mad_u64_u32 v[32:33], s[2:3], v3, s4, v[32:33]
	s_cbranch_execz .LBB117_183
	s_branch .LBB117_185
.LBB117_180:
                                        ; implicit-def: $vgpr30
                                        ; implicit-def: $vgpr34
                                        ; implicit-def: $vgpr32
	s_branch .LBB117_183
.LBB117_181:
	v_mov_b32_e32 v30, 0
	v_mov_b32_e32 v34, 0
	;; [unrolled: 1-line block ×3, first 2 shown]
.LBB117_182:
	s_cbranch_execnz .LBB117_185
.LBB117_183:
	s_load_dwordx4 s[4:7], s[12:13], 0x4
	s_load_dwordx4 s[8:11], s[12:13], 0xc4
	s_cmp_lt_u32 s33, 2
	s_waitcnt lgkmcnt(0)
	v_mul_hi_u32 v3, s5, v1
	v_add_u32_e32 v3, v1, v3
	v_lshrrev_b32_e32 v3, s6, v3
	v_mul_lo_u32 v6, v3, s4
	v_sub_u32_e32 v1, v1, v6
	v_mul_lo_u32 v30, v1, s8
	v_mul_lo_u32 v34, v1, s9
	;; [unrolled: 1-line block ×3, first 2 shown]
	s_cbranch_scc1 .LBB117_185
; %bb.184:
	s_load_dwordx4 s[4:7], s[12:13], 0x10
	s_load_dwordx4 s[8:11], s[12:13], 0xd0
	s_waitcnt lgkmcnt(0)
	v_mul_hi_u32 v1, s5, v3
	v_add_u32_e32 v1, v3, v1
	v_lshrrev_b32_e32 v1, s6, v1
	v_mul_lo_u32 v1, v1, s4
	v_sub_u32_e32 v1, v3, v1
	v_mad_u64_u32 v[30:31], s[2:3], v1, s8, v[30:31]
	v_mad_u64_u32 v[34:35], s[2:3], v1, s9, v[34:35]
	;; [unrolled: 1-line block ×3, first 2 shown]
.LBB117_185:
	s_and_b64 vcc, exec, s[0:1]
	s_cbranch_vccnz .LBB117_191
; %bb.186:
	s_cmp_lg_u32 s33, 0
	s_cbranch_scc0 .LBB117_192
; %bb.187:
	s_min_u32 s2, s34, 15
	s_add_i32 s0, s2, 1
	s_and_b32 s3, s0, 30
	s_add_u32 s0, s12, 0xffffffe8
	s_addc_u32 s1, s13, -1
	v_mov_b32_e32 v37, 0
	v_mov_b32_e32 v39, 0
	;; [unrolled: 1-line block ×4, first 2 shown]
.LBB117_188:                            ; =>This Inner Loop Header: Depth=1
	s_load_dwordx4 s[4:7], s[0:1], 0x1c
	s_load_dwordx2 s[14:15], s[0:1], 0x2c
	s_load_dwordx2 s[16:17], s[0:1], 0xec
	s_load_dwordx4 s[8:11], s[0:1], 0xdc
	s_add_u32 s0, s0, 24
	s_waitcnt lgkmcnt(0)
	v_mul_hi_u32 v3, s5, v1
	s_addc_u32 s1, s1, 0
	s_add_i32 s3, s3, -2
	s_cmp_lg_u32 s3, 0
	v_add_u32_e32 v3, v1, v3
	v_lshrrev_b32_e32 v3, s6, v3
	v_mul_lo_u32 v6, v3, s4
	v_mul_hi_u32 v8, s14, v3
	v_sub_u32_e32 v6, v1, v6
	v_add_u32_e32 v1, v3, v8
	v_lshrrev_b32_e32 v1, s15, v1
	v_mul_lo_u32 v13, v1, s7
	v_mul_lo_u32 v8, v6, s8
	;; [unrolled: 1-line block ×4, first 2 shown]
	v_sub_u32_e32 v3, v3, v13
	v_mul_lo_u32 v13, v3, s11
	v_mul_lo_u32 v16, v3, s16
	;; [unrolled: 1-line block ×3, first 2 shown]
	v_add3_u32 v35, v8, v35, v13
	v_add3_u32 v39, v11, v39, v16
	;; [unrolled: 1-line block ×3, first 2 shown]
	s_cbranch_scc1 .LBB117_188
; %bb.189:
	s_bitcmp1_b32 s2, 0
	s_cselect_b64 s[2:3], -1, 0
	s_and_b64 vcc, exec, s[2:3]
	s_cbranch_vccnz .LBB117_193
; %bb.190:
	s_load_dwordx2 s[2:3], s[0:1], 0x1c
	s_load_dword s6, s[0:1], 0x24
	s_load_dwordx2 s[4:5], s[0:1], 0xdc
	s_waitcnt lgkmcnt(0)
	v_mul_hi_u32 v3, s3, v1
	v_add_u32_e32 v3, v1, v3
	v_lshrrev_b32_e32 v3, s6, v3
	v_mul_lo_u32 v3, v3, s2
	s_load_dword s2, s[0:1], 0xe4
	v_sub_u32_e32 v1, v1, v3
	v_mad_u64_u32 v[35:36], s[0:1], v1, s4, v[35:36]
	v_mad_u64_u32 v[39:40], s[0:1], v1, s5, v[39:40]
	s_waitcnt lgkmcnt(0)
	v_mad_u64_u32 v[37:38], s[0:1], v1, s2, v[37:38]
	s_cbranch_execz .LBB117_194
	s_branch .LBB117_196
.LBB117_191:
                                        ; implicit-def: $vgpr35
                                        ; implicit-def: $vgpr39
                                        ; implicit-def: $vgpr37
	s_branch .LBB117_194
.LBB117_192:
	v_mov_b32_e32 v35, 0
	v_mov_b32_e32 v39, 0
	;; [unrolled: 1-line block ×3, first 2 shown]
.LBB117_193:
	s_cbranch_execnz .LBB117_196
.LBB117_194:
	s_load_dwordx4 s[0:3], s[12:13], 0x4
	s_load_dwordx4 s[4:7], s[12:13], 0xc4
	s_cmp_lt_u32 s33, 2
	s_waitcnt lgkmcnt(0)
	v_mul_hi_u32 v1, s1, v41
	v_add_u32_e32 v1, v41, v1
	v_lshrrev_b32_e32 v1, s2, v1
	v_mul_lo_u32 v3, v1, s0
	v_sub_u32_e32 v3, v41, v3
	v_mul_lo_u32 v35, v3, s4
	v_mul_lo_u32 v39, v3, s5
	;; [unrolled: 1-line block ×3, first 2 shown]
	s_cbranch_scc1 .LBB117_196
; %bb.195:
	s_load_dwordx4 s[0:3], s[12:13], 0x10
	s_load_dwordx4 s[4:7], s[12:13], 0xd0
	s_waitcnt lgkmcnt(0)
	v_mul_hi_u32 v3, s1, v1
	v_add_u32_e32 v3, v1, v3
	v_lshrrev_b32_e32 v3, s2, v3
	v_mul_lo_u32 v3, v3, s0
	v_sub_u32_e32 v1, v1, v3
	v_mad_u64_u32 v[35:36], s[0:1], v1, s4, v[35:36]
	v_mad_u64_u32 v[39:40], s[0:1], v1, s5, v[39:40]
	;; [unrolled: 1-line block ×3, first 2 shown]
.LBB117_196:
	s_load_dwordx2 s[4:5], s[12:13], 0x198
	s_load_dwordx4 s[0:3], s[12:13], 0x188
	s_waitcnt lgkmcnt(0)
	global_load_ushort v1, v4, s[4:5]
	global_load_ushort v3, v2, s[2:3]
	;; [unrolled: 1-line block ×8, first 2 shown]
                                        ; kill: killed $vgpr4
                                        ; kill: killed $vgpr14
                                        ; kill: killed $vgpr9
                                        ; kill: killed $vgpr19
                                        ; kill: killed $vgpr12
                                        ; kill: killed $vgpr17
                                        ; kill: killed $vgpr2
                                        ; kill: killed $vgpr7
	global_load_ushort v2, v22, s[4:5]
	global_load_ushort v4, v24, s[2:3]
	;; [unrolled: 1-line block ×8, first 2 shown]
	s_waitcnt vmcnt(15)
	v_cmp_gt_u32_e32 vcc, 16, v1
	s_waitcnt vmcnt(14)
	v_lshlrev_b32_e32 v3, v1, v3
	v_cndmask_b32_e32 v1, 0, v3, vcc
	s_waitcnt vmcnt(12)
	v_lshlrev_b32_e32 v8, v6, v8
	v_cmp_gt_u32_e32 vcc, 16, v6
	s_waitcnt vmcnt(10)
	v_lshlrev_b32_e32 v13, v11, v13
	v_cndmask_b32_e32 v3, 0, v8, vcc
	v_cmp_gt_u32_e32 vcc, 16, v11
	s_waitcnt vmcnt(8)
	v_lshlrev_b32_e32 v18, v16, v18
	v_cndmask_b32_e32 v6, 0, v13, vcc
	v_cmp_gt_u32_e32 vcc, 16, v16
	v_cndmask_b32_e32 v8, 0, v18, vcc
	s_waitcnt vmcnt(7)
	v_cmp_gt_u32_e32 vcc, 16, v2
	s_waitcnt vmcnt(6)
	v_lshlrev_b32_e32 v4, v2, v4
	v_cndmask_b32_e32 v2, 0, v4, vcc
	s_waitcnt vmcnt(4)
	v_lshlrev_b32_e32 v9, v7, v9
	v_cmp_gt_u32_e32 vcc, 16, v7
	s_waitcnt vmcnt(2)
	v_lshlrev_b32_e32 v14, v12, v14
	v_cndmask_b32_e32 v4, 0, v9, vcc
	v_cmp_gt_u32_e32 vcc, 16, v12
	s_waitcnt vmcnt(0)
	v_lshlrev_b32_e32 v19, v17, v19
	v_cndmask_b32_e32 v7, 0, v14, vcc
	v_cmp_gt_u32_e32 vcc, 16, v17
	v_cndmask_b32_e32 v9, 0, v19, vcc
	global_store_short v0, v1, s[0:1]
	global_store_short v5, v3, s[0:1]
	;; [unrolled: 1-line block ×8, first 2 shown]
	s_endpgm
	.section	.rodata,"a",@progbits
	.p2align	6, 0x0
	.amdhsa_kernel _ZN2at6native32elementwise_kernel_manual_unrollILi128ELi8EZNS0_22gpu_kernel_impl_nocastINS0_13BinaryFunctorIsssZZZNS0_18lshift_kernel_cudaERNS_18TensorIteratorBaseEENKUlvE_clEvENKUlvE3_clEvEUlssE_EEEEvS5_RKT_EUlibE_EEviT1_
		.amdhsa_group_segment_fixed_size 0
		.amdhsa_private_segment_fixed_size 0
		.amdhsa_kernarg_size 432
		.amdhsa_user_sgpr_count 6
		.amdhsa_user_sgpr_private_segment_buffer 1
		.amdhsa_user_sgpr_dispatch_ptr 0
		.amdhsa_user_sgpr_queue_ptr 0
		.amdhsa_user_sgpr_kernarg_segment_ptr 1
		.amdhsa_user_sgpr_dispatch_id 0
		.amdhsa_user_sgpr_flat_scratch_init 0
		.amdhsa_user_sgpr_private_segment_size 0
		.amdhsa_uses_dynamic_stack 0
		.amdhsa_system_sgpr_private_segment_wavefront_offset 0
		.amdhsa_system_sgpr_workgroup_id_x 1
		.amdhsa_system_sgpr_workgroup_id_y 0
		.amdhsa_system_sgpr_workgroup_id_z 0
		.amdhsa_system_sgpr_workgroup_info 0
		.amdhsa_system_vgpr_workitem_id 0
		.amdhsa_next_free_vgpr 42
		.amdhsa_next_free_sgpr 50
		.amdhsa_reserve_vcc 1
		.amdhsa_reserve_flat_scratch 0
		.amdhsa_float_round_mode_32 0
		.amdhsa_float_round_mode_16_64 0
		.amdhsa_float_denorm_mode_32 3
		.amdhsa_float_denorm_mode_16_64 3
		.amdhsa_dx10_clamp 1
		.amdhsa_ieee_mode 1
		.amdhsa_fp16_overflow 0
		.amdhsa_exception_fp_ieee_invalid_op 0
		.amdhsa_exception_fp_denorm_src 0
		.amdhsa_exception_fp_ieee_div_zero 0
		.amdhsa_exception_fp_ieee_overflow 0
		.amdhsa_exception_fp_ieee_underflow 0
		.amdhsa_exception_fp_ieee_inexact 0
		.amdhsa_exception_int_div_zero 0
	.end_amdhsa_kernel
	.section	.text._ZN2at6native32elementwise_kernel_manual_unrollILi128ELi8EZNS0_22gpu_kernel_impl_nocastINS0_13BinaryFunctorIsssZZZNS0_18lshift_kernel_cudaERNS_18TensorIteratorBaseEENKUlvE_clEvENKUlvE3_clEvEUlssE_EEEEvS5_RKT_EUlibE_EEviT1_,"axG",@progbits,_ZN2at6native32elementwise_kernel_manual_unrollILi128ELi8EZNS0_22gpu_kernel_impl_nocastINS0_13BinaryFunctorIsssZZZNS0_18lshift_kernel_cudaERNS_18TensorIteratorBaseEENKUlvE_clEvENKUlvE3_clEvEUlssE_EEEEvS5_RKT_EUlibE_EEviT1_,comdat
.Lfunc_end117:
	.size	_ZN2at6native32elementwise_kernel_manual_unrollILi128ELi8EZNS0_22gpu_kernel_impl_nocastINS0_13BinaryFunctorIsssZZZNS0_18lshift_kernel_cudaERNS_18TensorIteratorBaseEENKUlvE_clEvENKUlvE3_clEvEUlssE_EEEEvS5_RKT_EUlibE_EEviT1_, .Lfunc_end117-_ZN2at6native32elementwise_kernel_manual_unrollILi128ELi8EZNS0_22gpu_kernel_impl_nocastINS0_13BinaryFunctorIsssZZZNS0_18lshift_kernel_cudaERNS_18TensorIteratorBaseEENKUlvE_clEvENKUlvE3_clEvEUlssE_EEEEvS5_RKT_EUlibE_EEviT1_
                                        ; -- End function
	.set _ZN2at6native32elementwise_kernel_manual_unrollILi128ELi8EZNS0_22gpu_kernel_impl_nocastINS0_13BinaryFunctorIsssZZZNS0_18lshift_kernel_cudaERNS_18TensorIteratorBaseEENKUlvE_clEvENKUlvE3_clEvEUlssE_EEEEvS5_RKT_EUlibE_EEviT1_.num_vgpr, 42
	.set _ZN2at6native32elementwise_kernel_manual_unrollILi128ELi8EZNS0_22gpu_kernel_impl_nocastINS0_13BinaryFunctorIsssZZZNS0_18lshift_kernel_cudaERNS_18TensorIteratorBaseEENKUlvE_clEvENKUlvE3_clEvEUlssE_EEEEvS5_RKT_EUlibE_EEviT1_.num_agpr, 0
	.set _ZN2at6native32elementwise_kernel_manual_unrollILi128ELi8EZNS0_22gpu_kernel_impl_nocastINS0_13BinaryFunctorIsssZZZNS0_18lshift_kernel_cudaERNS_18TensorIteratorBaseEENKUlvE_clEvENKUlvE3_clEvEUlssE_EEEEvS5_RKT_EUlibE_EEviT1_.numbered_sgpr, 50
	.set _ZN2at6native32elementwise_kernel_manual_unrollILi128ELi8EZNS0_22gpu_kernel_impl_nocastINS0_13BinaryFunctorIsssZZZNS0_18lshift_kernel_cudaERNS_18TensorIteratorBaseEENKUlvE_clEvENKUlvE3_clEvEUlssE_EEEEvS5_RKT_EUlibE_EEviT1_.num_named_barrier, 0
	.set _ZN2at6native32elementwise_kernel_manual_unrollILi128ELi8EZNS0_22gpu_kernel_impl_nocastINS0_13BinaryFunctorIsssZZZNS0_18lshift_kernel_cudaERNS_18TensorIteratorBaseEENKUlvE_clEvENKUlvE3_clEvEUlssE_EEEEvS5_RKT_EUlibE_EEviT1_.private_seg_size, 0
	.set _ZN2at6native32elementwise_kernel_manual_unrollILi128ELi8EZNS0_22gpu_kernel_impl_nocastINS0_13BinaryFunctorIsssZZZNS0_18lshift_kernel_cudaERNS_18TensorIteratorBaseEENKUlvE_clEvENKUlvE3_clEvEUlssE_EEEEvS5_RKT_EUlibE_EEviT1_.uses_vcc, 1
	.set _ZN2at6native32elementwise_kernel_manual_unrollILi128ELi8EZNS0_22gpu_kernel_impl_nocastINS0_13BinaryFunctorIsssZZZNS0_18lshift_kernel_cudaERNS_18TensorIteratorBaseEENKUlvE_clEvENKUlvE3_clEvEUlssE_EEEEvS5_RKT_EUlibE_EEviT1_.uses_flat_scratch, 0
	.set _ZN2at6native32elementwise_kernel_manual_unrollILi128ELi8EZNS0_22gpu_kernel_impl_nocastINS0_13BinaryFunctorIsssZZZNS0_18lshift_kernel_cudaERNS_18TensorIteratorBaseEENKUlvE_clEvENKUlvE3_clEvEUlssE_EEEEvS5_RKT_EUlibE_EEviT1_.has_dyn_sized_stack, 0
	.set _ZN2at6native32elementwise_kernel_manual_unrollILi128ELi8EZNS0_22gpu_kernel_impl_nocastINS0_13BinaryFunctorIsssZZZNS0_18lshift_kernel_cudaERNS_18TensorIteratorBaseEENKUlvE_clEvENKUlvE3_clEvEUlssE_EEEEvS5_RKT_EUlibE_EEviT1_.has_recursion, 0
	.set _ZN2at6native32elementwise_kernel_manual_unrollILi128ELi8EZNS0_22gpu_kernel_impl_nocastINS0_13BinaryFunctorIsssZZZNS0_18lshift_kernel_cudaERNS_18TensorIteratorBaseEENKUlvE_clEvENKUlvE3_clEvEUlssE_EEEEvS5_RKT_EUlibE_EEviT1_.has_indirect_call, 0
	.section	.AMDGPU.csdata,"",@progbits
; Kernel info:
; codeLenInByte = 9356
; TotalNumSgprs: 54
; NumVgprs: 42
; ScratchSize: 0
; MemoryBound: 0
; FloatMode: 240
; IeeeMode: 1
; LDSByteSize: 0 bytes/workgroup (compile time only)
; SGPRBlocks: 6
; VGPRBlocks: 10
; NumSGPRsForWavesPerEU: 54
; NumVGPRsForWavesPerEU: 42
; Occupancy: 5
; WaveLimiterHint : 1
; COMPUTE_PGM_RSRC2:SCRATCH_EN: 0
; COMPUTE_PGM_RSRC2:USER_SGPR: 6
; COMPUTE_PGM_RSRC2:TRAP_HANDLER: 0
; COMPUTE_PGM_RSRC2:TGID_X_EN: 1
; COMPUTE_PGM_RSRC2:TGID_Y_EN: 0
; COMPUTE_PGM_RSRC2:TGID_Z_EN: 0
; COMPUTE_PGM_RSRC2:TIDIG_COMP_CNT: 0
	.section	.text._ZN2at6native32elementwise_kernel_manual_unrollILi128ELi4EZNS0_15gpu_kernel_implINS0_13BinaryFunctorIsssZZZNS0_18lshift_kernel_cudaERNS_18TensorIteratorBaseEENKUlvE_clEvENKUlvE3_clEvEUlssE_EEEEvS5_RKT_EUlibE_EEviT1_,"axG",@progbits,_ZN2at6native32elementwise_kernel_manual_unrollILi128ELi4EZNS0_15gpu_kernel_implINS0_13BinaryFunctorIsssZZZNS0_18lshift_kernel_cudaERNS_18TensorIteratorBaseEENKUlvE_clEvENKUlvE3_clEvEUlssE_EEEEvS5_RKT_EUlibE_EEviT1_,comdat
	.globl	_ZN2at6native32elementwise_kernel_manual_unrollILi128ELi4EZNS0_15gpu_kernel_implINS0_13BinaryFunctorIsssZZZNS0_18lshift_kernel_cudaERNS_18TensorIteratorBaseEENKUlvE_clEvENKUlvE3_clEvEUlssE_EEEEvS5_RKT_EUlibE_EEviT1_ ; -- Begin function _ZN2at6native32elementwise_kernel_manual_unrollILi128ELi4EZNS0_15gpu_kernel_implINS0_13BinaryFunctorIsssZZZNS0_18lshift_kernel_cudaERNS_18TensorIteratorBaseEENKUlvE_clEvENKUlvE3_clEvEUlssE_EEEEvS5_RKT_EUlibE_EEviT1_
	.p2align	8
	.type	_ZN2at6native32elementwise_kernel_manual_unrollILi128ELi4EZNS0_15gpu_kernel_implINS0_13BinaryFunctorIsssZZZNS0_18lshift_kernel_cudaERNS_18TensorIteratorBaseEENKUlvE_clEvENKUlvE3_clEvEUlssE_EEEEvS5_RKT_EUlibE_EEviT1_,@function
_ZN2at6native32elementwise_kernel_manual_unrollILi128ELi4EZNS0_15gpu_kernel_implINS0_13BinaryFunctorIsssZZZNS0_18lshift_kernel_cudaERNS_18TensorIteratorBaseEENKUlvE_clEvENKUlvE3_clEvEUlssE_EEEEvS5_RKT_EUlibE_EEviT1_: ; @_ZN2at6native32elementwise_kernel_manual_unrollILi128ELi4EZNS0_15gpu_kernel_implINS0_13BinaryFunctorIsssZZZNS0_18lshift_kernel_cudaERNS_18TensorIteratorBaseEENKUlvE_clEvENKUlvE3_clEvEUlssE_EEEEvS5_RKT_EUlibE_EEviT1_
; %bb.0:
	v_mov_b32_e32 v1, 0
	global_load_ushort v2, v1, s[4:5] offset:45
	global_load_sbyte v3, v1, s[4:5] offset:47
	s_load_dword s48, s[4:5], 0x0
	s_load_dwordx4 s[8:11], s[4:5], 0x8
	s_load_dwordx2 s[2:3], s[4:5], 0x18
	s_load_dwordx4 s[12:15], s[4:5], 0x20
	v_lshl_or_b32 v14, s6, 9, v0
	v_or_b32_e32 v0, 0x180, v14
	s_mov_b64 s[16:17], 0
	s_waitcnt lgkmcnt(0)
	v_cmp_le_i32_e32 vcc, s48, v0
	s_mov_b64 s[6:7], 0
	s_waitcnt vmcnt(1)
	v_readfirstlane_b32 s33, v2
	s_waitcnt vmcnt(0)
	v_readfirstlane_b32 s15, v3
	s_lshr_b32 s54, s33, 8
	s_and_saveexec_b64 s[0:1], vcc
	s_xor_b64 s[4:5], exec, s[0:1]
	s_cbranch_execz .LBB118_1512
; %bb.1:
	v_cmp_gt_i32_e32 vcc, s48, v14
	s_mov_b64 s[0:1], -1
	s_mov_b64 s[26:27], 0
	s_mov_b64 s[20:21], 0
	;; [unrolled: 1-line block ×3, first 2 shown]
	s_and_saveexec_b64 s[22:23], vcc
	s_cbranch_execz .LBB118_375
; %bb.2:
	v_mul_lo_u32 v0, v14, s13
	v_mov_b32_e32 v1, s11
	s_and_b32 s18, s54, 0xff
	s_cmp_lt_i32 s18, 11
	v_ashrrev_i32_e32 v3, 31, v0
	v_add_co_u32_e32 v2, vcc, s10, v0
	v_addc_co_u32_e32 v3, vcc, v1, v3, vcc
	s_cbranch_scc1 .LBB118_9
; %bb.3:
	s_and_b32 s19, 0xffff, s18
	s_cmp_gt_i32 s19, 25
	s_cbranch_scc0 .LBB118_18
; %bb.4:
	s_cmp_gt_i32 s19, 28
	s_cbranch_scc0 .LBB118_28
; %bb.5:
	;; [unrolled: 3-line block ×4, first 2 shown]
	s_cmp_eq_u32 s19, 46
	s_cbranch_scc0 .LBB118_37
; %bb.8:
	global_load_dword v0, v[2:3], off
	s_waitcnt vmcnt(0)
	v_lshlrev_b32_e32 v0, 16, v0
	v_cvt_i32_f32_e32 v0, v0
	s_branch .LBB118_39
.LBB118_9:
                                        ; implicit-def: $vgpr0
	s_mov_b64 s[0:1], 0
	s_cbranch_execnz .LBB118_101
.LBB118_10:
	s_andn2_b64 vcc, exec, s[0:1]
	s_cbranch_vccnz .LBB118_148
.LBB118_11:
	s_waitcnt vmcnt(0)
	v_mul_lo_u32 v1, v14, s14
	v_mov_b32_e32 v2, s3
	s_and_b32 s24, s15, 0xff
	s_cmp_lt_i32 s24, 11
	v_ashrrev_i32_e32 v3, 31, v1
	v_add_co_u32_e32 v1, vcc, s2, v1
	v_addc_co_u32_e32 v2, vcc, v2, v3, vcc
	s_cbranch_scc1 .LBB118_19
; %bb.12:
	s_and_b32 s25, 0xffff, s24
	s_cmp_gt_i32 s25, 25
	s_cbranch_scc0 .LBB118_29
; %bb.13:
	s_cmp_gt_i32 s25, 28
	s_cbranch_scc0 .LBB118_32
; %bb.14:
	;; [unrolled: 3-line block ×4, first 2 shown]
	s_cmp_eq_u32 s25, 46
	s_mov_b64 s[6:7], 0
	s_cbranch_scc0 .LBB118_149
; %bb.17:
	global_load_dword v3, v[1:2], off
	s_mov_b64 s[0:1], -1
	s_mov_b64 s[18:19], 0
	s_waitcnt vmcnt(0)
	v_lshlrev_b32_e32 v3, 16, v3
	v_cvt_i32_f32_e32 v3, v3
	s_branch .LBB118_151
.LBB118_18:
	s_mov_b64 s[0:1], 0
                                        ; implicit-def: $vgpr0
	s_cbranch_execnz .LBB118_68
	s_branch .LBB118_100
.LBB118_19:
	s_mov_b64 s[18:19], 0
                                        ; implicit-def: $vgpr3
	s_mov_b64 s[0:1], 0
	s_cbranch_execnz .LBB118_324
.LBB118_20:
	s_andn2_b64 vcc, exec, s[0:1]
	s_cbranch_vccnz .LBB118_372
.LBB118_21:
	v_mul_lo_u32 v1, v14, s12
	s_waitcnt vmcnt(0)
	v_lshlrev_b32_sdwa v0, v3, v0 dst_sel:DWORD dst_unused:UNUSED_PAD src0_sel:WORD_0 src1_sel:DWORD
	v_cmp_gt_u16_e32 vcc, 16, v3
	v_cndmask_b32_e32 v4, 0, v0, vcc
	v_ashrrev_i32_e32 v2, 31, v1
	v_mov_b32_e32 v3, s9
	s_and_b32 s30, s33, 0xff
	v_add_co_u32_e32 v0, vcc, s8, v1
	s_cmp_lt_i32 s30, 11
	v_addc_co_u32_e32 v1, vcc, v3, v2, vcc
	s_cbranch_scc1 .LBB118_30
; %bb.22:
	s_and_b32 s31, 0xffff, s30
	s_cmp_gt_i32 s31, 25
	s_cbranch_scc0 .LBB118_33
; %bb.23:
	s_cmp_gt_i32 s31, 28
	s_cbranch_scc0 .LBB118_36
; %bb.24:
	;; [unrolled: 3-line block ×4, first 2 shown]
	s_mov_b64 s[24:25], 0
	s_mov_b64 s[0:1], -1
	s_cmp_eq_u32 s31, 46
	s_mov_b64 s[6:7], 0
	s_cbranch_scc0 .LBB118_155
; %bb.27:
	v_cvt_f32_i32_sdwa v2, sext(v4) dst_sel:DWORD dst_unused:UNUSED_PAD src0_sel:WORD_0
	s_movk_i32 s0, 0x7fff
	s_mov_b64 s[6:7], -1
	v_bfe_u32 v3, v2, 16, 1
	v_add3_u32 v2, v2, v3, s0
	v_lshrrev_b32_e32 v2, 16, v2
	global_store_dword v[0:1], v2, off
	s_mov_b64 s[0:1], 0
	s_branch .LBB118_155
.LBB118_28:
	s_mov_b64 s[6:7], -1
	s_mov_b64 s[0:1], 0
                                        ; implicit-def: $vgpr0
	s_branch .LBB118_51
.LBB118_29:
	s_mov_b64 s[6:7], -1
	s_mov_b64 s[18:19], 0
	s_mov_b64 s[0:1], 0
                                        ; implicit-def: $vgpr3
	s_branch .LBB118_290
.LBB118_30:
	s_mov_b64 s[24:25], -1
	s_mov_b64 s[0:1], 0
	s_mov_b64 s[6:7], 0
	s_branch .LBB118_224
.LBB118_31:
	s_mov_b64 s[6:7], -1
	s_mov_b64 s[0:1], 0
                                        ; implicit-def: $vgpr0
	s_branch .LBB118_46
.LBB118_32:
	s_mov_b64 s[6:7], -1
	s_mov_b64 s[18:19], 0
	s_mov_b64 s[0:1], 0
                                        ; implicit-def: $vgpr3
	s_branch .LBB118_273
.LBB118_33:
	s_mov_b64 s[24:25], -1
	s_mov_b64 s[0:1], 0
	s_mov_b64 s[6:7], 0
	s_branch .LBB118_182
.LBB118_34:
	s_mov_b64 s[6:7], -1
	s_branch .LBB118_38
.LBB118_35:
	s_mov_b64 s[6:7], -1
	s_mov_b64 s[18:19], 0
	s_mov_b64 s[0:1], 0
                                        ; implicit-def: $vgpr3
	s_branch .LBB118_268
.LBB118_36:
	s_mov_b64 s[24:25], -1
	s_mov_b64 s[0:1], 0
	s_mov_b64 s[6:7], 0
	s_branch .LBB118_165
.LBB118_37:
	s_mov_b64 s[20:21], -1
.LBB118_38:
	s_mov_b64 s[0:1], 0
                                        ; implicit-def: $vgpr0
.LBB118_39:
	s_and_b64 vcc, exec, s[6:7]
	s_cbranch_vccz .LBB118_45
; %bb.40:
	s_cmp_eq_u32 s19, 44
	s_cbranch_scc0 .LBB118_44
; %bb.41:
	global_load_ubyte v0, v[2:3], off
	s_mov_b64 s[0:1], -1
	s_mov_b64 s[20:21], 0
	s_waitcnt vmcnt(0)
	v_lshlrev_b32_e32 v1, 23, v0
	v_cvt_i32_f32_e32 v1, v1
	v_cmp_ne_u32_e32 vcc, 0, v0
	v_cndmask_b32_e32 v0, 0, v1, vcc
	s_branch .LBB118_45
.LBB118_42:
	s_mov_b64 s[6:7], -1
	s_mov_b64 s[18:19], 0
	s_branch .LBB118_150
.LBB118_43:
	s_mov_b64 s[24:25], -1
	s_mov_b64 s[0:1], 0
	s_mov_b64 s[6:7], 0
	s_branch .LBB118_161
.LBB118_44:
	s_mov_b64 s[20:21], -1
                                        ; implicit-def: $vgpr0
.LBB118_45:
	s_mov_b64 s[6:7], 0
.LBB118_46:
	s_and_b64 vcc, exec, s[6:7]
	s_cbranch_vccz .LBB118_50
; %bb.47:
	s_cmp_eq_u32 s19, 29
	s_cbranch_scc0 .LBB118_49
; %bb.48:
	global_load_dwordx2 v[0:1], v[2:3], off
	s_mov_b64 s[0:1], -1
	s_mov_b64 s[20:21], 0
	s_branch .LBB118_50
.LBB118_49:
	s_mov_b64 s[20:21], -1
                                        ; implicit-def: $vgpr0
.LBB118_50:
	s_mov_b64 s[6:7], 0
.LBB118_51:
	s_and_b64 vcc, exec, s[6:7]
	s_cbranch_vccz .LBB118_67
; %bb.52:
	s_cmp_lt_i32 s19, 27
	s_cbranch_scc1 .LBB118_55
; %bb.53:
	s_cmp_gt_i32 s19, 27
	s_cbranch_scc0 .LBB118_56
; %bb.54:
	global_load_dword v0, v[2:3], off
	s_mov_b64 s[0:1], 0
	s_branch .LBB118_57
.LBB118_55:
	s_mov_b64 s[0:1], -1
                                        ; implicit-def: $vgpr0
	s_branch .LBB118_60
.LBB118_56:
	s_mov_b64 s[0:1], -1
                                        ; implicit-def: $vgpr0
.LBB118_57:
	s_andn2_b64 vcc, exec, s[0:1]
	s_cbranch_vccnz .LBB118_59
; %bb.58:
	global_load_ushort v0, v[2:3], off
.LBB118_59:
	s_mov_b64 s[0:1], 0
.LBB118_60:
	s_andn2_b64 vcc, exec, s[0:1]
	s_cbranch_vccnz .LBB118_66
; %bb.61:
	global_load_ubyte v1, v[2:3], off
	s_movk_i32 s0, 0x7f
	s_mov_b64 s[6:7], 0
	s_waitcnt vmcnt(0)
	v_cmp_lt_i16_e32 vcc, s0, v1
	s_and_saveexec_b64 s[0:1], vcc
	s_xor_b64 s[0:1], exec, s[0:1]
	s_cbranch_execz .LBB118_77
; %bb.62:
	s_movk_i32 s6, 0x80
	v_cmp_ne_u16_e32 vcc, s6, v1
	s_and_b64 s[6:7], vcc, exec
	s_andn2_saveexec_b64 s[0:1], s[0:1]
	s_cbranch_execnz .LBB118_78
.LBB118_63:
	s_or_b64 exec, exec, s[0:1]
	v_mov_b32_e32 v0, 0
	s_and_saveexec_b64 s[0:1], s[6:7]
	s_cbranch_execz .LBB118_65
.LBB118_64:
	v_lshlrev_b32_e32 v0, 24, v1
	v_and_b32_e32 v1, 0xffff, v1
	v_and_b32_e32 v4, 7, v1
	v_ffbh_u32_e32 v6, v4
	v_min_u32_e32 v6, 32, v6
	v_subrev_u32_e32 v7, 28, v6
	v_bfe_u32 v5, v1, 3, 4
	v_lshlrev_b32_e32 v1, v7, v1
	v_sub_u32_e32 v6, 29, v6
	v_and_b32_e32 v1, 7, v1
	v_cmp_eq_u32_e32 vcc, 0, v5
	v_cndmask_b32_e32 v5, v5, v6, vcc
	v_cndmask_b32_e32 v1, v4, v1, vcc
	v_mov_b32_e32 v4, 0x3b800000
	v_lshlrev_b32_e32 v1, 20, v1
	v_and_b32_e32 v0, 0x80000000, v0
	v_lshl_add_u32 v4, v5, 23, v4
	v_or3_b32 v0, v0, v4, v1
	v_cvt_i32_f32_e32 v0, v0
.LBB118_65:
	s_or_b64 exec, exec, s[0:1]
.LBB118_66:
	s_mov_b64 s[0:1], -1
.LBB118_67:
	s_branch .LBB118_100
.LBB118_68:
	s_cmp_gt_i32 s19, 22
	s_cbranch_scc0 .LBB118_76
; %bb.69:
	s_cmp_lt_i32 s19, 24
	s_cbranch_scc1 .LBB118_79
; %bb.70:
	s_cmp_gt_i32 s19, 24
	s_cbranch_scc0 .LBB118_80
; %bb.71:
	global_load_ubyte v1, v[2:3], off
	s_movk_i32 s0, 0x7f
	s_mov_b64 s[6:7], 0
	s_waitcnt vmcnt(0)
	v_cmp_lt_i16_e32 vcc, s0, v1
	s_and_saveexec_b64 s[0:1], vcc
	s_xor_b64 s[0:1], exec, s[0:1]
	s_cbranch_execz .LBB118_92
; %bb.72:
	s_movk_i32 s6, 0x80
	v_cmp_ne_u16_e32 vcc, s6, v1
	s_and_b64 s[6:7], vcc, exec
	s_andn2_saveexec_b64 s[0:1], s[0:1]
	s_cbranch_execnz .LBB118_93
.LBB118_73:
	s_or_b64 exec, exec, s[0:1]
	v_mov_b32_e32 v0, 0
	s_and_saveexec_b64 s[0:1], s[6:7]
	s_cbranch_execz .LBB118_75
.LBB118_74:
	v_lshlrev_b32_e32 v0, 24, v1
	v_and_b32_e32 v1, 0xffff, v1
	v_and_b32_e32 v4, 3, v1
	v_ffbh_u32_e32 v6, v4
	v_min_u32_e32 v6, 32, v6
	v_subrev_u32_e32 v7, 29, v6
	v_bfe_u32 v5, v1, 2, 5
	v_lshlrev_b32_e32 v1, v7, v1
	v_sub_u32_e32 v6, 30, v6
	v_and_b32_e32 v1, 3, v1
	v_cmp_eq_u32_e32 vcc, 0, v5
	v_cndmask_b32_e32 v5, v5, v6, vcc
	v_cndmask_b32_e32 v1, v4, v1, vcc
	v_mov_b32_e32 v4, 0x37800000
	v_lshlrev_b32_e32 v1, 21, v1
	v_and_b32_e32 v0, 0x80000000, v0
	v_lshl_add_u32 v4, v5, 23, v4
	v_or3_b32 v0, v0, v4, v1
	v_cvt_i32_f32_e32 v0, v0
.LBB118_75:
	s_or_b64 exec, exec, s[0:1]
	s_mov_b64 s[0:1], 0
	s_branch .LBB118_81
.LBB118_76:
	s_mov_b64 s[6:7], -1
                                        ; implicit-def: $vgpr0
	s_branch .LBB118_87
.LBB118_77:
	s_andn2_saveexec_b64 s[0:1], s[0:1]
	s_cbranch_execz .LBB118_63
.LBB118_78:
	v_cmp_ne_u16_e32 vcc, 0, v1
	s_andn2_b64 s[6:7], s[6:7], exec
	s_and_b64 s[24:25], vcc, exec
	s_or_b64 s[6:7], s[6:7], s[24:25]
	s_or_b64 exec, exec, s[0:1]
	v_mov_b32_e32 v0, 0
	s_and_saveexec_b64 s[0:1], s[6:7]
	s_cbranch_execnz .LBB118_64
	s_branch .LBB118_65
.LBB118_79:
	s_mov_b64 s[0:1], -1
                                        ; implicit-def: $vgpr0
	s_branch .LBB118_84
.LBB118_80:
	s_mov_b64 s[0:1], -1
                                        ; implicit-def: $vgpr0
.LBB118_81:
	s_and_b64 vcc, exec, s[0:1]
	s_cbranch_vccz .LBB118_83
; %bb.82:
	global_load_ubyte v0, v[2:3], off
	s_mov_b32 s0, 0x7f800000
	s_waitcnt vmcnt(0)
	v_lshlrev_b32_e32 v0, 24, v0
	v_and_b32_e32 v1, 0x7f000000, v0
	v_ffbh_u32_e32 v4, v1
	v_min_u32_e32 v4, 32, v4
	v_sub_u32_e64 v4, v4, 4 clamp
	v_lshlrev_b32_e32 v6, v4, v1
	v_lshlrev_b32_e32 v4, 23, v4
	v_lshrrev_b32_e32 v6, 4, v6
	v_add_u32_e32 v5, 0x1000000, v1
	v_sub_u32_e32 v4, v6, v4
	v_ashrrev_i32_e32 v5, 8, v5
	v_add_u32_e32 v4, 0x3c000000, v4
	v_and_or_b32 v4, v5, s0, v4
	v_cmp_ne_u32_e32 vcc, 0, v1
	v_cndmask_b32_e32 v1, 0, v4, vcc
	s_brev_b32 s0, 1
	v_and_or_b32 v0, v0, s0, v1
	v_cvt_i32_f32_e32 v0, v0
.LBB118_83:
	s_mov_b64 s[0:1], 0
.LBB118_84:
	s_andn2_b64 vcc, exec, s[0:1]
	s_cbranch_vccnz .LBB118_86
; %bb.85:
	global_load_ubyte v0, v[2:3], off
	s_movk_i32 s0, 0x7f00
	s_brev_b32 s1, 16
	s_waitcnt vmcnt(0)
	v_lshlrev_b16_e32 v1, 8, v0
	v_lshlrev_b32_e32 v0, 25, v0
	v_lshrrev_b32_e32 v4, 4, v0
	v_and_or_b32 v5, v1, s0, 0.5
	v_or_b32_e32 v4, 0x70000000, v4
	v_add_f32_e32 v5, -0.5, v5
	v_mul_f32_e32 v4, 0x7800000, v4
	v_cmp_gt_u32_e32 vcc, s1, v0
	v_bfe_i32 v1, v1, 0, 16
	v_cndmask_b32_e32 v0, v4, v5, vcc
	s_brev_b32 s0, 1
	v_and_or_b32 v0, v1, s0, v0
	v_cvt_i32_f32_e32 v0, v0
.LBB118_86:
	s_mov_b64 s[6:7], 0
	s_mov_b64 s[0:1], -1
.LBB118_87:
	s_andn2_b64 vcc, exec, s[6:7]
	s_cbranch_vccnz .LBB118_100
; %bb.88:
	s_cmp_gt_i32 s19, 14
	s_cbranch_scc0 .LBB118_91
; %bb.89:
	s_cmp_eq_u32 s19, 15
	s_cbranch_scc0 .LBB118_94
; %bb.90:
	global_load_ushort v0, v[2:3], off
	s_mov_b64 s[0:1], -1
	s_mov_b64 s[20:21], 0
	s_waitcnt vmcnt(0)
	v_lshlrev_b32_e32 v0, 16, v0
	v_cvt_i32_f32_e32 v0, v0
	s_branch .LBB118_95
.LBB118_91:
	s_mov_b64 s[6:7], -1
                                        ; implicit-def: $vgpr0
	s_branch .LBB118_96
.LBB118_92:
	s_andn2_saveexec_b64 s[0:1], s[0:1]
	s_cbranch_execz .LBB118_73
.LBB118_93:
	v_cmp_ne_u16_e32 vcc, 0, v1
	s_andn2_b64 s[6:7], s[6:7], exec
	s_and_b64 s[24:25], vcc, exec
	s_or_b64 s[6:7], s[6:7], s[24:25]
	s_or_b64 exec, exec, s[0:1]
	v_mov_b32_e32 v0, 0
	s_and_saveexec_b64 s[0:1], s[6:7]
	s_cbranch_execnz .LBB118_74
	s_branch .LBB118_75
.LBB118_94:
	s_mov_b64 s[20:21], -1
                                        ; implicit-def: $vgpr0
.LBB118_95:
	s_mov_b64 s[6:7], 0
.LBB118_96:
	s_and_b64 vcc, exec, s[6:7]
	s_cbranch_vccz .LBB118_100
; %bb.97:
	s_cmp_eq_u32 s19, 11
	s_cbranch_scc0 .LBB118_99
; %bb.98:
	global_load_ubyte v0, v[2:3], off
	s_mov_b64 s[0:1], -1
	s_mov_b64 s[20:21], 0
	s_waitcnt vmcnt(0)
	v_cmp_ne_u16_e32 vcc, 0, v0
	v_cndmask_b32_e64 v0, 0, 1, vcc
	s_branch .LBB118_100
.LBB118_99:
	s_mov_b64 s[20:21], -1
                                        ; implicit-def: $vgpr0
.LBB118_100:
	s_branch .LBB118_10
.LBB118_101:
	s_and_b32 s6, 0xffff, s18
	s_cmp_lt_i32 s6, 5
	s_cbranch_scc1 .LBB118_106
; %bb.102:
	s_cmp_lt_i32 s6, 8
	s_cbranch_scc1 .LBB118_107
; %bb.103:
	;; [unrolled: 3-line block ×3, first 2 shown]
	s_cmp_gt_i32 s6, 9
	s_cbranch_scc0 .LBB118_109
; %bb.105:
	global_load_dwordx2 v[0:1], v[2:3], off
	s_mov_b64 s[0:1], 0
	s_waitcnt vmcnt(0)
	v_cvt_i32_f64_e32 v0, v[0:1]
	s_branch .LBB118_110
.LBB118_106:
                                        ; implicit-def: $vgpr0
	s_branch .LBB118_128
.LBB118_107:
	s_mov_b64 s[0:1], -1
                                        ; implicit-def: $vgpr0
	s_branch .LBB118_116
.LBB118_108:
	s_mov_b64 s[0:1], -1
                                        ; implicit-def: $vgpr0
	s_branch .LBB118_113
.LBB118_109:
	s_mov_b64 s[0:1], -1
                                        ; implicit-def: $vgpr0
.LBB118_110:
	s_andn2_b64 vcc, exec, s[0:1]
	s_cbranch_vccnz .LBB118_112
; %bb.111:
	global_load_dword v0, v[2:3], off
	s_waitcnt vmcnt(0)
	v_cvt_i32_f32_e32 v0, v0
.LBB118_112:
	s_mov_b64 s[0:1], 0
.LBB118_113:
	s_andn2_b64 vcc, exec, s[0:1]
	s_cbranch_vccnz .LBB118_115
; %bb.114:
	global_load_dword v0, v[2:3], off
	s_waitcnt vmcnt(0)
	v_cvt_i16_f16_e32 v0, v0
.LBB118_115:
	s_mov_b64 s[0:1], 0
.LBB118_116:
	s_andn2_b64 vcc, exec, s[0:1]
	s_cbranch_vccnz .LBB118_127
; %bb.117:
	s_cmp_lt_i32 s6, 6
	s_cbranch_scc1 .LBB118_120
; %bb.118:
	s_cmp_gt_i32 s6, 6
	s_cbranch_scc0 .LBB118_121
; %bb.119:
	global_load_dwordx2 v[0:1], v[2:3], off
	s_mov_b64 s[0:1], 0
	s_waitcnt vmcnt(0)
	v_cvt_i32_f64_e32 v0, v[0:1]
	s_branch .LBB118_122
.LBB118_120:
	s_mov_b64 s[0:1], -1
                                        ; implicit-def: $vgpr0
	s_branch .LBB118_125
.LBB118_121:
	s_mov_b64 s[0:1], -1
                                        ; implicit-def: $vgpr0
.LBB118_122:
	s_andn2_b64 vcc, exec, s[0:1]
	s_cbranch_vccnz .LBB118_124
; %bb.123:
	global_load_dword v0, v[2:3], off
	s_waitcnt vmcnt(0)
	v_cvt_i32_f32_e32 v0, v0
.LBB118_124:
	s_mov_b64 s[0:1], 0
.LBB118_125:
	s_andn2_b64 vcc, exec, s[0:1]
	s_cbranch_vccnz .LBB118_127
; %bb.126:
	global_load_ushort v0, v[2:3], off
	s_waitcnt vmcnt(0)
	v_cvt_i16_f16_e32 v0, v0
.LBB118_127:
	s_cbranch_execnz .LBB118_147
.LBB118_128:
	s_cmp_lt_i32 s6, 2
	s_cbranch_scc1 .LBB118_132
; %bb.129:
	s_cmp_lt_i32 s6, 3
	s_cbranch_scc1 .LBB118_133
; %bb.130:
	s_cmp_gt_i32 s6, 3
	s_cbranch_scc0 .LBB118_134
; %bb.131:
	global_load_dwordx2 v[0:1], v[2:3], off
	s_mov_b64 s[0:1], 0
	s_branch .LBB118_135
.LBB118_132:
	s_mov_b64 s[0:1], -1
                                        ; implicit-def: $vgpr0
	s_branch .LBB118_141
.LBB118_133:
	s_mov_b64 s[0:1], -1
                                        ; implicit-def: $vgpr0
	s_branch .LBB118_138
.LBB118_134:
	s_mov_b64 s[0:1], -1
                                        ; implicit-def: $vgpr0
.LBB118_135:
	s_andn2_b64 vcc, exec, s[0:1]
	s_cbranch_vccnz .LBB118_137
; %bb.136:
	global_load_dword v0, v[2:3], off
.LBB118_137:
	s_mov_b64 s[0:1], 0
.LBB118_138:
	s_andn2_b64 vcc, exec, s[0:1]
	s_cbranch_vccnz .LBB118_140
; %bb.139:
	global_load_ushort v0, v[2:3], off
.LBB118_140:
	s_mov_b64 s[0:1], 0
.LBB118_141:
	s_andn2_b64 vcc, exec, s[0:1]
	s_cbranch_vccnz .LBB118_147
; %bb.142:
	s_cmp_gt_i32 s6, 0
	s_cbranch_scc0 .LBB118_144
; %bb.143:
	global_load_sbyte v0, v[2:3], off
	s_mov_b64 s[0:1], 0
	s_branch .LBB118_145
.LBB118_144:
	s_mov_b64 s[0:1], -1
                                        ; implicit-def: $vgpr0
.LBB118_145:
	s_andn2_b64 vcc, exec, s[0:1]
	s_cbranch_vccnz .LBB118_147
; %bb.146:
	global_load_ubyte v0, v[2:3], off
.LBB118_147:
	s_branch .LBB118_11
.LBB118_148:
	s_mov_b64 s[0:1], 0
	s_mov_b64 s[18:19], 0
	s_branch .LBB118_373
.LBB118_149:
	s_mov_b64 s[18:19], -1
.LBB118_150:
	s_mov_b64 s[0:1], 0
                                        ; implicit-def: $vgpr3
.LBB118_151:
	s_and_b64 vcc, exec, s[6:7]
	s_cbranch_vccz .LBB118_267
; %bb.152:
	s_cmp_eq_u32 s25, 44
	s_cbranch_scc0 .LBB118_266
; %bb.153:
	global_load_ubyte v3, v[1:2], off
	s_mov_b64 s[0:1], -1
	s_mov_b64 s[18:19], 0
	s_waitcnt vmcnt(0)
	v_lshlrev_b32_e32 v4, 23, v3
	v_cvt_i32_f32_e32 v4, v4
	v_cmp_ne_u32_e32 vcc, 0, v3
	v_cndmask_b32_e32 v3, 0, v4, vcc
	s_branch .LBB118_267
.LBB118_154:
	s_mov_b64 s[24:25], -1
	s_mov_b64 s[0:1], 0
	s_mov_b64 s[6:7], 0
.LBB118_155:
	s_and_b64 vcc, exec, s[24:25]
	s_cbranch_vccz .LBB118_160
; %bb.156:
	s_cmp_eq_u32 s31, 44
	s_mov_b64 s[0:1], -1
	s_cbranch_scc0 .LBB118_160
; %bb.157:
	v_cvt_f32_i32_sdwa v2, sext(v4) dst_sel:DWORD dst_unused:UNUSED_PAD src0_sel:WORD_0
	s_movk_i32 s0, 0xff
	v_mov_b32_e32 v5, 0xff
	v_bfe_u32 v3, v2, 23, 8
	v_cmp_ne_u32_e32 vcc, s0, v3
	s_and_saveexec_b64 s[6:7], vcc
; %bb.158:
	s_mov_b32 s0, 0x3fffff
	v_lshrrev_b32_e32 v5, 23, v2
	v_and_b32_e32 v6, 0x400000, v2
	v_and_or_b32 v2, v2, s0, v3
	v_cmp_ne_u32_e32 vcc, 0, v6
	v_cmp_ne_u32_e64 s[0:1], 0, v2
	s_and_b64 s[0:1], vcc, s[0:1]
	v_cndmask_b32_e64 v2, 0, 1, s[0:1]
	v_add_u32_e32 v5, v5, v2
; %bb.159:
	s_or_b64 exec, exec, s[6:7]
	s_mov_b64 s[6:7], -1
	s_mov_b64 s[0:1], 0
	global_store_byte v[0:1], v5, off
.LBB118_160:
	s_mov_b64 s[24:25], 0
.LBB118_161:
	s_and_b64 vcc, exec, s[24:25]
	s_cbranch_vccz .LBB118_164
; %bb.162:
	s_cmp_eq_u32 s31, 29
	s_mov_b64 s[0:1], -1
	s_cbranch_scc0 .LBB118_164
; %bb.163:
	v_bfe_i32 v2, v4, 0, 16
	v_ashrrev_i32_e32 v3, 31, v2
	global_store_dwordx2 v[0:1], v[2:3], off
	s_mov_b64 s[6:7], -1
	s_mov_b64 s[0:1], 0
.LBB118_164:
	s_mov_b64 s[24:25], 0
.LBB118_165:
	s_and_b64 vcc, exec, s[24:25]
	s_cbranch_vccz .LBB118_181
; %bb.166:
	s_cmp_lt_i32 s31, 27
	s_mov_b64 s[6:7], -1
	s_cbranch_scc1 .LBB118_172
; %bb.167:
	s_cmp_gt_i32 s31, 27
	s_cbranch_scc0 .LBB118_169
; %bb.168:
	v_bfe_i32 v2, v4, 0, 16
	s_mov_b64 s[6:7], 0
	global_store_dword v[0:1], v2, off
.LBB118_169:
	s_andn2_b64 vcc, exec, s[6:7]
	s_cbranch_vccnz .LBB118_171
; %bb.170:
	global_store_short v[0:1], v4, off
.LBB118_171:
	s_mov_b64 s[6:7], 0
.LBB118_172:
	s_andn2_b64 vcc, exec, s[6:7]
	s_cbranch_vccnz .LBB118_180
; %bb.173:
	v_cvt_f32_i32_sdwa v2, sext(v4) dst_sel:DWORD dst_unused:UNUSED_PAD src0_sel:WORD_0
	s_mov_b32 s6, 0x43800000
	v_mov_b32_e32 v5, 0x80
	v_and_b32_e32 v3, 0x7fffffff, v2
	v_cmp_gt_u32_e32 vcc, s6, v3
	s_and_saveexec_b64 s[6:7], vcc
	s_cbranch_execz .LBB118_179
; %bb.174:
	s_mov_b32 s24, 0x3bffffff
	v_cmp_lt_u32_e32 vcc, s24, v3
	s_mov_b64 s[24:25], 0
                                        ; implicit-def: $vgpr3
	s_and_saveexec_b64 s[28:29], vcc
	s_xor_b64 s[28:29], exec, s[28:29]
	s_cbranch_execz .LBB118_404
; %bb.175:
	v_bfe_u32 v3, v2, 20, 1
	s_mov_b32 s34, 0x487ffff
	v_add3_u32 v3, v2, v3, s34
	s_mov_b64 s[24:25], exec
	v_lshrrev_b32_e32 v3, 20, v3
	s_andn2_saveexec_b64 s[28:29], s[28:29]
	s_cbranch_execnz .LBB118_405
.LBB118_176:
	s_or_b64 exec, exec, s[28:29]
	v_mov_b32_e32 v5, 0
	s_and_saveexec_b64 s[28:29], s[24:25]
.LBB118_177:
	v_lshrrev_b32_e32 v2, 24, v2
	s_movk_i32 s24, 0x80
	v_and_or_b32 v5, v2, s24, v3
.LBB118_178:
	s_or_b64 exec, exec, s[28:29]
.LBB118_179:
	s_or_b64 exec, exec, s[6:7]
	global_store_byte v[0:1], v5, off
.LBB118_180:
	s_mov_b64 s[6:7], -1
.LBB118_181:
	s_mov_b64 s[24:25], 0
.LBB118_182:
	s_and_b64 vcc, exec, s[24:25]
	s_cbranch_vccz .LBB118_223
; %bb.183:
	s_cmp_gt_i32 s31, 22
	s_mov_b64 s[24:25], -1
	s_cbranch_scc0 .LBB118_215
; %bb.184:
	s_cmp_lt_i32 s31, 24
	s_mov_b64 s[6:7], -1
	s_cbranch_scc1 .LBB118_204
; %bb.185:
	s_cmp_gt_i32 s31, 24
	s_cbranch_scc0 .LBB118_193
; %bb.186:
	v_cvt_f32_i32_sdwa v2, sext(v4) dst_sel:DWORD dst_unused:UNUSED_PAD src0_sel:WORD_0
	s_mov_b32 s6, 0x47800000
	v_mov_b32_e32 v5, 0x80
	v_and_b32_e32 v3, 0x7fffffff, v2
	v_cmp_gt_u32_e32 vcc, s6, v3
	s_and_saveexec_b64 s[6:7], vcc
	s_cbranch_execz .LBB118_192
; %bb.187:
	s_mov_b32 s24, 0x37ffffff
	v_cmp_lt_u32_e32 vcc, s24, v3
	s_mov_b64 s[24:25], 0
                                        ; implicit-def: $vgpr3
	s_and_saveexec_b64 s[28:29], vcc
	s_xor_b64 s[28:29], exec, s[28:29]
	s_cbranch_execz .LBB118_519
; %bb.188:
	v_bfe_u32 v3, v2, 21, 1
	s_mov_b32 s34, 0x88fffff
	v_add3_u32 v3, v2, v3, s34
	s_mov_b64 s[24:25], exec
	v_lshrrev_b32_e32 v3, 21, v3
	s_andn2_saveexec_b64 s[28:29], s[28:29]
	s_cbranch_execnz .LBB118_520
.LBB118_189:
	s_or_b64 exec, exec, s[28:29]
	v_mov_b32_e32 v5, 0
	s_and_saveexec_b64 s[28:29], s[24:25]
.LBB118_190:
	v_lshrrev_b32_e32 v2, 24, v2
	s_movk_i32 s24, 0x80
	v_and_or_b32 v5, v2, s24, v3
.LBB118_191:
	s_or_b64 exec, exec, s[28:29]
.LBB118_192:
	s_or_b64 exec, exec, s[6:7]
	s_mov_b64 s[6:7], 0
	global_store_byte v[0:1], v5, off
.LBB118_193:
	s_and_b64 vcc, exec, s[6:7]
	s_cbranch_vccz .LBB118_203
; %bb.194:
	v_cvt_f32_i32_sdwa v2, sext(v4) dst_sel:DWORD dst_unused:UNUSED_PAD src0_sel:WORD_0
	s_mov_b32 s6, 0x43f00000
                                        ; implicit-def: $vgpr3
	v_and_b32_e32 v5, 0x7fffffff, v2
	v_cmp_gt_u32_e32 vcc, s6, v5
	s_and_saveexec_b64 s[6:7], vcc
	s_xor_b64 s[6:7], exec, s[6:7]
	s_cbranch_execz .LBB118_200
; %bb.195:
	s_mov_b32 s24, 0x3c7fffff
	v_cmp_lt_u32_e32 vcc, s24, v5
                                        ; implicit-def: $vgpr3
	s_and_saveexec_b64 s[24:25], vcc
	s_xor_b64 s[24:25], exec, s[24:25]
; %bb.196:
	v_bfe_u32 v3, v2, 20, 1
	s_mov_b32 s28, 0x407ffff
	v_add3_u32 v3, v2, v3, s28
	v_lshrrev_b32_e32 v5, 20, v3
	v_and_b32_e32 v3, 0xff00000, v3
	s_mov_b32 s28, 0x7f00000
	v_mov_b32_e32 v6, 0x7e
	v_cmp_ne_u32_e32 vcc, s28, v3
	v_cndmask_b32_e32 v3, v6, v5, vcc
; %bb.197:
	s_andn2_saveexec_b64 s[24:25], s[24:25]
; %bb.198:
	s_mov_b32 s28, 0x46800000
	v_add_f32_e64 v3, |v2|, s28
; %bb.199:
	s_or_b64 exec, exec, s[24:25]
                                        ; implicit-def: $vgpr5
.LBB118_200:
	s_andn2_saveexec_b64 s[6:7], s[6:7]
; %bb.201:
	s_mov_b32 s24, 0x7f800000
	v_mov_b32_e32 v3, 0x7e
	v_mov_b32_e32 v6, 0x7f
	v_cmp_lt_u32_e32 vcc, s24, v5
	v_cndmask_b32_e32 v3, v3, v6, vcc
; %bb.202:
	s_or_b64 exec, exec, s[6:7]
	v_lshrrev_b32_e32 v2, 24, v2
	s_movk_i32 s6, 0x80
	v_and_or_b32 v2, v2, s6, v3
	global_store_byte v[0:1], v2, off
.LBB118_203:
	s_mov_b64 s[6:7], 0
.LBB118_204:
	s_andn2_b64 vcc, exec, s[6:7]
	s_cbranch_vccnz .LBB118_214
; %bb.205:
	v_cvt_f32_i32_sdwa v2, sext(v4) dst_sel:DWORD dst_unused:UNUSED_PAD src0_sel:WORD_0
	s_mov_b32 s6, 0x47800000
                                        ; implicit-def: $vgpr3
	v_and_b32_e32 v5, 0x7fffffff, v2
	v_cmp_gt_u32_e32 vcc, s6, v5
	s_and_saveexec_b64 s[6:7], vcc
	s_xor_b64 s[6:7], exec, s[6:7]
	s_cbranch_execz .LBB118_211
; %bb.206:
	s_mov_b32 s24, 0x387fffff
	v_cmp_lt_u32_e32 vcc, s24, v5
                                        ; implicit-def: $vgpr3
	s_and_saveexec_b64 s[24:25], vcc
	s_xor_b64 s[24:25], exec, s[24:25]
; %bb.207:
	v_bfe_u32 v3, v2, 21, 1
	s_mov_b32 s28, 0x80fffff
	v_add3_u32 v3, v2, v3, s28
	v_lshrrev_b32_e32 v3, 21, v3
; %bb.208:
	s_andn2_saveexec_b64 s[24:25], s[24:25]
; %bb.209:
	s_mov_b32 s28, 0x43000000
	v_add_f32_e64 v3, |v2|, s28
; %bb.210:
	s_or_b64 exec, exec, s[24:25]
                                        ; implicit-def: $vgpr5
.LBB118_211:
	s_andn2_saveexec_b64 s[6:7], s[6:7]
; %bb.212:
	s_mov_b32 s24, 0x7f800000
	v_mov_b32_e32 v3, 0x7c
	v_mov_b32_e32 v6, 0x7f
	v_cmp_lt_u32_e32 vcc, s24, v5
	v_cndmask_b32_e32 v3, v3, v6, vcc
; %bb.213:
	s_or_b64 exec, exec, s[6:7]
	v_lshrrev_b32_e32 v2, 24, v2
	s_movk_i32 s6, 0x80
	v_and_or_b32 v2, v2, s6, v3
	global_store_byte v[0:1], v2, off
.LBB118_214:
	s_mov_b64 s[24:25], 0
	s_mov_b64 s[6:7], -1
.LBB118_215:
	s_andn2_b64 vcc, exec, s[24:25]
	s_cbranch_vccnz .LBB118_223
; %bb.216:
	s_cmp_gt_i32 s31, 14
	s_mov_b64 s[24:25], -1
	s_cbranch_scc0 .LBB118_220
; %bb.217:
	s_cmp_eq_u32 s31, 15
	s_mov_b64 s[0:1], -1
	s_cbranch_scc0 .LBB118_219
; %bb.218:
	v_cvt_f32_i32_sdwa v2, sext(v4) dst_sel:DWORD dst_unused:UNUSED_PAD src0_sel:WORD_0
	s_movk_i32 s0, 0x7fff
	s_mov_b64 s[6:7], -1
	v_bfe_u32 v3, v2, 16, 1
	v_add3_u32 v2, v2, v3, s0
	global_store_short_d16_hi v[0:1], v2, off
	s_mov_b64 s[0:1], 0
.LBB118_219:
	s_mov_b64 s[24:25], 0
.LBB118_220:
	s_and_b64 vcc, exec, s[24:25]
	s_cbranch_vccz .LBB118_223
; %bb.221:
	s_cmp_eq_u32 s31, 11
	s_mov_b64 s[0:1], -1
	s_cbranch_scc0 .LBB118_223
; %bb.222:
	v_cmp_ne_u16_e32 vcc, 0, v4
	v_cndmask_b32_e64 v2, 0, 1, vcc
	s_mov_b64 s[6:7], -1
	s_mov_b64 s[0:1], 0
	global_store_byte v[0:1], v2, off
.LBB118_223:
	s_mov_b64 s[24:25], 0
.LBB118_224:
	s_and_b64 vcc, exec, s[24:25]
	s_cbranch_vccz .LBB118_263
; %bb.225:
	s_and_b32 s24, 0xffff, s30
	s_cmp_lt_i32 s24, 5
	s_mov_b64 s[6:7], -1
	s_cbranch_scc1 .LBB118_246
; %bb.226:
	s_cmp_lt_i32 s24, 8
	s_cbranch_scc1 .LBB118_236
; %bb.227:
	s_cmp_lt_i32 s24, 9
	s_cbranch_scc1 .LBB118_233
; %bb.228:
	s_cmp_gt_i32 s24, 9
	s_cbranch_scc0 .LBB118_230
; %bb.229:
	v_bfe_i32 v2, v4, 0, 16
	v_cvt_f64_i32_e32 v[5:6], v2
	v_mov_b32_e32 v7, 0
	v_mov_b32_e32 v8, v7
	s_mov_b64 s[6:7], 0
	global_store_dwordx4 v[0:1], v[5:8], off
.LBB118_230:
	s_andn2_b64 vcc, exec, s[6:7]
	s_cbranch_vccnz .LBB118_232
; %bb.231:
	v_cvt_f32_i32_sdwa v2, sext(v4) dst_sel:DWORD dst_unused:UNUSED_PAD src0_sel:WORD_0
	v_mov_b32_e32 v3, 0
	global_store_dwordx2 v[0:1], v[2:3], off
.LBB118_232:
	s_mov_b64 s[6:7], 0
.LBB118_233:
	s_andn2_b64 vcc, exec, s[6:7]
	s_cbranch_vccnz .LBB118_235
; %bb.234:
	v_cvt_f16_i16_e32 v2, v4
	global_store_dword v[0:1], v2, off
.LBB118_235:
	s_mov_b64 s[6:7], 0
.LBB118_236:
	s_andn2_b64 vcc, exec, s[6:7]
	s_cbranch_vccnz .LBB118_245
; %bb.237:
	s_cmp_lt_i32 s24, 6
	s_mov_b64 s[6:7], -1
	s_cbranch_scc1 .LBB118_243
; %bb.238:
	s_cmp_gt_i32 s24, 6
	s_cbranch_scc0 .LBB118_240
; %bb.239:
	v_bfe_i32 v2, v4, 0, 16
	v_cvt_f64_i32_e32 v[2:3], v2
	s_mov_b64 s[6:7], 0
	global_store_dwordx2 v[0:1], v[2:3], off
.LBB118_240:
	s_andn2_b64 vcc, exec, s[6:7]
	s_cbranch_vccnz .LBB118_242
; %bb.241:
	v_cvt_f32_i32_sdwa v2, sext(v4) dst_sel:DWORD dst_unused:UNUSED_PAD src0_sel:WORD_0
	global_store_dword v[0:1], v2, off
.LBB118_242:
	s_mov_b64 s[6:7], 0
.LBB118_243:
	s_andn2_b64 vcc, exec, s[6:7]
	s_cbranch_vccnz .LBB118_245
; %bb.244:
	v_cvt_f16_i16_e32 v2, v4
	global_store_short v[0:1], v2, off
.LBB118_245:
	s_mov_b64 s[6:7], 0
.LBB118_246:
	s_andn2_b64 vcc, exec, s[6:7]
	s_cbranch_vccnz .LBB118_262
; %bb.247:
	s_cmp_lt_i32 s24, 2
	s_mov_b64 s[6:7], -1
	s_cbranch_scc1 .LBB118_257
; %bb.248:
	s_cmp_lt_i32 s24, 3
	s_cbranch_scc1 .LBB118_254
; %bb.249:
	s_cmp_gt_i32 s24, 3
	v_bfe_i32 v2, v4, 0, 16
	s_cbranch_scc0 .LBB118_251
; %bb.250:
	v_ashrrev_i32_e32 v3, 31, v2
	global_store_dwordx2 v[0:1], v[2:3], off
	s_mov_b64 s[6:7], 0
.LBB118_251:
	s_andn2_b64 vcc, exec, s[6:7]
	s_cbranch_vccnz .LBB118_253
; %bb.252:
	global_store_dword v[0:1], v2, off
.LBB118_253:
	s_mov_b64 s[6:7], 0
.LBB118_254:
	s_andn2_b64 vcc, exec, s[6:7]
	s_cbranch_vccnz .LBB118_256
; %bb.255:
	global_store_short v[0:1], v4, off
.LBB118_256:
	s_mov_b64 s[6:7], 0
.LBB118_257:
	s_andn2_b64 vcc, exec, s[6:7]
	s_cbranch_vccnz .LBB118_262
; %bb.258:
	s_cmp_gt_i32 s24, 0
	s_mov_b64 s[6:7], -1
	s_cbranch_scc0 .LBB118_260
; %bb.259:
	global_store_byte v[0:1], v4, off
	s_mov_b64 s[6:7], 0
.LBB118_260:
	s_andn2_b64 vcc, exec, s[6:7]
	s_cbranch_vccnz .LBB118_262
; %bb.261:
	global_store_byte v[0:1], v4, off
.LBB118_262:
	s_mov_b64 s[6:7], -1
.LBB118_263:
	s_andn2_b64 vcc, exec, s[6:7]
	s_cbranch_vccnz .LBB118_265
; %bb.264:
	v_add_u32_e32 v14, 0x80, v14
	s_mov_b64 s[24:25], -1
	s_branch .LBB118_374
.LBB118_265:
	s_mov_b64 s[24:25], 0
                                        ; implicit-def: $vgpr14
	s_branch .LBB118_374
.LBB118_266:
	s_mov_b64 s[18:19], -1
                                        ; implicit-def: $vgpr3
.LBB118_267:
	s_mov_b64 s[6:7], 0
.LBB118_268:
	s_and_b64 vcc, exec, s[6:7]
	s_cbranch_vccz .LBB118_272
; %bb.269:
	s_cmp_eq_u32 s25, 29
	s_cbranch_scc0 .LBB118_271
; %bb.270:
	global_load_dwordx2 v[3:4], v[1:2], off
	s_mov_b64 s[0:1], -1
	s_mov_b64 s[18:19], 0
	s_branch .LBB118_272
.LBB118_271:
	s_mov_b64 s[18:19], -1
                                        ; implicit-def: $vgpr3
.LBB118_272:
	s_mov_b64 s[6:7], 0
.LBB118_273:
	s_and_b64 vcc, exec, s[6:7]
	s_cbranch_vccz .LBB118_289
; %bb.274:
	s_cmp_lt_i32 s25, 27
	s_cbranch_scc1 .LBB118_277
; %bb.275:
	s_cmp_gt_i32 s25, 27
	s_cbranch_scc0 .LBB118_278
; %bb.276:
	global_load_dword v3, v[1:2], off
	s_mov_b64 s[0:1], 0
	s_branch .LBB118_279
.LBB118_277:
	s_mov_b64 s[0:1], -1
                                        ; implicit-def: $vgpr3
	s_branch .LBB118_282
.LBB118_278:
	s_mov_b64 s[0:1], -1
                                        ; implicit-def: $vgpr3
.LBB118_279:
	s_andn2_b64 vcc, exec, s[0:1]
	s_cbranch_vccnz .LBB118_281
; %bb.280:
	global_load_ushort v3, v[1:2], off
.LBB118_281:
	s_mov_b64 s[0:1], 0
.LBB118_282:
	s_andn2_b64 vcc, exec, s[0:1]
	s_cbranch_vccnz .LBB118_288
; %bb.283:
	global_load_ubyte v4, v[1:2], off
	s_movk_i32 s0, 0x7f
	s_mov_b64 s[6:7], 0
	s_waitcnt vmcnt(0)
	v_cmp_lt_i16_e32 vcc, s0, v4
	s_and_saveexec_b64 s[0:1], vcc
	s_xor_b64 s[0:1], exec, s[0:1]
	s_cbranch_execz .LBB118_300
; %bb.284:
	s_movk_i32 s6, 0x80
	v_cmp_ne_u16_e32 vcc, s6, v4
	s_and_b64 s[6:7], vcc, exec
	s_andn2_saveexec_b64 s[0:1], s[0:1]
	s_cbranch_execnz .LBB118_301
.LBB118_285:
	s_or_b64 exec, exec, s[0:1]
	v_mov_b32_e32 v3, 0
	s_and_saveexec_b64 s[0:1], s[6:7]
	s_cbranch_execz .LBB118_287
.LBB118_286:
	v_lshlrev_b32_e32 v3, 24, v4
	v_and_b32_e32 v4, 0xffff, v4
	v_and_b32_e32 v5, 7, v4
	v_ffbh_u32_e32 v7, v5
	v_min_u32_e32 v7, 32, v7
	v_subrev_u32_e32 v8, 28, v7
	v_bfe_u32 v6, v4, 3, 4
	v_lshlrev_b32_e32 v4, v8, v4
	v_sub_u32_e32 v7, 29, v7
	v_and_b32_e32 v4, 7, v4
	v_cmp_eq_u32_e32 vcc, 0, v6
	v_cndmask_b32_e32 v6, v6, v7, vcc
	v_cndmask_b32_e32 v4, v5, v4, vcc
	v_mov_b32_e32 v5, 0x3b800000
	v_lshlrev_b32_e32 v4, 20, v4
	v_and_b32_e32 v3, 0x80000000, v3
	v_lshl_add_u32 v5, v6, 23, v5
	v_or3_b32 v3, v3, v5, v4
	v_cvt_i32_f32_e32 v3, v3
.LBB118_287:
	s_or_b64 exec, exec, s[0:1]
.LBB118_288:
	s_mov_b64 s[0:1], -1
.LBB118_289:
	s_mov_b64 s[6:7], 0
.LBB118_290:
	s_and_b64 vcc, exec, s[6:7]
	s_cbranch_vccz .LBB118_323
; %bb.291:
	s_cmp_gt_i32 s25, 22
	s_cbranch_scc0 .LBB118_299
; %bb.292:
	s_cmp_lt_i32 s25, 24
	s_cbranch_scc1 .LBB118_302
; %bb.293:
	s_cmp_gt_i32 s25, 24
	s_cbranch_scc0 .LBB118_303
; %bb.294:
	global_load_ubyte v4, v[1:2], off
	s_movk_i32 s0, 0x7f
	s_mov_b64 s[6:7], 0
	s_waitcnt vmcnt(0)
	v_cmp_lt_i16_e32 vcc, s0, v4
	s_and_saveexec_b64 s[0:1], vcc
	s_xor_b64 s[0:1], exec, s[0:1]
	s_cbranch_execz .LBB118_315
; %bb.295:
	s_movk_i32 s6, 0x80
	v_cmp_ne_u16_e32 vcc, s6, v4
	s_and_b64 s[6:7], vcc, exec
	s_andn2_saveexec_b64 s[0:1], s[0:1]
	s_cbranch_execnz .LBB118_316
.LBB118_296:
	s_or_b64 exec, exec, s[0:1]
	v_mov_b32_e32 v3, 0
	s_and_saveexec_b64 s[0:1], s[6:7]
	s_cbranch_execz .LBB118_298
.LBB118_297:
	v_lshlrev_b32_e32 v3, 24, v4
	v_and_b32_e32 v4, 0xffff, v4
	v_and_b32_e32 v5, 3, v4
	v_ffbh_u32_e32 v7, v5
	v_min_u32_e32 v7, 32, v7
	v_subrev_u32_e32 v8, 29, v7
	v_bfe_u32 v6, v4, 2, 5
	v_lshlrev_b32_e32 v4, v8, v4
	v_sub_u32_e32 v7, 30, v7
	v_and_b32_e32 v4, 3, v4
	v_cmp_eq_u32_e32 vcc, 0, v6
	v_cndmask_b32_e32 v6, v6, v7, vcc
	v_cndmask_b32_e32 v4, v5, v4, vcc
	v_mov_b32_e32 v5, 0x37800000
	v_lshlrev_b32_e32 v4, 21, v4
	v_and_b32_e32 v3, 0x80000000, v3
	v_lshl_add_u32 v5, v6, 23, v5
	v_or3_b32 v3, v3, v5, v4
	v_cvt_i32_f32_e32 v3, v3
.LBB118_298:
	s_or_b64 exec, exec, s[0:1]
	s_mov_b64 s[0:1], 0
	s_branch .LBB118_304
.LBB118_299:
	s_mov_b64 s[6:7], -1
                                        ; implicit-def: $vgpr3
	s_branch .LBB118_310
.LBB118_300:
	s_andn2_saveexec_b64 s[0:1], s[0:1]
	s_cbranch_execz .LBB118_285
.LBB118_301:
	v_cmp_ne_u16_e32 vcc, 0, v4
	s_andn2_b64 s[6:7], s[6:7], exec
	s_and_b64 s[28:29], vcc, exec
	s_or_b64 s[6:7], s[6:7], s[28:29]
	s_or_b64 exec, exec, s[0:1]
	v_mov_b32_e32 v3, 0
	s_and_saveexec_b64 s[0:1], s[6:7]
	s_cbranch_execnz .LBB118_286
	s_branch .LBB118_287
.LBB118_302:
	s_mov_b64 s[0:1], -1
                                        ; implicit-def: $vgpr3
	s_branch .LBB118_307
.LBB118_303:
	s_mov_b64 s[0:1], -1
                                        ; implicit-def: $vgpr3
.LBB118_304:
	s_and_b64 vcc, exec, s[0:1]
	s_cbranch_vccz .LBB118_306
; %bb.305:
	global_load_ubyte v3, v[1:2], off
	s_mov_b32 s0, 0x7f800000
	s_waitcnt vmcnt(0)
	v_lshlrev_b32_e32 v3, 24, v3
	v_and_b32_e32 v4, 0x7f000000, v3
	v_ffbh_u32_e32 v5, v4
	v_min_u32_e32 v5, 32, v5
	v_sub_u32_e64 v5, v5, 4 clamp
	v_lshlrev_b32_e32 v7, v5, v4
	v_lshlrev_b32_e32 v5, 23, v5
	v_lshrrev_b32_e32 v7, 4, v7
	v_add_u32_e32 v6, 0x1000000, v4
	v_sub_u32_e32 v5, v7, v5
	v_ashrrev_i32_e32 v6, 8, v6
	v_add_u32_e32 v5, 0x3c000000, v5
	v_and_or_b32 v5, v6, s0, v5
	v_cmp_ne_u32_e32 vcc, 0, v4
	v_cndmask_b32_e32 v4, 0, v5, vcc
	s_brev_b32 s0, 1
	v_and_or_b32 v3, v3, s0, v4
	v_cvt_i32_f32_e32 v3, v3
.LBB118_306:
	s_mov_b64 s[0:1], 0
.LBB118_307:
	s_andn2_b64 vcc, exec, s[0:1]
	s_cbranch_vccnz .LBB118_309
; %bb.308:
	global_load_ubyte v3, v[1:2], off
	s_movk_i32 s0, 0x7f00
	s_brev_b32 s1, 16
	s_waitcnt vmcnt(0)
	v_lshlrev_b16_e32 v4, 8, v3
	v_lshlrev_b32_e32 v3, 25, v3
	v_lshrrev_b32_e32 v5, 4, v3
	v_and_or_b32 v6, v4, s0, 0.5
	v_or_b32_e32 v5, 0x70000000, v5
	v_add_f32_e32 v6, -0.5, v6
	v_mul_f32_e32 v5, 0x7800000, v5
	v_cmp_gt_u32_e32 vcc, s1, v3
	v_bfe_i32 v4, v4, 0, 16
	v_cndmask_b32_e32 v3, v5, v6, vcc
	s_brev_b32 s0, 1
	v_and_or_b32 v3, v4, s0, v3
	v_cvt_i32_f32_e32 v3, v3
.LBB118_309:
	s_mov_b64 s[6:7], 0
	s_mov_b64 s[0:1], -1
.LBB118_310:
	s_andn2_b64 vcc, exec, s[6:7]
	s_cbranch_vccnz .LBB118_323
; %bb.311:
	s_cmp_gt_i32 s25, 14
	s_cbranch_scc0 .LBB118_314
; %bb.312:
	s_cmp_eq_u32 s25, 15
	s_cbranch_scc0 .LBB118_317
; %bb.313:
	global_load_ushort v3, v[1:2], off
	s_mov_b64 s[0:1], -1
	s_mov_b64 s[18:19], 0
	s_waitcnt vmcnt(0)
	v_lshlrev_b32_e32 v3, 16, v3
	v_cvt_i32_f32_e32 v3, v3
	s_branch .LBB118_318
.LBB118_314:
	s_mov_b64 s[6:7], -1
                                        ; implicit-def: $vgpr3
	s_branch .LBB118_319
.LBB118_315:
	s_andn2_saveexec_b64 s[0:1], s[0:1]
	s_cbranch_execz .LBB118_296
.LBB118_316:
	v_cmp_ne_u16_e32 vcc, 0, v4
	s_andn2_b64 s[6:7], s[6:7], exec
	s_and_b64 s[28:29], vcc, exec
	s_or_b64 s[6:7], s[6:7], s[28:29]
	s_or_b64 exec, exec, s[0:1]
	v_mov_b32_e32 v3, 0
	s_and_saveexec_b64 s[0:1], s[6:7]
	s_cbranch_execnz .LBB118_297
	s_branch .LBB118_298
.LBB118_317:
	s_mov_b64 s[18:19], -1
                                        ; implicit-def: $vgpr3
.LBB118_318:
	s_mov_b64 s[6:7], 0
.LBB118_319:
	s_and_b64 vcc, exec, s[6:7]
	s_cbranch_vccz .LBB118_323
; %bb.320:
	s_cmp_eq_u32 s25, 11
	s_cbranch_scc0 .LBB118_322
; %bb.321:
	global_load_ubyte v3, v[1:2], off
	s_mov_b64 s[0:1], -1
	s_mov_b64 s[18:19], 0
	s_waitcnt vmcnt(0)
	v_cmp_ne_u16_e32 vcc, 0, v3
	v_cndmask_b32_e64 v3, 0, 1, vcc
	s_branch .LBB118_323
.LBB118_322:
	s_mov_b64 s[18:19], -1
                                        ; implicit-def: $vgpr3
.LBB118_323:
	s_branch .LBB118_20
.LBB118_324:
	s_and_b32 s6, 0xffff, s24
	s_cmp_lt_i32 s6, 5
	s_cbranch_scc1 .LBB118_329
; %bb.325:
	s_cmp_lt_i32 s6, 8
	s_cbranch_scc1 .LBB118_330
; %bb.326:
	;; [unrolled: 3-line block ×3, first 2 shown]
	s_cmp_gt_i32 s6, 9
	s_cbranch_scc0 .LBB118_332
; %bb.328:
	global_load_dwordx2 v[3:4], v[1:2], off
	s_mov_b64 s[0:1], 0
	s_waitcnt vmcnt(0)
	v_cvt_i32_f64_e32 v3, v[3:4]
	s_branch .LBB118_333
.LBB118_329:
	s_mov_b64 s[0:1], -1
                                        ; implicit-def: $vgpr3
	s_branch .LBB118_351
.LBB118_330:
	s_mov_b64 s[0:1], -1
                                        ; implicit-def: $vgpr3
	s_branch .LBB118_339
.LBB118_331:
	s_mov_b64 s[0:1], -1
                                        ; implicit-def: $vgpr3
	s_branch .LBB118_336
.LBB118_332:
	s_mov_b64 s[0:1], -1
                                        ; implicit-def: $vgpr3
.LBB118_333:
	s_andn2_b64 vcc, exec, s[0:1]
	s_cbranch_vccnz .LBB118_335
; %bb.334:
	global_load_dword v3, v[1:2], off
	s_waitcnt vmcnt(0)
	v_cvt_i32_f32_e32 v3, v3
.LBB118_335:
	s_mov_b64 s[0:1], 0
.LBB118_336:
	s_andn2_b64 vcc, exec, s[0:1]
	s_cbranch_vccnz .LBB118_338
; %bb.337:
	global_load_dword v3, v[1:2], off
	s_waitcnt vmcnt(0)
	v_cvt_i16_f16_e32 v3, v3
.LBB118_338:
	s_mov_b64 s[0:1], 0
.LBB118_339:
	s_andn2_b64 vcc, exec, s[0:1]
	s_cbranch_vccnz .LBB118_350
; %bb.340:
	s_cmp_lt_i32 s6, 6
	s_cbranch_scc1 .LBB118_343
; %bb.341:
	s_cmp_gt_i32 s6, 6
	s_cbranch_scc0 .LBB118_344
; %bb.342:
	global_load_dwordx2 v[3:4], v[1:2], off
	s_mov_b64 s[0:1], 0
	s_waitcnt vmcnt(0)
	v_cvt_i32_f64_e32 v3, v[3:4]
	s_branch .LBB118_345
.LBB118_343:
	s_mov_b64 s[0:1], -1
                                        ; implicit-def: $vgpr3
	s_branch .LBB118_348
.LBB118_344:
	s_mov_b64 s[0:1], -1
                                        ; implicit-def: $vgpr3
.LBB118_345:
	s_andn2_b64 vcc, exec, s[0:1]
	s_cbranch_vccnz .LBB118_347
; %bb.346:
	global_load_dword v3, v[1:2], off
	s_waitcnt vmcnt(0)
	v_cvt_i32_f32_e32 v3, v3
.LBB118_347:
	s_mov_b64 s[0:1], 0
.LBB118_348:
	s_andn2_b64 vcc, exec, s[0:1]
	s_cbranch_vccnz .LBB118_350
; %bb.349:
	global_load_ushort v3, v[1:2], off
	s_waitcnt vmcnt(0)
	v_cvt_i16_f16_e32 v3, v3
.LBB118_350:
	s_mov_b64 s[0:1], 0
.LBB118_351:
	s_andn2_b64 vcc, exec, s[0:1]
	s_cbranch_vccnz .LBB118_371
; %bb.352:
	s_cmp_lt_i32 s6, 2
	s_cbranch_scc1 .LBB118_356
; %bb.353:
	s_cmp_lt_i32 s6, 3
	s_cbranch_scc1 .LBB118_357
; %bb.354:
	s_cmp_gt_i32 s6, 3
	s_cbranch_scc0 .LBB118_358
; %bb.355:
	global_load_dwordx2 v[3:4], v[1:2], off
	s_mov_b64 s[0:1], 0
	s_branch .LBB118_359
.LBB118_356:
	s_mov_b64 s[0:1], -1
                                        ; implicit-def: $vgpr3
	s_branch .LBB118_365
.LBB118_357:
	s_mov_b64 s[0:1], -1
                                        ; implicit-def: $vgpr3
	s_branch .LBB118_362
.LBB118_358:
	s_mov_b64 s[0:1], -1
                                        ; implicit-def: $vgpr3
.LBB118_359:
	s_andn2_b64 vcc, exec, s[0:1]
	s_cbranch_vccnz .LBB118_361
; %bb.360:
	global_load_dword v3, v[1:2], off
.LBB118_361:
	s_mov_b64 s[0:1], 0
.LBB118_362:
	s_andn2_b64 vcc, exec, s[0:1]
	s_cbranch_vccnz .LBB118_364
; %bb.363:
	global_load_ushort v3, v[1:2], off
.LBB118_364:
	s_mov_b64 s[0:1], 0
.LBB118_365:
	s_andn2_b64 vcc, exec, s[0:1]
	s_cbranch_vccnz .LBB118_371
; %bb.366:
	s_cmp_gt_i32 s6, 0
	s_cbranch_scc0 .LBB118_368
; %bb.367:
	global_load_sbyte v3, v[1:2], off
	s_mov_b64 s[0:1], 0
	s_branch .LBB118_369
.LBB118_368:
	s_mov_b64 s[0:1], -1
                                        ; implicit-def: $vgpr3
.LBB118_369:
	s_andn2_b64 vcc, exec, s[0:1]
	s_cbranch_vccnz .LBB118_371
; %bb.370:
	global_load_ubyte v3, v[1:2], off
.LBB118_371:
	s_branch .LBB118_21
.LBB118_372:
	s_mov_b64 s[0:1], 0
.LBB118_373:
                                        ; implicit-def: $vgpr14
	s_mov_b64 s[24:25], 0
.LBB118_374:
	s_and_b64 s[6:7], s[0:1], exec
	s_and_b64 s[18:19], s[18:19], exec
	;; [unrolled: 1-line block ×3, first 2 shown]
	s_orn2_b64 s[0:1], s[24:25], exec
.LBB118_375:
	s_or_b64 exec, exec, s[22:23]
	s_mov_b64 s[30:31], 0
	s_mov_b64 s[28:29], 0
                                        ; implicit-def: $sgpr55
                                        ; implicit-def: $vgpr2_vgpr3
                                        ; implicit-def: $vgpr0
	s_and_saveexec_b64 s[22:23], s[0:1]
	s_cbranch_execz .LBB118_384
; %bb.376:
	v_cmp_gt_i32_e32 vcc, s48, v14
	s_mov_b64 s[0:1], -1
	s_mov_b64 s[24:25], s[20:21]
	s_mov_b64 s[26:27], s[18:19]
	;; [unrolled: 1-line block ×3, first 2 shown]
	s_and_saveexec_b64 s[30:31], vcc
	s_cbranch_execz .LBB118_757
; %bb.377:
	s_waitcnt vmcnt(0)
	v_mul_lo_u32 v0, v14, s13
	v_mov_b32_e32 v1, s11
	s_and_b32 s28, s54, 0xff
	s_cmp_lt_i32 s28, 11
	v_ashrrev_i32_e32 v3, 31, v0
	v_add_co_u32_e32 v2, vcc, s10, v0
	v_addc_co_u32_e32 v3, vcc, v1, v3, vcc
	s_cbranch_scc1 .LBB118_387
; %bb.378:
	s_and_b32 s29, 0xffff, s28
	s_cmp_gt_i32 s29, 25
	s_cbranch_scc0 .LBB118_396
; %bb.379:
	s_cmp_gt_i32 s29, 28
	s_cbranch_scc0 .LBB118_398
; %bb.380:
	;; [unrolled: 3-line block ×4, first 2 shown]
	s_cmp_eq_u32 s29, 46
	s_mov_b64 s[26:27], 0
	s_cbranch_scc0 .LBB118_406
; %bb.383:
	global_load_dword v0, v[2:3], off
	s_mov_b64 s[24:25], 0
	s_waitcnt vmcnt(0)
	v_lshlrev_b32_e32 v0, 16, v0
	v_cvt_i32_f32_e32 v0, v0
	s_branch .LBB118_407
.LBB118_384:
	s_or_b64 exec, exec, s[22:23]
	s_mov_b64 s[22:23], 0
	s_and_saveexec_b64 s[0:1], s[20:21]
	s_cbranch_execnz .LBB118_1220
.LBB118_385:
	s_or_b64 exec, exec, s[0:1]
	s_and_saveexec_b64 s[0:1], s[26:27]
	s_xor_b64 s[0:1], exec, s[0:1]
	s_cbranch_execz .LBB118_1221
.LBB118_386:
	s_waitcnt vmcnt(0)
	global_load_ubyte v0, v[2:3], off
	s_or_b64 s[28:29], s[28:29], exec
	s_waitcnt vmcnt(0)
	v_cmp_ne_u16_e32 vcc, 0, v0
	v_cndmask_b32_e64 v0, 0, 1, vcc
	s_or_b64 exec, exec, s[0:1]
	s_and_saveexec_b64 s[0:1], s[30:31]
	s_cbranch_execz .LBB118_1267
	s_branch .LBB118_1222
.LBB118_387:
	s_mov_b64 s[0:1], 0
                                        ; implicit-def: $vgpr0
	s_mov_b64 s[24:25], s[20:21]
	s_cbranch_execnz .LBB118_469
.LBB118_388:
	s_andn2_b64 vcc, exec, s[0:1]
	s_cbranch_vccnz .LBB118_517
.LBB118_389:
	s_waitcnt vmcnt(0)
	v_mul_lo_u32 v1, v14, s14
	v_mov_b32_e32 v2, s3
	s_and_b32 s34, s15, 0xff
	s_cmp_lt_i32 s34, 11
	v_ashrrev_i32_e32 v3, 31, v1
	v_add_co_u32_e32 v1, vcc, s2, v1
	v_addc_co_u32_e32 v2, vcc, v2, v3, vcc
	s_cbranch_scc1 .LBB118_397
; %bb.390:
	s_and_b32 s35, 0xffff, s34
	s_cmp_gt_i32 s35, 25
	s_cbranch_scc0 .LBB118_399
; %bb.391:
	s_cmp_gt_i32 s35, 28
	s_cbranch_scc0 .LBB118_401
; %bb.392:
	;; [unrolled: 3-line block ×4, first 2 shown]
	s_cmp_eq_u32 s35, 46
	s_mov_b64 s[28:29], 0
	s_cbranch_scc0 .LBB118_521
; %bb.395:
	global_load_dword v3, v[1:2], off
	s_mov_b64 s[0:1], -1
	s_mov_b64 s[26:27], 0
	s_waitcnt vmcnt(0)
	v_lshlrev_b32_e32 v3, 16, v3
	v_cvt_i32_f32_e32 v3, v3
	s_branch .LBB118_522
.LBB118_396:
	s_mov_b64 s[26:27], -1
	s_mov_b64 s[0:1], 0
	s_mov_b64 s[24:25], s[20:21]
                                        ; implicit-def: $vgpr0
	s_branch .LBB118_435
.LBB118_397:
	s_mov_b64 s[28:29], -1
	s_mov_b64 s[0:1], 0
                                        ; implicit-def: $vgpr3
	s_mov_b64 s[26:27], s[18:19]
	s_branch .LBB118_583
.LBB118_398:
	s_mov_b64 s[26:27], -1
	s_mov_b64 s[0:1], 0
	s_mov_b64 s[24:25], s[20:21]
                                        ; implicit-def: $vgpr0
	s_branch .LBB118_418
.LBB118_399:
	s_mov_b64 s[28:29], -1
	s_mov_b64 s[0:1], 0
	s_mov_b64 s[26:27], s[18:19]
                                        ; implicit-def: $vgpr3
	s_branch .LBB118_549
.LBB118_400:
	s_mov_b64 s[26:27], -1
	s_mov_b64 s[0:1], 0
	s_mov_b64 s[24:25], s[20:21]
                                        ; implicit-def: $vgpr0
	s_branch .LBB118_413
.LBB118_401:
	s_mov_b64 s[28:29], -1
	s_mov_b64 s[0:1], 0
	s_mov_b64 s[26:27], s[18:19]
                                        ; implicit-def: $vgpr3
	s_branch .LBB118_532
.LBB118_402:
	s_mov_b64 s[26:27], -1
	s_mov_b64 s[0:1], 0
	s_mov_b64 s[24:25], s[20:21]
                                        ; implicit-def: $vgpr0
	s_branch .LBB118_407
.LBB118_403:
	s_mov_b64 s[28:29], -1
	s_mov_b64 s[0:1], 0
	s_mov_b64 s[26:27], s[18:19]
                                        ; implicit-def: $vgpr3
	s_branch .LBB118_527
.LBB118_404:
	s_andn2_saveexec_b64 s[28:29], s[28:29]
	s_cbranch_execz .LBB118_176
.LBB118_405:
	s_mov_b32 s34, 0x46000000
	v_add_f32_e64 v3, |v2|, s34
	v_and_b32_e32 v3, 0xff, v3
	v_cmp_ne_u32_e32 vcc, 0, v3
	s_andn2_b64 s[24:25], s[24:25], exec
	s_and_b64 s[34:35], vcc, exec
	s_or_b64 s[24:25], s[24:25], s[34:35]
	s_or_b64 exec, exec, s[28:29]
	v_mov_b32_e32 v5, 0
	s_and_saveexec_b64 s[28:29], s[24:25]
	s_cbranch_execnz .LBB118_177
	s_branch .LBB118_178
.LBB118_406:
	s_mov_b64 s[24:25], -1
                                        ; implicit-def: $vgpr0
	s_mov_b64 s[0:1], 0
.LBB118_407:
	s_and_b64 vcc, exec, s[26:27]
	s_cbranch_vccz .LBB118_412
; %bb.408:
	s_cmp_eq_u32 s29, 44
	s_cbranch_scc0 .LBB118_411
; %bb.409:
	global_load_ubyte v0, v[2:3], off
	s_mov_b64 s[0:1], -1
	s_mov_b64 s[24:25], 0
	s_waitcnt vmcnt(0)
	v_lshlrev_b32_e32 v1, 23, v0
	v_cvt_i32_f32_e32 v1, v1
	v_cmp_ne_u32_e32 vcc, 0, v0
	v_cndmask_b32_e32 v0, 0, v1, vcc
	s_branch .LBB118_412
.LBB118_410:
	s_mov_b64 s[28:29], -1
	s_mov_b64 s[0:1], 0
	s_mov_b64 s[26:27], s[18:19]
                                        ; implicit-def: $vgpr3
	s_branch .LBB118_522
.LBB118_411:
	s_mov_b64 s[24:25], -1
                                        ; implicit-def: $vgpr0
.LBB118_412:
	s_mov_b64 s[26:27], 0
.LBB118_413:
	s_and_b64 vcc, exec, s[26:27]
	s_cbranch_vccz .LBB118_417
; %bb.414:
	s_cmp_eq_u32 s29, 29
	s_cbranch_scc0 .LBB118_416
; %bb.415:
	global_load_dwordx2 v[0:1], v[2:3], off
	s_mov_b64 s[0:1], -1
	s_mov_b64 s[24:25], 0
	s_branch .LBB118_417
.LBB118_416:
	s_mov_b64 s[24:25], -1
                                        ; implicit-def: $vgpr0
.LBB118_417:
	s_mov_b64 s[26:27], 0
.LBB118_418:
	s_and_b64 vcc, exec, s[26:27]
	s_cbranch_vccz .LBB118_434
; %bb.419:
	s_cmp_lt_i32 s29, 27
	s_cbranch_scc1 .LBB118_422
; %bb.420:
	s_cmp_gt_i32 s29, 27
	s_cbranch_scc0 .LBB118_423
; %bb.421:
	global_load_dword v0, v[2:3], off
	s_mov_b64 s[0:1], 0
	s_branch .LBB118_424
.LBB118_422:
	s_mov_b64 s[0:1], -1
                                        ; implicit-def: $vgpr0
	s_branch .LBB118_427
.LBB118_423:
	s_mov_b64 s[0:1], -1
                                        ; implicit-def: $vgpr0
.LBB118_424:
	s_andn2_b64 vcc, exec, s[0:1]
	s_cbranch_vccnz .LBB118_426
; %bb.425:
	global_load_ushort v0, v[2:3], off
.LBB118_426:
	s_mov_b64 s[0:1], 0
.LBB118_427:
	s_andn2_b64 vcc, exec, s[0:1]
	s_cbranch_vccnz .LBB118_433
; %bb.428:
	global_load_ubyte v1, v[2:3], off
	s_movk_i32 s0, 0x7f
	s_mov_b64 s[26:27], 0
	s_waitcnt vmcnt(0)
	v_cmp_lt_i16_e32 vcc, s0, v1
	s_and_saveexec_b64 s[0:1], vcc
	s_xor_b64 s[0:1], exec, s[0:1]
	s_cbranch_execz .LBB118_445
; %bb.429:
	s_movk_i32 s26, 0x80
	v_cmp_ne_u16_e32 vcc, s26, v1
	s_and_b64 s[26:27], vcc, exec
	s_andn2_saveexec_b64 s[0:1], s[0:1]
	s_cbranch_execnz .LBB118_446
.LBB118_430:
	s_or_b64 exec, exec, s[0:1]
	v_mov_b32_e32 v0, 0
	s_and_saveexec_b64 s[0:1], s[26:27]
	s_cbranch_execz .LBB118_432
.LBB118_431:
	v_lshlrev_b32_e32 v0, 24, v1
	v_and_b32_e32 v1, 0xffff, v1
	v_and_b32_e32 v4, 7, v1
	v_ffbh_u32_e32 v6, v4
	v_min_u32_e32 v6, 32, v6
	v_subrev_u32_e32 v7, 28, v6
	v_bfe_u32 v5, v1, 3, 4
	v_lshlrev_b32_e32 v1, v7, v1
	v_sub_u32_e32 v6, 29, v6
	v_and_b32_e32 v1, 7, v1
	v_cmp_eq_u32_e32 vcc, 0, v5
	v_cndmask_b32_e32 v5, v5, v6, vcc
	v_cndmask_b32_e32 v1, v4, v1, vcc
	v_mov_b32_e32 v4, 0x3b800000
	v_lshlrev_b32_e32 v1, 20, v1
	v_and_b32_e32 v0, 0x80000000, v0
	v_lshl_add_u32 v4, v5, 23, v4
	v_or3_b32 v0, v0, v4, v1
	v_cvt_i32_f32_e32 v0, v0
.LBB118_432:
	s_or_b64 exec, exec, s[0:1]
.LBB118_433:
	s_mov_b64 s[0:1], -1
.LBB118_434:
	s_mov_b64 s[26:27], 0
.LBB118_435:
	s_and_b64 vcc, exec, s[26:27]
	s_cbranch_vccz .LBB118_468
; %bb.436:
	s_cmp_gt_i32 s29, 22
	s_cbranch_scc0 .LBB118_444
; %bb.437:
	s_cmp_lt_i32 s29, 24
	s_cbranch_scc1 .LBB118_447
; %bb.438:
	s_cmp_gt_i32 s29, 24
	s_cbranch_scc0 .LBB118_448
; %bb.439:
	global_load_ubyte v1, v[2:3], off
	s_movk_i32 s0, 0x7f
	s_mov_b64 s[26:27], 0
	s_waitcnt vmcnt(0)
	v_cmp_lt_i16_e32 vcc, s0, v1
	s_and_saveexec_b64 s[0:1], vcc
	s_xor_b64 s[0:1], exec, s[0:1]
	s_cbranch_execz .LBB118_460
; %bb.440:
	s_movk_i32 s26, 0x80
	v_cmp_ne_u16_e32 vcc, s26, v1
	s_and_b64 s[26:27], vcc, exec
	s_andn2_saveexec_b64 s[0:1], s[0:1]
	s_cbranch_execnz .LBB118_461
.LBB118_441:
	s_or_b64 exec, exec, s[0:1]
	v_mov_b32_e32 v0, 0
	s_and_saveexec_b64 s[0:1], s[26:27]
	s_cbranch_execz .LBB118_443
.LBB118_442:
	v_lshlrev_b32_e32 v0, 24, v1
	v_and_b32_e32 v1, 0xffff, v1
	v_and_b32_e32 v4, 3, v1
	v_ffbh_u32_e32 v6, v4
	v_min_u32_e32 v6, 32, v6
	v_subrev_u32_e32 v7, 29, v6
	v_bfe_u32 v5, v1, 2, 5
	v_lshlrev_b32_e32 v1, v7, v1
	v_sub_u32_e32 v6, 30, v6
	v_and_b32_e32 v1, 3, v1
	v_cmp_eq_u32_e32 vcc, 0, v5
	v_cndmask_b32_e32 v5, v5, v6, vcc
	v_cndmask_b32_e32 v1, v4, v1, vcc
	v_mov_b32_e32 v4, 0x37800000
	v_lshlrev_b32_e32 v1, 21, v1
	v_and_b32_e32 v0, 0x80000000, v0
	v_lshl_add_u32 v4, v5, 23, v4
	v_or3_b32 v0, v0, v4, v1
	v_cvt_i32_f32_e32 v0, v0
.LBB118_443:
	s_or_b64 exec, exec, s[0:1]
	s_mov_b64 s[0:1], 0
	s_branch .LBB118_449
.LBB118_444:
	s_mov_b64 s[26:27], -1
                                        ; implicit-def: $vgpr0
	s_branch .LBB118_455
.LBB118_445:
	s_andn2_saveexec_b64 s[0:1], s[0:1]
	s_cbranch_execz .LBB118_430
.LBB118_446:
	v_cmp_ne_u16_e32 vcc, 0, v1
	s_andn2_b64 s[26:27], s[26:27], exec
	s_and_b64 s[34:35], vcc, exec
	s_or_b64 s[26:27], s[26:27], s[34:35]
	s_or_b64 exec, exec, s[0:1]
	v_mov_b32_e32 v0, 0
	s_and_saveexec_b64 s[0:1], s[26:27]
	s_cbranch_execnz .LBB118_431
	s_branch .LBB118_432
.LBB118_447:
	s_mov_b64 s[0:1], -1
                                        ; implicit-def: $vgpr0
	s_branch .LBB118_452
.LBB118_448:
	s_mov_b64 s[0:1], -1
                                        ; implicit-def: $vgpr0
.LBB118_449:
	s_and_b64 vcc, exec, s[0:1]
	s_cbranch_vccz .LBB118_451
; %bb.450:
	global_load_ubyte v0, v[2:3], off
	s_mov_b32 s0, 0x7f800000
	s_waitcnt vmcnt(0)
	v_lshlrev_b32_e32 v0, 24, v0
	v_and_b32_e32 v1, 0x7f000000, v0
	v_ffbh_u32_e32 v4, v1
	v_min_u32_e32 v4, 32, v4
	v_sub_u32_e64 v4, v4, 4 clamp
	v_lshlrev_b32_e32 v6, v4, v1
	v_lshlrev_b32_e32 v4, 23, v4
	v_lshrrev_b32_e32 v6, 4, v6
	v_add_u32_e32 v5, 0x1000000, v1
	v_sub_u32_e32 v4, v6, v4
	v_ashrrev_i32_e32 v5, 8, v5
	v_add_u32_e32 v4, 0x3c000000, v4
	v_and_or_b32 v4, v5, s0, v4
	v_cmp_ne_u32_e32 vcc, 0, v1
	v_cndmask_b32_e32 v1, 0, v4, vcc
	s_brev_b32 s0, 1
	v_and_or_b32 v0, v0, s0, v1
	v_cvt_i32_f32_e32 v0, v0
.LBB118_451:
	s_mov_b64 s[0:1], 0
.LBB118_452:
	s_andn2_b64 vcc, exec, s[0:1]
	s_cbranch_vccnz .LBB118_454
; %bb.453:
	global_load_ubyte v0, v[2:3], off
	s_movk_i32 s0, 0x7f00
	s_brev_b32 s1, 16
	s_waitcnt vmcnt(0)
	v_lshlrev_b16_e32 v1, 8, v0
	v_lshlrev_b32_e32 v0, 25, v0
	v_lshrrev_b32_e32 v4, 4, v0
	v_and_or_b32 v5, v1, s0, 0.5
	v_or_b32_e32 v4, 0x70000000, v4
	v_add_f32_e32 v5, -0.5, v5
	v_mul_f32_e32 v4, 0x7800000, v4
	v_cmp_gt_u32_e32 vcc, s1, v0
	v_bfe_i32 v1, v1, 0, 16
	v_cndmask_b32_e32 v0, v4, v5, vcc
	s_brev_b32 s0, 1
	v_and_or_b32 v0, v1, s0, v0
	v_cvt_i32_f32_e32 v0, v0
.LBB118_454:
	s_mov_b64 s[26:27], 0
	s_mov_b64 s[0:1], -1
.LBB118_455:
	s_andn2_b64 vcc, exec, s[26:27]
	s_cbranch_vccnz .LBB118_468
; %bb.456:
	s_cmp_gt_i32 s29, 14
	s_cbranch_scc0 .LBB118_459
; %bb.457:
	s_cmp_eq_u32 s29, 15
	s_cbranch_scc0 .LBB118_462
; %bb.458:
	global_load_ushort v0, v[2:3], off
	s_mov_b64 s[0:1], -1
	s_mov_b64 s[24:25], 0
	s_waitcnt vmcnt(0)
	v_lshlrev_b32_e32 v0, 16, v0
	v_cvt_i32_f32_e32 v0, v0
	s_branch .LBB118_463
.LBB118_459:
	s_mov_b64 s[26:27], -1
                                        ; implicit-def: $vgpr0
	s_branch .LBB118_464
.LBB118_460:
	s_andn2_saveexec_b64 s[0:1], s[0:1]
	s_cbranch_execz .LBB118_441
.LBB118_461:
	v_cmp_ne_u16_e32 vcc, 0, v1
	s_andn2_b64 s[26:27], s[26:27], exec
	s_and_b64 s[34:35], vcc, exec
	s_or_b64 s[26:27], s[26:27], s[34:35]
	s_or_b64 exec, exec, s[0:1]
	v_mov_b32_e32 v0, 0
	s_and_saveexec_b64 s[0:1], s[26:27]
	s_cbranch_execnz .LBB118_442
	s_branch .LBB118_443
.LBB118_462:
	s_mov_b64 s[24:25], -1
                                        ; implicit-def: $vgpr0
.LBB118_463:
	s_mov_b64 s[26:27], 0
.LBB118_464:
	s_and_b64 vcc, exec, s[26:27]
	s_cbranch_vccz .LBB118_468
; %bb.465:
	s_cmp_eq_u32 s29, 11
	s_cbranch_scc0 .LBB118_467
; %bb.466:
	global_load_ubyte v0, v[2:3], off
	s_mov_b64 s[0:1], -1
	s_mov_b64 s[24:25], 0
	s_waitcnt vmcnt(0)
	v_cmp_ne_u16_e32 vcc, 0, v0
	v_cndmask_b32_e64 v0, 0, 1, vcc
	s_branch .LBB118_468
.LBB118_467:
	s_mov_b64 s[24:25], -1
                                        ; implicit-def: $vgpr0
.LBB118_468:
	s_branch .LBB118_388
.LBB118_469:
	s_and_b32 s26, 0xffff, s28
	s_cmp_lt_i32 s26, 5
	s_cbranch_scc1 .LBB118_474
; %bb.470:
	s_cmp_lt_i32 s26, 8
	s_cbranch_scc1 .LBB118_475
; %bb.471:
	;; [unrolled: 3-line block ×3, first 2 shown]
	s_cmp_gt_i32 s26, 9
	s_cbranch_scc0 .LBB118_477
; %bb.473:
	global_load_dwordx2 v[0:1], v[2:3], off
	s_mov_b64 s[0:1], 0
	s_waitcnt vmcnt(0)
	v_cvt_i32_f64_e32 v0, v[0:1]
	s_branch .LBB118_478
.LBB118_474:
	s_mov_b64 s[0:1], -1
                                        ; implicit-def: $vgpr0
	s_branch .LBB118_496
.LBB118_475:
	s_mov_b64 s[0:1], -1
                                        ; implicit-def: $vgpr0
	s_branch .LBB118_484
.LBB118_476:
	s_mov_b64 s[0:1], -1
                                        ; implicit-def: $vgpr0
	s_branch .LBB118_481
.LBB118_477:
	s_mov_b64 s[0:1], -1
                                        ; implicit-def: $vgpr0
.LBB118_478:
	s_andn2_b64 vcc, exec, s[0:1]
	s_cbranch_vccnz .LBB118_480
; %bb.479:
	global_load_dword v0, v[2:3], off
	s_waitcnt vmcnt(0)
	v_cvt_i32_f32_e32 v0, v0
.LBB118_480:
	s_mov_b64 s[0:1], 0
.LBB118_481:
	s_andn2_b64 vcc, exec, s[0:1]
	s_cbranch_vccnz .LBB118_483
; %bb.482:
	global_load_dword v0, v[2:3], off
	s_waitcnt vmcnt(0)
	v_cvt_i16_f16_e32 v0, v0
.LBB118_483:
	s_mov_b64 s[0:1], 0
.LBB118_484:
	s_andn2_b64 vcc, exec, s[0:1]
	s_cbranch_vccnz .LBB118_495
; %bb.485:
	s_cmp_lt_i32 s26, 6
	s_cbranch_scc1 .LBB118_488
; %bb.486:
	s_cmp_gt_i32 s26, 6
	s_cbranch_scc0 .LBB118_489
; %bb.487:
	global_load_dwordx2 v[0:1], v[2:3], off
	s_mov_b64 s[0:1], 0
	s_waitcnt vmcnt(0)
	v_cvt_i32_f64_e32 v0, v[0:1]
	s_branch .LBB118_490
.LBB118_488:
	s_mov_b64 s[0:1], -1
                                        ; implicit-def: $vgpr0
	s_branch .LBB118_493
.LBB118_489:
	s_mov_b64 s[0:1], -1
                                        ; implicit-def: $vgpr0
.LBB118_490:
	s_andn2_b64 vcc, exec, s[0:1]
	s_cbranch_vccnz .LBB118_492
; %bb.491:
	global_load_dword v0, v[2:3], off
	s_waitcnt vmcnt(0)
	v_cvt_i32_f32_e32 v0, v0
.LBB118_492:
	s_mov_b64 s[0:1], 0
.LBB118_493:
	s_andn2_b64 vcc, exec, s[0:1]
	s_cbranch_vccnz .LBB118_495
; %bb.494:
	global_load_ushort v0, v[2:3], off
	s_waitcnt vmcnt(0)
	v_cvt_i16_f16_e32 v0, v0
.LBB118_495:
	s_mov_b64 s[0:1], 0
.LBB118_496:
	s_andn2_b64 vcc, exec, s[0:1]
	s_cbranch_vccnz .LBB118_516
; %bb.497:
	s_cmp_lt_i32 s26, 2
	s_cbranch_scc1 .LBB118_501
; %bb.498:
	s_cmp_lt_i32 s26, 3
	s_cbranch_scc1 .LBB118_502
; %bb.499:
	s_cmp_gt_i32 s26, 3
	s_cbranch_scc0 .LBB118_503
; %bb.500:
	global_load_dwordx2 v[0:1], v[2:3], off
	s_mov_b64 s[0:1], 0
	s_branch .LBB118_504
.LBB118_501:
	s_mov_b64 s[0:1], -1
                                        ; implicit-def: $vgpr0
	s_branch .LBB118_510
.LBB118_502:
	s_mov_b64 s[0:1], -1
                                        ; implicit-def: $vgpr0
	s_branch .LBB118_507
.LBB118_503:
	s_mov_b64 s[0:1], -1
                                        ; implicit-def: $vgpr0
.LBB118_504:
	s_andn2_b64 vcc, exec, s[0:1]
	s_cbranch_vccnz .LBB118_506
; %bb.505:
	global_load_dword v0, v[2:3], off
.LBB118_506:
	s_mov_b64 s[0:1], 0
.LBB118_507:
	s_andn2_b64 vcc, exec, s[0:1]
	s_cbranch_vccnz .LBB118_509
; %bb.508:
	global_load_ushort v0, v[2:3], off
.LBB118_509:
	s_mov_b64 s[0:1], 0
.LBB118_510:
	s_andn2_b64 vcc, exec, s[0:1]
	s_cbranch_vccnz .LBB118_516
; %bb.511:
	s_cmp_gt_i32 s26, 0
	s_cbranch_scc0 .LBB118_513
; %bb.512:
	global_load_sbyte v0, v[2:3], off
	s_mov_b64 s[0:1], 0
	s_branch .LBB118_514
.LBB118_513:
	s_mov_b64 s[0:1], -1
                                        ; implicit-def: $vgpr0
.LBB118_514:
	s_andn2_b64 vcc, exec, s[0:1]
	s_cbranch_vccnz .LBB118_516
; %bb.515:
	global_load_ubyte v0, v[2:3], off
.LBB118_516:
	s_branch .LBB118_389
.LBB118_517:
	s_mov_b64 s[34:35], 0
	s_mov_b64 s[0:1], s[6:7]
	;; [unrolled: 1-line block ×3, first 2 shown]
.LBB118_518:
                                        ; implicit-def: $vgpr14
	s_branch .LBB118_756
.LBB118_519:
	s_andn2_saveexec_b64 s[28:29], s[28:29]
	s_cbranch_execz .LBB118_189
.LBB118_520:
	s_mov_b32 s34, 0x42800000
	v_add_f32_e64 v3, |v2|, s34
	v_and_b32_e32 v3, 0xff, v3
	v_cmp_ne_u32_e32 vcc, 0, v3
	s_andn2_b64 s[24:25], s[24:25], exec
	s_and_b64 s[34:35], vcc, exec
	s_or_b64 s[24:25], s[24:25], s[34:35]
	s_or_b64 exec, exec, s[28:29]
	v_mov_b32_e32 v5, 0
	s_and_saveexec_b64 s[28:29], s[24:25]
	s_cbranch_execnz .LBB118_190
	s_branch .LBB118_191
.LBB118_521:
	s_mov_b64 s[26:27], -1
                                        ; implicit-def: $vgpr3
	s_mov_b64 s[0:1], 0
.LBB118_522:
	s_and_b64 vcc, exec, s[28:29]
	s_cbranch_vccz .LBB118_526
; %bb.523:
	s_cmp_eq_u32 s35, 44
	s_cbranch_scc0 .LBB118_525
; %bb.524:
	global_load_ubyte v3, v[1:2], off
	s_mov_b64 s[0:1], -1
	s_mov_b64 s[26:27], 0
	s_waitcnt vmcnt(0)
	v_lshlrev_b32_e32 v4, 23, v3
	v_cvt_i32_f32_e32 v4, v4
	v_cmp_ne_u32_e32 vcc, 0, v3
	v_cndmask_b32_e32 v3, 0, v4, vcc
	s_branch .LBB118_526
.LBB118_525:
	s_mov_b64 s[26:27], -1
                                        ; implicit-def: $vgpr3
.LBB118_526:
	s_mov_b64 s[28:29], 0
.LBB118_527:
	s_and_b64 vcc, exec, s[28:29]
	s_cbranch_vccz .LBB118_531
; %bb.528:
	s_cmp_eq_u32 s35, 29
	s_cbranch_scc0 .LBB118_530
; %bb.529:
	global_load_dwordx2 v[3:4], v[1:2], off
	s_mov_b64 s[0:1], -1
	s_mov_b64 s[26:27], 0
	s_branch .LBB118_531
.LBB118_530:
	s_mov_b64 s[26:27], -1
                                        ; implicit-def: $vgpr3
.LBB118_531:
	s_mov_b64 s[28:29], 0
.LBB118_532:
	s_and_b64 vcc, exec, s[28:29]
	s_cbranch_vccz .LBB118_548
; %bb.533:
	s_cmp_lt_i32 s35, 27
	s_cbranch_scc1 .LBB118_536
; %bb.534:
	s_cmp_gt_i32 s35, 27
	s_cbranch_scc0 .LBB118_537
; %bb.535:
	global_load_dword v3, v[1:2], off
	s_mov_b64 s[0:1], 0
	s_branch .LBB118_538
.LBB118_536:
	s_mov_b64 s[0:1], -1
                                        ; implicit-def: $vgpr3
	s_branch .LBB118_541
.LBB118_537:
	s_mov_b64 s[0:1], -1
                                        ; implicit-def: $vgpr3
.LBB118_538:
	s_andn2_b64 vcc, exec, s[0:1]
	s_cbranch_vccnz .LBB118_540
; %bb.539:
	global_load_ushort v3, v[1:2], off
.LBB118_540:
	s_mov_b64 s[0:1], 0
.LBB118_541:
	s_andn2_b64 vcc, exec, s[0:1]
	s_cbranch_vccnz .LBB118_547
; %bb.542:
	global_load_ubyte v4, v[1:2], off
	s_movk_i32 s0, 0x7f
	s_mov_b64 s[28:29], 0
	s_waitcnt vmcnt(0)
	v_cmp_lt_i16_e32 vcc, s0, v4
	s_and_saveexec_b64 s[0:1], vcc
	s_xor_b64 s[0:1], exec, s[0:1]
	s_cbranch_execz .LBB118_559
; %bb.543:
	s_movk_i32 s28, 0x80
	v_cmp_ne_u16_e32 vcc, s28, v4
	s_and_b64 s[28:29], vcc, exec
	s_andn2_saveexec_b64 s[0:1], s[0:1]
	s_cbranch_execnz .LBB118_560
.LBB118_544:
	s_or_b64 exec, exec, s[0:1]
	v_mov_b32_e32 v3, 0
	s_and_saveexec_b64 s[0:1], s[28:29]
	s_cbranch_execz .LBB118_546
.LBB118_545:
	v_lshlrev_b32_e32 v3, 24, v4
	v_and_b32_e32 v4, 0xffff, v4
	v_and_b32_e32 v5, 7, v4
	v_ffbh_u32_e32 v7, v5
	v_min_u32_e32 v7, 32, v7
	v_subrev_u32_e32 v8, 28, v7
	v_bfe_u32 v6, v4, 3, 4
	v_lshlrev_b32_e32 v4, v8, v4
	v_sub_u32_e32 v7, 29, v7
	v_and_b32_e32 v4, 7, v4
	v_cmp_eq_u32_e32 vcc, 0, v6
	v_cndmask_b32_e32 v6, v6, v7, vcc
	v_cndmask_b32_e32 v4, v5, v4, vcc
	v_mov_b32_e32 v5, 0x3b800000
	v_lshlrev_b32_e32 v4, 20, v4
	v_and_b32_e32 v3, 0x80000000, v3
	v_lshl_add_u32 v5, v6, 23, v5
	v_or3_b32 v3, v3, v5, v4
	v_cvt_i32_f32_e32 v3, v3
.LBB118_546:
	s_or_b64 exec, exec, s[0:1]
.LBB118_547:
	s_mov_b64 s[0:1], -1
.LBB118_548:
	s_mov_b64 s[28:29], 0
.LBB118_549:
	s_and_b64 vcc, exec, s[28:29]
	s_cbranch_vccz .LBB118_582
; %bb.550:
	s_cmp_gt_i32 s35, 22
	s_cbranch_scc0 .LBB118_558
; %bb.551:
	s_cmp_lt_i32 s35, 24
	s_cbranch_scc1 .LBB118_561
; %bb.552:
	s_cmp_gt_i32 s35, 24
	s_cbranch_scc0 .LBB118_562
; %bb.553:
	global_load_ubyte v4, v[1:2], off
	s_movk_i32 s0, 0x7f
	s_mov_b64 s[28:29], 0
	s_waitcnt vmcnt(0)
	v_cmp_lt_i16_e32 vcc, s0, v4
	s_and_saveexec_b64 s[0:1], vcc
	s_xor_b64 s[0:1], exec, s[0:1]
	s_cbranch_execz .LBB118_574
; %bb.554:
	s_movk_i32 s28, 0x80
	v_cmp_ne_u16_e32 vcc, s28, v4
	s_and_b64 s[28:29], vcc, exec
	s_andn2_saveexec_b64 s[0:1], s[0:1]
	s_cbranch_execnz .LBB118_575
.LBB118_555:
	s_or_b64 exec, exec, s[0:1]
	v_mov_b32_e32 v3, 0
	s_and_saveexec_b64 s[0:1], s[28:29]
	s_cbranch_execz .LBB118_557
.LBB118_556:
	v_lshlrev_b32_e32 v3, 24, v4
	v_and_b32_e32 v4, 0xffff, v4
	v_and_b32_e32 v5, 3, v4
	v_ffbh_u32_e32 v7, v5
	v_min_u32_e32 v7, 32, v7
	v_subrev_u32_e32 v8, 29, v7
	v_bfe_u32 v6, v4, 2, 5
	v_lshlrev_b32_e32 v4, v8, v4
	v_sub_u32_e32 v7, 30, v7
	v_and_b32_e32 v4, 3, v4
	v_cmp_eq_u32_e32 vcc, 0, v6
	v_cndmask_b32_e32 v6, v6, v7, vcc
	v_cndmask_b32_e32 v4, v5, v4, vcc
	v_mov_b32_e32 v5, 0x37800000
	v_lshlrev_b32_e32 v4, 21, v4
	v_and_b32_e32 v3, 0x80000000, v3
	v_lshl_add_u32 v5, v6, 23, v5
	v_or3_b32 v3, v3, v5, v4
	v_cvt_i32_f32_e32 v3, v3
.LBB118_557:
	s_or_b64 exec, exec, s[0:1]
	s_mov_b64 s[0:1], 0
	s_branch .LBB118_563
.LBB118_558:
	s_mov_b64 s[28:29], -1
                                        ; implicit-def: $vgpr3
	s_branch .LBB118_569
.LBB118_559:
	s_andn2_saveexec_b64 s[0:1], s[0:1]
	s_cbranch_execz .LBB118_544
.LBB118_560:
	v_cmp_ne_u16_e32 vcc, 0, v4
	s_andn2_b64 s[28:29], s[28:29], exec
	s_and_b64 s[36:37], vcc, exec
	s_or_b64 s[28:29], s[28:29], s[36:37]
	s_or_b64 exec, exec, s[0:1]
	v_mov_b32_e32 v3, 0
	s_and_saveexec_b64 s[0:1], s[28:29]
	s_cbranch_execnz .LBB118_545
	s_branch .LBB118_546
.LBB118_561:
	s_mov_b64 s[0:1], -1
                                        ; implicit-def: $vgpr3
	s_branch .LBB118_566
.LBB118_562:
	s_mov_b64 s[0:1], -1
                                        ; implicit-def: $vgpr3
.LBB118_563:
	s_and_b64 vcc, exec, s[0:1]
	s_cbranch_vccz .LBB118_565
; %bb.564:
	global_load_ubyte v3, v[1:2], off
	s_mov_b32 s0, 0x7f800000
	s_waitcnt vmcnt(0)
	v_lshlrev_b32_e32 v3, 24, v3
	v_and_b32_e32 v4, 0x7f000000, v3
	v_ffbh_u32_e32 v5, v4
	v_min_u32_e32 v5, 32, v5
	v_sub_u32_e64 v5, v5, 4 clamp
	v_lshlrev_b32_e32 v7, v5, v4
	v_lshlrev_b32_e32 v5, 23, v5
	v_lshrrev_b32_e32 v7, 4, v7
	v_add_u32_e32 v6, 0x1000000, v4
	v_sub_u32_e32 v5, v7, v5
	v_ashrrev_i32_e32 v6, 8, v6
	v_add_u32_e32 v5, 0x3c000000, v5
	v_and_or_b32 v5, v6, s0, v5
	v_cmp_ne_u32_e32 vcc, 0, v4
	v_cndmask_b32_e32 v4, 0, v5, vcc
	s_brev_b32 s0, 1
	v_and_or_b32 v3, v3, s0, v4
	v_cvt_i32_f32_e32 v3, v3
.LBB118_565:
	s_mov_b64 s[0:1], 0
.LBB118_566:
	s_andn2_b64 vcc, exec, s[0:1]
	s_cbranch_vccnz .LBB118_568
; %bb.567:
	global_load_ubyte v3, v[1:2], off
	s_movk_i32 s0, 0x7f00
	s_brev_b32 s1, 16
	s_waitcnt vmcnt(0)
	v_lshlrev_b16_e32 v4, 8, v3
	v_lshlrev_b32_e32 v3, 25, v3
	v_lshrrev_b32_e32 v5, 4, v3
	v_and_or_b32 v6, v4, s0, 0.5
	v_or_b32_e32 v5, 0x70000000, v5
	v_add_f32_e32 v6, -0.5, v6
	v_mul_f32_e32 v5, 0x7800000, v5
	v_cmp_gt_u32_e32 vcc, s1, v3
	v_bfe_i32 v4, v4, 0, 16
	v_cndmask_b32_e32 v3, v5, v6, vcc
	s_brev_b32 s0, 1
	v_and_or_b32 v3, v4, s0, v3
	v_cvt_i32_f32_e32 v3, v3
.LBB118_568:
	s_mov_b64 s[28:29], 0
	s_mov_b64 s[0:1], -1
.LBB118_569:
	s_andn2_b64 vcc, exec, s[28:29]
	s_cbranch_vccnz .LBB118_582
; %bb.570:
	s_cmp_gt_i32 s35, 14
	s_cbranch_scc0 .LBB118_573
; %bb.571:
	s_cmp_eq_u32 s35, 15
	s_cbranch_scc0 .LBB118_576
; %bb.572:
	global_load_ushort v3, v[1:2], off
	s_mov_b64 s[0:1], -1
	s_mov_b64 s[26:27], 0
	s_waitcnt vmcnt(0)
	v_lshlrev_b32_e32 v3, 16, v3
	v_cvt_i32_f32_e32 v3, v3
	s_branch .LBB118_577
.LBB118_573:
	s_mov_b64 s[28:29], -1
                                        ; implicit-def: $vgpr3
	s_branch .LBB118_578
.LBB118_574:
	s_andn2_saveexec_b64 s[0:1], s[0:1]
	s_cbranch_execz .LBB118_555
.LBB118_575:
	v_cmp_ne_u16_e32 vcc, 0, v4
	s_andn2_b64 s[28:29], s[28:29], exec
	s_and_b64 s[36:37], vcc, exec
	s_or_b64 s[28:29], s[28:29], s[36:37]
	s_or_b64 exec, exec, s[0:1]
	v_mov_b32_e32 v3, 0
	s_and_saveexec_b64 s[0:1], s[28:29]
	s_cbranch_execnz .LBB118_556
	s_branch .LBB118_557
.LBB118_576:
	s_mov_b64 s[26:27], -1
                                        ; implicit-def: $vgpr3
.LBB118_577:
	s_mov_b64 s[28:29], 0
.LBB118_578:
	s_and_b64 vcc, exec, s[28:29]
	s_cbranch_vccz .LBB118_582
; %bb.579:
	s_cmp_eq_u32 s35, 11
	s_cbranch_scc0 .LBB118_581
; %bb.580:
	global_load_ubyte v3, v[1:2], off
	s_mov_b64 s[0:1], -1
	s_mov_b64 s[26:27], 0
	s_waitcnt vmcnt(0)
	v_cmp_ne_u16_e32 vcc, 0, v3
	v_cndmask_b32_e64 v3, 0, 1, vcc
	s_branch .LBB118_582
.LBB118_581:
	s_mov_b64 s[26:27], -1
                                        ; implicit-def: $vgpr3
.LBB118_582:
	s_mov_b64 s[28:29], 0
.LBB118_583:
	s_and_b64 vcc, exec, s[28:29]
	s_cbranch_vccz .LBB118_632
; %bb.584:
	s_and_b32 s28, 0xffff, s34
	s_cmp_lt_i32 s28, 5
	s_cbranch_scc1 .LBB118_589
; %bb.585:
	s_cmp_lt_i32 s28, 8
	s_cbranch_scc1 .LBB118_590
; %bb.586:
	;; [unrolled: 3-line block ×3, first 2 shown]
	s_cmp_gt_i32 s28, 9
	s_cbranch_scc0 .LBB118_592
; %bb.588:
	global_load_dwordx2 v[3:4], v[1:2], off
	s_mov_b64 s[0:1], 0
	s_waitcnt vmcnt(0)
	v_cvt_i32_f64_e32 v3, v[3:4]
	s_branch .LBB118_593
.LBB118_589:
	s_mov_b64 s[0:1], -1
                                        ; implicit-def: $vgpr3
	s_branch .LBB118_611
.LBB118_590:
	s_mov_b64 s[0:1], -1
                                        ; implicit-def: $vgpr3
	s_branch .LBB118_599
.LBB118_591:
	s_mov_b64 s[0:1], -1
                                        ; implicit-def: $vgpr3
	s_branch .LBB118_596
.LBB118_592:
	s_mov_b64 s[0:1], -1
                                        ; implicit-def: $vgpr3
.LBB118_593:
	s_andn2_b64 vcc, exec, s[0:1]
	s_cbranch_vccnz .LBB118_595
; %bb.594:
	global_load_dword v3, v[1:2], off
	s_waitcnt vmcnt(0)
	v_cvt_i32_f32_e32 v3, v3
.LBB118_595:
	s_mov_b64 s[0:1], 0
.LBB118_596:
	s_andn2_b64 vcc, exec, s[0:1]
	s_cbranch_vccnz .LBB118_598
; %bb.597:
	global_load_dword v3, v[1:2], off
	s_waitcnt vmcnt(0)
	v_cvt_i16_f16_e32 v3, v3
.LBB118_598:
	s_mov_b64 s[0:1], 0
.LBB118_599:
	s_andn2_b64 vcc, exec, s[0:1]
	s_cbranch_vccnz .LBB118_610
; %bb.600:
	s_cmp_lt_i32 s28, 6
	s_cbranch_scc1 .LBB118_603
; %bb.601:
	s_cmp_gt_i32 s28, 6
	s_cbranch_scc0 .LBB118_604
; %bb.602:
	global_load_dwordx2 v[3:4], v[1:2], off
	s_mov_b64 s[0:1], 0
	s_waitcnt vmcnt(0)
	v_cvt_i32_f64_e32 v3, v[3:4]
	s_branch .LBB118_605
.LBB118_603:
	s_mov_b64 s[0:1], -1
                                        ; implicit-def: $vgpr3
	s_branch .LBB118_608
.LBB118_604:
	s_mov_b64 s[0:1], -1
                                        ; implicit-def: $vgpr3
.LBB118_605:
	s_andn2_b64 vcc, exec, s[0:1]
	s_cbranch_vccnz .LBB118_607
; %bb.606:
	global_load_dword v3, v[1:2], off
	s_waitcnt vmcnt(0)
	v_cvt_i32_f32_e32 v3, v3
.LBB118_607:
	s_mov_b64 s[0:1], 0
.LBB118_608:
	s_andn2_b64 vcc, exec, s[0:1]
	s_cbranch_vccnz .LBB118_610
; %bb.609:
	global_load_ushort v3, v[1:2], off
	s_waitcnt vmcnt(0)
	v_cvt_i16_f16_e32 v3, v3
.LBB118_610:
	s_mov_b64 s[0:1], 0
.LBB118_611:
	s_andn2_b64 vcc, exec, s[0:1]
	s_cbranch_vccnz .LBB118_631
; %bb.612:
	s_cmp_lt_i32 s28, 2
	s_cbranch_scc1 .LBB118_616
; %bb.613:
	s_cmp_lt_i32 s28, 3
	s_cbranch_scc1 .LBB118_617
; %bb.614:
	s_cmp_gt_i32 s28, 3
	s_cbranch_scc0 .LBB118_618
; %bb.615:
	global_load_dwordx2 v[3:4], v[1:2], off
	s_mov_b64 s[0:1], 0
	s_branch .LBB118_619
.LBB118_616:
	s_mov_b64 s[0:1], -1
                                        ; implicit-def: $vgpr3
	s_branch .LBB118_625
.LBB118_617:
	s_mov_b64 s[0:1], -1
                                        ; implicit-def: $vgpr3
	s_branch .LBB118_622
.LBB118_618:
	s_mov_b64 s[0:1], -1
                                        ; implicit-def: $vgpr3
.LBB118_619:
	s_andn2_b64 vcc, exec, s[0:1]
	s_cbranch_vccnz .LBB118_621
; %bb.620:
	global_load_dword v3, v[1:2], off
.LBB118_621:
	s_mov_b64 s[0:1], 0
.LBB118_622:
	s_andn2_b64 vcc, exec, s[0:1]
	s_cbranch_vccnz .LBB118_624
; %bb.623:
	global_load_ushort v3, v[1:2], off
.LBB118_624:
	s_mov_b64 s[0:1], 0
.LBB118_625:
	s_andn2_b64 vcc, exec, s[0:1]
	s_cbranch_vccnz .LBB118_631
; %bb.626:
	s_cmp_gt_i32 s28, 0
	s_cbranch_scc0 .LBB118_628
; %bb.627:
	global_load_sbyte v3, v[1:2], off
	s_mov_b64 s[0:1], 0
	s_branch .LBB118_629
.LBB118_628:
	s_mov_b64 s[0:1], -1
                                        ; implicit-def: $vgpr3
.LBB118_629:
	s_andn2_b64 vcc, exec, s[0:1]
	s_cbranch_vccnz .LBB118_631
; %bb.630:
	global_load_ubyte v3, v[1:2], off
.LBB118_631:
	s_mov_b64 s[0:1], -1
.LBB118_632:
	s_andn2_b64 vcc, exec, s[0:1]
	s_cbranch_vccnz .LBB118_640
; %bb.633:
	v_mul_lo_u32 v1, v14, s12
	s_waitcnt vmcnt(0)
	v_lshlrev_b32_sdwa v0, v3, v0 dst_sel:DWORD dst_unused:UNUSED_PAD src0_sel:WORD_0 src1_sel:DWORD
	v_cmp_gt_u16_e32 vcc, 16, v3
	v_cndmask_b32_e32 v4, 0, v0, vcc
	v_ashrrev_i32_e32 v2, 31, v1
	v_mov_b32_e32 v3, s9
	s_and_b32 s38, s33, 0xff
	v_add_co_u32_e32 v0, vcc, s8, v1
	s_cmp_lt_i32 s38, 11
	v_addc_co_u32_e32 v1, vcc, v3, v2, vcc
	s_cbranch_scc1 .LBB118_641
; %bb.634:
	s_and_b32 s39, 0xffff, s38
	s_cmp_gt_i32 s39, 25
	s_cbranch_scc0 .LBB118_642
; %bb.635:
	s_cmp_gt_i32 s39, 28
	s_cbranch_scc0 .LBB118_643
; %bb.636:
	;; [unrolled: 3-line block ×4, first 2 shown]
	s_mov_b64 s[34:35], 0
	s_mov_b64 s[0:1], -1
	s_cmp_eq_u32 s39, 46
	s_mov_b64 s[28:29], 0
	s_cbranch_scc0 .LBB118_646
; %bb.639:
	v_cvt_f32_i32_sdwa v2, sext(v4) dst_sel:DWORD dst_unused:UNUSED_PAD src0_sel:WORD_0
	s_movk_i32 s0, 0x7fff
	s_mov_b64 s[28:29], -1
	v_bfe_u32 v3, v2, 16, 1
	v_add3_u32 v2, v2, v3, s0
	v_lshrrev_b32_e32 v2, 16, v2
	global_store_dword v[0:1], v2, off
	s_mov_b64 s[0:1], 0
	s_branch .LBB118_646
.LBB118_640:
	s_mov_b64 s[34:35], 0
                                        ; implicit-def: $vgpr14
	s_mov_b64 s[0:1], s[6:7]
	s_branch .LBB118_756
.LBB118_641:
	s_mov_b64 s[34:35], -1
	s_mov_b64 s[28:29], 0
	s_mov_b64 s[0:1], s[6:7]
	s_branch .LBB118_715
.LBB118_642:
	s_mov_b64 s[34:35], -1
	s_mov_b64 s[28:29], 0
	s_mov_b64 s[0:1], s[6:7]
	s_branch .LBB118_673
.LBB118_643:
	s_mov_b64 s[34:35], -1
	s_mov_b64 s[28:29], 0
	s_mov_b64 s[0:1], s[6:7]
	s_branch .LBB118_656
.LBB118_644:
	s_mov_b64 s[34:35], -1
	s_mov_b64 s[28:29], 0
	s_mov_b64 s[0:1], s[6:7]
	s_branch .LBB118_652
.LBB118_645:
	s_mov_b64 s[34:35], -1
	s_mov_b64 s[28:29], 0
	s_mov_b64 s[0:1], s[6:7]
.LBB118_646:
	s_and_b64 vcc, exec, s[34:35]
	s_cbranch_vccz .LBB118_651
; %bb.647:
	s_cmp_eq_u32 s39, 44
	s_mov_b64 s[0:1], -1
	s_cbranch_scc0 .LBB118_651
; %bb.648:
	v_cvt_f32_i32_sdwa v2, sext(v4) dst_sel:DWORD dst_unused:UNUSED_PAD src0_sel:WORD_0
	s_movk_i32 s0, 0xff
	v_mov_b32_e32 v5, 0xff
	v_bfe_u32 v3, v2, 23, 8
	v_cmp_ne_u32_e32 vcc, s0, v3
	s_and_saveexec_b64 s[28:29], vcc
; %bb.649:
	s_mov_b32 s0, 0x3fffff
	v_lshrrev_b32_e32 v5, 23, v2
	v_and_b32_e32 v6, 0x400000, v2
	v_and_or_b32 v2, v2, s0, v3
	v_cmp_ne_u32_e32 vcc, 0, v6
	v_cmp_ne_u32_e64 s[0:1], 0, v2
	s_and_b64 s[0:1], vcc, s[0:1]
	v_cndmask_b32_e64 v2, 0, 1, s[0:1]
	v_add_u32_e32 v5, v5, v2
; %bb.650:
	s_or_b64 exec, exec, s[28:29]
	s_mov_b64 s[28:29], -1
	s_mov_b64 s[0:1], 0
	global_store_byte v[0:1], v5, off
.LBB118_651:
	s_mov_b64 s[34:35], 0
.LBB118_652:
	s_and_b64 vcc, exec, s[34:35]
	s_cbranch_vccz .LBB118_655
; %bb.653:
	s_cmp_eq_u32 s39, 29
	s_mov_b64 s[0:1], -1
	s_cbranch_scc0 .LBB118_655
; %bb.654:
	v_bfe_i32 v2, v4, 0, 16
	v_ashrrev_i32_e32 v3, 31, v2
	global_store_dwordx2 v[0:1], v[2:3], off
	s_mov_b64 s[28:29], -1
	s_mov_b64 s[0:1], 0
.LBB118_655:
	s_mov_b64 s[34:35], 0
.LBB118_656:
	s_and_b64 vcc, exec, s[34:35]
	s_cbranch_vccz .LBB118_672
; %bb.657:
	s_cmp_lt_i32 s39, 27
	s_mov_b64 s[28:29], -1
	s_cbranch_scc1 .LBB118_663
; %bb.658:
	s_cmp_gt_i32 s39, 27
	s_cbranch_scc0 .LBB118_660
; %bb.659:
	v_bfe_i32 v2, v4, 0, 16
	s_mov_b64 s[28:29], 0
	global_store_dword v[0:1], v2, off
.LBB118_660:
	s_andn2_b64 vcc, exec, s[28:29]
	s_cbranch_vccnz .LBB118_662
; %bb.661:
	global_store_short v[0:1], v4, off
.LBB118_662:
	s_mov_b64 s[28:29], 0
.LBB118_663:
	s_andn2_b64 vcc, exec, s[28:29]
	s_cbranch_vccnz .LBB118_671
; %bb.664:
	v_cvt_f32_i32_sdwa v2, sext(v4) dst_sel:DWORD dst_unused:UNUSED_PAD src0_sel:WORD_0
	s_mov_b32 s28, 0x43800000
	v_mov_b32_e32 v5, 0x80
	v_and_b32_e32 v3, 0x7fffffff, v2
	v_cmp_gt_u32_e32 vcc, s28, v3
	s_and_saveexec_b64 s[28:29], vcc
	s_cbranch_execz .LBB118_670
; %bb.665:
	s_mov_b32 s34, 0x3bffffff
	v_cmp_lt_u32_e32 vcc, s34, v3
	s_mov_b64 s[34:35], 0
                                        ; implicit-def: $vgpr3
	s_and_saveexec_b64 s[36:37], vcc
	s_xor_b64 s[36:37], exec, s[36:37]
	s_cbranch_execz .LBB118_772
; %bb.666:
	v_bfe_u32 v3, v2, 20, 1
	s_mov_b32 s40, 0x487ffff
	v_add3_u32 v3, v2, v3, s40
	s_mov_b64 s[34:35], exec
	v_lshrrev_b32_e32 v3, 20, v3
	s_andn2_saveexec_b64 s[36:37], s[36:37]
	s_cbranch_execnz .LBB118_773
.LBB118_667:
	s_or_b64 exec, exec, s[36:37]
	v_mov_b32_e32 v5, 0
	s_and_saveexec_b64 s[36:37], s[34:35]
.LBB118_668:
	v_lshrrev_b32_e32 v2, 24, v2
	s_movk_i32 s34, 0x80
	v_and_or_b32 v5, v2, s34, v3
.LBB118_669:
	s_or_b64 exec, exec, s[36:37]
.LBB118_670:
	s_or_b64 exec, exec, s[28:29]
	global_store_byte v[0:1], v5, off
.LBB118_671:
	s_mov_b64 s[28:29], -1
.LBB118_672:
	s_mov_b64 s[34:35], 0
.LBB118_673:
	s_and_b64 vcc, exec, s[34:35]
	s_cbranch_vccz .LBB118_714
; %bb.674:
	s_cmp_gt_i32 s39, 22
	s_mov_b64 s[34:35], -1
	s_cbranch_scc0 .LBB118_706
; %bb.675:
	s_cmp_lt_i32 s39, 24
	s_mov_b64 s[28:29], -1
	s_cbranch_scc1 .LBB118_695
; %bb.676:
	s_cmp_gt_i32 s39, 24
	s_cbranch_scc0 .LBB118_684
; %bb.677:
	v_cvt_f32_i32_sdwa v2, sext(v4) dst_sel:DWORD dst_unused:UNUSED_PAD src0_sel:WORD_0
	s_mov_b32 s28, 0x47800000
	v_mov_b32_e32 v5, 0x80
	v_and_b32_e32 v3, 0x7fffffff, v2
	v_cmp_gt_u32_e32 vcc, s28, v3
	s_and_saveexec_b64 s[28:29], vcc
	s_cbranch_execz .LBB118_683
; %bb.678:
	s_mov_b32 s34, 0x37ffffff
	v_cmp_lt_u32_e32 vcc, s34, v3
	s_mov_b64 s[34:35], 0
                                        ; implicit-def: $vgpr3
	s_and_saveexec_b64 s[36:37], vcc
	s_xor_b64 s[36:37], exec, s[36:37]
	s_cbranch_execz .LBB118_900
; %bb.679:
	v_bfe_u32 v3, v2, 21, 1
	s_mov_b32 s40, 0x88fffff
	v_add3_u32 v3, v2, v3, s40
	s_mov_b64 s[34:35], exec
	v_lshrrev_b32_e32 v3, 21, v3
	s_andn2_saveexec_b64 s[36:37], s[36:37]
	s_cbranch_execnz .LBB118_901
.LBB118_680:
	s_or_b64 exec, exec, s[36:37]
	v_mov_b32_e32 v5, 0
	s_and_saveexec_b64 s[36:37], s[34:35]
.LBB118_681:
	v_lshrrev_b32_e32 v2, 24, v2
	s_movk_i32 s34, 0x80
	v_and_or_b32 v5, v2, s34, v3
.LBB118_682:
	s_or_b64 exec, exec, s[36:37]
.LBB118_683:
	s_or_b64 exec, exec, s[28:29]
	s_mov_b64 s[28:29], 0
	global_store_byte v[0:1], v5, off
.LBB118_684:
	s_and_b64 vcc, exec, s[28:29]
	s_cbranch_vccz .LBB118_694
; %bb.685:
	v_cvt_f32_i32_sdwa v2, sext(v4) dst_sel:DWORD dst_unused:UNUSED_PAD src0_sel:WORD_0
	s_mov_b32 s28, 0x43f00000
                                        ; implicit-def: $vgpr3
	v_and_b32_e32 v5, 0x7fffffff, v2
	v_cmp_gt_u32_e32 vcc, s28, v5
	s_and_saveexec_b64 s[28:29], vcc
	s_xor_b64 s[28:29], exec, s[28:29]
	s_cbranch_execz .LBB118_691
; %bb.686:
	s_mov_b32 s34, 0x3c7fffff
	v_cmp_lt_u32_e32 vcc, s34, v5
                                        ; implicit-def: $vgpr3
	s_and_saveexec_b64 s[34:35], vcc
	s_xor_b64 s[34:35], exec, s[34:35]
; %bb.687:
	v_bfe_u32 v3, v2, 20, 1
	s_mov_b32 s36, 0x407ffff
	v_add3_u32 v3, v2, v3, s36
	v_lshrrev_b32_e32 v5, 20, v3
	v_and_b32_e32 v3, 0xff00000, v3
	s_mov_b32 s36, 0x7f00000
	v_mov_b32_e32 v6, 0x7e
	v_cmp_ne_u32_e32 vcc, s36, v3
	v_cndmask_b32_e32 v3, v6, v5, vcc
; %bb.688:
	s_andn2_saveexec_b64 s[34:35], s[34:35]
; %bb.689:
	s_mov_b32 s36, 0x46800000
	v_add_f32_e64 v3, |v2|, s36
; %bb.690:
	s_or_b64 exec, exec, s[34:35]
                                        ; implicit-def: $vgpr5
.LBB118_691:
	s_andn2_saveexec_b64 s[28:29], s[28:29]
; %bb.692:
	s_mov_b32 s34, 0x7f800000
	v_mov_b32_e32 v3, 0x7e
	v_mov_b32_e32 v6, 0x7f
	v_cmp_lt_u32_e32 vcc, s34, v5
	v_cndmask_b32_e32 v3, v3, v6, vcc
; %bb.693:
	s_or_b64 exec, exec, s[28:29]
	v_lshrrev_b32_e32 v2, 24, v2
	s_movk_i32 s28, 0x80
	v_and_or_b32 v2, v2, s28, v3
	global_store_byte v[0:1], v2, off
.LBB118_694:
	s_mov_b64 s[28:29], 0
.LBB118_695:
	s_andn2_b64 vcc, exec, s[28:29]
	s_cbranch_vccnz .LBB118_705
; %bb.696:
	v_cvt_f32_i32_sdwa v2, sext(v4) dst_sel:DWORD dst_unused:UNUSED_PAD src0_sel:WORD_0
	s_mov_b32 s28, 0x47800000
                                        ; implicit-def: $vgpr3
	v_and_b32_e32 v5, 0x7fffffff, v2
	v_cmp_gt_u32_e32 vcc, s28, v5
	s_and_saveexec_b64 s[28:29], vcc
	s_xor_b64 s[28:29], exec, s[28:29]
	s_cbranch_execz .LBB118_702
; %bb.697:
	s_mov_b32 s34, 0x387fffff
	v_cmp_lt_u32_e32 vcc, s34, v5
                                        ; implicit-def: $vgpr3
	s_and_saveexec_b64 s[34:35], vcc
	s_xor_b64 s[34:35], exec, s[34:35]
; %bb.698:
	v_bfe_u32 v3, v2, 21, 1
	s_mov_b32 s36, 0x80fffff
	v_add3_u32 v3, v2, v3, s36
	v_lshrrev_b32_e32 v3, 21, v3
; %bb.699:
	s_andn2_saveexec_b64 s[34:35], s[34:35]
; %bb.700:
	s_mov_b32 s36, 0x43000000
	v_add_f32_e64 v3, |v2|, s36
; %bb.701:
	s_or_b64 exec, exec, s[34:35]
                                        ; implicit-def: $vgpr5
.LBB118_702:
	s_andn2_saveexec_b64 s[28:29], s[28:29]
; %bb.703:
	s_mov_b32 s34, 0x7f800000
	v_mov_b32_e32 v3, 0x7c
	v_mov_b32_e32 v6, 0x7f
	v_cmp_lt_u32_e32 vcc, s34, v5
	v_cndmask_b32_e32 v3, v3, v6, vcc
; %bb.704:
	s_or_b64 exec, exec, s[28:29]
	v_lshrrev_b32_e32 v2, 24, v2
	s_movk_i32 s28, 0x80
	v_and_or_b32 v2, v2, s28, v3
	global_store_byte v[0:1], v2, off
.LBB118_705:
	s_mov_b64 s[34:35], 0
	s_mov_b64 s[28:29], -1
.LBB118_706:
	s_andn2_b64 vcc, exec, s[34:35]
	s_cbranch_vccnz .LBB118_714
; %bb.707:
	s_cmp_gt_i32 s39, 14
	s_mov_b64 s[34:35], -1
	s_cbranch_scc0 .LBB118_711
; %bb.708:
	s_cmp_eq_u32 s39, 15
	s_mov_b64 s[0:1], -1
	s_cbranch_scc0 .LBB118_710
; %bb.709:
	v_cvt_f32_i32_sdwa v2, sext(v4) dst_sel:DWORD dst_unused:UNUSED_PAD src0_sel:WORD_0
	s_movk_i32 s0, 0x7fff
	s_mov_b64 s[28:29], -1
	v_bfe_u32 v3, v2, 16, 1
	v_add3_u32 v2, v2, v3, s0
	global_store_short_d16_hi v[0:1], v2, off
	s_mov_b64 s[0:1], 0
.LBB118_710:
	s_mov_b64 s[34:35], 0
.LBB118_711:
	s_and_b64 vcc, exec, s[34:35]
	s_cbranch_vccz .LBB118_714
; %bb.712:
	s_cmp_eq_u32 s39, 11
	s_mov_b64 s[0:1], -1
	s_cbranch_scc0 .LBB118_714
; %bb.713:
	v_cmp_ne_u16_e32 vcc, 0, v4
	v_cndmask_b32_e64 v2, 0, 1, vcc
	s_mov_b64 s[28:29], -1
	s_mov_b64 s[0:1], 0
	global_store_byte v[0:1], v2, off
.LBB118_714:
	s_mov_b64 s[34:35], 0
.LBB118_715:
	s_and_b64 vcc, exec, s[34:35]
	s_cbranch_vccz .LBB118_754
; %bb.716:
	s_and_b32 s34, 0xffff, s38
	s_cmp_lt_i32 s34, 5
	s_mov_b64 s[28:29], -1
	s_cbranch_scc1 .LBB118_737
; %bb.717:
	s_cmp_lt_i32 s34, 8
	s_cbranch_scc1 .LBB118_727
; %bb.718:
	s_cmp_lt_i32 s34, 9
	s_cbranch_scc1 .LBB118_724
; %bb.719:
	s_cmp_gt_i32 s34, 9
	s_cbranch_scc0 .LBB118_721
; %bb.720:
	v_bfe_i32 v2, v4, 0, 16
	v_cvt_f64_i32_e32 v[5:6], v2
	v_mov_b32_e32 v7, 0
	v_mov_b32_e32 v8, v7
	s_mov_b64 s[28:29], 0
	global_store_dwordx4 v[0:1], v[5:8], off
.LBB118_721:
	s_andn2_b64 vcc, exec, s[28:29]
	s_cbranch_vccnz .LBB118_723
; %bb.722:
	v_cvt_f32_i32_sdwa v2, sext(v4) dst_sel:DWORD dst_unused:UNUSED_PAD src0_sel:WORD_0
	v_mov_b32_e32 v3, 0
	global_store_dwordx2 v[0:1], v[2:3], off
.LBB118_723:
	s_mov_b64 s[28:29], 0
.LBB118_724:
	s_andn2_b64 vcc, exec, s[28:29]
	s_cbranch_vccnz .LBB118_726
; %bb.725:
	v_cvt_f16_i16_e32 v2, v4
	global_store_dword v[0:1], v2, off
.LBB118_726:
	s_mov_b64 s[28:29], 0
.LBB118_727:
	s_andn2_b64 vcc, exec, s[28:29]
	s_cbranch_vccnz .LBB118_736
; %bb.728:
	s_cmp_lt_i32 s34, 6
	s_mov_b64 s[28:29], -1
	s_cbranch_scc1 .LBB118_734
; %bb.729:
	s_cmp_gt_i32 s34, 6
	s_cbranch_scc0 .LBB118_731
; %bb.730:
	v_bfe_i32 v2, v4, 0, 16
	v_cvt_f64_i32_e32 v[2:3], v2
	s_mov_b64 s[28:29], 0
	global_store_dwordx2 v[0:1], v[2:3], off
.LBB118_731:
	s_andn2_b64 vcc, exec, s[28:29]
	s_cbranch_vccnz .LBB118_733
; %bb.732:
	v_cvt_f32_i32_sdwa v2, sext(v4) dst_sel:DWORD dst_unused:UNUSED_PAD src0_sel:WORD_0
	global_store_dword v[0:1], v2, off
.LBB118_733:
	s_mov_b64 s[28:29], 0
.LBB118_734:
	s_andn2_b64 vcc, exec, s[28:29]
	s_cbranch_vccnz .LBB118_736
; %bb.735:
	v_cvt_f16_i16_e32 v2, v4
	global_store_short v[0:1], v2, off
.LBB118_736:
	s_mov_b64 s[28:29], 0
.LBB118_737:
	s_andn2_b64 vcc, exec, s[28:29]
	s_cbranch_vccnz .LBB118_753
; %bb.738:
	s_cmp_lt_i32 s34, 2
	s_mov_b64 s[28:29], -1
	s_cbranch_scc1 .LBB118_748
; %bb.739:
	s_cmp_lt_i32 s34, 3
	s_cbranch_scc1 .LBB118_745
; %bb.740:
	s_cmp_gt_i32 s34, 3
	v_bfe_i32 v2, v4, 0, 16
	s_cbranch_scc0 .LBB118_742
; %bb.741:
	v_ashrrev_i32_e32 v3, 31, v2
	s_mov_b64 s[28:29], 0
	global_store_dwordx2 v[0:1], v[2:3], off
.LBB118_742:
	s_andn2_b64 vcc, exec, s[28:29]
	s_cbranch_vccnz .LBB118_744
; %bb.743:
	global_store_dword v[0:1], v2, off
.LBB118_744:
	s_mov_b64 s[28:29], 0
.LBB118_745:
	s_andn2_b64 vcc, exec, s[28:29]
	s_cbranch_vccnz .LBB118_747
; %bb.746:
	global_store_short v[0:1], v4, off
.LBB118_747:
	s_mov_b64 s[28:29], 0
.LBB118_748:
	s_andn2_b64 vcc, exec, s[28:29]
	s_cbranch_vccnz .LBB118_753
; %bb.749:
	s_cmp_gt_i32 s34, 0
	s_mov_b64 s[28:29], -1
	s_cbranch_scc0 .LBB118_751
; %bb.750:
	s_mov_b64 s[28:29], 0
	global_store_byte v[0:1], v4, off
.LBB118_751:
	s_andn2_b64 vcc, exec, s[28:29]
	s_cbranch_vccnz .LBB118_753
; %bb.752:
	global_store_byte v[0:1], v4, off
.LBB118_753:
	s_mov_b64 s[28:29], -1
.LBB118_754:
	s_andn2_b64 vcc, exec, s[28:29]
	s_cbranch_vccnz .LBB118_767
; %bb.755:
	v_add_u32_e32 v14, 0x80, v14
	s_mov_b64 s[34:35], -1
.LBB118_756:
	s_andn2_b64 s[28:29], s[6:7], exec
	s_and_b64 s[0:1], s[0:1], exec
	s_or_b64 s[28:29], s[28:29], s[0:1]
	s_andn2_b64 s[0:1], s[18:19], exec
	s_and_b64 s[26:27], s[26:27], exec
	s_or_b64 s[26:27], s[0:1], s[26:27]
	;; [unrolled: 3-line block ×3, first 2 shown]
	s_orn2_b64 s[0:1], s[34:35], exec
.LBB118_757:
	s_or_b64 exec, exec, s[30:31]
	s_mov_b64 s[34:35], 0
	s_mov_b64 s[36:37], 0
	;; [unrolled: 1-line block ×3, first 2 shown]
                                        ; implicit-def: $sgpr55
                                        ; implicit-def: $vgpr2_vgpr3
                                        ; implicit-def: $vgpr0
	s_and_saveexec_b64 s[30:31], s[0:1]
	s_cbranch_execz .LBB118_1219
; %bb.758:
	v_cmp_gt_i32_e32 vcc, s48, v14
	s_mov_b64 s[46:47], -1
	s_mov_b64 s[0:1], s[24:25]
	s_mov_b64 s[38:39], s[26:27]
	s_mov_b64 s[40:41], s[28:29]
	s_and_saveexec_b64 s[34:35], vcc
	s_cbranch_execz .LBB118_1138
; %bb.759:
	s_waitcnt vmcnt(0)
	v_mul_lo_u32 v0, v14, s13
	v_mov_b32_e32 v1, s11
	s_and_b32 s40, s54, 0xff
	s_cmp_lt_i32 s40, 11
	v_ashrrev_i32_e32 v3, 31, v0
	v_add_co_u32_e32 v2, vcc, s10, v0
	v_addc_co_u32_e32 v3, vcc, v1, v3, vcc
	s_cbranch_scc1 .LBB118_766
; %bb.760:
	s_and_b32 s41, 0xffff, s40
	s_cmp_gt_i32 s41, 25
	s_cbranch_scc0 .LBB118_768
; %bb.761:
	s_cmp_gt_i32 s41, 28
	s_cbranch_scc0 .LBB118_769
; %bb.762:
	;; [unrolled: 3-line block ×4, first 2 shown]
	s_cmp_eq_u32 s41, 46
	s_mov_b64 s[38:39], 0
	s_cbranch_scc0 .LBB118_774
; %bb.765:
	global_load_dword v0, v[2:3], off
	s_mov_b64 s[0:1], -1
	s_waitcnt vmcnt(0)
	v_lshlrev_b32_e32 v0, 16, v0
	v_cvt_i32_f32_e32 v0, v0
	s_branch .LBB118_775
.LBB118_766:
	s_mov_b64 s[38:39], -1
	s_mov_b64 s[0:1], 0
                                        ; implicit-def: $vgpr0
	s_mov_b64 s[36:37], s[24:25]
	s_branch .LBB118_836
.LBB118_767:
	s_mov_b64 s[34:35], 0
	s_branch .LBB118_518
.LBB118_768:
	s_mov_b64 s[38:39], -1
	s_mov_b64 s[0:1], 0
	s_mov_b64 s[36:37], s[24:25]
                                        ; implicit-def: $vgpr0
	s_branch .LBB118_802
.LBB118_769:
	s_mov_b64 s[38:39], -1
	s_mov_b64 s[0:1], 0
	s_mov_b64 s[36:37], s[24:25]
                                        ; implicit-def: $vgpr0
	s_branch .LBB118_785
.LBB118_770:
	s_mov_b64 s[38:39], -1
	s_mov_b64 s[0:1], 0
	s_mov_b64 s[36:37], s[24:25]
                                        ; implicit-def: $vgpr0
	s_branch .LBB118_780
.LBB118_771:
	s_mov_b64 s[38:39], -1
	s_mov_b64 s[0:1], 0
	s_mov_b64 s[36:37], s[24:25]
                                        ; implicit-def: $vgpr0
	s_branch .LBB118_775
.LBB118_772:
	s_andn2_saveexec_b64 s[36:37], s[36:37]
	s_cbranch_execz .LBB118_667
.LBB118_773:
	s_mov_b32 s40, 0x46000000
	v_add_f32_e64 v3, |v2|, s40
	v_and_b32_e32 v3, 0xff, v3
	v_cmp_ne_u32_e32 vcc, 0, v3
	s_andn2_b64 s[34:35], s[34:35], exec
	s_and_b64 s[40:41], vcc, exec
	s_or_b64 s[34:35], s[34:35], s[40:41]
	s_or_b64 exec, exec, s[36:37]
	v_mov_b32_e32 v5, 0
	s_and_saveexec_b64 s[36:37], s[34:35]
	s_cbranch_execnz .LBB118_668
	s_branch .LBB118_669
.LBB118_774:
	s_mov_b64 s[36:37], -1
                                        ; implicit-def: $vgpr0
	s_mov_b64 s[0:1], 0
.LBB118_775:
	s_and_b64 vcc, exec, s[38:39]
	s_cbranch_vccz .LBB118_779
; %bb.776:
	s_cmp_eq_u32 s41, 44
	s_cbranch_scc0 .LBB118_778
; %bb.777:
	global_load_ubyte v0, v[2:3], off
	s_mov_b64 s[0:1], -1
	s_mov_b64 s[36:37], 0
	s_waitcnt vmcnt(0)
	v_lshlrev_b32_e32 v1, 23, v0
	v_cvt_i32_f32_e32 v1, v1
	v_cmp_ne_u32_e32 vcc, 0, v0
	v_cndmask_b32_e32 v0, 0, v1, vcc
	s_branch .LBB118_779
.LBB118_778:
	s_mov_b64 s[36:37], -1
                                        ; implicit-def: $vgpr0
.LBB118_779:
	s_mov_b64 s[38:39], 0
.LBB118_780:
	s_and_b64 vcc, exec, s[38:39]
	s_cbranch_vccz .LBB118_784
; %bb.781:
	s_cmp_eq_u32 s41, 29
	s_cbranch_scc0 .LBB118_783
; %bb.782:
	global_load_dwordx2 v[0:1], v[2:3], off
	s_mov_b64 s[0:1], -1
	s_mov_b64 s[36:37], 0
	s_branch .LBB118_784
.LBB118_783:
	s_mov_b64 s[36:37], -1
                                        ; implicit-def: $vgpr0
.LBB118_784:
	s_mov_b64 s[38:39], 0
.LBB118_785:
	s_and_b64 vcc, exec, s[38:39]
	s_cbranch_vccz .LBB118_801
; %bb.786:
	s_cmp_lt_i32 s41, 27
	s_cbranch_scc1 .LBB118_789
; %bb.787:
	s_cmp_gt_i32 s41, 27
	s_cbranch_scc0 .LBB118_790
; %bb.788:
	global_load_dword v0, v[2:3], off
	s_mov_b64 s[0:1], 0
	s_branch .LBB118_791
.LBB118_789:
	s_mov_b64 s[0:1], -1
                                        ; implicit-def: $vgpr0
	s_branch .LBB118_794
.LBB118_790:
	s_mov_b64 s[0:1], -1
                                        ; implicit-def: $vgpr0
.LBB118_791:
	s_andn2_b64 vcc, exec, s[0:1]
	s_cbranch_vccnz .LBB118_793
; %bb.792:
	global_load_ushort v0, v[2:3], off
.LBB118_793:
	s_mov_b64 s[0:1], 0
.LBB118_794:
	s_andn2_b64 vcc, exec, s[0:1]
	s_cbranch_vccnz .LBB118_800
; %bb.795:
	global_load_ubyte v1, v[2:3], off
	s_movk_i32 s0, 0x7f
	s_mov_b64 s[38:39], 0
	s_waitcnt vmcnt(0)
	v_cmp_lt_i16_e32 vcc, s0, v1
	s_and_saveexec_b64 s[0:1], vcc
	s_xor_b64 s[0:1], exec, s[0:1]
	s_cbranch_execz .LBB118_812
; %bb.796:
	s_movk_i32 s38, 0x80
	v_cmp_ne_u16_e32 vcc, s38, v1
	s_and_b64 s[38:39], vcc, exec
	s_andn2_saveexec_b64 s[0:1], s[0:1]
	s_cbranch_execnz .LBB118_813
.LBB118_797:
	s_or_b64 exec, exec, s[0:1]
	v_mov_b32_e32 v0, 0
	s_and_saveexec_b64 s[0:1], s[38:39]
	s_cbranch_execz .LBB118_799
.LBB118_798:
	v_lshlrev_b32_e32 v0, 24, v1
	v_and_b32_e32 v1, 0xffff, v1
	v_and_b32_e32 v4, 7, v1
	v_ffbh_u32_e32 v6, v4
	v_min_u32_e32 v6, 32, v6
	v_subrev_u32_e32 v7, 28, v6
	v_bfe_u32 v5, v1, 3, 4
	v_lshlrev_b32_e32 v1, v7, v1
	v_sub_u32_e32 v6, 29, v6
	v_and_b32_e32 v1, 7, v1
	v_cmp_eq_u32_e32 vcc, 0, v5
	v_cndmask_b32_e32 v5, v5, v6, vcc
	v_cndmask_b32_e32 v1, v4, v1, vcc
	v_mov_b32_e32 v4, 0x3b800000
	v_lshlrev_b32_e32 v1, 20, v1
	v_and_b32_e32 v0, 0x80000000, v0
	v_lshl_add_u32 v4, v5, 23, v4
	v_or3_b32 v0, v0, v4, v1
	v_cvt_i32_f32_e32 v0, v0
.LBB118_799:
	s_or_b64 exec, exec, s[0:1]
.LBB118_800:
	s_mov_b64 s[0:1], -1
.LBB118_801:
	s_mov_b64 s[38:39], 0
.LBB118_802:
	s_and_b64 vcc, exec, s[38:39]
	s_cbranch_vccz .LBB118_835
; %bb.803:
	s_cmp_gt_i32 s41, 22
	s_cbranch_scc0 .LBB118_811
; %bb.804:
	s_cmp_lt_i32 s41, 24
	s_cbranch_scc1 .LBB118_814
; %bb.805:
	s_cmp_gt_i32 s41, 24
	s_cbranch_scc0 .LBB118_815
; %bb.806:
	global_load_ubyte v1, v[2:3], off
	s_movk_i32 s0, 0x7f
	s_mov_b64 s[38:39], 0
	s_waitcnt vmcnt(0)
	v_cmp_lt_i16_e32 vcc, s0, v1
	s_and_saveexec_b64 s[0:1], vcc
	s_xor_b64 s[0:1], exec, s[0:1]
	s_cbranch_execz .LBB118_827
; %bb.807:
	s_movk_i32 s38, 0x80
	v_cmp_ne_u16_e32 vcc, s38, v1
	s_and_b64 s[38:39], vcc, exec
	s_andn2_saveexec_b64 s[0:1], s[0:1]
	s_cbranch_execnz .LBB118_828
.LBB118_808:
	s_or_b64 exec, exec, s[0:1]
	v_mov_b32_e32 v0, 0
	s_and_saveexec_b64 s[0:1], s[38:39]
	s_cbranch_execz .LBB118_810
.LBB118_809:
	v_lshlrev_b32_e32 v0, 24, v1
	v_and_b32_e32 v1, 0xffff, v1
	v_and_b32_e32 v4, 3, v1
	v_ffbh_u32_e32 v6, v4
	v_min_u32_e32 v6, 32, v6
	v_subrev_u32_e32 v7, 29, v6
	v_bfe_u32 v5, v1, 2, 5
	v_lshlrev_b32_e32 v1, v7, v1
	v_sub_u32_e32 v6, 30, v6
	v_and_b32_e32 v1, 3, v1
	v_cmp_eq_u32_e32 vcc, 0, v5
	v_cndmask_b32_e32 v5, v5, v6, vcc
	v_cndmask_b32_e32 v1, v4, v1, vcc
	v_mov_b32_e32 v4, 0x37800000
	v_lshlrev_b32_e32 v1, 21, v1
	v_and_b32_e32 v0, 0x80000000, v0
	v_lshl_add_u32 v4, v5, 23, v4
	v_or3_b32 v0, v0, v4, v1
	v_cvt_i32_f32_e32 v0, v0
.LBB118_810:
	s_or_b64 exec, exec, s[0:1]
	s_mov_b64 s[0:1], 0
	s_branch .LBB118_816
.LBB118_811:
	s_mov_b64 s[38:39], -1
                                        ; implicit-def: $vgpr0
	s_branch .LBB118_822
.LBB118_812:
	s_andn2_saveexec_b64 s[0:1], s[0:1]
	s_cbranch_execz .LBB118_797
.LBB118_813:
	v_cmp_ne_u16_e32 vcc, 0, v1
	s_andn2_b64 s[38:39], s[38:39], exec
	s_and_b64 s[42:43], vcc, exec
	s_or_b64 s[38:39], s[38:39], s[42:43]
	s_or_b64 exec, exec, s[0:1]
	v_mov_b32_e32 v0, 0
	s_and_saveexec_b64 s[0:1], s[38:39]
	s_cbranch_execnz .LBB118_798
	s_branch .LBB118_799
.LBB118_814:
	s_mov_b64 s[0:1], -1
                                        ; implicit-def: $vgpr0
	s_branch .LBB118_819
.LBB118_815:
	s_mov_b64 s[0:1], -1
                                        ; implicit-def: $vgpr0
.LBB118_816:
	s_and_b64 vcc, exec, s[0:1]
	s_cbranch_vccz .LBB118_818
; %bb.817:
	global_load_ubyte v0, v[2:3], off
	s_mov_b32 s0, 0x7f800000
	s_waitcnt vmcnt(0)
	v_lshlrev_b32_e32 v0, 24, v0
	v_and_b32_e32 v1, 0x7f000000, v0
	v_ffbh_u32_e32 v4, v1
	v_min_u32_e32 v4, 32, v4
	v_sub_u32_e64 v4, v4, 4 clamp
	v_lshlrev_b32_e32 v6, v4, v1
	v_lshlrev_b32_e32 v4, 23, v4
	v_lshrrev_b32_e32 v6, 4, v6
	v_add_u32_e32 v5, 0x1000000, v1
	v_sub_u32_e32 v4, v6, v4
	v_ashrrev_i32_e32 v5, 8, v5
	v_add_u32_e32 v4, 0x3c000000, v4
	v_and_or_b32 v4, v5, s0, v4
	v_cmp_ne_u32_e32 vcc, 0, v1
	v_cndmask_b32_e32 v1, 0, v4, vcc
	s_brev_b32 s0, 1
	v_and_or_b32 v0, v0, s0, v1
	v_cvt_i32_f32_e32 v0, v0
.LBB118_818:
	s_mov_b64 s[0:1], 0
.LBB118_819:
	s_andn2_b64 vcc, exec, s[0:1]
	s_cbranch_vccnz .LBB118_821
; %bb.820:
	global_load_ubyte v0, v[2:3], off
	s_movk_i32 s0, 0x7f00
	s_brev_b32 s1, 16
	s_waitcnt vmcnt(0)
	v_lshlrev_b16_e32 v1, 8, v0
	v_lshlrev_b32_e32 v0, 25, v0
	v_lshrrev_b32_e32 v4, 4, v0
	v_and_or_b32 v5, v1, s0, 0.5
	v_or_b32_e32 v4, 0x70000000, v4
	v_add_f32_e32 v5, -0.5, v5
	v_mul_f32_e32 v4, 0x7800000, v4
	v_cmp_gt_u32_e32 vcc, s1, v0
	v_bfe_i32 v1, v1, 0, 16
	v_cndmask_b32_e32 v0, v4, v5, vcc
	s_brev_b32 s0, 1
	v_and_or_b32 v0, v1, s0, v0
	v_cvt_i32_f32_e32 v0, v0
.LBB118_821:
	s_mov_b64 s[38:39], 0
	s_mov_b64 s[0:1], -1
.LBB118_822:
	s_andn2_b64 vcc, exec, s[38:39]
	s_cbranch_vccnz .LBB118_835
; %bb.823:
	s_cmp_gt_i32 s41, 14
	s_cbranch_scc0 .LBB118_826
; %bb.824:
	s_cmp_eq_u32 s41, 15
	s_cbranch_scc0 .LBB118_829
; %bb.825:
	global_load_ushort v0, v[2:3], off
	s_mov_b64 s[0:1], -1
	s_mov_b64 s[36:37], 0
	s_waitcnt vmcnt(0)
	v_lshlrev_b32_e32 v0, 16, v0
	v_cvt_i32_f32_e32 v0, v0
	s_branch .LBB118_830
.LBB118_826:
	s_mov_b64 s[38:39], -1
                                        ; implicit-def: $vgpr0
	s_branch .LBB118_831
.LBB118_827:
	s_andn2_saveexec_b64 s[0:1], s[0:1]
	s_cbranch_execz .LBB118_808
.LBB118_828:
	v_cmp_ne_u16_e32 vcc, 0, v1
	s_andn2_b64 s[38:39], s[38:39], exec
	s_and_b64 s[42:43], vcc, exec
	s_or_b64 s[38:39], s[38:39], s[42:43]
	s_or_b64 exec, exec, s[0:1]
	v_mov_b32_e32 v0, 0
	s_and_saveexec_b64 s[0:1], s[38:39]
	s_cbranch_execnz .LBB118_809
	s_branch .LBB118_810
.LBB118_829:
	s_mov_b64 s[36:37], -1
                                        ; implicit-def: $vgpr0
.LBB118_830:
	s_mov_b64 s[38:39], 0
.LBB118_831:
	s_and_b64 vcc, exec, s[38:39]
	s_cbranch_vccz .LBB118_835
; %bb.832:
	s_cmp_eq_u32 s41, 11
	s_cbranch_scc0 .LBB118_834
; %bb.833:
	global_load_ubyte v0, v[2:3], off
	s_mov_b64 s[0:1], -1
	s_mov_b64 s[36:37], 0
	s_waitcnt vmcnt(0)
	v_cmp_ne_u16_e32 vcc, 0, v0
	v_cndmask_b32_e64 v0, 0, 1, vcc
	s_branch .LBB118_835
.LBB118_834:
	s_mov_b64 s[36:37], -1
                                        ; implicit-def: $vgpr0
.LBB118_835:
	s_mov_b64 s[38:39], 0
.LBB118_836:
	s_and_b64 vcc, exec, s[38:39]
	s_cbranch_vccz .LBB118_885
; %bb.837:
	s_and_b32 s38, 0xffff, s40
	s_cmp_lt_i32 s38, 5
	s_cbranch_scc1 .LBB118_842
; %bb.838:
	s_cmp_lt_i32 s38, 8
	s_cbranch_scc1 .LBB118_843
; %bb.839:
	;; [unrolled: 3-line block ×3, first 2 shown]
	s_cmp_gt_i32 s38, 9
	s_cbranch_scc0 .LBB118_845
; %bb.841:
	global_load_dwordx2 v[0:1], v[2:3], off
	s_mov_b64 s[0:1], 0
	s_waitcnt vmcnt(0)
	v_cvt_i32_f64_e32 v0, v[0:1]
	s_branch .LBB118_846
.LBB118_842:
	s_mov_b64 s[0:1], -1
                                        ; implicit-def: $vgpr0
	s_branch .LBB118_864
.LBB118_843:
	s_mov_b64 s[0:1], -1
                                        ; implicit-def: $vgpr0
	s_branch .LBB118_852
.LBB118_844:
	s_mov_b64 s[0:1], -1
                                        ; implicit-def: $vgpr0
	s_branch .LBB118_849
.LBB118_845:
	s_mov_b64 s[0:1], -1
                                        ; implicit-def: $vgpr0
.LBB118_846:
	s_andn2_b64 vcc, exec, s[0:1]
	s_cbranch_vccnz .LBB118_848
; %bb.847:
	global_load_dword v0, v[2:3], off
	s_waitcnt vmcnt(0)
	v_cvt_i32_f32_e32 v0, v0
.LBB118_848:
	s_mov_b64 s[0:1], 0
.LBB118_849:
	s_andn2_b64 vcc, exec, s[0:1]
	s_cbranch_vccnz .LBB118_851
; %bb.850:
	global_load_dword v0, v[2:3], off
	s_waitcnt vmcnt(0)
	v_cvt_i16_f16_e32 v0, v0
.LBB118_851:
	s_mov_b64 s[0:1], 0
.LBB118_852:
	s_andn2_b64 vcc, exec, s[0:1]
	s_cbranch_vccnz .LBB118_863
; %bb.853:
	s_cmp_lt_i32 s38, 6
	s_cbranch_scc1 .LBB118_856
; %bb.854:
	s_cmp_gt_i32 s38, 6
	s_cbranch_scc0 .LBB118_857
; %bb.855:
	global_load_dwordx2 v[0:1], v[2:3], off
	s_mov_b64 s[0:1], 0
	s_waitcnt vmcnt(0)
	v_cvt_i32_f64_e32 v0, v[0:1]
	s_branch .LBB118_858
.LBB118_856:
	s_mov_b64 s[0:1], -1
                                        ; implicit-def: $vgpr0
	s_branch .LBB118_861
.LBB118_857:
	s_mov_b64 s[0:1], -1
                                        ; implicit-def: $vgpr0
.LBB118_858:
	s_andn2_b64 vcc, exec, s[0:1]
	s_cbranch_vccnz .LBB118_860
; %bb.859:
	global_load_dword v0, v[2:3], off
	s_waitcnt vmcnt(0)
	v_cvt_i32_f32_e32 v0, v0
.LBB118_860:
	s_mov_b64 s[0:1], 0
.LBB118_861:
	s_andn2_b64 vcc, exec, s[0:1]
	s_cbranch_vccnz .LBB118_863
; %bb.862:
	global_load_ushort v0, v[2:3], off
	s_waitcnt vmcnt(0)
	v_cvt_i16_f16_e32 v0, v0
.LBB118_863:
	s_mov_b64 s[0:1], 0
.LBB118_864:
	s_andn2_b64 vcc, exec, s[0:1]
	s_cbranch_vccnz .LBB118_884
; %bb.865:
	s_cmp_lt_i32 s38, 2
	s_cbranch_scc1 .LBB118_869
; %bb.866:
	s_cmp_lt_i32 s38, 3
	s_cbranch_scc1 .LBB118_870
; %bb.867:
	s_cmp_gt_i32 s38, 3
	s_cbranch_scc0 .LBB118_871
; %bb.868:
	global_load_dwordx2 v[0:1], v[2:3], off
	s_mov_b64 s[0:1], 0
	s_branch .LBB118_872
.LBB118_869:
	s_mov_b64 s[0:1], -1
                                        ; implicit-def: $vgpr0
	s_branch .LBB118_878
.LBB118_870:
	s_mov_b64 s[0:1], -1
                                        ; implicit-def: $vgpr0
	s_branch .LBB118_875
.LBB118_871:
	s_mov_b64 s[0:1], -1
                                        ; implicit-def: $vgpr0
.LBB118_872:
	s_andn2_b64 vcc, exec, s[0:1]
	s_cbranch_vccnz .LBB118_874
; %bb.873:
	global_load_dword v0, v[2:3], off
.LBB118_874:
	s_mov_b64 s[0:1], 0
.LBB118_875:
	s_andn2_b64 vcc, exec, s[0:1]
	s_cbranch_vccnz .LBB118_877
; %bb.876:
	global_load_ushort v0, v[2:3], off
.LBB118_877:
	s_mov_b64 s[0:1], 0
.LBB118_878:
	s_andn2_b64 vcc, exec, s[0:1]
	s_cbranch_vccnz .LBB118_884
; %bb.879:
	s_cmp_gt_i32 s38, 0
	s_cbranch_scc0 .LBB118_881
; %bb.880:
	global_load_sbyte v0, v[2:3], off
	s_mov_b64 s[0:1], 0
	s_branch .LBB118_882
.LBB118_881:
	s_mov_b64 s[0:1], -1
                                        ; implicit-def: $vgpr0
.LBB118_882:
	s_andn2_b64 vcc, exec, s[0:1]
	s_cbranch_vccnz .LBB118_884
; %bb.883:
	global_load_ubyte v0, v[2:3], off
.LBB118_884:
	s_mov_b64 s[0:1], -1
.LBB118_885:
	s_andn2_b64 vcc, exec, s[0:1]
	s_cbranch_vccnz .LBB118_893
; %bb.886:
	s_waitcnt vmcnt(0)
	v_mul_lo_u32 v1, v14, s14
	v_mov_b32_e32 v2, s3
	s_and_b32 s42, s15, 0xff
	s_cmp_lt_i32 s42, 11
	v_ashrrev_i32_e32 v3, 31, v1
	v_add_co_u32_e32 v1, vcc, s2, v1
	v_addc_co_u32_e32 v2, vcc, v2, v3, vcc
	s_cbranch_scc1 .LBB118_895
; %bb.887:
	s_and_b32 s43, 0xffff, s42
	s_cmp_gt_i32 s43, 25
	s_cbranch_scc0 .LBB118_896
; %bb.888:
	s_cmp_gt_i32 s43, 28
	s_cbranch_scc0 .LBB118_897
; %bb.889:
	s_cmp_gt_i32 s43, 43
	s_cbranch_scc0 .LBB118_898
; %bb.890:
	s_cmp_gt_i32 s43, 45
	s_cbranch_scc0 .LBB118_899
; %bb.891:
	s_cmp_eq_u32 s43, 46
	s_mov_b64 s[40:41], 0
	s_cbranch_scc0 .LBB118_902
; %bb.892:
	global_load_dword v3, v[1:2], off
	s_mov_b64 s[0:1], -1
	s_mov_b64 s[38:39], 0
	s_waitcnt vmcnt(0)
	v_lshlrev_b32_e32 v3, 16, v3
	v_cvt_i32_f32_e32 v3, v3
	s_branch .LBB118_903
.LBB118_893:
	s_mov_b64 s[42:43], 0
	s_mov_b64 s[0:1], s[28:29]
	;; [unrolled: 1-line block ×3, first 2 shown]
.LBB118_894:
                                        ; implicit-def: $vgpr14
	s_branch .LBB118_1137
.LBB118_895:
	s_mov_b64 s[40:41], -1
	s_mov_b64 s[0:1], 0
                                        ; implicit-def: $vgpr3
	s_mov_b64 s[38:39], s[26:27]
	s_branch .LBB118_964
.LBB118_896:
	s_mov_b64 s[40:41], -1
	s_mov_b64 s[0:1], 0
	s_mov_b64 s[38:39], s[26:27]
                                        ; implicit-def: $vgpr3
	s_branch .LBB118_930
.LBB118_897:
	s_mov_b64 s[40:41], -1
	s_mov_b64 s[0:1], 0
	s_mov_b64 s[38:39], s[26:27]
                                        ; implicit-def: $vgpr3
	s_branch .LBB118_913
.LBB118_898:
	s_mov_b64 s[40:41], -1
	s_mov_b64 s[0:1], 0
	s_mov_b64 s[38:39], s[26:27]
                                        ; implicit-def: $vgpr3
	s_branch .LBB118_908
.LBB118_899:
	s_mov_b64 s[40:41], -1
	s_mov_b64 s[0:1], 0
	s_mov_b64 s[38:39], s[26:27]
                                        ; implicit-def: $vgpr3
	s_branch .LBB118_903
.LBB118_900:
	s_andn2_saveexec_b64 s[36:37], s[36:37]
	s_cbranch_execz .LBB118_680
.LBB118_901:
	s_mov_b32 s40, 0x42800000
	v_add_f32_e64 v3, |v2|, s40
	v_and_b32_e32 v3, 0xff, v3
	v_cmp_ne_u32_e32 vcc, 0, v3
	s_andn2_b64 s[34:35], s[34:35], exec
	s_and_b64 s[40:41], vcc, exec
	s_or_b64 s[34:35], s[34:35], s[40:41]
	s_or_b64 exec, exec, s[36:37]
	v_mov_b32_e32 v5, 0
	s_and_saveexec_b64 s[36:37], s[34:35]
	s_cbranch_execnz .LBB118_681
	s_branch .LBB118_682
.LBB118_902:
	s_mov_b64 s[38:39], -1
                                        ; implicit-def: $vgpr3
	s_mov_b64 s[0:1], 0
.LBB118_903:
	s_and_b64 vcc, exec, s[40:41]
	s_cbranch_vccz .LBB118_907
; %bb.904:
	s_cmp_eq_u32 s43, 44
	s_cbranch_scc0 .LBB118_906
; %bb.905:
	global_load_ubyte v3, v[1:2], off
	s_mov_b64 s[0:1], -1
	s_mov_b64 s[38:39], 0
	s_waitcnt vmcnt(0)
	v_lshlrev_b32_e32 v4, 23, v3
	v_cvt_i32_f32_e32 v4, v4
	v_cmp_ne_u32_e32 vcc, 0, v3
	v_cndmask_b32_e32 v3, 0, v4, vcc
	s_branch .LBB118_907
.LBB118_906:
	s_mov_b64 s[38:39], -1
                                        ; implicit-def: $vgpr3
.LBB118_907:
	s_mov_b64 s[40:41], 0
.LBB118_908:
	s_and_b64 vcc, exec, s[40:41]
	s_cbranch_vccz .LBB118_912
; %bb.909:
	s_cmp_eq_u32 s43, 29
	s_cbranch_scc0 .LBB118_911
; %bb.910:
	global_load_dwordx2 v[3:4], v[1:2], off
	s_mov_b64 s[0:1], -1
	s_mov_b64 s[38:39], 0
	s_branch .LBB118_912
.LBB118_911:
	s_mov_b64 s[38:39], -1
                                        ; implicit-def: $vgpr3
.LBB118_912:
	s_mov_b64 s[40:41], 0
.LBB118_913:
	s_and_b64 vcc, exec, s[40:41]
	s_cbranch_vccz .LBB118_929
; %bb.914:
	s_cmp_lt_i32 s43, 27
	s_cbranch_scc1 .LBB118_917
; %bb.915:
	s_cmp_gt_i32 s43, 27
	s_cbranch_scc0 .LBB118_918
; %bb.916:
	global_load_dword v3, v[1:2], off
	s_mov_b64 s[0:1], 0
	s_branch .LBB118_919
.LBB118_917:
	s_mov_b64 s[0:1], -1
                                        ; implicit-def: $vgpr3
	s_branch .LBB118_922
.LBB118_918:
	s_mov_b64 s[0:1], -1
                                        ; implicit-def: $vgpr3
.LBB118_919:
	s_andn2_b64 vcc, exec, s[0:1]
	s_cbranch_vccnz .LBB118_921
; %bb.920:
	global_load_ushort v3, v[1:2], off
.LBB118_921:
	s_mov_b64 s[0:1], 0
.LBB118_922:
	s_andn2_b64 vcc, exec, s[0:1]
	s_cbranch_vccnz .LBB118_928
; %bb.923:
	global_load_ubyte v4, v[1:2], off
	s_movk_i32 s0, 0x7f
	s_mov_b64 s[40:41], 0
	s_waitcnt vmcnt(0)
	v_cmp_lt_i16_e32 vcc, s0, v4
	s_and_saveexec_b64 s[0:1], vcc
	s_xor_b64 s[0:1], exec, s[0:1]
	s_cbranch_execz .LBB118_940
; %bb.924:
	s_movk_i32 s40, 0x80
	v_cmp_ne_u16_e32 vcc, s40, v4
	s_and_b64 s[40:41], vcc, exec
	s_andn2_saveexec_b64 s[0:1], s[0:1]
	s_cbranch_execnz .LBB118_941
.LBB118_925:
	s_or_b64 exec, exec, s[0:1]
	v_mov_b32_e32 v3, 0
	s_and_saveexec_b64 s[0:1], s[40:41]
	s_cbranch_execz .LBB118_927
.LBB118_926:
	v_lshlrev_b32_e32 v3, 24, v4
	v_and_b32_e32 v4, 0xffff, v4
	v_and_b32_e32 v5, 7, v4
	v_ffbh_u32_e32 v7, v5
	v_min_u32_e32 v7, 32, v7
	v_subrev_u32_e32 v8, 28, v7
	v_bfe_u32 v6, v4, 3, 4
	v_lshlrev_b32_e32 v4, v8, v4
	v_sub_u32_e32 v7, 29, v7
	v_and_b32_e32 v4, 7, v4
	v_cmp_eq_u32_e32 vcc, 0, v6
	v_cndmask_b32_e32 v6, v6, v7, vcc
	v_cndmask_b32_e32 v4, v5, v4, vcc
	v_mov_b32_e32 v5, 0x3b800000
	v_lshlrev_b32_e32 v4, 20, v4
	v_and_b32_e32 v3, 0x80000000, v3
	v_lshl_add_u32 v5, v6, 23, v5
	v_or3_b32 v3, v3, v5, v4
	v_cvt_i32_f32_e32 v3, v3
.LBB118_927:
	s_or_b64 exec, exec, s[0:1]
.LBB118_928:
	s_mov_b64 s[0:1], -1
.LBB118_929:
	s_mov_b64 s[40:41], 0
.LBB118_930:
	s_and_b64 vcc, exec, s[40:41]
	s_cbranch_vccz .LBB118_963
; %bb.931:
	s_cmp_gt_i32 s43, 22
	s_cbranch_scc0 .LBB118_939
; %bb.932:
	s_cmp_lt_i32 s43, 24
	s_cbranch_scc1 .LBB118_942
; %bb.933:
	s_cmp_gt_i32 s43, 24
	s_cbranch_scc0 .LBB118_943
; %bb.934:
	global_load_ubyte v4, v[1:2], off
	s_movk_i32 s0, 0x7f
	s_mov_b64 s[40:41], 0
	s_waitcnt vmcnt(0)
	v_cmp_lt_i16_e32 vcc, s0, v4
	s_and_saveexec_b64 s[0:1], vcc
	s_xor_b64 s[0:1], exec, s[0:1]
	s_cbranch_execz .LBB118_955
; %bb.935:
	s_movk_i32 s40, 0x80
	v_cmp_ne_u16_e32 vcc, s40, v4
	s_and_b64 s[40:41], vcc, exec
	s_andn2_saveexec_b64 s[0:1], s[0:1]
	s_cbranch_execnz .LBB118_956
.LBB118_936:
	s_or_b64 exec, exec, s[0:1]
	v_mov_b32_e32 v3, 0
	s_and_saveexec_b64 s[0:1], s[40:41]
	s_cbranch_execz .LBB118_938
.LBB118_937:
	v_lshlrev_b32_e32 v3, 24, v4
	v_and_b32_e32 v4, 0xffff, v4
	v_and_b32_e32 v5, 3, v4
	v_ffbh_u32_e32 v7, v5
	v_min_u32_e32 v7, 32, v7
	v_subrev_u32_e32 v8, 29, v7
	v_bfe_u32 v6, v4, 2, 5
	v_lshlrev_b32_e32 v4, v8, v4
	v_sub_u32_e32 v7, 30, v7
	v_and_b32_e32 v4, 3, v4
	v_cmp_eq_u32_e32 vcc, 0, v6
	v_cndmask_b32_e32 v6, v6, v7, vcc
	v_cndmask_b32_e32 v4, v5, v4, vcc
	v_mov_b32_e32 v5, 0x37800000
	v_lshlrev_b32_e32 v4, 21, v4
	v_and_b32_e32 v3, 0x80000000, v3
	v_lshl_add_u32 v5, v6, 23, v5
	v_or3_b32 v3, v3, v5, v4
	v_cvt_i32_f32_e32 v3, v3
.LBB118_938:
	s_or_b64 exec, exec, s[0:1]
	s_mov_b64 s[0:1], 0
	s_branch .LBB118_944
.LBB118_939:
	s_mov_b64 s[40:41], -1
                                        ; implicit-def: $vgpr3
	s_branch .LBB118_950
.LBB118_940:
	s_andn2_saveexec_b64 s[0:1], s[0:1]
	s_cbranch_execz .LBB118_925
.LBB118_941:
	v_cmp_ne_u16_e32 vcc, 0, v4
	s_andn2_b64 s[40:41], s[40:41], exec
	s_and_b64 s[44:45], vcc, exec
	s_or_b64 s[40:41], s[40:41], s[44:45]
	s_or_b64 exec, exec, s[0:1]
	v_mov_b32_e32 v3, 0
	s_and_saveexec_b64 s[0:1], s[40:41]
	s_cbranch_execnz .LBB118_926
	s_branch .LBB118_927
.LBB118_942:
	s_mov_b64 s[0:1], -1
                                        ; implicit-def: $vgpr3
	s_branch .LBB118_947
.LBB118_943:
	s_mov_b64 s[0:1], -1
                                        ; implicit-def: $vgpr3
.LBB118_944:
	s_and_b64 vcc, exec, s[0:1]
	s_cbranch_vccz .LBB118_946
; %bb.945:
	global_load_ubyte v3, v[1:2], off
	s_mov_b32 s0, 0x7f800000
	s_waitcnt vmcnt(0)
	v_lshlrev_b32_e32 v3, 24, v3
	v_and_b32_e32 v4, 0x7f000000, v3
	v_ffbh_u32_e32 v5, v4
	v_min_u32_e32 v5, 32, v5
	v_sub_u32_e64 v5, v5, 4 clamp
	v_lshlrev_b32_e32 v7, v5, v4
	v_lshlrev_b32_e32 v5, 23, v5
	v_lshrrev_b32_e32 v7, 4, v7
	v_add_u32_e32 v6, 0x1000000, v4
	v_sub_u32_e32 v5, v7, v5
	v_ashrrev_i32_e32 v6, 8, v6
	v_add_u32_e32 v5, 0x3c000000, v5
	v_and_or_b32 v5, v6, s0, v5
	v_cmp_ne_u32_e32 vcc, 0, v4
	v_cndmask_b32_e32 v4, 0, v5, vcc
	s_brev_b32 s0, 1
	v_and_or_b32 v3, v3, s0, v4
	v_cvt_i32_f32_e32 v3, v3
.LBB118_946:
	s_mov_b64 s[0:1], 0
.LBB118_947:
	s_andn2_b64 vcc, exec, s[0:1]
	s_cbranch_vccnz .LBB118_949
; %bb.948:
	global_load_ubyte v3, v[1:2], off
	s_movk_i32 s0, 0x7f00
	s_brev_b32 s1, 16
	s_waitcnt vmcnt(0)
	v_lshlrev_b16_e32 v4, 8, v3
	v_lshlrev_b32_e32 v3, 25, v3
	v_lshrrev_b32_e32 v5, 4, v3
	v_and_or_b32 v6, v4, s0, 0.5
	v_or_b32_e32 v5, 0x70000000, v5
	v_add_f32_e32 v6, -0.5, v6
	v_mul_f32_e32 v5, 0x7800000, v5
	v_cmp_gt_u32_e32 vcc, s1, v3
	v_bfe_i32 v4, v4, 0, 16
	v_cndmask_b32_e32 v3, v5, v6, vcc
	s_brev_b32 s0, 1
	v_and_or_b32 v3, v4, s0, v3
	v_cvt_i32_f32_e32 v3, v3
.LBB118_949:
	s_mov_b64 s[40:41], 0
	s_mov_b64 s[0:1], -1
.LBB118_950:
	s_andn2_b64 vcc, exec, s[40:41]
	s_cbranch_vccnz .LBB118_963
; %bb.951:
	s_cmp_gt_i32 s43, 14
	s_cbranch_scc0 .LBB118_954
; %bb.952:
	s_cmp_eq_u32 s43, 15
	s_cbranch_scc0 .LBB118_957
; %bb.953:
	global_load_ushort v3, v[1:2], off
	s_mov_b64 s[0:1], -1
	s_mov_b64 s[38:39], 0
	s_waitcnt vmcnt(0)
	v_lshlrev_b32_e32 v3, 16, v3
	v_cvt_i32_f32_e32 v3, v3
	s_branch .LBB118_958
.LBB118_954:
	s_mov_b64 s[40:41], -1
                                        ; implicit-def: $vgpr3
	s_branch .LBB118_959
.LBB118_955:
	s_andn2_saveexec_b64 s[0:1], s[0:1]
	s_cbranch_execz .LBB118_936
.LBB118_956:
	v_cmp_ne_u16_e32 vcc, 0, v4
	s_andn2_b64 s[40:41], s[40:41], exec
	s_and_b64 s[44:45], vcc, exec
	s_or_b64 s[40:41], s[40:41], s[44:45]
	s_or_b64 exec, exec, s[0:1]
	v_mov_b32_e32 v3, 0
	s_and_saveexec_b64 s[0:1], s[40:41]
	s_cbranch_execnz .LBB118_937
	s_branch .LBB118_938
.LBB118_957:
	s_mov_b64 s[38:39], -1
                                        ; implicit-def: $vgpr3
.LBB118_958:
	s_mov_b64 s[40:41], 0
.LBB118_959:
	s_and_b64 vcc, exec, s[40:41]
	s_cbranch_vccz .LBB118_963
; %bb.960:
	s_cmp_eq_u32 s43, 11
	s_cbranch_scc0 .LBB118_962
; %bb.961:
	global_load_ubyte v3, v[1:2], off
	s_mov_b64 s[0:1], -1
	s_mov_b64 s[38:39], 0
	s_waitcnt vmcnt(0)
	v_cmp_ne_u16_e32 vcc, 0, v3
	v_cndmask_b32_e64 v3, 0, 1, vcc
	s_branch .LBB118_963
.LBB118_962:
	s_mov_b64 s[38:39], -1
                                        ; implicit-def: $vgpr3
.LBB118_963:
	s_mov_b64 s[40:41], 0
.LBB118_964:
	s_and_b64 vcc, exec, s[40:41]
	s_cbranch_vccz .LBB118_1013
; %bb.965:
	s_and_b32 s40, 0xffff, s42
	s_cmp_lt_i32 s40, 5
	s_cbranch_scc1 .LBB118_970
; %bb.966:
	s_cmp_lt_i32 s40, 8
	s_cbranch_scc1 .LBB118_971
; %bb.967:
	;; [unrolled: 3-line block ×3, first 2 shown]
	s_cmp_gt_i32 s40, 9
	s_cbranch_scc0 .LBB118_973
; %bb.969:
	global_load_dwordx2 v[3:4], v[1:2], off
	s_mov_b64 s[0:1], 0
	s_waitcnt vmcnt(0)
	v_cvt_i32_f64_e32 v3, v[3:4]
	s_branch .LBB118_974
.LBB118_970:
	s_mov_b64 s[0:1], -1
                                        ; implicit-def: $vgpr3
	s_branch .LBB118_992
.LBB118_971:
	s_mov_b64 s[0:1], -1
                                        ; implicit-def: $vgpr3
	s_branch .LBB118_980
.LBB118_972:
	s_mov_b64 s[0:1], -1
                                        ; implicit-def: $vgpr3
	s_branch .LBB118_977
.LBB118_973:
	s_mov_b64 s[0:1], -1
                                        ; implicit-def: $vgpr3
.LBB118_974:
	s_andn2_b64 vcc, exec, s[0:1]
	s_cbranch_vccnz .LBB118_976
; %bb.975:
	global_load_dword v3, v[1:2], off
	s_waitcnt vmcnt(0)
	v_cvt_i32_f32_e32 v3, v3
.LBB118_976:
	s_mov_b64 s[0:1], 0
.LBB118_977:
	s_andn2_b64 vcc, exec, s[0:1]
	s_cbranch_vccnz .LBB118_979
; %bb.978:
	global_load_dword v3, v[1:2], off
	s_waitcnt vmcnt(0)
	v_cvt_i16_f16_e32 v3, v3
.LBB118_979:
	s_mov_b64 s[0:1], 0
.LBB118_980:
	s_andn2_b64 vcc, exec, s[0:1]
	s_cbranch_vccnz .LBB118_991
; %bb.981:
	s_cmp_lt_i32 s40, 6
	s_cbranch_scc1 .LBB118_984
; %bb.982:
	s_cmp_gt_i32 s40, 6
	s_cbranch_scc0 .LBB118_985
; %bb.983:
	global_load_dwordx2 v[3:4], v[1:2], off
	s_mov_b64 s[0:1], 0
	s_waitcnt vmcnt(0)
	v_cvt_i32_f64_e32 v3, v[3:4]
	s_branch .LBB118_986
.LBB118_984:
	s_mov_b64 s[0:1], -1
                                        ; implicit-def: $vgpr3
	s_branch .LBB118_989
.LBB118_985:
	s_mov_b64 s[0:1], -1
                                        ; implicit-def: $vgpr3
.LBB118_986:
	s_andn2_b64 vcc, exec, s[0:1]
	s_cbranch_vccnz .LBB118_988
; %bb.987:
	global_load_dword v3, v[1:2], off
	s_waitcnt vmcnt(0)
	v_cvt_i32_f32_e32 v3, v3
.LBB118_988:
	s_mov_b64 s[0:1], 0
.LBB118_989:
	s_andn2_b64 vcc, exec, s[0:1]
	s_cbranch_vccnz .LBB118_991
; %bb.990:
	global_load_ushort v3, v[1:2], off
	s_waitcnt vmcnt(0)
	v_cvt_i16_f16_e32 v3, v3
.LBB118_991:
	s_mov_b64 s[0:1], 0
.LBB118_992:
	s_andn2_b64 vcc, exec, s[0:1]
	s_cbranch_vccnz .LBB118_1012
; %bb.993:
	s_cmp_lt_i32 s40, 2
	s_cbranch_scc1 .LBB118_997
; %bb.994:
	s_cmp_lt_i32 s40, 3
	s_cbranch_scc1 .LBB118_998
; %bb.995:
	s_cmp_gt_i32 s40, 3
	s_cbranch_scc0 .LBB118_999
; %bb.996:
	global_load_dwordx2 v[3:4], v[1:2], off
	s_mov_b64 s[0:1], 0
	s_branch .LBB118_1000
.LBB118_997:
	s_mov_b64 s[0:1], -1
                                        ; implicit-def: $vgpr3
	s_branch .LBB118_1006
.LBB118_998:
	s_mov_b64 s[0:1], -1
                                        ; implicit-def: $vgpr3
	s_branch .LBB118_1003
.LBB118_999:
	s_mov_b64 s[0:1], -1
                                        ; implicit-def: $vgpr3
.LBB118_1000:
	s_andn2_b64 vcc, exec, s[0:1]
	s_cbranch_vccnz .LBB118_1002
; %bb.1001:
	global_load_dword v3, v[1:2], off
.LBB118_1002:
	s_mov_b64 s[0:1], 0
.LBB118_1003:
	s_andn2_b64 vcc, exec, s[0:1]
	s_cbranch_vccnz .LBB118_1005
; %bb.1004:
	global_load_ushort v3, v[1:2], off
.LBB118_1005:
	s_mov_b64 s[0:1], 0
.LBB118_1006:
	s_andn2_b64 vcc, exec, s[0:1]
	s_cbranch_vccnz .LBB118_1012
; %bb.1007:
	s_cmp_gt_i32 s40, 0
	s_cbranch_scc0 .LBB118_1009
; %bb.1008:
	global_load_sbyte v3, v[1:2], off
	s_mov_b64 s[0:1], 0
	s_branch .LBB118_1010
.LBB118_1009:
	s_mov_b64 s[0:1], -1
                                        ; implicit-def: $vgpr3
.LBB118_1010:
	s_andn2_b64 vcc, exec, s[0:1]
	s_cbranch_vccnz .LBB118_1012
; %bb.1011:
	global_load_ubyte v3, v[1:2], off
.LBB118_1012:
	s_mov_b64 s[0:1], -1
.LBB118_1013:
	s_andn2_b64 vcc, exec, s[0:1]
	s_cbranch_vccnz .LBB118_1021
; %bb.1014:
	v_mul_lo_u32 v1, v14, s12
	s_waitcnt vmcnt(0)
	v_lshlrev_b32_sdwa v0, v3, v0 dst_sel:DWORD dst_unused:UNUSED_PAD src0_sel:WORD_0 src1_sel:DWORD
	v_cmp_gt_u16_e32 vcc, 16, v3
	v_cndmask_b32_e32 v4, 0, v0, vcc
	v_ashrrev_i32_e32 v2, 31, v1
	v_mov_b32_e32 v3, s9
	s_and_b32 s46, s33, 0xff
	v_add_co_u32_e32 v0, vcc, s8, v1
	s_cmp_lt_i32 s46, 11
	v_addc_co_u32_e32 v1, vcc, v3, v2, vcc
	s_cbranch_scc1 .LBB118_1022
; %bb.1015:
	s_and_b32 s47, 0xffff, s46
	s_cmp_gt_i32 s47, 25
	s_cbranch_scc0 .LBB118_1023
; %bb.1016:
	s_cmp_gt_i32 s47, 28
	s_cbranch_scc0 .LBB118_1024
; %bb.1017:
	;; [unrolled: 3-line block ×4, first 2 shown]
	s_mov_b64 s[42:43], 0
	s_mov_b64 s[0:1], -1
	s_cmp_eq_u32 s47, 46
	s_mov_b64 s[40:41], 0
	s_cbranch_scc0 .LBB118_1027
; %bb.1020:
	v_cvt_f32_i32_sdwa v2, sext(v4) dst_sel:DWORD dst_unused:UNUSED_PAD src0_sel:WORD_0
	s_movk_i32 s0, 0x7fff
	s_mov_b64 s[40:41], -1
	v_bfe_u32 v3, v2, 16, 1
	v_add3_u32 v2, v2, v3, s0
	v_lshrrev_b32_e32 v2, 16, v2
	global_store_dword v[0:1], v2, off
	s_mov_b64 s[0:1], 0
	s_branch .LBB118_1027
.LBB118_1021:
	s_mov_b64 s[42:43], 0
                                        ; implicit-def: $vgpr14
	s_mov_b64 s[0:1], s[28:29]
	s_branch .LBB118_1137
.LBB118_1022:
	s_mov_b64 s[42:43], -1
	s_mov_b64 s[40:41], 0
	s_mov_b64 s[0:1], s[28:29]
	s_branch .LBB118_1096
.LBB118_1023:
	s_mov_b64 s[42:43], -1
	s_mov_b64 s[40:41], 0
	s_mov_b64 s[0:1], s[28:29]
	s_branch .LBB118_1054
.LBB118_1024:
	s_mov_b64 s[42:43], -1
	s_mov_b64 s[40:41], 0
	s_mov_b64 s[0:1], s[28:29]
	s_branch .LBB118_1037
.LBB118_1025:
	s_mov_b64 s[42:43], -1
	s_mov_b64 s[40:41], 0
	s_mov_b64 s[0:1], s[28:29]
	s_branch .LBB118_1033
.LBB118_1026:
	s_mov_b64 s[42:43], -1
	s_mov_b64 s[40:41], 0
	s_mov_b64 s[0:1], s[28:29]
.LBB118_1027:
	s_and_b64 vcc, exec, s[42:43]
	s_cbranch_vccz .LBB118_1032
; %bb.1028:
	s_cmp_eq_u32 s47, 44
	s_mov_b64 s[0:1], -1
	s_cbranch_scc0 .LBB118_1032
; %bb.1029:
	v_cvt_f32_i32_sdwa v2, sext(v4) dst_sel:DWORD dst_unused:UNUSED_PAD src0_sel:WORD_0
	s_movk_i32 s0, 0xff
	v_mov_b32_e32 v5, 0xff
	v_bfe_u32 v3, v2, 23, 8
	v_cmp_ne_u32_e32 vcc, s0, v3
	s_and_saveexec_b64 s[40:41], vcc
; %bb.1030:
	s_mov_b32 s0, 0x3fffff
	v_lshrrev_b32_e32 v5, 23, v2
	v_and_b32_e32 v6, 0x400000, v2
	v_and_or_b32 v2, v2, s0, v3
	v_cmp_ne_u32_e32 vcc, 0, v6
	v_cmp_ne_u32_e64 s[0:1], 0, v2
	s_and_b64 s[0:1], vcc, s[0:1]
	v_cndmask_b32_e64 v2, 0, 1, s[0:1]
	v_add_u32_e32 v5, v5, v2
; %bb.1031:
	s_or_b64 exec, exec, s[40:41]
	s_mov_b64 s[40:41], -1
	s_mov_b64 s[0:1], 0
	global_store_byte v[0:1], v5, off
.LBB118_1032:
	s_mov_b64 s[42:43], 0
.LBB118_1033:
	s_and_b64 vcc, exec, s[42:43]
	s_cbranch_vccz .LBB118_1036
; %bb.1034:
	s_cmp_eq_u32 s47, 29
	s_mov_b64 s[0:1], -1
	s_cbranch_scc0 .LBB118_1036
; %bb.1035:
	v_bfe_i32 v2, v4, 0, 16
	v_ashrrev_i32_e32 v3, 31, v2
	global_store_dwordx2 v[0:1], v[2:3], off
	s_mov_b64 s[40:41], -1
	s_mov_b64 s[0:1], 0
.LBB118_1036:
	s_mov_b64 s[42:43], 0
.LBB118_1037:
	s_and_b64 vcc, exec, s[42:43]
	s_cbranch_vccz .LBB118_1053
; %bb.1038:
	s_cmp_lt_i32 s47, 27
	s_mov_b64 s[40:41], -1
	s_cbranch_scc1 .LBB118_1044
; %bb.1039:
	s_cmp_gt_i32 s47, 27
	s_cbranch_scc0 .LBB118_1041
; %bb.1040:
	v_bfe_i32 v2, v4, 0, 16
	s_mov_b64 s[40:41], 0
	global_store_dword v[0:1], v2, off
.LBB118_1041:
	s_andn2_b64 vcc, exec, s[40:41]
	s_cbranch_vccnz .LBB118_1043
; %bb.1042:
	global_store_short v[0:1], v4, off
.LBB118_1043:
	s_mov_b64 s[40:41], 0
.LBB118_1044:
	s_andn2_b64 vcc, exec, s[40:41]
	s_cbranch_vccnz .LBB118_1052
; %bb.1045:
	v_cvt_f32_i32_sdwa v2, sext(v4) dst_sel:DWORD dst_unused:UNUSED_PAD src0_sel:WORD_0
	s_mov_b32 s40, 0x43800000
	v_mov_b32_e32 v5, 0x80
	v_and_b32_e32 v3, 0x7fffffff, v2
	v_cmp_gt_u32_e32 vcc, s40, v3
	s_and_saveexec_b64 s[40:41], vcc
	s_cbranch_execz .LBB118_1051
; %bb.1046:
	s_mov_b32 s42, 0x3bffffff
	v_cmp_lt_u32_e32 vcc, s42, v3
	s_mov_b64 s[42:43], 0
                                        ; implicit-def: $vgpr3
	s_and_saveexec_b64 s[44:45], vcc
	s_xor_b64 s[44:45], exec, s[44:45]
	s_cbranch_execz .LBB118_1153
; %bb.1047:
	v_bfe_u32 v3, v2, 20, 1
	s_mov_b32 s49, 0x487ffff
	v_add3_u32 v3, v2, v3, s49
	s_mov_b64 s[42:43], exec
	v_lshrrev_b32_e32 v3, 20, v3
	s_andn2_saveexec_b64 s[44:45], s[44:45]
	s_cbranch_execnz .LBB118_1154
.LBB118_1048:
	s_or_b64 exec, exec, s[44:45]
	v_mov_b32_e32 v5, 0
	s_and_saveexec_b64 s[44:45], s[42:43]
.LBB118_1049:
	v_lshrrev_b32_e32 v2, 24, v2
	s_movk_i32 s42, 0x80
	v_and_or_b32 v5, v2, s42, v3
.LBB118_1050:
	s_or_b64 exec, exec, s[44:45]
.LBB118_1051:
	s_or_b64 exec, exec, s[40:41]
	global_store_byte v[0:1], v5, off
.LBB118_1052:
	s_mov_b64 s[40:41], -1
.LBB118_1053:
	s_mov_b64 s[42:43], 0
.LBB118_1054:
	s_and_b64 vcc, exec, s[42:43]
	s_cbranch_vccz .LBB118_1095
; %bb.1055:
	s_cmp_gt_i32 s47, 22
	s_mov_b64 s[42:43], -1
	s_cbranch_scc0 .LBB118_1087
; %bb.1056:
	s_cmp_lt_i32 s47, 24
	s_mov_b64 s[40:41], -1
	s_cbranch_scc1 .LBB118_1076
; %bb.1057:
	s_cmp_gt_i32 s47, 24
	s_cbranch_scc0 .LBB118_1065
; %bb.1058:
	v_cvt_f32_i32_sdwa v2, sext(v4) dst_sel:DWORD dst_unused:UNUSED_PAD src0_sel:WORD_0
	s_mov_b32 s40, 0x47800000
	v_mov_b32_e32 v5, 0x80
	v_and_b32_e32 v3, 0x7fffffff, v2
	v_cmp_gt_u32_e32 vcc, s40, v3
	s_and_saveexec_b64 s[40:41], vcc
	s_cbranch_execz .LBB118_1064
; %bb.1059:
	s_mov_b32 s42, 0x37ffffff
	v_cmp_lt_u32_e32 vcc, s42, v3
	s_mov_b64 s[42:43], 0
                                        ; implicit-def: $vgpr3
	s_and_saveexec_b64 s[44:45], vcc
	s_xor_b64 s[44:45], exec, s[44:45]
	s_cbranch_execz .LBB118_2147
; %bb.1060:
	v_bfe_u32 v3, v2, 21, 1
	s_mov_b32 s49, 0x88fffff
	v_add3_u32 v3, v2, v3, s49
	s_mov_b64 s[42:43], exec
	v_lshrrev_b32_e32 v3, 21, v3
	s_andn2_saveexec_b64 s[44:45], s[44:45]
	s_cbranch_execnz .LBB118_2148
.LBB118_1061:
	s_or_b64 exec, exec, s[44:45]
	v_mov_b32_e32 v5, 0
	s_and_saveexec_b64 s[44:45], s[42:43]
.LBB118_1062:
	v_lshrrev_b32_e32 v2, 24, v2
	s_movk_i32 s42, 0x80
	v_and_or_b32 v5, v2, s42, v3
.LBB118_1063:
	s_or_b64 exec, exec, s[44:45]
.LBB118_1064:
	s_or_b64 exec, exec, s[40:41]
	s_mov_b64 s[40:41], 0
	global_store_byte v[0:1], v5, off
.LBB118_1065:
	s_and_b64 vcc, exec, s[40:41]
	s_cbranch_vccz .LBB118_1075
; %bb.1066:
	v_cvt_f32_i32_sdwa v2, sext(v4) dst_sel:DWORD dst_unused:UNUSED_PAD src0_sel:WORD_0
	s_mov_b32 s40, 0x43f00000
                                        ; implicit-def: $vgpr3
	v_and_b32_e32 v5, 0x7fffffff, v2
	v_cmp_gt_u32_e32 vcc, s40, v5
	s_and_saveexec_b64 s[40:41], vcc
	s_xor_b64 s[40:41], exec, s[40:41]
	s_cbranch_execz .LBB118_1072
; %bb.1067:
	s_mov_b32 s42, 0x3c7fffff
	v_cmp_lt_u32_e32 vcc, s42, v5
                                        ; implicit-def: $vgpr3
	s_and_saveexec_b64 s[42:43], vcc
	s_xor_b64 s[42:43], exec, s[42:43]
; %bb.1068:
	v_bfe_u32 v3, v2, 20, 1
	s_mov_b32 s44, 0x407ffff
	v_add3_u32 v3, v2, v3, s44
	v_lshrrev_b32_e32 v5, 20, v3
	v_and_b32_e32 v3, 0xff00000, v3
	s_mov_b32 s44, 0x7f00000
	v_mov_b32_e32 v6, 0x7e
	v_cmp_ne_u32_e32 vcc, s44, v3
	v_cndmask_b32_e32 v3, v6, v5, vcc
; %bb.1069:
	s_andn2_saveexec_b64 s[42:43], s[42:43]
; %bb.1070:
	s_mov_b32 s44, 0x46800000
	v_add_f32_e64 v3, |v2|, s44
; %bb.1071:
	s_or_b64 exec, exec, s[42:43]
                                        ; implicit-def: $vgpr5
.LBB118_1072:
	s_andn2_saveexec_b64 s[40:41], s[40:41]
; %bb.1073:
	s_mov_b32 s42, 0x7f800000
	v_mov_b32_e32 v3, 0x7e
	v_mov_b32_e32 v6, 0x7f
	v_cmp_lt_u32_e32 vcc, s42, v5
	v_cndmask_b32_e32 v3, v3, v6, vcc
; %bb.1074:
	s_or_b64 exec, exec, s[40:41]
	v_lshrrev_b32_e32 v2, 24, v2
	s_movk_i32 s40, 0x80
	v_and_or_b32 v2, v2, s40, v3
	global_store_byte v[0:1], v2, off
.LBB118_1075:
	s_mov_b64 s[40:41], 0
.LBB118_1076:
	s_andn2_b64 vcc, exec, s[40:41]
	s_cbranch_vccnz .LBB118_1086
; %bb.1077:
	v_cvt_f32_i32_sdwa v2, sext(v4) dst_sel:DWORD dst_unused:UNUSED_PAD src0_sel:WORD_0
	s_mov_b32 s40, 0x47800000
                                        ; implicit-def: $vgpr3
	v_and_b32_e32 v5, 0x7fffffff, v2
	v_cmp_gt_u32_e32 vcc, s40, v5
	s_and_saveexec_b64 s[40:41], vcc
	s_xor_b64 s[40:41], exec, s[40:41]
	s_cbranch_execz .LBB118_1083
; %bb.1078:
	s_mov_b32 s42, 0x387fffff
	v_cmp_lt_u32_e32 vcc, s42, v5
                                        ; implicit-def: $vgpr3
	s_and_saveexec_b64 s[42:43], vcc
	s_xor_b64 s[42:43], exec, s[42:43]
; %bb.1079:
	v_bfe_u32 v3, v2, 21, 1
	s_mov_b32 s44, 0x80fffff
	v_add3_u32 v3, v2, v3, s44
	v_lshrrev_b32_e32 v3, 21, v3
; %bb.1080:
	s_andn2_saveexec_b64 s[42:43], s[42:43]
; %bb.1081:
	s_mov_b32 s44, 0x43000000
	v_add_f32_e64 v3, |v2|, s44
; %bb.1082:
	s_or_b64 exec, exec, s[42:43]
                                        ; implicit-def: $vgpr5
.LBB118_1083:
	s_andn2_saveexec_b64 s[40:41], s[40:41]
; %bb.1084:
	s_mov_b32 s42, 0x7f800000
	v_mov_b32_e32 v3, 0x7c
	v_mov_b32_e32 v6, 0x7f
	v_cmp_lt_u32_e32 vcc, s42, v5
	v_cndmask_b32_e32 v3, v3, v6, vcc
; %bb.1085:
	s_or_b64 exec, exec, s[40:41]
	v_lshrrev_b32_e32 v2, 24, v2
	s_movk_i32 s40, 0x80
	v_and_or_b32 v2, v2, s40, v3
	global_store_byte v[0:1], v2, off
.LBB118_1086:
	s_mov_b64 s[42:43], 0
	s_mov_b64 s[40:41], -1
.LBB118_1087:
	s_andn2_b64 vcc, exec, s[42:43]
	s_cbranch_vccnz .LBB118_1095
; %bb.1088:
	s_cmp_gt_i32 s47, 14
	s_mov_b64 s[42:43], -1
	s_cbranch_scc0 .LBB118_1092
; %bb.1089:
	s_cmp_eq_u32 s47, 15
	s_mov_b64 s[0:1], -1
	s_cbranch_scc0 .LBB118_1091
; %bb.1090:
	v_cvt_f32_i32_sdwa v2, sext(v4) dst_sel:DWORD dst_unused:UNUSED_PAD src0_sel:WORD_0
	s_movk_i32 s0, 0x7fff
	s_mov_b64 s[40:41], -1
	v_bfe_u32 v3, v2, 16, 1
	v_add3_u32 v2, v2, v3, s0
	global_store_short_d16_hi v[0:1], v2, off
	s_mov_b64 s[0:1], 0
.LBB118_1091:
	s_mov_b64 s[42:43], 0
.LBB118_1092:
	s_and_b64 vcc, exec, s[42:43]
	s_cbranch_vccz .LBB118_1095
; %bb.1093:
	s_cmp_eq_u32 s47, 11
	s_mov_b64 s[0:1], -1
	s_cbranch_scc0 .LBB118_1095
; %bb.1094:
	v_cmp_ne_u16_e32 vcc, 0, v4
	v_cndmask_b32_e64 v2, 0, 1, vcc
	s_mov_b64 s[40:41], -1
	s_mov_b64 s[0:1], 0
	global_store_byte v[0:1], v2, off
.LBB118_1095:
	s_mov_b64 s[42:43], 0
.LBB118_1096:
	s_and_b64 vcc, exec, s[42:43]
	s_cbranch_vccz .LBB118_1135
; %bb.1097:
	s_and_b32 s42, 0xffff, s46
	s_cmp_lt_i32 s42, 5
	s_mov_b64 s[40:41], -1
	s_cbranch_scc1 .LBB118_1118
; %bb.1098:
	s_cmp_lt_i32 s42, 8
	s_cbranch_scc1 .LBB118_1108
; %bb.1099:
	s_cmp_lt_i32 s42, 9
	s_cbranch_scc1 .LBB118_1105
; %bb.1100:
	s_cmp_gt_i32 s42, 9
	s_cbranch_scc0 .LBB118_1102
; %bb.1101:
	v_bfe_i32 v2, v4, 0, 16
	v_cvt_f64_i32_e32 v[5:6], v2
	v_mov_b32_e32 v7, 0
	v_mov_b32_e32 v8, v7
	s_mov_b64 s[40:41], 0
	global_store_dwordx4 v[0:1], v[5:8], off
.LBB118_1102:
	s_andn2_b64 vcc, exec, s[40:41]
	s_cbranch_vccnz .LBB118_1104
; %bb.1103:
	v_cvt_f32_i32_sdwa v2, sext(v4) dst_sel:DWORD dst_unused:UNUSED_PAD src0_sel:WORD_0
	v_mov_b32_e32 v3, 0
	global_store_dwordx2 v[0:1], v[2:3], off
.LBB118_1104:
	s_mov_b64 s[40:41], 0
.LBB118_1105:
	s_andn2_b64 vcc, exec, s[40:41]
	s_cbranch_vccnz .LBB118_1107
; %bb.1106:
	v_cvt_f16_i16_e32 v2, v4
	global_store_dword v[0:1], v2, off
.LBB118_1107:
	s_mov_b64 s[40:41], 0
.LBB118_1108:
	s_andn2_b64 vcc, exec, s[40:41]
	s_cbranch_vccnz .LBB118_1117
; %bb.1109:
	s_cmp_lt_i32 s42, 6
	s_mov_b64 s[40:41], -1
	s_cbranch_scc1 .LBB118_1115
; %bb.1110:
	s_cmp_gt_i32 s42, 6
	s_cbranch_scc0 .LBB118_1112
; %bb.1111:
	v_bfe_i32 v2, v4, 0, 16
	v_cvt_f64_i32_e32 v[2:3], v2
	s_mov_b64 s[40:41], 0
	global_store_dwordx2 v[0:1], v[2:3], off
.LBB118_1112:
	s_andn2_b64 vcc, exec, s[40:41]
	s_cbranch_vccnz .LBB118_1114
; %bb.1113:
	v_cvt_f32_i32_sdwa v2, sext(v4) dst_sel:DWORD dst_unused:UNUSED_PAD src0_sel:WORD_0
	global_store_dword v[0:1], v2, off
.LBB118_1114:
	s_mov_b64 s[40:41], 0
.LBB118_1115:
	s_andn2_b64 vcc, exec, s[40:41]
	s_cbranch_vccnz .LBB118_1117
; %bb.1116:
	v_cvt_f16_i16_e32 v2, v4
	global_store_short v[0:1], v2, off
.LBB118_1117:
	s_mov_b64 s[40:41], 0
.LBB118_1118:
	s_andn2_b64 vcc, exec, s[40:41]
	s_cbranch_vccnz .LBB118_1134
; %bb.1119:
	s_cmp_lt_i32 s42, 2
	s_mov_b64 s[40:41], -1
	s_cbranch_scc1 .LBB118_1129
; %bb.1120:
	s_cmp_lt_i32 s42, 3
	s_cbranch_scc1 .LBB118_1126
; %bb.1121:
	s_cmp_gt_i32 s42, 3
	v_bfe_i32 v2, v4, 0, 16
	s_cbranch_scc0 .LBB118_1123
; %bb.1122:
	v_ashrrev_i32_e32 v3, 31, v2
	s_mov_b64 s[40:41], 0
	global_store_dwordx2 v[0:1], v[2:3], off
.LBB118_1123:
	s_andn2_b64 vcc, exec, s[40:41]
	s_cbranch_vccnz .LBB118_1125
; %bb.1124:
	global_store_dword v[0:1], v2, off
.LBB118_1125:
	s_mov_b64 s[40:41], 0
.LBB118_1126:
	s_andn2_b64 vcc, exec, s[40:41]
	s_cbranch_vccnz .LBB118_1128
; %bb.1127:
	global_store_short v[0:1], v4, off
.LBB118_1128:
	s_mov_b64 s[40:41], 0
.LBB118_1129:
	s_andn2_b64 vcc, exec, s[40:41]
	s_cbranch_vccnz .LBB118_1134
; %bb.1130:
	s_cmp_gt_i32 s42, 0
	s_mov_b64 s[40:41], -1
	s_cbranch_scc0 .LBB118_1132
; %bb.1131:
	s_mov_b64 s[40:41], 0
	global_store_byte v[0:1], v4, off
.LBB118_1132:
	s_andn2_b64 vcc, exec, s[40:41]
	s_cbranch_vccnz .LBB118_1134
; %bb.1133:
	global_store_byte v[0:1], v4, off
.LBB118_1134:
	s_mov_b64 s[40:41], -1
.LBB118_1135:
	s_andn2_b64 vcc, exec, s[40:41]
	s_cbranch_vccnz .LBB118_1148
; %bb.1136:
	v_add_u32_e32 v14, 0x80, v14
	s_mov_b64 s[42:43], -1
.LBB118_1137:
	s_andn2_b64 s[40:41], s[28:29], exec
	s_and_b64 s[0:1], s[0:1], exec
	s_or_b64 s[40:41], s[40:41], s[0:1]
	s_andn2_b64 s[0:1], s[26:27], exec
	s_and_b64 s[38:39], s[38:39], exec
	s_or_b64 s[38:39], s[0:1], s[38:39]
	;; [unrolled: 3-line block ×3, first 2 shown]
	s_orn2_b64 s[46:47], s[42:43], exec
.LBB118_1138:
	s_or_b64 exec, exec, s[34:35]
	s_mov_b64 s[42:43], 0
	s_mov_b64 s[36:37], 0
	;; [unrolled: 1-line block ×3, first 2 shown]
                                        ; implicit-def: $sgpr55
                                        ; implicit-def: $vgpr2_vgpr3
                                        ; implicit-def: $vgpr0
	s_and_saveexec_b64 s[34:35], s[46:47]
	s_cbranch_execz .LBB118_1218
; %bb.1139:
	v_cmp_gt_i32_e32 vcc, s48, v14
	s_mov_b64 s[46:47], 0
	s_mov_b64 s[48:49], s[0:1]
	;; [unrolled: 1-line block ×4, first 2 shown]
                                        ; implicit-def: $sgpr55
                                        ; implicit-def: $vgpr2_vgpr3
                                        ; implicit-def: $vgpr0
	s_and_saveexec_b64 s[36:37], vcc
	s_cbranch_execz .LBB118_1217
; %bb.1140:
	s_waitcnt vmcnt(0)
	v_mul_lo_u32 v0, v14, s13
	v_mov_b32_e32 v1, s11
	s_and_b32 s55, s54, 0xff
	s_cmp_lt_i32 s55, 11
	v_ashrrev_i32_e32 v3, 31, v0
	v_add_co_u32_e32 v2, vcc, s10, v0
	v_addc_co_u32_e32 v3, vcc, v1, v3, vcc
	s_cbranch_scc1 .LBB118_1147
; %bb.1141:
	s_and_b32 s50, 0xffff, s55
	s_cmp_gt_i32 s50, 25
	s_cbranch_scc0 .LBB118_1149
; %bb.1142:
	s_cmp_gt_i32 s50, 28
	s_cbranch_scc0 .LBB118_1150
; %bb.1143:
	;; [unrolled: 3-line block ×4, first 2 shown]
	s_cmp_eq_u32 s50, 46
	s_mov_b64 s[48:49], 0
	s_cbranch_scc0 .LBB118_1155
; %bb.1146:
	global_load_dword v0, v[2:3], off
	s_mov_b64 s[46:47], -1
	s_waitcnt vmcnt(0)
	v_lshlrev_b32_e32 v0, 16, v0
	v_cvt_i32_f32_e32 v0, v0
	s_branch .LBB118_1157
.LBB118_1147:
	s_mov_b64 s[48:49], -1
                                        ; implicit-def: $vgpr0
	s_mov_b64 s[42:43], s[0:1]
	s_branch .LBB118_1216
.LBB118_1148:
	s_mov_b64 s[42:43], 0
	s_branch .LBB118_894
.LBB118_1149:
	s_mov_b64 s[48:49], -1
	s_mov_b64 s[42:43], s[0:1]
                                        ; implicit-def: $vgpr0
	s_branch .LBB118_1184
.LBB118_1150:
	s_mov_b64 s[48:49], -1
	s_mov_b64 s[42:43], s[0:1]
                                        ; implicit-def: $vgpr0
	s_branch .LBB118_1167
.LBB118_1151:
	s_mov_b64 s[48:49], -1
	s_mov_b64 s[42:43], s[0:1]
                                        ; implicit-def: $vgpr0
	s_branch .LBB118_1162
.LBB118_1152:
	s_mov_b64 s[48:49], -1
	s_mov_b64 s[42:43], s[0:1]
	s_branch .LBB118_1156
.LBB118_1153:
	s_andn2_saveexec_b64 s[44:45], s[44:45]
	s_cbranch_execz .LBB118_1048
.LBB118_1154:
	s_mov_b32 s49, 0x46000000
	v_add_f32_e64 v3, |v2|, s49
	v_and_b32_e32 v3, 0xff, v3
	v_cmp_ne_u32_e32 vcc, 0, v3
	s_andn2_b64 s[42:43], s[42:43], exec
	s_and_b64 s[50:51], vcc, exec
	s_or_b64 s[42:43], s[42:43], s[50:51]
	s_or_b64 exec, exec, s[44:45]
	v_mov_b32_e32 v5, 0
	s_and_saveexec_b64 s[44:45], s[42:43]
	s_cbranch_execnz .LBB118_1049
	s_branch .LBB118_1050
.LBB118_1155:
	s_mov_b64 s[42:43], -1
.LBB118_1156:
                                        ; implicit-def: $vgpr0
.LBB118_1157:
	s_and_b64 vcc, exec, s[48:49]
	s_cbranch_vccz .LBB118_1161
; %bb.1158:
	s_cmp_eq_u32 s50, 44
	s_cbranch_scc0 .LBB118_1160
; %bb.1159:
	global_load_ubyte v0, v[2:3], off
	s_mov_b64 s[42:43], 0
	s_mov_b64 s[46:47], -1
	s_waitcnt vmcnt(0)
	v_lshlrev_b32_e32 v1, 23, v0
	v_cvt_i32_f32_e32 v1, v1
	v_cmp_ne_u32_e32 vcc, 0, v0
	v_cndmask_b32_e32 v0, 0, v1, vcc
	s_branch .LBB118_1161
.LBB118_1160:
	s_mov_b64 s[42:43], -1
                                        ; implicit-def: $vgpr0
.LBB118_1161:
	s_mov_b64 s[48:49], 0
.LBB118_1162:
	s_and_b64 vcc, exec, s[48:49]
	s_cbranch_vccz .LBB118_1166
; %bb.1163:
	s_cmp_eq_u32 s50, 29
	s_cbranch_scc0 .LBB118_1165
; %bb.1164:
	global_load_dwordx2 v[0:1], v[2:3], off
	s_mov_b64 s[42:43], 0
	s_mov_b64 s[46:47], -1
	s_branch .LBB118_1166
.LBB118_1165:
	s_mov_b64 s[42:43], -1
                                        ; implicit-def: $vgpr0
.LBB118_1166:
	s_mov_b64 s[48:49], 0
.LBB118_1167:
	s_and_b64 vcc, exec, s[48:49]
	s_cbranch_vccz .LBB118_1183
; %bb.1168:
	s_cmp_lt_i32 s50, 27
	s_cbranch_scc1 .LBB118_1171
; %bb.1169:
	s_cmp_gt_i32 s50, 27
	s_cbranch_scc0 .LBB118_1172
; %bb.1170:
	global_load_dword v0, v[2:3], off
	s_mov_b64 s[46:47], 0
	s_branch .LBB118_1173
.LBB118_1171:
	s_mov_b64 s[46:47], -1
                                        ; implicit-def: $vgpr0
	s_branch .LBB118_1176
.LBB118_1172:
	s_mov_b64 s[46:47], -1
                                        ; implicit-def: $vgpr0
.LBB118_1173:
	s_andn2_b64 vcc, exec, s[46:47]
	s_cbranch_vccnz .LBB118_1175
; %bb.1174:
	global_load_ushort v0, v[2:3], off
.LBB118_1175:
	s_mov_b64 s[46:47], 0
.LBB118_1176:
	s_andn2_b64 vcc, exec, s[46:47]
	s_cbranch_vccnz .LBB118_1182
; %bb.1177:
	global_load_ubyte v1, v[2:3], off
	s_movk_i32 s46, 0x7f
	s_mov_b64 s[48:49], 0
	s_waitcnt vmcnt(0)
	v_cmp_lt_i16_e32 vcc, s46, v1
	s_and_saveexec_b64 s[46:47], vcc
	s_xor_b64 s[46:47], exec, s[46:47]
	s_cbranch_execz .LBB118_1194
; %bb.1178:
	s_movk_i32 s48, 0x80
	v_cmp_ne_u16_e32 vcc, s48, v1
	s_and_b64 s[48:49], vcc, exec
	s_andn2_saveexec_b64 s[46:47], s[46:47]
	s_cbranch_execnz .LBB118_1195
.LBB118_1179:
	s_or_b64 exec, exec, s[46:47]
	v_mov_b32_e32 v0, 0
	s_and_saveexec_b64 s[46:47], s[48:49]
	s_cbranch_execz .LBB118_1181
.LBB118_1180:
	v_lshlrev_b32_e32 v0, 24, v1
	v_and_b32_e32 v1, 0xffff, v1
	v_and_b32_e32 v4, 7, v1
	v_ffbh_u32_e32 v6, v4
	v_min_u32_e32 v6, 32, v6
	v_subrev_u32_e32 v7, 28, v6
	v_bfe_u32 v5, v1, 3, 4
	v_lshlrev_b32_e32 v1, v7, v1
	v_sub_u32_e32 v6, 29, v6
	v_and_b32_e32 v1, 7, v1
	v_cmp_eq_u32_e32 vcc, 0, v5
	v_cndmask_b32_e32 v5, v5, v6, vcc
	v_cndmask_b32_e32 v1, v4, v1, vcc
	v_mov_b32_e32 v4, 0x3b800000
	v_lshlrev_b32_e32 v1, 20, v1
	v_and_b32_e32 v0, 0x80000000, v0
	v_lshl_add_u32 v4, v5, 23, v4
	v_or3_b32 v0, v0, v4, v1
	v_cvt_i32_f32_e32 v0, v0
.LBB118_1181:
	s_or_b64 exec, exec, s[46:47]
.LBB118_1182:
	s_mov_b64 s[46:47], -1
.LBB118_1183:
	s_mov_b64 s[48:49], 0
.LBB118_1184:
	s_and_b64 vcc, exec, s[48:49]
	s_cbranch_vccz .LBB118_1215
; %bb.1185:
	s_cmp_gt_i32 s50, 22
	s_cbranch_scc0 .LBB118_1193
; %bb.1186:
	s_cmp_lt_i32 s50, 24
	s_cbranch_scc1 .LBB118_1196
; %bb.1187:
	s_cmp_gt_i32 s50, 24
	s_cbranch_scc0 .LBB118_1197
; %bb.1188:
	global_load_ubyte v1, v[2:3], off
	s_movk_i32 s44, 0x7f
	s_mov_b64 s[46:47], 0
	s_waitcnt vmcnt(0)
	v_cmp_lt_i16_e32 vcc, s44, v1
	s_and_saveexec_b64 s[44:45], vcc
	s_xor_b64 s[44:45], exec, s[44:45]
	s_cbranch_execz .LBB118_1209
; %bb.1189:
	s_movk_i32 s46, 0x80
	v_cmp_ne_u16_e32 vcc, s46, v1
	s_and_b64 s[46:47], vcc, exec
	s_andn2_saveexec_b64 s[44:45], s[44:45]
	s_cbranch_execnz .LBB118_1210
.LBB118_1190:
	s_or_b64 exec, exec, s[44:45]
	v_mov_b32_e32 v0, 0
	s_and_saveexec_b64 s[44:45], s[46:47]
	s_cbranch_execz .LBB118_1192
.LBB118_1191:
	v_lshlrev_b32_e32 v0, 24, v1
	v_and_b32_e32 v1, 0xffff, v1
	v_and_b32_e32 v4, 3, v1
	v_ffbh_u32_e32 v6, v4
	v_min_u32_e32 v6, 32, v6
	v_subrev_u32_e32 v7, 29, v6
	v_bfe_u32 v5, v1, 2, 5
	v_lshlrev_b32_e32 v1, v7, v1
	v_sub_u32_e32 v6, 30, v6
	v_and_b32_e32 v1, 3, v1
	v_cmp_eq_u32_e32 vcc, 0, v5
	v_cndmask_b32_e32 v5, v5, v6, vcc
	v_cndmask_b32_e32 v1, v4, v1, vcc
	v_mov_b32_e32 v4, 0x37800000
	v_lshlrev_b32_e32 v1, 21, v1
	v_and_b32_e32 v0, 0x80000000, v0
	v_lshl_add_u32 v4, v5, 23, v4
	v_or3_b32 v0, v0, v4, v1
	v_cvt_i32_f32_e32 v0, v0
.LBB118_1192:
	s_or_b64 exec, exec, s[44:45]
	s_mov_b64 s[44:45], 0
	s_branch .LBB118_1198
.LBB118_1193:
	s_mov_b64 s[44:45], -1
                                        ; implicit-def: $vgpr0
	s_branch .LBB118_1204
.LBB118_1194:
	s_andn2_saveexec_b64 s[46:47], s[46:47]
	s_cbranch_execz .LBB118_1179
.LBB118_1195:
	v_cmp_ne_u16_e32 vcc, 0, v1
	s_andn2_b64 s[48:49], s[48:49], exec
	s_and_b64 s[52:53], vcc, exec
	s_or_b64 s[48:49], s[48:49], s[52:53]
	s_or_b64 exec, exec, s[46:47]
	v_mov_b32_e32 v0, 0
	s_and_saveexec_b64 s[46:47], s[48:49]
	s_cbranch_execnz .LBB118_1180
	s_branch .LBB118_1181
.LBB118_1196:
	s_mov_b64 s[44:45], -1
                                        ; implicit-def: $vgpr0
	s_branch .LBB118_1201
.LBB118_1197:
	s_mov_b64 s[44:45], -1
                                        ; implicit-def: $vgpr0
.LBB118_1198:
	s_and_b64 vcc, exec, s[44:45]
	s_cbranch_vccz .LBB118_1200
; %bb.1199:
	global_load_ubyte v0, v[2:3], off
	s_mov_b32 s44, 0x7f800000
	s_waitcnt vmcnt(0)
	v_lshlrev_b32_e32 v0, 24, v0
	v_and_b32_e32 v1, 0x7f000000, v0
	v_ffbh_u32_e32 v4, v1
	v_min_u32_e32 v4, 32, v4
	v_sub_u32_e64 v4, v4, 4 clamp
	v_lshlrev_b32_e32 v6, v4, v1
	v_lshlrev_b32_e32 v4, 23, v4
	v_lshrrev_b32_e32 v6, 4, v6
	v_add_u32_e32 v5, 0x1000000, v1
	v_sub_u32_e32 v4, v6, v4
	v_ashrrev_i32_e32 v5, 8, v5
	v_add_u32_e32 v4, 0x3c000000, v4
	v_and_or_b32 v4, v5, s44, v4
	v_cmp_ne_u32_e32 vcc, 0, v1
	v_cndmask_b32_e32 v1, 0, v4, vcc
	s_brev_b32 s44, 1
	v_and_or_b32 v0, v0, s44, v1
	v_cvt_i32_f32_e32 v0, v0
.LBB118_1200:
	s_mov_b64 s[44:45], 0
.LBB118_1201:
	s_andn2_b64 vcc, exec, s[44:45]
	s_cbranch_vccnz .LBB118_1203
; %bb.1202:
	global_load_ubyte v0, v[2:3], off
	s_movk_i32 s44, 0x7f00
	s_brev_b32 s45, 16
	s_waitcnt vmcnt(0)
	v_lshlrev_b16_e32 v1, 8, v0
	v_lshlrev_b32_e32 v0, 25, v0
	v_lshrrev_b32_e32 v4, 4, v0
	v_and_or_b32 v5, v1, s44, 0.5
	v_or_b32_e32 v4, 0x70000000, v4
	v_add_f32_e32 v5, -0.5, v5
	v_mul_f32_e32 v4, 0x7800000, v4
	v_cmp_gt_u32_e32 vcc, s45, v0
	v_bfe_i32 v1, v1, 0, 16
	v_cndmask_b32_e32 v0, v4, v5, vcc
	s_brev_b32 s44, 1
	v_and_or_b32 v0, v1, s44, v0
	v_cvt_i32_f32_e32 v0, v0
.LBB118_1203:
	s_mov_b64 s[44:45], 0
	s_mov_b64 s[46:47], -1
.LBB118_1204:
	s_andn2_b64 vcc, exec, s[44:45]
	s_mov_b64 s[44:45], 0
	s_cbranch_vccnz .LBB118_1215
; %bb.1205:
	s_cmp_gt_i32 s50, 14
	s_cbranch_scc0 .LBB118_1208
; %bb.1206:
	s_cmp_eq_u32 s50, 15
	s_cbranch_scc0 .LBB118_1211
; %bb.1207:
	global_load_ushort v0, v[2:3], off
	s_mov_b64 s[42:43], 0
	s_mov_b64 s[46:47], -1
	s_waitcnt vmcnt(0)
	v_lshlrev_b32_e32 v0, 16, v0
	v_cvt_i32_f32_e32 v0, v0
	s_branch .LBB118_1212
.LBB118_1208:
	s_mov_b64 s[48:49], -1
                                        ; implicit-def: $vgpr0
	s_branch .LBB118_1213
.LBB118_1209:
	s_andn2_saveexec_b64 s[44:45], s[44:45]
	s_cbranch_execz .LBB118_1190
.LBB118_1210:
	v_cmp_ne_u16_e32 vcc, 0, v1
	s_andn2_b64 s[46:47], s[46:47], exec
	s_and_b64 s[48:49], vcc, exec
	s_or_b64 s[46:47], s[46:47], s[48:49]
	s_or_b64 exec, exec, s[44:45]
	v_mov_b32_e32 v0, 0
	s_and_saveexec_b64 s[44:45], s[46:47]
	s_cbranch_execnz .LBB118_1191
	s_branch .LBB118_1192
.LBB118_1211:
	s_mov_b64 s[42:43], -1
                                        ; implicit-def: $vgpr0
.LBB118_1212:
	s_mov_b64 s[48:49], 0
.LBB118_1213:
	s_and_b64 vcc, exec, s[48:49]
	s_cbranch_vccz .LBB118_1215
; %bb.1214:
	s_cmp_lg_u32 s50, 11
	s_cselect_b64 s[48:49], -1, 0
	s_andn2_b64 s[42:43], s[42:43], exec
	s_and_b64 s[48:49], s[48:49], exec
	s_mov_b64 s[44:45], -1
	s_or_b64 s[42:43], s[42:43], s[48:49]
.LBB118_1215:
	s_mov_b64 s[48:49], 0
.LBB118_1216:
	s_and_b64 s[52:53], s[46:47], exec
	s_and_b64 s[46:47], s[44:45], exec
	s_andn2_b64 s[44:45], s[0:1], exec
	s_and_b64 s[42:43], s[42:43], exec
	s_and_b64 s[50:51], s[48:49], exec
	s_or_b64 s[48:49], s[44:45], s[42:43]
.LBB118_1217:
	s_or_b64 exec, exec, s[36:37]
	s_and_b64 s[42:43], s[46:47], exec
	s_andn2_b64 s[0:1], s[0:1], exec
	s_and_b64 s[46:47], s[48:49], exec
	s_and_b64 s[44:45], s[52:53], exec
	;; [unrolled: 1-line block ×3, first 2 shown]
	s_or_b64 s[0:1], s[0:1], s[46:47]
.LBB118_1218:
	s_or_b64 exec, exec, s[34:35]
	s_andn2_b64 s[28:29], s[28:29], exec
	s_and_b64 s[34:35], s[40:41], exec
	s_or_b64 s[28:29], s[28:29], s[34:35]
	s_andn2_b64 s[26:27], s[26:27], exec
	s_and_b64 s[34:35], s[38:39], exec
	s_andn2_b64 s[24:25], s[24:25], exec
	s_and_b64 s[0:1], s[0:1], exec
	s_or_b64 s[26:27], s[26:27], s[34:35]
	s_and_b64 s[38:39], s[44:45], exec
	s_and_b64 s[36:37], s[36:37], exec
	;; [unrolled: 1-line block ×3, first 2 shown]
	s_or_b64 s[24:25], s[24:25], s[0:1]
.LBB118_1219:
	s_or_b64 exec, exec, s[30:31]
	s_andn2_b64 s[0:1], s[6:7], exec
	s_and_b64 s[6:7], s[28:29], exec
	s_or_b64 s[6:7], s[0:1], s[6:7]
	s_andn2_b64 s[0:1], s[18:19], exec
	s_and_b64 s[18:19], s[26:27], exec
	s_or_b64 s[18:19], s[0:1], s[18:19]
	s_andn2_b64 s[0:1], s[20:21], exec
	s_and_b64 s[20:21], s[24:25], exec
	s_and_b64 s[28:29], s[38:39], exec
	;; [unrolled: 1-line block ×4, first 2 shown]
	s_or_b64 s[20:21], s[0:1], s[20:21]
	s_or_b64 exec, exec, s[22:23]
	s_mov_b64 s[22:23], 0
	s_and_saveexec_b64 s[0:1], s[20:21]
	s_cbranch_execz .LBB118_385
.LBB118_1220:
	s_mov_b64 s[22:23], exec
	s_andn2_b64 s[26:27], s[26:27], exec
	s_trap 2
	s_or_b64 exec, exec, s[0:1]
	s_and_saveexec_b64 s[0:1], s[26:27]
	s_xor_b64 s[0:1], exec, s[0:1]
	s_cbranch_execnz .LBB118_386
.LBB118_1221:
	s_or_b64 exec, exec, s[0:1]
	s_and_saveexec_b64 s[0:1], s[30:31]
	s_cbranch_execz .LBB118_1267
.LBB118_1222:
	s_sext_i32_i16 s20, s55
	s_cmp_lt_i32 s20, 5
	s_cbranch_scc1 .LBB118_1227
; %bb.1223:
	s_cmp_lt_i32 s20, 8
	s_cbranch_scc1 .LBB118_1228
; %bb.1224:
	;; [unrolled: 3-line block ×3, first 2 shown]
	s_cmp_gt_i32 s20, 9
	s_cbranch_scc0 .LBB118_1230
; %bb.1226:
	s_waitcnt vmcnt(0)
	global_load_dwordx2 v[0:1], v[2:3], off
	s_mov_b64 s[20:21], 0
	s_waitcnt vmcnt(0)
	v_cvt_i32_f64_e32 v0, v[0:1]
	s_branch .LBB118_1231
.LBB118_1227:
                                        ; implicit-def: $vgpr0
	s_branch .LBB118_1248
.LBB118_1228:
                                        ; implicit-def: $vgpr0
	s_branch .LBB118_1237
.LBB118_1229:
	s_mov_b64 s[20:21], -1
                                        ; implicit-def: $vgpr0
	s_branch .LBB118_1234
.LBB118_1230:
	s_mov_b64 s[20:21], -1
                                        ; implicit-def: $vgpr0
.LBB118_1231:
	s_andn2_b64 vcc, exec, s[20:21]
	s_cbranch_vccnz .LBB118_1233
; %bb.1232:
	s_waitcnt vmcnt(0)
	global_load_dword v0, v[2:3], off
	s_waitcnt vmcnt(0)
	v_cvt_i32_f32_e32 v0, v0
.LBB118_1233:
	s_mov_b64 s[20:21], 0
.LBB118_1234:
	s_andn2_b64 vcc, exec, s[20:21]
	s_cbranch_vccnz .LBB118_1236
; %bb.1235:
	s_waitcnt vmcnt(0)
	global_load_dword v0, v[2:3], off
	s_waitcnt vmcnt(0)
	v_cvt_i16_f16_e32 v0, v0
.LBB118_1236:
	s_cbranch_execnz .LBB118_1247
.LBB118_1237:
	s_sext_i32_i16 s20, s55
	s_cmp_lt_i32 s20, 6
	s_cbranch_scc1 .LBB118_1240
; %bb.1238:
	s_cmp_gt_i32 s20, 6
	s_cbranch_scc0 .LBB118_1241
; %bb.1239:
	s_waitcnt vmcnt(0)
	global_load_dwordx2 v[0:1], v[2:3], off
	s_mov_b64 s[20:21], 0
	s_waitcnt vmcnt(0)
	v_cvt_i32_f64_e32 v0, v[0:1]
	s_branch .LBB118_1242
.LBB118_1240:
	s_mov_b64 s[20:21], -1
                                        ; implicit-def: $vgpr0
	s_branch .LBB118_1245
.LBB118_1241:
	s_mov_b64 s[20:21], -1
                                        ; implicit-def: $vgpr0
.LBB118_1242:
	s_andn2_b64 vcc, exec, s[20:21]
	s_cbranch_vccnz .LBB118_1244
; %bb.1243:
	s_waitcnt vmcnt(0)
	global_load_dword v0, v[2:3], off
	s_waitcnt vmcnt(0)
	v_cvt_i32_f32_e32 v0, v0
.LBB118_1244:
	s_mov_b64 s[20:21], 0
.LBB118_1245:
	s_andn2_b64 vcc, exec, s[20:21]
	s_cbranch_vccnz .LBB118_1247
; %bb.1246:
	s_waitcnt vmcnt(0)
	global_load_ushort v0, v[2:3], off
	s_waitcnt vmcnt(0)
	v_cvt_i16_f16_e32 v0, v0
.LBB118_1247:
	s_cbranch_execnz .LBB118_1266
.LBB118_1248:
	s_sext_i32_i16 s20, s55
	s_cmp_lt_i32 s20, 2
	s_cbranch_scc1 .LBB118_1252
; %bb.1249:
	s_cmp_lt_i32 s20, 3
	s_cbranch_scc1 .LBB118_1253
; %bb.1250:
	s_cmp_gt_i32 s20, 3
	s_cbranch_scc0 .LBB118_1254
; %bb.1251:
	s_waitcnt vmcnt(0)
	global_load_dwordx2 v[0:1], v[2:3], off
	s_mov_b64 s[20:21], 0
	s_branch .LBB118_1255
.LBB118_1252:
                                        ; implicit-def: $vgpr0
	s_branch .LBB118_1261
.LBB118_1253:
	s_mov_b64 s[20:21], -1
                                        ; implicit-def: $vgpr0
	s_branch .LBB118_1258
.LBB118_1254:
	s_mov_b64 s[20:21], -1
                                        ; implicit-def: $vgpr0
.LBB118_1255:
	s_andn2_b64 vcc, exec, s[20:21]
	s_cbranch_vccnz .LBB118_1257
; %bb.1256:
	s_waitcnt vmcnt(0)
	global_load_dword v0, v[2:3], off
.LBB118_1257:
	s_mov_b64 s[20:21], 0
.LBB118_1258:
	s_andn2_b64 vcc, exec, s[20:21]
	s_cbranch_vccnz .LBB118_1260
; %bb.1259:
	s_waitcnt vmcnt(0)
	global_load_ushort v0, v[2:3], off
.LBB118_1260:
	s_cbranch_execnz .LBB118_1266
.LBB118_1261:
	s_sext_i32_i16 s20, s55
	s_cmp_gt_i32 s20, 0
	s_cbranch_scc0 .LBB118_1263
; %bb.1262:
	s_waitcnt vmcnt(0)
	global_load_sbyte v0, v[2:3], off
	s_mov_b64 s[20:21], 0
	s_branch .LBB118_1264
.LBB118_1263:
	s_mov_b64 s[20:21], -1
                                        ; implicit-def: $vgpr0
.LBB118_1264:
	s_andn2_b64 vcc, exec, s[20:21]
	s_cbranch_vccnz .LBB118_1266
; %bb.1265:
	s_waitcnt vmcnt(0)
	global_load_ubyte v0, v[2:3], off
.LBB118_1266:
	s_or_b64 s[28:29], s[28:29], exec
.LBB118_1267:
	s_or_b64 exec, exec, s[0:1]
	s_mov_b64 s[26:27], 0
	s_mov_b64 s[30:31], 0
	;; [unrolled: 1-line block ×3, first 2 shown]
                                        ; implicit-def: $sgpr34
                                        ; implicit-def: $vgpr1_vgpr2
                                        ; implicit-def: $vgpr3
	s_and_saveexec_b64 s[0:1], s[28:29]
	s_cbranch_execz .LBB118_1275
; %bb.1268:
	s_waitcnt vmcnt(0)
	v_mul_lo_u32 v1, v14, s14
	v_mov_b32_e32 v2, s3
	s_and_b32 s34, s15, 0xff
	s_cmp_lt_i32 s34, 11
	v_ashrrev_i32_e32 v3, 31, v1
	v_add_co_u32_e32 v1, vcc, s2, v1
	v_addc_co_u32_e32 v2, vcc, v2, v3, vcc
	s_cbranch_scc1 .LBB118_1278
; %bb.1269:
	s_and_b32 s30, 0xffff, s34
	s_cmp_gt_i32 s30, 25
	s_cbranch_scc0 .LBB118_1279
; %bb.1270:
	s_cmp_gt_i32 s30, 28
	s_cbranch_scc0 .LBB118_1280
; %bb.1271:
	;; [unrolled: 3-line block ×4, first 2 shown]
	s_cmp_eq_u32 s30, 46
	s_mov_b64 s[28:29], 0
	s_cbranch_scc0 .LBB118_1283
; %bb.1274:
	global_load_dword v3, v[1:2], off
	s_mov_b64 s[20:21], 0
	s_mov_b64 s[24:25], -1
	s_waitcnt vmcnt(0)
	v_lshlrev_b32_e32 v3, 16, v3
	v_cvt_i32_f32_e32 v3, v3
	s_branch .LBB118_1285
.LBB118_1275:
	s_or_b64 exec, exec, s[0:1]
	s_and_saveexec_b64 s[0:1], s[18:19]
	s_cbranch_execnz .LBB118_1344
.LBB118_1276:
	s_or_b64 exec, exec, s[0:1]
	s_and_saveexec_b64 s[0:1], s[26:27]
	s_xor_b64 s[0:1], exec, s[0:1]
	s_cbranch_execz .LBB118_1345
.LBB118_1277:
	s_waitcnt vmcnt(0)
	global_load_ubyte v3, v[1:2], off
	s_or_b64 s[24:25], s[24:25], exec
	s_waitcnt vmcnt(0)
	v_cmp_ne_u16_e32 vcc, 0, v3
	v_cndmask_b32_e64 v3, 0, 1, vcc
	s_or_b64 exec, exec, s[0:1]
	s_and_saveexec_b64 s[0:1], s[30:31]
	s_cbranch_execz .LBB118_1391
	s_branch .LBB118_1346
.LBB118_1278:
	s_mov_b64 s[28:29], -1
                                        ; implicit-def: $vgpr3
	s_mov_b64 s[20:21], s[18:19]
	s_branch .LBB118_1343
.LBB118_1279:
	s_mov_b64 s[20:21], s[18:19]
                                        ; implicit-def: $vgpr3
	s_cbranch_execnz .LBB118_1312
	s_branch .LBB118_1342
.LBB118_1280:
	s_mov_b64 s[28:29], -1
	s_mov_b64 s[20:21], s[18:19]
                                        ; implicit-def: $vgpr3
	s_branch .LBB118_1295
.LBB118_1281:
	s_mov_b64 s[28:29], -1
	s_mov_b64 s[20:21], s[18:19]
                                        ; implicit-def: $vgpr3
	s_branch .LBB118_1290
.LBB118_1282:
	s_mov_b64 s[28:29], -1
	s_mov_b64 s[20:21], s[18:19]
	s_branch .LBB118_1284
.LBB118_1283:
	s_mov_b64 s[20:21], -1
.LBB118_1284:
                                        ; implicit-def: $vgpr3
.LBB118_1285:
	s_and_b64 vcc, exec, s[28:29]
	s_cbranch_vccz .LBB118_1289
; %bb.1286:
	s_cmp_eq_u32 s30, 44
	s_cbranch_scc0 .LBB118_1288
; %bb.1287:
	global_load_ubyte v3, v[1:2], off
	s_mov_b64 s[20:21], 0
	s_mov_b64 s[24:25], -1
	s_waitcnt vmcnt(0)
	v_lshlrev_b32_e32 v4, 23, v3
	v_cvt_i32_f32_e32 v4, v4
	v_cmp_ne_u32_e32 vcc, 0, v3
	v_cndmask_b32_e32 v3, 0, v4, vcc
	s_branch .LBB118_1289
.LBB118_1288:
	s_mov_b64 s[20:21], -1
                                        ; implicit-def: $vgpr3
.LBB118_1289:
	s_mov_b64 s[28:29], 0
.LBB118_1290:
	s_and_b64 vcc, exec, s[28:29]
	s_cbranch_vccz .LBB118_1294
; %bb.1291:
	s_cmp_eq_u32 s30, 29
	s_cbranch_scc0 .LBB118_1293
; %bb.1292:
	global_load_dwordx2 v[3:4], v[1:2], off
	s_mov_b64 s[20:21], 0
	s_mov_b64 s[24:25], -1
	s_branch .LBB118_1294
.LBB118_1293:
	s_mov_b64 s[20:21], -1
                                        ; implicit-def: $vgpr3
.LBB118_1294:
	s_mov_b64 s[28:29], 0
.LBB118_1295:
	s_and_b64 vcc, exec, s[28:29]
	s_cbranch_vccz .LBB118_1311
; %bb.1296:
	s_cmp_lt_i32 s30, 27
	s_cbranch_scc1 .LBB118_1299
; %bb.1297:
	s_cmp_gt_i32 s30, 27
	s_cbranch_scc0 .LBB118_1300
; %bb.1298:
	global_load_dword v3, v[1:2], off
	s_mov_b64 s[24:25], 0
	s_branch .LBB118_1301
.LBB118_1299:
	s_mov_b64 s[24:25], -1
                                        ; implicit-def: $vgpr3
	s_branch .LBB118_1304
.LBB118_1300:
	s_mov_b64 s[24:25], -1
                                        ; implicit-def: $vgpr3
.LBB118_1301:
	s_andn2_b64 vcc, exec, s[24:25]
	s_cbranch_vccnz .LBB118_1303
; %bb.1302:
	global_load_ushort v3, v[1:2], off
.LBB118_1303:
	s_mov_b64 s[24:25], 0
.LBB118_1304:
	s_andn2_b64 vcc, exec, s[24:25]
	s_cbranch_vccnz .LBB118_1310
; %bb.1305:
	global_load_ubyte v4, v[1:2], off
	s_movk_i32 s24, 0x7f
	s_mov_b64 s[28:29], 0
	s_waitcnt vmcnt(0)
	v_cmp_lt_i16_e32 vcc, s24, v4
	s_and_saveexec_b64 s[24:25], vcc
	s_xor_b64 s[24:25], exec, s[24:25]
	s_cbranch_execz .LBB118_1321
; %bb.1306:
	s_movk_i32 s28, 0x80
	v_cmp_ne_u16_e32 vcc, s28, v4
	s_and_b64 s[28:29], vcc, exec
	s_andn2_saveexec_b64 s[24:25], s[24:25]
	s_cbranch_execnz .LBB118_1322
.LBB118_1307:
	s_or_b64 exec, exec, s[24:25]
	v_mov_b32_e32 v3, 0
	s_and_saveexec_b64 s[24:25], s[28:29]
	s_cbranch_execz .LBB118_1309
.LBB118_1308:
	v_lshlrev_b32_e32 v3, 24, v4
	v_and_b32_e32 v4, 0xffff, v4
	v_and_b32_e32 v5, 7, v4
	v_ffbh_u32_e32 v7, v5
	v_min_u32_e32 v7, 32, v7
	v_subrev_u32_e32 v8, 28, v7
	v_bfe_u32 v6, v4, 3, 4
	v_lshlrev_b32_e32 v4, v8, v4
	v_sub_u32_e32 v7, 29, v7
	v_and_b32_e32 v4, 7, v4
	v_cmp_eq_u32_e32 vcc, 0, v6
	v_cndmask_b32_e32 v6, v6, v7, vcc
	v_cndmask_b32_e32 v4, v5, v4, vcc
	v_mov_b32_e32 v5, 0x3b800000
	v_lshlrev_b32_e32 v4, 20, v4
	v_and_b32_e32 v3, 0x80000000, v3
	v_lshl_add_u32 v5, v6, 23, v5
	v_or3_b32 v3, v3, v5, v4
	v_cvt_i32_f32_e32 v3, v3
.LBB118_1309:
	s_or_b64 exec, exec, s[24:25]
.LBB118_1310:
	s_mov_b64 s[24:25], -1
.LBB118_1311:
	s_branch .LBB118_1342
.LBB118_1312:
	s_cmp_gt_i32 s30, 22
	s_cbranch_scc0 .LBB118_1320
; %bb.1313:
	s_cmp_lt_i32 s30, 24
	s_cbranch_scc1 .LBB118_1323
; %bb.1314:
	s_cmp_gt_i32 s30, 24
	s_cbranch_scc0 .LBB118_1324
; %bb.1315:
	global_load_ubyte v4, v[1:2], off
	s_movk_i32 s24, 0x7f
	s_waitcnt vmcnt(0)
	v_cmp_lt_i16_e32 vcc, s24, v4
	s_and_saveexec_b64 s[24:25], vcc
	s_xor_b64 s[24:25], exec, s[24:25]
	s_cbranch_execz .LBB118_1336
; %bb.1316:
	s_movk_i32 s26, 0x80
	v_cmp_ne_u16_e32 vcc, s26, v4
	s_and_b64 s[26:27], vcc, exec
	s_andn2_saveexec_b64 s[24:25], s[24:25]
	s_cbranch_execnz .LBB118_1337
.LBB118_1317:
	s_or_b64 exec, exec, s[24:25]
	v_mov_b32_e32 v3, 0
	s_and_saveexec_b64 s[24:25], s[26:27]
	s_cbranch_execz .LBB118_1319
.LBB118_1318:
	v_lshlrev_b32_e32 v3, 24, v4
	v_and_b32_e32 v4, 0xffff, v4
	v_and_b32_e32 v5, 3, v4
	v_ffbh_u32_e32 v7, v5
	v_min_u32_e32 v7, 32, v7
	v_subrev_u32_e32 v8, 29, v7
	v_bfe_u32 v6, v4, 2, 5
	v_lshlrev_b32_e32 v4, v8, v4
	v_sub_u32_e32 v7, 30, v7
	v_and_b32_e32 v4, 3, v4
	v_cmp_eq_u32_e32 vcc, 0, v6
	v_cndmask_b32_e32 v6, v6, v7, vcc
	v_cndmask_b32_e32 v4, v5, v4, vcc
	v_mov_b32_e32 v5, 0x37800000
	v_lshlrev_b32_e32 v4, 21, v4
	v_and_b32_e32 v3, 0x80000000, v3
	v_lshl_add_u32 v5, v6, 23, v5
	v_or3_b32 v3, v3, v5, v4
	v_cvt_i32_f32_e32 v3, v3
.LBB118_1319:
	s_or_b64 exec, exec, s[24:25]
	s_mov_b64 s[24:25], 0
	s_branch .LBB118_1325
.LBB118_1320:
	s_mov_b64 s[26:27], -1
                                        ; implicit-def: $vgpr3
	s_branch .LBB118_1331
.LBB118_1321:
	s_andn2_saveexec_b64 s[24:25], s[24:25]
	s_cbranch_execz .LBB118_1307
.LBB118_1322:
	v_cmp_ne_u16_e32 vcc, 0, v4
	s_andn2_b64 s[28:29], s[28:29], exec
	s_and_b64 s[36:37], vcc, exec
	s_or_b64 s[28:29], s[28:29], s[36:37]
	s_or_b64 exec, exec, s[24:25]
	v_mov_b32_e32 v3, 0
	s_and_saveexec_b64 s[24:25], s[28:29]
	s_cbranch_execnz .LBB118_1308
	s_branch .LBB118_1309
.LBB118_1323:
	s_mov_b64 s[24:25], -1
                                        ; implicit-def: $vgpr3
	s_branch .LBB118_1328
.LBB118_1324:
	s_mov_b64 s[24:25], -1
                                        ; implicit-def: $vgpr3
.LBB118_1325:
	s_and_b64 vcc, exec, s[24:25]
	s_cbranch_vccz .LBB118_1327
; %bb.1326:
	global_load_ubyte v3, v[1:2], off
	s_mov_b32 s24, 0x7f800000
	s_waitcnt vmcnt(0)
	v_lshlrev_b32_e32 v3, 24, v3
	v_and_b32_e32 v4, 0x7f000000, v3
	v_ffbh_u32_e32 v5, v4
	v_min_u32_e32 v5, 32, v5
	v_sub_u32_e64 v5, v5, 4 clamp
	v_lshlrev_b32_e32 v7, v5, v4
	v_lshlrev_b32_e32 v5, 23, v5
	v_lshrrev_b32_e32 v7, 4, v7
	v_add_u32_e32 v6, 0x1000000, v4
	v_sub_u32_e32 v5, v7, v5
	v_ashrrev_i32_e32 v6, 8, v6
	v_add_u32_e32 v5, 0x3c000000, v5
	v_and_or_b32 v5, v6, s24, v5
	v_cmp_ne_u32_e32 vcc, 0, v4
	v_cndmask_b32_e32 v4, 0, v5, vcc
	s_brev_b32 s24, 1
	v_and_or_b32 v3, v3, s24, v4
	v_cvt_i32_f32_e32 v3, v3
.LBB118_1327:
	s_mov_b64 s[24:25], 0
.LBB118_1328:
	s_andn2_b64 vcc, exec, s[24:25]
	s_cbranch_vccnz .LBB118_1330
; %bb.1329:
	global_load_ubyte v3, v[1:2], off
	s_movk_i32 s24, 0x7f00
	s_brev_b32 s25, 16
	s_waitcnt vmcnt(0)
	v_lshlrev_b16_e32 v4, 8, v3
	v_lshlrev_b32_e32 v3, 25, v3
	v_lshrrev_b32_e32 v5, 4, v3
	v_and_or_b32 v6, v4, s24, 0.5
	v_or_b32_e32 v5, 0x70000000, v5
	v_add_f32_e32 v6, -0.5, v6
	v_mul_f32_e32 v5, 0x7800000, v5
	v_cmp_gt_u32_e32 vcc, s25, v3
	v_bfe_i32 v4, v4, 0, 16
	v_cndmask_b32_e32 v3, v5, v6, vcc
	s_brev_b32 s24, 1
	v_and_or_b32 v3, v4, s24, v3
	v_cvt_i32_f32_e32 v3, v3
.LBB118_1330:
	s_mov_b64 s[26:27], 0
	s_mov_b64 s[24:25], -1
.LBB118_1331:
	s_andn2_b64 vcc, exec, s[26:27]
	s_mov_b64 s[26:27], 0
	s_cbranch_vccnz .LBB118_1342
; %bb.1332:
	s_cmp_gt_i32 s30, 14
	s_cbranch_scc0 .LBB118_1335
; %bb.1333:
	s_cmp_eq_u32 s30, 15
	s_cbranch_scc0 .LBB118_1338
; %bb.1334:
	global_load_ushort v3, v[1:2], off
	s_mov_b64 s[20:21], 0
	s_mov_b64 s[24:25], -1
	s_waitcnt vmcnt(0)
	v_lshlrev_b32_e32 v3, 16, v3
	v_cvt_i32_f32_e32 v3, v3
	s_branch .LBB118_1339
.LBB118_1335:
	s_mov_b64 s[28:29], -1
                                        ; implicit-def: $vgpr3
	s_branch .LBB118_1340
.LBB118_1336:
	s_andn2_saveexec_b64 s[24:25], s[24:25]
	s_cbranch_execz .LBB118_1317
.LBB118_1337:
	v_cmp_ne_u16_e32 vcc, 0, v4
	s_andn2_b64 s[26:27], s[26:27], exec
	s_and_b64 s[28:29], vcc, exec
	s_or_b64 s[26:27], s[26:27], s[28:29]
	s_or_b64 exec, exec, s[24:25]
	v_mov_b32_e32 v3, 0
	s_and_saveexec_b64 s[24:25], s[26:27]
	s_cbranch_execnz .LBB118_1318
	s_branch .LBB118_1319
.LBB118_1338:
	s_mov_b64 s[20:21], -1
                                        ; implicit-def: $vgpr3
.LBB118_1339:
	s_mov_b64 s[28:29], 0
.LBB118_1340:
	s_and_b64 vcc, exec, s[28:29]
	s_cbranch_vccz .LBB118_1342
; %bb.1341:
	s_cmp_lg_u32 s30, 11
	s_cselect_b64 s[28:29], -1, 0
	s_andn2_b64 s[20:21], s[20:21], exec
	s_and_b64 s[28:29], s[28:29], exec
	s_mov_b64 s[26:27], -1
	s_or_b64 s[20:21], s[20:21], s[28:29]
.LBB118_1342:
	s_mov_b64 s[28:29], 0
.LBB118_1343:
	s_andn2_b64 s[18:19], s[18:19], exec
	s_and_b64 s[20:21], s[20:21], exec
	s_and_b64 s[24:25], s[24:25], exec
	;; [unrolled: 1-line block ×4, first 2 shown]
	s_or_b64 s[18:19], s[18:19], s[20:21]
	s_or_b64 exec, exec, s[0:1]
	s_and_saveexec_b64 s[0:1], s[18:19]
	s_cbranch_execz .LBB118_1276
.LBB118_1344:
	s_or_b64 s[22:23], s[22:23], exec
	s_andn2_b64 s[26:27], s[26:27], exec
	s_trap 2
	s_or_b64 exec, exec, s[0:1]
	s_and_saveexec_b64 s[0:1], s[26:27]
	s_xor_b64 s[0:1], exec, s[0:1]
	s_cbranch_execnz .LBB118_1277
.LBB118_1345:
	s_or_b64 exec, exec, s[0:1]
	s_and_saveexec_b64 s[0:1], s[30:31]
	s_cbranch_execz .LBB118_1391
.LBB118_1346:
	s_sext_i32_i16 s18, s34
	s_cmp_lt_i32 s18, 5
	s_cbranch_scc1 .LBB118_1351
; %bb.1347:
	s_cmp_lt_i32 s18, 8
	s_cbranch_scc1 .LBB118_1352
; %bb.1348:
	;; [unrolled: 3-line block ×3, first 2 shown]
	s_cmp_gt_i32 s18, 9
	s_cbranch_scc0 .LBB118_1354
; %bb.1350:
	s_waitcnt vmcnt(0)
	global_load_dwordx2 v[3:4], v[1:2], off
	s_mov_b64 s[18:19], 0
	s_waitcnt vmcnt(0)
	v_cvt_i32_f64_e32 v3, v[3:4]
	s_branch .LBB118_1355
.LBB118_1351:
                                        ; implicit-def: $vgpr3
	s_branch .LBB118_1372
.LBB118_1352:
                                        ; implicit-def: $vgpr3
	s_branch .LBB118_1361
.LBB118_1353:
	s_mov_b64 s[18:19], -1
                                        ; implicit-def: $vgpr3
	s_branch .LBB118_1358
.LBB118_1354:
	s_mov_b64 s[18:19], -1
                                        ; implicit-def: $vgpr3
.LBB118_1355:
	s_andn2_b64 vcc, exec, s[18:19]
	s_cbranch_vccnz .LBB118_1357
; %bb.1356:
	s_waitcnt vmcnt(0)
	global_load_dword v3, v[1:2], off
	s_waitcnt vmcnt(0)
	v_cvt_i32_f32_e32 v3, v3
.LBB118_1357:
	s_mov_b64 s[18:19], 0
.LBB118_1358:
	s_andn2_b64 vcc, exec, s[18:19]
	s_cbranch_vccnz .LBB118_1360
; %bb.1359:
	s_waitcnt vmcnt(0)
	global_load_dword v3, v[1:2], off
	s_waitcnt vmcnt(0)
	v_cvt_i16_f16_e32 v3, v3
.LBB118_1360:
	s_cbranch_execnz .LBB118_1371
.LBB118_1361:
	s_sext_i32_i16 s18, s34
	s_cmp_lt_i32 s18, 6
	s_cbranch_scc1 .LBB118_1364
; %bb.1362:
	s_cmp_gt_i32 s18, 6
	s_cbranch_scc0 .LBB118_1365
; %bb.1363:
	s_waitcnt vmcnt(0)
	global_load_dwordx2 v[3:4], v[1:2], off
	s_mov_b64 s[18:19], 0
	s_waitcnt vmcnt(0)
	v_cvt_i32_f64_e32 v3, v[3:4]
	s_branch .LBB118_1366
.LBB118_1364:
	s_mov_b64 s[18:19], -1
                                        ; implicit-def: $vgpr3
	s_branch .LBB118_1369
.LBB118_1365:
	s_mov_b64 s[18:19], -1
                                        ; implicit-def: $vgpr3
.LBB118_1366:
	s_andn2_b64 vcc, exec, s[18:19]
	s_cbranch_vccnz .LBB118_1368
; %bb.1367:
	s_waitcnt vmcnt(0)
	global_load_dword v3, v[1:2], off
	s_waitcnt vmcnt(0)
	v_cvt_i32_f32_e32 v3, v3
.LBB118_1368:
	s_mov_b64 s[18:19], 0
.LBB118_1369:
	s_andn2_b64 vcc, exec, s[18:19]
	s_cbranch_vccnz .LBB118_1371
; %bb.1370:
	s_waitcnt vmcnt(0)
	global_load_ushort v3, v[1:2], off
	s_waitcnt vmcnt(0)
	v_cvt_i16_f16_e32 v3, v3
.LBB118_1371:
	s_cbranch_execnz .LBB118_1390
.LBB118_1372:
	s_sext_i32_i16 s18, s34
	s_cmp_lt_i32 s18, 2
	s_cbranch_scc1 .LBB118_1376
; %bb.1373:
	s_cmp_lt_i32 s18, 3
	s_cbranch_scc1 .LBB118_1377
; %bb.1374:
	s_cmp_gt_i32 s18, 3
	s_cbranch_scc0 .LBB118_1378
; %bb.1375:
	s_waitcnt vmcnt(0)
	global_load_dwordx2 v[3:4], v[1:2], off
	s_mov_b64 s[18:19], 0
	s_branch .LBB118_1379
.LBB118_1376:
                                        ; implicit-def: $vgpr3
	s_branch .LBB118_1385
.LBB118_1377:
	s_mov_b64 s[18:19], -1
                                        ; implicit-def: $vgpr3
	s_branch .LBB118_1382
.LBB118_1378:
	s_mov_b64 s[18:19], -1
                                        ; implicit-def: $vgpr3
.LBB118_1379:
	s_andn2_b64 vcc, exec, s[18:19]
	s_cbranch_vccnz .LBB118_1381
; %bb.1380:
	s_waitcnt vmcnt(0)
	global_load_dword v3, v[1:2], off
.LBB118_1381:
	s_mov_b64 s[18:19], 0
.LBB118_1382:
	s_andn2_b64 vcc, exec, s[18:19]
	s_cbranch_vccnz .LBB118_1384
; %bb.1383:
	s_waitcnt vmcnt(0)
	global_load_ushort v3, v[1:2], off
.LBB118_1384:
	s_cbranch_execnz .LBB118_1390
.LBB118_1385:
	s_sext_i32_i16 s18, s34
	s_cmp_gt_i32 s18, 0
	s_cbranch_scc0 .LBB118_1387
; %bb.1386:
	s_waitcnt vmcnt(0)
	global_load_sbyte v3, v[1:2], off
	s_mov_b64 s[18:19], 0
	s_branch .LBB118_1388
.LBB118_1387:
	s_mov_b64 s[18:19], -1
                                        ; implicit-def: $vgpr3
.LBB118_1388:
	s_andn2_b64 vcc, exec, s[18:19]
	s_cbranch_vccnz .LBB118_1390
; %bb.1389:
	s_waitcnt vmcnt(0)
	global_load_ubyte v3, v[1:2], off
.LBB118_1390:
	s_or_b64 s[24:25], s[24:25], exec
.LBB118_1391:
	s_or_b64 exec, exec, s[0:1]
	s_mov_b64 s[26:27], 0
	s_mov_b64 s[20:21], 0
                                        ; implicit-def: $sgpr30
                                        ; implicit-def: $vgpr1_vgpr2
                                        ; implicit-def: $vgpr5
	s_and_saveexec_b64 s[18:19], s[24:25]
	s_cbranch_execz .LBB118_1399
; %bb.1392:
	s_waitcnt vmcnt(0)
	v_mul_lo_u32 v1, v14, s12
	v_lshlrev_b32_sdwa v0, v3, v0 dst_sel:DWORD dst_unused:UNUSED_PAD src0_sel:WORD_0 src1_sel:DWORD
	v_cmp_gt_u16_e32 vcc, 16, v3
	v_cndmask_b32_e32 v5, 0, v0, vcc
	v_ashrrev_i32_e32 v0, 31, v1
	v_mov_b32_e32 v2, s9
	s_and_b32 s30, s33, 0xff
	v_add_co_u32_e32 v1, vcc, s8, v1
	s_cmp_lt_i32 s30, 11
	v_addc_co_u32_e32 v2, vcc, v2, v0, vcc
	s_cbranch_scc1 .LBB118_1402
; %bb.1393:
	s_and_b32 s31, 0xffff, s30
	s_mov_b64 s[24:25], -1
	s_cmp_gt_i32 s31, 25
	s_mov_b64 s[0:1], s[6:7]
	s_cbranch_scc0 .LBB118_1430
; %bb.1394:
	s_mov_b64 s[20:21], -1
	s_cmp_gt_i32 s31, 28
	s_mov_b64 s[0:1], s[6:7]
	s_cbranch_scc0 .LBB118_1414
; %bb.1395:
	s_cmp_gt_i32 s31, 43
	s_mov_b64 s[0:1], s[6:7]
	s_cbranch_scc0 .LBB118_1410
; %bb.1396:
	;; [unrolled: 4-line block ×3, first 2 shown]
	s_cmp_eq_u32 s31, 46
	s_mov_b64 s[0:1], -1
	s_cbranch_scc0 .LBB118_1403
; %bb.1398:
	v_cvt_f32_i32_sdwa v0, sext(v5) dst_sel:DWORD dst_unused:UNUSED_PAD src0_sel:WORD_0
	s_movk_i32 s0, 0x7fff
	s_mov_b64 s[20:21], 0
	v_bfe_u32 v3, v0, 16, 1
	v_add3_u32 v0, v0, v3, s0
	v_lshrrev_b32_e32 v0, 16, v0
	global_store_dword v[1:2], v0, off
	s_mov_b64 s[0:1], 0
	s_branch .LBB118_1404
.LBB118_1399:
	s_or_b64 exec, exec, s[18:19]
	s_and_saveexec_b64 s[0:1], s[6:7]
	s_cbranch_execnz .LBB118_1472
.LBB118_1400:
	s_or_b64 exec, exec, s[0:1]
	s_and_saveexec_b64 s[0:1], s[26:27]
	s_xor_b64 s[0:1], exec, s[0:1]
	s_cbranch_execz .LBB118_1473
.LBB118_1401:
	v_cmp_ne_u16_e32 vcc, 0, v5
	s_waitcnt vmcnt(0)
	v_cndmask_b32_e64 v0, 0, 1, vcc
	global_store_byte v[1:2], v0, off
	s_or_b64 exec, exec, s[0:1]
	s_and_saveexec_b64 s[0:1], s[20:21]
	s_xor_b64 s[0:1], exec, s[0:1]
	s_cbranch_execz .LBB118_1511
	s_branch .LBB118_1474
.LBB118_1402:
	s_mov_b64 s[24:25], 0
	s_mov_b64 s[20:21], -1
	s_mov_b64 s[0:1], s[6:7]
	s_branch .LBB118_1471
.LBB118_1403:
	s_mov_b64 s[20:21], 0
.LBB118_1404:
	s_and_b64 vcc, exec, s[20:21]
	s_cbranch_vccz .LBB118_1409
; %bb.1405:
	s_cmp_eq_u32 s31, 44
	s_mov_b64 s[0:1], -1
	s_cbranch_scc0 .LBB118_1409
; %bb.1406:
	v_cvt_f32_i32_sdwa v0, sext(v5) dst_sel:DWORD dst_unused:UNUSED_PAD src0_sel:WORD_0
	s_movk_i32 s0, 0xff
	v_mov_b32_e32 v4, 0xff
	v_bfe_u32 v3, v0, 23, 8
	v_cmp_ne_u32_e32 vcc, s0, v3
	s_and_saveexec_b64 s[20:21], vcc
; %bb.1407:
	s_mov_b32 s0, 0x3fffff
	v_lshrrev_b32_e32 v4, 23, v0
	v_and_b32_e32 v6, 0x400000, v0
	v_and_or_b32 v0, v0, s0, v3
	v_cmp_ne_u32_e32 vcc, 0, v6
	v_cmp_ne_u32_e64 s[0:1], 0, v0
	s_and_b64 s[0:1], vcc, s[0:1]
	v_cndmask_b32_e64 v0, 0, 1, s[0:1]
	v_add_u32_e32 v4, v4, v0
; %bb.1408:
	s_or_b64 exec, exec, s[20:21]
	s_mov_b64 s[0:1], 0
	global_store_byte v[1:2], v4, off
.LBB118_1409:
	s_mov_b64 s[20:21], 0
.LBB118_1410:
	s_and_b64 vcc, exec, s[20:21]
	s_cbranch_vccz .LBB118_1413
; %bb.1411:
	s_cmp_eq_u32 s31, 29
	s_mov_b64 s[0:1], -1
	s_cbranch_scc0 .LBB118_1413
; %bb.1412:
	v_bfe_i32 v3, v5, 0, 16
	v_ashrrev_i32_e32 v4, 31, v3
	global_store_dwordx2 v[1:2], v[3:4], off
	s_mov_b64 s[0:1], 0
.LBB118_1413:
	s_mov_b64 s[20:21], 0
.LBB118_1414:
	s_and_b64 vcc, exec, s[20:21]
	s_cbranch_vccz .LBB118_1429
; %bb.1415:
	s_cmp_lt_i32 s31, 27
	s_mov_b64 s[20:21], -1
	s_cbranch_scc1 .LBB118_1421
; %bb.1416:
	s_cmp_gt_i32 s31, 27
	s_cbranch_scc0 .LBB118_1418
; %bb.1417:
	v_bfe_i32 v0, v5, 0, 16
	s_mov_b64 s[20:21], 0
	global_store_dword v[1:2], v0, off
.LBB118_1418:
	s_andn2_b64 vcc, exec, s[20:21]
	s_cbranch_vccnz .LBB118_1420
; %bb.1419:
	global_store_short v[1:2], v5, off
.LBB118_1420:
	s_mov_b64 s[20:21], 0
.LBB118_1421:
	s_andn2_b64 vcc, exec, s[20:21]
	s_cbranch_vccnz .LBB118_1429
; %bb.1422:
	v_cvt_f32_i32_sdwa v0, sext(v5) dst_sel:DWORD dst_unused:UNUSED_PAD src0_sel:WORD_0
	s_mov_b32 s20, 0x43800000
	v_mov_b32_e32 v4, 0x80
	v_and_b32_e32 v3, 0x7fffffff, v0
	v_cmp_gt_u32_e32 vcc, s20, v3
	s_and_saveexec_b64 s[20:21], vcc
	s_cbranch_execz .LBB118_1428
; %bb.1423:
	s_mov_b32 s24, 0x3bffffff
	v_cmp_lt_u32_e32 vcc, s24, v3
	s_mov_b64 s[24:25], 0
                                        ; implicit-def: $vgpr3
	s_and_saveexec_b64 s[26:27], vcc
	s_xor_b64 s[26:27], exec, s[26:27]
	s_cbranch_execz .LBB118_1526
; %bb.1424:
	v_bfe_u32 v3, v0, 20, 1
	s_mov_b32 s28, 0x487ffff
	v_add3_u32 v3, v0, v3, s28
	s_mov_b64 s[24:25], exec
	v_lshrrev_b32_e32 v3, 20, v3
	s_andn2_saveexec_b64 s[26:27], s[26:27]
	s_cbranch_execnz .LBB118_1527
.LBB118_1425:
	s_or_b64 exec, exec, s[26:27]
	v_mov_b32_e32 v4, 0
	s_and_saveexec_b64 s[26:27], s[24:25]
.LBB118_1426:
	v_lshrrev_b32_e32 v0, 24, v0
	s_movk_i32 s24, 0x80
	v_and_or_b32 v4, v0, s24, v3
.LBB118_1427:
	s_or_b64 exec, exec, s[26:27]
.LBB118_1428:
	s_or_b64 exec, exec, s[20:21]
	global_store_byte v[1:2], v4, off
.LBB118_1429:
	s_mov_b64 s[24:25], 0
.LBB118_1430:
	s_mov_b64 s[20:21], 0
	s_and_b64 vcc, exec, s[24:25]
	s_cbranch_vccz .LBB118_1470
; %bb.1431:
	s_cmp_gt_i32 s31, 22
	s_mov_b64 s[24:25], -1
	s_cbranch_scc0 .LBB118_1463
; %bb.1432:
	s_cmp_lt_i32 s31, 24
	s_cbranch_scc1 .LBB118_1452
; %bb.1433:
	s_cmp_gt_i32 s31, 24
	s_cbranch_scc0 .LBB118_1441
; %bb.1434:
	v_cvt_f32_i32_sdwa v0, sext(v5) dst_sel:DWORD dst_unused:UNUSED_PAD src0_sel:WORD_0
	s_mov_b32 s24, 0x47800000
	v_mov_b32_e32 v4, 0x80
	v_and_b32_e32 v3, 0x7fffffff, v0
	v_cmp_gt_u32_e32 vcc, s24, v3
	s_and_saveexec_b64 s[24:25], vcc
	s_cbranch_execz .LBB118_1440
; %bb.1435:
	s_mov_b32 s26, 0x37ffffff
	v_cmp_lt_u32_e32 vcc, s26, v3
	s_mov_b64 s[26:27], 0
                                        ; implicit-def: $vgpr3
	s_and_saveexec_b64 s[28:29], vcc
	s_xor_b64 s[28:29], exec, s[28:29]
	s_cbranch_execz .LBB118_1646
; %bb.1436:
	v_bfe_u32 v3, v0, 21, 1
	s_mov_b32 s34, 0x88fffff
	v_add3_u32 v3, v0, v3, s34
	s_mov_b64 s[26:27], exec
	v_lshrrev_b32_e32 v3, 21, v3
	s_andn2_saveexec_b64 s[28:29], s[28:29]
	s_cbranch_execnz .LBB118_1647
.LBB118_1437:
	s_or_b64 exec, exec, s[28:29]
	v_mov_b32_e32 v4, 0
	s_and_saveexec_b64 s[28:29], s[26:27]
.LBB118_1438:
	v_lshrrev_b32_e32 v0, 24, v0
	s_movk_i32 s26, 0x80
	v_and_or_b32 v4, v0, s26, v3
.LBB118_1439:
	s_or_b64 exec, exec, s[28:29]
.LBB118_1440:
	s_or_b64 exec, exec, s[24:25]
	s_mov_b64 s[24:25], 0
	global_store_byte v[1:2], v4, off
.LBB118_1441:
	s_and_b64 vcc, exec, s[24:25]
	s_cbranch_vccz .LBB118_1451
; %bb.1442:
	v_cvt_f32_i32_sdwa v0, sext(v5) dst_sel:DWORD dst_unused:UNUSED_PAD src0_sel:WORD_0
	s_mov_b32 s24, 0x43f00000
                                        ; implicit-def: $vgpr3
	v_and_b32_e32 v4, 0x7fffffff, v0
	v_cmp_gt_u32_e32 vcc, s24, v4
	s_and_saveexec_b64 s[24:25], vcc
	s_xor_b64 s[24:25], exec, s[24:25]
	s_cbranch_execz .LBB118_1448
; %bb.1443:
	s_mov_b32 s26, 0x3c7fffff
	v_cmp_lt_u32_e32 vcc, s26, v4
                                        ; implicit-def: $vgpr3
	s_and_saveexec_b64 s[26:27], vcc
	s_xor_b64 s[26:27], exec, s[26:27]
; %bb.1444:
	v_bfe_u32 v3, v0, 20, 1
	s_mov_b32 s28, 0x407ffff
	v_add3_u32 v3, v0, v3, s28
	v_lshrrev_b32_e32 v4, 20, v3
	v_and_b32_e32 v3, 0xff00000, v3
	s_mov_b32 s28, 0x7f00000
	v_mov_b32_e32 v6, 0x7e
	v_cmp_ne_u32_e32 vcc, s28, v3
	v_cndmask_b32_e32 v3, v6, v4, vcc
; %bb.1445:
	s_andn2_saveexec_b64 s[26:27], s[26:27]
; %bb.1446:
	s_mov_b32 s28, 0x46800000
	v_add_f32_e64 v3, |v0|, s28
; %bb.1447:
	s_or_b64 exec, exec, s[26:27]
                                        ; implicit-def: $vgpr4
.LBB118_1448:
	s_andn2_saveexec_b64 s[24:25], s[24:25]
; %bb.1449:
	s_mov_b32 s26, 0x7f800000
	v_mov_b32_e32 v3, 0x7e
	v_mov_b32_e32 v6, 0x7f
	v_cmp_lt_u32_e32 vcc, s26, v4
	v_cndmask_b32_e32 v3, v3, v6, vcc
; %bb.1450:
	s_or_b64 exec, exec, s[24:25]
	v_lshrrev_b32_e32 v0, 24, v0
	s_movk_i32 s24, 0x80
	v_and_or_b32 v0, v0, s24, v3
	global_store_byte v[1:2], v0, off
.LBB118_1451:
	s_mov_b64 s[24:25], 0
.LBB118_1452:
	s_andn2_b64 vcc, exec, s[24:25]
	s_cbranch_vccnz .LBB118_1462
; %bb.1453:
	v_cvt_f32_i32_sdwa v0, sext(v5) dst_sel:DWORD dst_unused:UNUSED_PAD src0_sel:WORD_0
	s_mov_b32 s24, 0x47800000
                                        ; implicit-def: $vgpr3
	v_and_b32_e32 v4, 0x7fffffff, v0
	v_cmp_gt_u32_e32 vcc, s24, v4
	s_and_saveexec_b64 s[24:25], vcc
	s_xor_b64 s[24:25], exec, s[24:25]
	s_cbranch_execz .LBB118_1459
; %bb.1454:
	s_mov_b32 s26, 0x387fffff
	v_cmp_lt_u32_e32 vcc, s26, v4
                                        ; implicit-def: $vgpr3
	s_and_saveexec_b64 s[26:27], vcc
	s_xor_b64 s[26:27], exec, s[26:27]
; %bb.1455:
	v_bfe_u32 v3, v0, 21, 1
	s_mov_b32 s28, 0x80fffff
	v_add3_u32 v3, v0, v3, s28
	v_lshrrev_b32_e32 v3, 21, v3
; %bb.1456:
	s_andn2_saveexec_b64 s[26:27], s[26:27]
; %bb.1457:
	s_mov_b32 s28, 0x43000000
	v_add_f32_e64 v3, |v0|, s28
; %bb.1458:
	s_or_b64 exec, exec, s[26:27]
                                        ; implicit-def: $vgpr4
.LBB118_1459:
	s_andn2_saveexec_b64 s[24:25], s[24:25]
; %bb.1460:
	s_mov_b32 s26, 0x7f800000
	v_mov_b32_e32 v3, 0x7c
	v_mov_b32_e32 v6, 0x7f
	v_cmp_lt_u32_e32 vcc, s26, v4
	v_cndmask_b32_e32 v3, v3, v6, vcc
; %bb.1461:
	s_or_b64 exec, exec, s[24:25]
	v_lshrrev_b32_e32 v0, 24, v0
	s_movk_i32 s24, 0x80
	v_and_or_b32 v0, v0, s24, v3
	global_store_byte v[1:2], v0, off
.LBB118_1462:
	s_mov_b64 s[24:25], 0
.LBB118_1463:
	s_andn2_b64 vcc, exec, s[24:25]
	s_mov_b64 s[24:25], 0
	s_cbranch_vccnz .LBB118_1471
; %bb.1464:
	s_cmp_gt_i32 s31, 14
	s_mov_b64 s[26:27], -1
	s_cbranch_scc0 .LBB118_1468
; %bb.1465:
	s_cmp_eq_u32 s31, 15
	s_mov_b64 s[0:1], -1
	s_cbranch_scc0 .LBB118_1467
; %bb.1466:
	v_cvt_f32_i32_sdwa v0, sext(v5) dst_sel:DWORD dst_unused:UNUSED_PAD src0_sel:WORD_0
	s_movk_i32 s0, 0x7fff
	v_bfe_u32 v3, v0, 16, 1
	v_add3_u32 v0, v0, v3, s0
	global_store_short_d16_hi v[1:2], v0, off
	s_mov_b64 s[0:1], 0
.LBB118_1467:
	s_mov_b64 s[26:27], 0
.LBB118_1468:
	s_and_b64 vcc, exec, s[26:27]
	s_cbranch_vccz .LBB118_1471
; %bb.1469:
	s_cmp_lg_u32 s31, 11
	s_cselect_b64 s[26:27], -1, 0
	s_andn2_b64 s[0:1], s[0:1], exec
	s_and_b64 s[26:27], s[26:27], exec
	s_mov_b64 s[24:25], -1
	s_or_b64 s[0:1], s[0:1], s[26:27]
	s_branch .LBB118_1471
.LBB118_1470:
	s_mov_b64 s[24:25], 0
.LBB118_1471:
	s_andn2_b64 s[6:7], s[6:7], exec
	s_and_b64 s[0:1], s[0:1], exec
	s_and_b64 s[20:21], s[20:21], exec
	;; [unrolled: 1-line block ×3, first 2 shown]
	s_or_b64 s[6:7], s[6:7], s[0:1]
	s_or_b64 exec, exec, s[18:19]
	s_and_saveexec_b64 s[0:1], s[6:7]
	s_cbranch_execz .LBB118_1400
.LBB118_1472:
	s_or_b64 s[22:23], s[22:23], exec
	s_andn2_b64 s[26:27], s[26:27], exec
	s_trap 2
	s_or_b64 exec, exec, s[0:1]
	s_and_saveexec_b64 s[0:1], s[26:27]
	s_xor_b64 s[0:1], exec, s[0:1]
	s_cbranch_execnz .LBB118_1401
.LBB118_1473:
	s_or_b64 exec, exec, s[0:1]
	s_and_saveexec_b64 s[0:1], s[20:21]
	s_xor_b64 s[0:1], exec, s[0:1]
	s_cbranch_execz .LBB118_1511
.LBB118_1474:
	s_sext_i32_i16 s18, s30
	s_cmp_lt_i32 s18, 5
	s_mov_b64 s[6:7], -1
	s_cbranch_scc1 .LBB118_1495
; %bb.1475:
	s_cmp_lt_i32 s18, 8
	s_cbranch_scc1 .LBB118_1485
; %bb.1476:
	s_cmp_lt_i32 s18, 9
	s_cbranch_scc1 .LBB118_1482
; %bb.1477:
	s_cmp_gt_i32 s18, 9
	s_cbranch_scc0 .LBB118_1479
; %bb.1478:
	s_waitcnt vmcnt(0)
	v_bfe_i32 v0, v5, 0, 16
	v_cvt_f64_i32_e32 v[6:7], v0
	v_mov_b32_e32 v8, 0
	v_mov_b32_e32 v9, v8
	s_mov_b64 s[6:7], 0
	global_store_dwordx4 v[1:2], v[6:9], off
.LBB118_1479:
	s_andn2_b64 vcc, exec, s[6:7]
	s_cbranch_vccnz .LBB118_1481
; %bb.1480:
	s_waitcnt vmcnt(0)
	v_cvt_f32_i32_sdwa v3, sext(v5) dst_sel:DWORD dst_unused:UNUSED_PAD src0_sel:WORD_0
	v_mov_b32_e32 v4, 0
	global_store_dwordx2 v[1:2], v[3:4], off
.LBB118_1481:
	s_mov_b64 s[6:7], 0
.LBB118_1482:
	s_andn2_b64 vcc, exec, s[6:7]
	s_cbranch_vccnz .LBB118_1484
; %bb.1483:
	s_waitcnt vmcnt(0)
	v_cvt_f16_i16_e32 v0, v5
	global_store_dword v[1:2], v0, off
.LBB118_1484:
	s_mov_b64 s[6:7], 0
.LBB118_1485:
	s_andn2_b64 vcc, exec, s[6:7]
	s_cbranch_vccnz .LBB118_1494
; %bb.1486:
	s_sext_i32_i16 s18, s30
	s_cmp_lt_i32 s18, 6
	s_mov_b64 s[6:7], -1
	s_cbranch_scc1 .LBB118_1492
; %bb.1487:
	s_cmp_gt_i32 s18, 6
	s_cbranch_scc0 .LBB118_1489
; %bb.1488:
	s_waitcnt vmcnt(0)
	v_bfe_i32 v0, v5, 0, 16
	v_cvt_f64_i32_e32 v[3:4], v0
	s_mov_b64 s[6:7], 0
	global_store_dwordx2 v[1:2], v[3:4], off
.LBB118_1489:
	s_andn2_b64 vcc, exec, s[6:7]
	s_cbranch_vccnz .LBB118_1491
; %bb.1490:
	s_waitcnt vmcnt(0)
	v_cvt_f32_i32_sdwa v0, sext(v5) dst_sel:DWORD dst_unused:UNUSED_PAD src0_sel:WORD_0
	global_store_dword v[1:2], v0, off
.LBB118_1491:
	s_mov_b64 s[6:7], 0
.LBB118_1492:
	s_andn2_b64 vcc, exec, s[6:7]
	s_cbranch_vccnz .LBB118_1494
; %bb.1493:
	s_waitcnt vmcnt(0)
	v_cvt_f16_i16_e32 v0, v5
	global_store_short v[1:2], v0, off
.LBB118_1494:
	s_mov_b64 s[6:7], 0
.LBB118_1495:
	s_andn2_b64 vcc, exec, s[6:7]
	s_cbranch_vccnz .LBB118_1511
; %bb.1496:
	s_sext_i32_i16 s18, s30
	s_cmp_lt_i32 s18, 2
	s_mov_b64 s[6:7], -1
	s_cbranch_scc1 .LBB118_1506
; %bb.1497:
	s_cmp_lt_i32 s18, 3
	s_cbranch_scc1 .LBB118_1503
; %bb.1498:
	s_cmp_gt_i32 s18, 3
	s_waitcnt vmcnt(0)
	v_bfe_i32 v3, v5, 0, 16
	s_cbranch_scc0 .LBB118_1500
; %bb.1499:
	v_ashrrev_i32_e32 v4, 31, v3
	s_mov_b64 s[6:7], 0
	global_store_dwordx2 v[1:2], v[3:4], off
.LBB118_1500:
	s_andn2_b64 vcc, exec, s[6:7]
	s_cbranch_vccnz .LBB118_1502
; %bb.1501:
	global_store_dword v[1:2], v3, off
.LBB118_1502:
	s_mov_b64 s[6:7], 0
.LBB118_1503:
	s_andn2_b64 vcc, exec, s[6:7]
	s_cbranch_vccnz .LBB118_1505
; %bb.1504:
	s_waitcnt vmcnt(0)
	global_store_short v[1:2], v5, off
.LBB118_1505:
	s_mov_b64 s[6:7], 0
.LBB118_1506:
	s_andn2_b64 vcc, exec, s[6:7]
	s_cbranch_vccnz .LBB118_1511
; %bb.1507:
	s_sext_i32_i16 s6, s30
	s_cmp_gt_i32 s6, 0
	s_mov_b64 s[6:7], -1
	s_cbranch_scc0 .LBB118_1509
; %bb.1508:
	s_mov_b64 s[6:7], 0
	s_waitcnt vmcnt(0)
	global_store_byte v[1:2], v5, off
.LBB118_1509:
	s_andn2_b64 vcc, exec, s[6:7]
	s_cbranch_vccnz .LBB118_1511
; %bb.1510:
	s_waitcnt vmcnt(0)
	global_store_byte v[1:2], v5, off
.LBB118_1511:
	s_or_b64 exec, exec, s[0:1]
	s_and_b64 s[6:7], s[22:23], exec
                                        ; implicit-def: $vgpr14
.LBB118_1512:
	s_or_saveexec_b64 s[4:5], s[4:5]
	s_mov_b64 s[0:1], 0
                                        ; implicit-def: $sgpr20
                                        ; implicit-def: $vgpr0_vgpr1
                                        ; implicit-def: $vgpr4
	s_xor_b64 exec, exec, s[4:5]
	s_cbranch_execz .LBB118_2949
; %bb.1513:
	v_mul_lo_u32 v5, s13, v14
	s_waitcnt vmcnt(0)
	v_mov_b32_e32 v0, s11
	s_and_b32 s24, s54, 0xff
	s_cmp_lt_i32 s24, 11
	v_ashrrev_i32_e32 v1, 31, v5
	v_add_co_u32_e32 v2, vcc, s10, v5
	v_addc_co_u32_e32 v3, vcc, v0, v1, vcc
	s_cbranch_scc1 .LBB118_1520
; %bb.1514:
	s_and_b32 s22, 0xffff, s24
	s_cmp_gt_i32 s22, 25
	s_cbranch_scc0 .LBB118_1522
; %bb.1515:
	s_cmp_gt_i32 s22, 28
	s_cbranch_scc0 .LBB118_1523
; %bb.1516:
	;; [unrolled: 3-line block ×4, first 2 shown]
	s_cmp_eq_u32 s22, 46
	s_mov_b64 s[18:19], 0
	s_cbranch_scc0 .LBB118_1528
; %bb.1519:
	global_load_dword v0, v[2:3], off
	s_mov_b64 s[20:21], -1
	s_waitcnt vmcnt(0)
	v_lshlrev_b32_e32 v0, 16, v0
	v_cvt_i32_f32_e32 v0, v0
	s_branch .LBB118_1529
.LBB118_1520:
	s_mov_b64 s[20:21], 0
                                        ; implicit-def: $vgpr0
	s_mov_b64 s[18:19], s[6:7]
	s_cbranch_execnz .LBB118_1587
.LBB118_1521:
	s_andn2_b64 vcc, exec, s[20:21]
	s_cbranch_vccz .LBB118_1632
	s_branch .LBB118_2947
.LBB118_1522:
	s_mov_b64 s[20:21], 0
                                        ; implicit-def: $vgpr0
	s_cbranch_execnz .LBB118_1554
	s_branch .LBB118_1583
.LBB118_1523:
	s_mov_b64 s[20:21], 0
                                        ; implicit-def: $vgpr0
	s_cbranch_execz .LBB118_1553
	s_branch .LBB118_1538
.LBB118_1524:
	s_mov_b64 s[20:21], 0
                                        ; implicit-def: $vgpr0
	s_cbranch_execnz .LBB118_1534
	s_branch .LBB118_1537
.LBB118_1525:
	s_mov_b64 s[18:19], -1
	s_mov_b64 s[20:21], 0
                                        ; implicit-def: $vgpr0
	s_branch .LBB118_1529
.LBB118_1526:
	s_andn2_saveexec_b64 s[26:27], s[26:27]
	s_cbranch_execz .LBB118_1425
.LBB118_1527:
	s_mov_b32 s28, 0x46000000
	v_add_f32_e64 v3, |v0|, s28
	v_and_b32_e32 v3, 0xff, v3
	v_cmp_ne_u32_e32 vcc, 0, v3
	s_andn2_b64 s[24:25], s[24:25], exec
	s_and_b64 s[28:29], vcc, exec
	s_or_b64 s[24:25], s[24:25], s[28:29]
	s_or_b64 exec, exec, s[26:27]
	v_mov_b32_e32 v4, 0
	s_and_saveexec_b64 s[26:27], s[24:25]
	s_cbranch_execnz .LBB118_1426
	s_branch .LBB118_1427
.LBB118_1528:
	s_mov_b64 s[0:1], -1
                                        ; implicit-def: $vgpr0
	s_mov_b64 s[20:21], 0
.LBB118_1529:
	s_and_b64 vcc, exec, s[18:19]
	s_cbranch_vccz .LBB118_1532
; %bb.1530:
	s_cmp_eq_u32 s22, 44
	s_cbranch_scc0 .LBB118_1533
; %bb.1531:
	global_load_ubyte v0, v[2:3], off
	s_mov_b64 s[0:1], 0
	s_mov_b64 s[20:21], -1
	s_waitcnt vmcnt(0)
	v_lshlrev_b32_e32 v1, 23, v0
	v_cvt_i32_f32_e32 v1, v1
	v_cmp_ne_u32_e32 vcc, 0, v0
	v_cndmask_b32_e32 v0, 0, v1, vcc
.LBB118_1532:
	s_branch .LBB118_1537
.LBB118_1533:
	s_mov_b64 s[0:1], -1
                                        ; implicit-def: $vgpr0
	s_branch .LBB118_1537
.LBB118_1534:
	s_cmp_eq_u32 s22, 29
	s_cbranch_scc0 .LBB118_1536
; %bb.1535:
	global_load_dwordx2 v[0:1], v[2:3], off
	s_mov_b64 s[0:1], 0
	s_mov_b64 s[20:21], -1
	s_branch .LBB118_1537
.LBB118_1536:
	s_mov_b64 s[0:1], -1
                                        ; implicit-def: $vgpr0
.LBB118_1537:
	s_branch .LBB118_1553
.LBB118_1538:
	s_cmp_lt_i32 s22, 27
	s_cbranch_scc1 .LBB118_1541
; %bb.1539:
	s_cmp_gt_i32 s22, 27
	s_cbranch_scc0 .LBB118_1542
; %bb.1540:
	global_load_dword v0, v[2:3], off
	s_mov_b64 s[18:19], 0
	s_branch .LBB118_1543
.LBB118_1541:
	s_mov_b64 s[18:19], -1
                                        ; implicit-def: $vgpr0
	s_branch .LBB118_1546
.LBB118_1542:
	s_mov_b64 s[18:19], -1
                                        ; implicit-def: $vgpr0
.LBB118_1543:
	s_andn2_b64 vcc, exec, s[18:19]
	s_cbranch_vccnz .LBB118_1545
; %bb.1544:
	global_load_ushort v0, v[2:3], off
.LBB118_1545:
	s_mov_b64 s[18:19], 0
.LBB118_1546:
	s_andn2_b64 vcc, exec, s[18:19]
	s_cbranch_vccnz .LBB118_1552
; %bb.1547:
	global_load_ubyte v1, v[2:3], off
	s_movk_i32 s18, 0x7f
	s_mov_b64 s[20:21], 0
	s_waitcnt vmcnt(0)
	v_cmp_lt_i16_e32 vcc, s18, v1
	s_and_saveexec_b64 s[18:19], vcc
	s_xor_b64 s[18:19], exec, s[18:19]
	s_cbranch_execz .LBB118_1563
; %bb.1548:
	s_movk_i32 s20, 0x80
	v_cmp_ne_u16_e32 vcc, s20, v1
	s_and_b64 s[20:21], vcc, exec
	s_andn2_saveexec_b64 s[18:19], s[18:19]
	s_cbranch_execnz .LBB118_1564
.LBB118_1549:
	s_or_b64 exec, exec, s[18:19]
	v_mov_b32_e32 v0, 0
	s_and_saveexec_b64 s[18:19], s[20:21]
	s_cbranch_execz .LBB118_1551
.LBB118_1550:
	v_lshlrev_b32_e32 v0, 24, v1
	v_and_b32_e32 v1, 0xffff, v1
	v_and_b32_e32 v4, 7, v1
	v_ffbh_u32_e32 v7, v4
	v_min_u32_e32 v7, 32, v7
	v_subrev_u32_e32 v8, 28, v7
	v_bfe_u32 v6, v1, 3, 4
	v_lshlrev_b32_e32 v1, v8, v1
	v_sub_u32_e32 v7, 29, v7
	v_and_b32_e32 v1, 7, v1
	v_cmp_eq_u32_e32 vcc, 0, v6
	v_cndmask_b32_e32 v6, v6, v7, vcc
	v_cndmask_b32_e32 v1, v4, v1, vcc
	v_mov_b32_e32 v4, 0x3b800000
	v_lshlrev_b32_e32 v1, 20, v1
	v_and_b32_e32 v0, 0x80000000, v0
	v_lshl_add_u32 v4, v6, 23, v4
	v_or3_b32 v0, v0, v4, v1
	v_cvt_i32_f32_e32 v0, v0
.LBB118_1551:
	s_or_b64 exec, exec, s[18:19]
.LBB118_1552:
	s_mov_b64 s[20:21], -1
.LBB118_1553:
	s_branch .LBB118_1583
.LBB118_1554:
	s_cmp_gt_i32 s22, 22
	s_cbranch_scc0 .LBB118_1562
; %bb.1555:
	s_cmp_lt_i32 s22, 24
	s_cbranch_scc1 .LBB118_1565
; %bb.1556:
	s_cmp_gt_i32 s22, 24
	s_cbranch_scc0 .LBB118_1566
; %bb.1557:
	global_load_ubyte v1, v[2:3], off
	s_movk_i32 s16, 0x7f
	s_mov_b64 s[18:19], 0
	s_waitcnt vmcnt(0)
	v_cmp_lt_i16_e32 vcc, s16, v1
	s_and_saveexec_b64 s[16:17], vcc
	s_xor_b64 s[16:17], exec, s[16:17]
	s_cbranch_execz .LBB118_1577
; %bb.1558:
	s_movk_i32 s18, 0x80
	v_cmp_ne_u16_e32 vcc, s18, v1
	s_and_b64 s[18:19], vcc, exec
	s_andn2_saveexec_b64 s[16:17], s[16:17]
	s_cbranch_execnz .LBB118_1578
.LBB118_1559:
	s_or_b64 exec, exec, s[16:17]
	v_mov_b32_e32 v0, 0
	s_and_saveexec_b64 s[16:17], s[18:19]
	s_cbranch_execz .LBB118_1561
.LBB118_1560:
	v_lshlrev_b32_e32 v0, 24, v1
	v_and_b32_e32 v1, 0xffff, v1
	v_and_b32_e32 v4, 3, v1
	v_ffbh_u32_e32 v7, v4
	v_min_u32_e32 v7, 32, v7
	v_subrev_u32_e32 v8, 29, v7
	v_bfe_u32 v6, v1, 2, 5
	v_lshlrev_b32_e32 v1, v8, v1
	v_sub_u32_e32 v7, 30, v7
	v_and_b32_e32 v1, 3, v1
	v_cmp_eq_u32_e32 vcc, 0, v6
	v_cndmask_b32_e32 v6, v6, v7, vcc
	v_cndmask_b32_e32 v1, v4, v1, vcc
	v_mov_b32_e32 v4, 0x37800000
	v_lshlrev_b32_e32 v1, 21, v1
	v_and_b32_e32 v0, 0x80000000, v0
	v_lshl_add_u32 v4, v6, 23, v4
	v_or3_b32 v0, v0, v4, v1
	v_cvt_i32_f32_e32 v0, v0
.LBB118_1561:
	s_or_b64 exec, exec, s[16:17]
	s_mov_b64 s[16:17], 0
	s_branch .LBB118_1567
.LBB118_1562:
                                        ; implicit-def: $vgpr0
	s_mov_b64 s[16:17], 0
	s_branch .LBB118_1573
.LBB118_1563:
	s_andn2_saveexec_b64 s[18:19], s[18:19]
	s_cbranch_execz .LBB118_1549
.LBB118_1564:
	v_cmp_ne_u16_e32 vcc, 0, v1
	s_andn2_b64 s[20:21], s[20:21], exec
	s_and_b64 s[26:27], vcc, exec
	s_or_b64 s[20:21], s[20:21], s[26:27]
	s_or_b64 exec, exec, s[18:19]
	v_mov_b32_e32 v0, 0
	s_and_saveexec_b64 s[18:19], s[20:21]
	s_cbranch_execnz .LBB118_1550
	s_branch .LBB118_1551
.LBB118_1565:
	s_mov_b64 s[16:17], -1
                                        ; implicit-def: $vgpr0
	s_branch .LBB118_1570
.LBB118_1566:
	s_mov_b64 s[16:17], -1
                                        ; implicit-def: $vgpr0
.LBB118_1567:
	s_and_b64 vcc, exec, s[16:17]
	s_cbranch_vccz .LBB118_1569
; %bb.1568:
	global_load_ubyte v0, v[2:3], off
	s_mov_b32 s16, 0x7f800000
	s_waitcnt vmcnt(0)
	v_lshlrev_b32_e32 v0, 24, v0
	v_and_b32_e32 v1, 0x7f000000, v0
	v_ffbh_u32_e32 v4, v1
	v_min_u32_e32 v4, 32, v4
	v_sub_u32_e64 v4, v4, 4 clamp
	v_lshlrev_b32_e32 v7, v4, v1
	v_lshlrev_b32_e32 v4, 23, v4
	v_lshrrev_b32_e32 v7, 4, v7
	v_add_u32_e32 v6, 0x1000000, v1
	v_sub_u32_e32 v4, v7, v4
	v_ashrrev_i32_e32 v6, 8, v6
	v_add_u32_e32 v4, 0x3c000000, v4
	v_and_or_b32 v4, v6, s16, v4
	v_cmp_ne_u32_e32 vcc, 0, v1
	v_cndmask_b32_e32 v1, 0, v4, vcc
	s_brev_b32 s16, 1
	v_and_or_b32 v0, v0, s16, v1
	v_cvt_i32_f32_e32 v0, v0
.LBB118_1569:
	s_mov_b64 s[16:17], 0
.LBB118_1570:
	s_andn2_b64 vcc, exec, s[16:17]
	s_cbranch_vccnz .LBB118_1572
; %bb.1571:
	global_load_ubyte v0, v[2:3], off
	s_movk_i32 s16, 0x7f00
	s_brev_b32 s17, 16
	s_waitcnt vmcnt(0)
	v_lshlrev_b16_e32 v1, 8, v0
	v_lshlrev_b32_e32 v0, 25, v0
	v_lshrrev_b32_e32 v4, 4, v0
	v_and_or_b32 v6, v1, s16, 0.5
	v_or_b32_e32 v4, 0x70000000, v4
	v_add_f32_e32 v6, -0.5, v6
	v_mul_f32_e32 v4, 0x7800000, v4
	v_cmp_gt_u32_e32 vcc, s17, v0
	v_bfe_i32 v1, v1, 0, 16
	v_cndmask_b32_e32 v0, v4, v6, vcc
	s_brev_b32 s16, 1
	v_and_or_b32 v0, v1, s16, v0
	v_cvt_i32_f32_e32 v0, v0
.LBB118_1572:
	s_mov_b64 s[20:21], -1
	s_mov_b64 s[16:17], 0
	s_cbranch_execnz .LBB118_1583
.LBB118_1573:
	s_cmp_gt_i32 s22, 14
	s_cbranch_scc0 .LBB118_1576
; %bb.1574:
	s_cmp_eq_u32 s22, 15
	s_cbranch_scc0 .LBB118_1579
; %bb.1575:
	global_load_ushort v0, v[2:3], off
	s_mov_b64 s[0:1], 0
	s_mov_b64 s[20:21], -1
	s_waitcnt vmcnt(0)
	v_lshlrev_b32_e32 v0, 16, v0
	v_cvt_i32_f32_e32 v0, v0
	s_branch .LBB118_1580
.LBB118_1576:
	s_mov_b64 s[18:19], -1
                                        ; implicit-def: $vgpr0
	s_branch .LBB118_1581
.LBB118_1577:
	s_andn2_saveexec_b64 s[16:17], s[16:17]
	s_cbranch_execz .LBB118_1559
.LBB118_1578:
	v_cmp_ne_u16_e32 vcc, 0, v1
	s_andn2_b64 s[18:19], s[18:19], exec
	s_and_b64 s[20:21], vcc, exec
	s_or_b64 s[18:19], s[18:19], s[20:21]
	s_or_b64 exec, exec, s[16:17]
	v_mov_b32_e32 v0, 0
	s_and_saveexec_b64 s[16:17], s[18:19]
	s_cbranch_execnz .LBB118_1560
	s_branch .LBB118_1561
.LBB118_1579:
	s_mov_b64 s[0:1], -1
                                        ; implicit-def: $vgpr0
.LBB118_1580:
	s_mov_b64 s[18:19], 0
.LBB118_1581:
	s_and_b64 vcc, exec, s[18:19]
	s_cbranch_vccz .LBB118_1583
; %bb.1582:
	s_cmp_lg_u32 s22, 11
	s_mov_b64 s[16:17], -1
	s_cselect_b64 s[0:1], -1, 0
.LBB118_1583:
	s_and_b64 vcc, exec, s[0:1]
	s_mov_b64 s[18:19], s[6:7]
	s_cbranch_vccnz .LBB118_1644
; %bb.1584:
	s_andn2_b64 vcc, exec, s[16:17]
	s_cbranch_vccnz .LBB118_1586
.LBB118_1585:
	global_load_ubyte v0, v[2:3], off
	s_mov_b64 s[20:21], -1
	s_waitcnt vmcnt(0)
	v_cmp_ne_u16_e32 vcc, 0, v0
	v_cndmask_b32_e64 v0, 0, 1, vcc
.LBB118_1586:
	s_branch .LBB118_1521
.LBB118_1587:
	s_and_b32 s16, 0xffff, s24
	s_cmp_lt_i32 s16, 5
	s_cbranch_scc1 .LBB118_1592
; %bb.1588:
	s_cmp_lt_i32 s16, 8
	s_cbranch_scc1 .LBB118_1593
; %bb.1589:
	;; [unrolled: 3-line block ×3, first 2 shown]
	s_cmp_gt_i32 s16, 9
	s_cbranch_scc0 .LBB118_1595
; %bb.1591:
	global_load_dwordx2 v[0:1], v[2:3], off
	s_mov_b64 s[0:1], 0
	s_waitcnt vmcnt(0)
	v_cvt_i32_f64_e32 v0, v[0:1]
	s_branch .LBB118_1596
.LBB118_1592:
                                        ; implicit-def: $vgpr0
	s_branch .LBB118_1613
.LBB118_1593:
                                        ; implicit-def: $vgpr0
	s_branch .LBB118_1602
.LBB118_1594:
	s_mov_b64 s[0:1], -1
                                        ; implicit-def: $vgpr0
	s_branch .LBB118_1599
.LBB118_1595:
	s_mov_b64 s[0:1], -1
                                        ; implicit-def: $vgpr0
.LBB118_1596:
	s_andn2_b64 vcc, exec, s[0:1]
	s_cbranch_vccnz .LBB118_1598
; %bb.1597:
	global_load_dword v0, v[2:3], off
	s_waitcnt vmcnt(0)
	v_cvt_i32_f32_e32 v0, v0
.LBB118_1598:
	s_mov_b64 s[0:1], 0
.LBB118_1599:
	s_andn2_b64 vcc, exec, s[0:1]
	s_cbranch_vccnz .LBB118_1601
; %bb.1600:
	global_load_dword v0, v[2:3], off
	s_waitcnt vmcnt(0)
	v_cvt_i16_f16_e32 v0, v0
.LBB118_1601:
	s_cbranch_execnz .LBB118_1612
.LBB118_1602:
	s_cmp_lt_i32 s16, 6
	s_cbranch_scc1 .LBB118_1605
; %bb.1603:
	s_cmp_gt_i32 s16, 6
	s_cbranch_scc0 .LBB118_1606
; %bb.1604:
	global_load_dwordx2 v[0:1], v[2:3], off
	s_mov_b64 s[0:1], 0
	s_waitcnt vmcnt(0)
	v_cvt_i32_f64_e32 v0, v[0:1]
	s_branch .LBB118_1607
.LBB118_1605:
	s_mov_b64 s[0:1], -1
                                        ; implicit-def: $vgpr0
	s_branch .LBB118_1610
.LBB118_1606:
	s_mov_b64 s[0:1], -1
                                        ; implicit-def: $vgpr0
.LBB118_1607:
	s_andn2_b64 vcc, exec, s[0:1]
	s_cbranch_vccnz .LBB118_1609
; %bb.1608:
	global_load_dword v0, v[2:3], off
	s_waitcnt vmcnt(0)
	v_cvt_i32_f32_e32 v0, v0
.LBB118_1609:
	s_mov_b64 s[0:1], 0
.LBB118_1610:
	s_andn2_b64 vcc, exec, s[0:1]
	s_cbranch_vccnz .LBB118_1612
; %bb.1611:
	global_load_ushort v0, v[2:3], off
	s_waitcnt vmcnt(0)
	v_cvt_i16_f16_e32 v0, v0
.LBB118_1612:
	s_cbranch_execnz .LBB118_1631
.LBB118_1613:
	s_cmp_lt_i32 s16, 2
	s_cbranch_scc1 .LBB118_1617
; %bb.1614:
	s_cmp_lt_i32 s16, 3
	s_cbranch_scc1 .LBB118_1618
; %bb.1615:
	s_cmp_gt_i32 s16, 3
	s_cbranch_scc0 .LBB118_1619
; %bb.1616:
	global_load_dwordx2 v[0:1], v[2:3], off
	s_mov_b64 s[0:1], 0
	s_branch .LBB118_1620
.LBB118_1617:
                                        ; implicit-def: $vgpr0
	s_branch .LBB118_1626
.LBB118_1618:
	s_mov_b64 s[0:1], -1
                                        ; implicit-def: $vgpr0
	s_branch .LBB118_1623
.LBB118_1619:
	s_mov_b64 s[0:1], -1
                                        ; implicit-def: $vgpr0
.LBB118_1620:
	s_andn2_b64 vcc, exec, s[0:1]
	s_cbranch_vccnz .LBB118_1622
; %bb.1621:
	global_load_dword v0, v[2:3], off
.LBB118_1622:
	s_mov_b64 s[0:1], 0
.LBB118_1623:
	s_andn2_b64 vcc, exec, s[0:1]
	s_cbranch_vccnz .LBB118_1625
; %bb.1624:
	global_load_ushort v0, v[2:3], off
.LBB118_1625:
	s_cbranch_execnz .LBB118_1631
.LBB118_1626:
	s_cmp_gt_i32 s16, 0
	s_cbranch_scc0 .LBB118_1628
; %bb.1627:
	global_load_sbyte v0, v[2:3], off
	s_mov_b64 s[0:1], 0
	s_branch .LBB118_1629
.LBB118_1628:
	s_mov_b64 s[0:1], -1
                                        ; implicit-def: $vgpr0
.LBB118_1629:
	s_andn2_b64 vcc, exec, s[0:1]
	s_cbranch_vccnz .LBB118_1631
; %bb.1630:
	global_load_ubyte v0, v[2:3], off
.LBB118_1631:
.LBB118_1632:
	v_mul_lo_u32 v6, s14, v14
	v_mov_b32_e32 v2, s3
	s_and_b32 s25, s15, 0xff
	s_cmp_lt_i32 s25, 11
	v_ashrrev_i32_e32 v3, 31, v6
	s_waitcnt vmcnt(0)
	v_add_co_u32_e32 v1, vcc, s2, v6
	v_addc_co_u32_e32 v2, vcc, v2, v3, vcc
	s_cbranch_scc1 .LBB118_1639
; %bb.1633:
	s_and_b32 s15, 0xffff, s25
	s_cmp_gt_i32 s15, 25
	s_mov_b64 s[16:17], 0
	s_cbranch_scc0 .LBB118_1641
; %bb.1634:
	s_cmp_gt_i32 s15, 28
	s_cbranch_scc0 .LBB118_1642
; %bb.1635:
	s_cmp_gt_i32 s15, 43
	;; [unrolled: 3-line block ×3, first 2 shown]
	s_cbranch_scc0 .LBB118_1645
; %bb.1637:
	s_cmp_eq_u32 s15, 46
	s_mov_b64 s[22:23], 0
	s_cbranch_scc0 .LBB118_1648
; %bb.1638:
	global_load_dword v3, v[1:2], off
	s_mov_b64 s[0:1], 0
	s_mov_b64 s[20:21], -1
	s_waitcnt vmcnt(0)
	v_lshlrev_b32_e32 v3, 16, v3
	v_cvt_i32_f32_e32 v3, v3
	s_branch .LBB118_1649
.LBB118_1639:
	s_mov_b64 s[20:21], 0
                                        ; implicit-def: $vgpr3
	s_cbranch_execnz .LBB118_1710
.LBB118_1640:
	s_andn2_b64 vcc, exec, s[20:21]
	s_cbranch_vccnz .LBB118_2947
	s_branch .LBB118_1757
.LBB118_1641:
	s_mov_b64 s[20:21], 0
	s_mov_b64 s[0:1], 0
                                        ; implicit-def: $vgpr3
	s_cbranch_execnz .LBB118_1676
	s_branch .LBB118_1706
.LBB118_1642:
	s_mov_b64 s[22:23], -1
	s_mov_b64 s[20:21], 0
	s_mov_b64 s[0:1], 0
                                        ; implicit-def: $vgpr3
	s_branch .LBB118_1659
.LBB118_1643:
	s_mov_b64 s[22:23], -1
	s_mov_b64 s[20:21], 0
	s_mov_b64 s[0:1], 0
                                        ; implicit-def: $vgpr3
	s_branch .LBB118_1654
.LBB118_1644:
	s_or_b64 s[18:19], s[6:7], exec
	s_trap 2
	s_cbranch_execz .LBB118_1585
	s_branch .LBB118_1586
.LBB118_1645:
	s_mov_b64 s[22:23], -1
	s_mov_b64 s[20:21], 0
	s_mov_b64 s[0:1], 0
                                        ; implicit-def: $vgpr3
	s_branch .LBB118_1649
.LBB118_1646:
	s_andn2_saveexec_b64 s[28:29], s[28:29]
	s_cbranch_execz .LBB118_1437
.LBB118_1647:
	s_mov_b32 s34, 0x42800000
	v_add_f32_e64 v3, |v0|, s34
	v_and_b32_e32 v3, 0xff, v3
	v_cmp_ne_u32_e32 vcc, 0, v3
	s_andn2_b64 s[26:27], s[26:27], exec
	s_and_b64 s[34:35], vcc, exec
	s_or_b64 s[26:27], s[26:27], s[34:35]
	s_or_b64 exec, exec, s[28:29]
	v_mov_b32_e32 v4, 0
	s_and_saveexec_b64 s[28:29], s[26:27]
	s_cbranch_execnz .LBB118_1438
	s_branch .LBB118_1439
.LBB118_1648:
	s_mov_b64 s[0:1], -1
                                        ; implicit-def: $vgpr3
	s_mov_b64 s[20:21], 0
.LBB118_1649:
	s_and_b64 vcc, exec, s[22:23]
	s_cbranch_vccz .LBB118_1653
; %bb.1650:
	s_cmp_eq_u32 s15, 44
	s_cbranch_scc0 .LBB118_1652
; %bb.1651:
	global_load_ubyte v3, v[1:2], off
	s_mov_b64 s[0:1], 0
	s_mov_b64 s[20:21], -1
	s_waitcnt vmcnt(0)
	v_lshlrev_b32_e32 v4, 23, v3
	v_cvt_i32_f32_e32 v4, v4
	v_cmp_ne_u32_e32 vcc, 0, v3
	v_cndmask_b32_e32 v3, 0, v4, vcc
	s_branch .LBB118_1653
.LBB118_1652:
	s_mov_b64 s[0:1], -1
                                        ; implicit-def: $vgpr3
.LBB118_1653:
	s_mov_b64 s[22:23], 0
.LBB118_1654:
	s_and_b64 vcc, exec, s[22:23]
	s_cbranch_vccz .LBB118_1658
; %bb.1655:
	s_cmp_eq_u32 s15, 29
	s_cbranch_scc0 .LBB118_1657
; %bb.1656:
	global_load_dwordx2 v[3:4], v[1:2], off
	s_mov_b64 s[0:1], 0
	s_mov_b64 s[20:21], -1
	s_branch .LBB118_1658
.LBB118_1657:
	s_mov_b64 s[0:1], -1
                                        ; implicit-def: $vgpr3
.LBB118_1658:
	s_mov_b64 s[22:23], 0
.LBB118_1659:
	s_and_b64 vcc, exec, s[22:23]
	s_cbranch_vccz .LBB118_1675
; %bb.1660:
	s_cmp_lt_i32 s15, 27
	s_cbranch_scc1 .LBB118_1663
; %bb.1661:
	s_cmp_gt_i32 s15, 27
	s_cbranch_scc0 .LBB118_1664
; %bb.1662:
	global_load_dword v3, v[1:2], off
	s_mov_b64 s[20:21], 0
	s_branch .LBB118_1665
.LBB118_1663:
	s_mov_b64 s[20:21], -1
                                        ; implicit-def: $vgpr3
	s_branch .LBB118_1668
.LBB118_1664:
	s_mov_b64 s[20:21], -1
                                        ; implicit-def: $vgpr3
.LBB118_1665:
	s_andn2_b64 vcc, exec, s[20:21]
	s_cbranch_vccnz .LBB118_1667
; %bb.1666:
	global_load_ushort v3, v[1:2], off
.LBB118_1667:
	s_mov_b64 s[20:21], 0
.LBB118_1668:
	s_andn2_b64 vcc, exec, s[20:21]
	s_cbranch_vccnz .LBB118_1674
; %bb.1669:
	global_load_ubyte v4, v[1:2], off
	s_movk_i32 s20, 0x7f
	s_mov_b64 s[22:23], 0
	s_waitcnt vmcnt(0)
	v_cmp_lt_i16_e32 vcc, s20, v4
	s_and_saveexec_b64 s[20:21], vcc
	s_xor_b64 s[20:21], exec, s[20:21]
	s_cbranch_execz .LBB118_1685
; %bb.1670:
	s_movk_i32 s22, 0x80
	v_cmp_ne_u16_e32 vcc, s22, v4
	s_and_b64 s[22:23], vcc, exec
	s_andn2_saveexec_b64 s[20:21], s[20:21]
	s_cbranch_execnz .LBB118_1686
.LBB118_1671:
	s_or_b64 exec, exec, s[20:21]
	v_mov_b32_e32 v3, 0
	s_and_saveexec_b64 s[20:21], s[22:23]
	s_cbranch_execz .LBB118_1673
.LBB118_1672:
	v_lshlrev_b32_e32 v3, 24, v4
	v_and_b32_e32 v4, 0xffff, v4
	v_and_b32_e32 v7, 7, v4
	v_ffbh_u32_e32 v9, v7
	v_min_u32_e32 v9, 32, v9
	v_subrev_u32_e32 v10, 28, v9
	v_bfe_u32 v8, v4, 3, 4
	v_lshlrev_b32_e32 v4, v10, v4
	v_sub_u32_e32 v9, 29, v9
	v_and_b32_e32 v4, 7, v4
	v_cmp_eq_u32_e32 vcc, 0, v8
	v_cndmask_b32_e32 v8, v8, v9, vcc
	v_cndmask_b32_e32 v4, v7, v4, vcc
	v_mov_b32_e32 v7, 0x3b800000
	v_lshlrev_b32_e32 v4, 20, v4
	v_and_b32_e32 v3, 0x80000000, v3
	v_lshl_add_u32 v7, v8, 23, v7
	v_or3_b32 v3, v3, v7, v4
	v_cvt_i32_f32_e32 v3, v3
.LBB118_1673:
	s_or_b64 exec, exec, s[20:21]
.LBB118_1674:
	s_mov_b64 s[20:21], -1
.LBB118_1675:
	s_branch .LBB118_1706
.LBB118_1676:
	s_cmp_gt_i32 s15, 22
	s_cbranch_scc0 .LBB118_1684
; %bb.1677:
	s_cmp_lt_i32 s15, 24
	s_cbranch_scc1 .LBB118_1687
; %bb.1678:
	s_cmp_gt_i32 s15, 24
	s_cbranch_scc0 .LBB118_1688
; %bb.1679:
	global_load_ubyte v4, v[1:2], off
	s_movk_i32 s16, 0x7f
	s_mov_b64 s[20:21], 0
	s_waitcnt vmcnt(0)
	v_cmp_lt_i16_e32 vcc, s16, v4
	s_and_saveexec_b64 s[16:17], vcc
	s_xor_b64 s[16:17], exec, s[16:17]
	s_cbranch_execz .LBB118_1700
; %bb.1680:
	s_movk_i32 s20, 0x80
	v_cmp_ne_u16_e32 vcc, s20, v4
	s_and_b64 s[20:21], vcc, exec
	s_andn2_saveexec_b64 s[16:17], s[16:17]
	s_cbranch_execnz .LBB118_1701
.LBB118_1681:
	s_or_b64 exec, exec, s[16:17]
	v_mov_b32_e32 v3, 0
	s_and_saveexec_b64 s[16:17], s[20:21]
	s_cbranch_execz .LBB118_1683
.LBB118_1682:
	v_lshlrev_b32_e32 v3, 24, v4
	v_and_b32_e32 v4, 0xffff, v4
	v_and_b32_e32 v7, 3, v4
	v_ffbh_u32_e32 v9, v7
	v_min_u32_e32 v9, 32, v9
	v_subrev_u32_e32 v10, 29, v9
	v_bfe_u32 v8, v4, 2, 5
	v_lshlrev_b32_e32 v4, v10, v4
	v_sub_u32_e32 v9, 30, v9
	v_and_b32_e32 v4, 3, v4
	v_cmp_eq_u32_e32 vcc, 0, v8
	v_cndmask_b32_e32 v8, v8, v9, vcc
	v_cndmask_b32_e32 v4, v7, v4, vcc
	v_mov_b32_e32 v7, 0x37800000
	v_lshlrev_b32_e32 v4, 21, v4
	v_and_b32_e32 v3, 0x80000000, v3
	v_lshl_add_u32 v7, v8, 23, v7
	v_or3_b32 v3, v3, v7, v4
	v_cvt_i32_f32_e32 v3, v3
.LBB118_1683:
	s_or_b64 exec, exec, s[16:17]
	s_mov_b64 s[16:17], 0
	s_branch .LBB118_1689
.LBB118_1684:
	s_mov_b64 s[16:17], -1
                                        ; implicit-def: $vgpr3
	s_branch .LBB118_1695
.LBB118_1685:
	s_andn2_saveexec_b64 s[20:21], s[20:21]
	s_cbranch_execz .LBB118_1671
.LBB118_1686:
	v_cmp_ne_u16_e32 vcc, 0, v4
	s_andn2_b64 s[22:23], s[22:23], exec
	s_and_b64 s[26:27], vcc, exec
	s_or_b64 s[22:23], s[22:23], s[26:27]
	s_or_b64 exec, exec, s[20:21]
	v_mov_b32_e32 v3, 0
	s_and_saveexec_b64 s[20:21], s[22:23]
	s_cbranch_execnz .LBB118_1672
	s_branch .LBB118_1673
.LBB118_1687:
	s_mov_b64 s[16:17], -1
                                        ; implicit-def: $vgpr3
	s_branch .LBB118_1692
.LBB118_1688:
	s_mov_b64 s[16:17], -1
                                        ; implicit-def: $vgpr3
.LBB118_1689:
	s_and_b64 vcc, exec, s[16:17]
	s_cbranch_vccz .LBB118_1691
; %bb.1690:
	global_load_ubyte v3, v[1:2], off
	s_mov_b32 s16, 0x7f800000
	s_waitcnt vmcnt(0)
	v_lshlrev_b32_e32 v3, 24, v3
	v_and_b32_e32 v4, 0x7f000000, v3
	v_ffbh_u32_e32 v7, v4
	v_min_u32_e32 v7, 32, v7
	v_sub_u32_e64 v7, v7, 4 clamp
	v_lshlrev_b32_e32 v9, v7, v4
	v_lshlrev_b32_e32 v7, 23, v7
	v_lshrrev_b32_e32 v9, 4, v9
	v_add_u32_e32 v8, 0x1000000, v4
	v_sub_u32_e32 v7, v9, v7
	v_ashrrev_i32_e32 v8, 8, v8
	v_add_u32_e32 v7, 0x3c000000, v7
	v_and_or_b32 v7, v8, s16, v7
	v_cmp_ne_u32_e32 vcc, 0, v4
	v_cndmask_b32_e32 v4, 0, v7, vcc
	s_brev_b32 s16, 1
	v_and_or_b32 v3, v3, s16, v4
	v_cvt_i32_f32_e32 v3, v3
.LBB118_1691:
	s_mov_b64 s[16:17], 0
.LBB118_1692:
	s_andn2_b64 vcc, exec, s[16:17]
	s_cbranch_vccnz .LBB118_1694
; %bb.1693:
	global_load_ubyte v3, v[1:2], off
	s_movk_i32 s16, 0x7f00
	s_brev_b32 s17, 16
	s_waitcnt vmcnt(0)
	v_lshlrev_b16_e32 v4, 8, v3
	v_lshlrev_b32_e32 v3, 25, v3
	v_lshrrev_b32_e32 v7, 4, v3
	v_and_or_b32 v8, v4, s16, 0.5
	v_or_b32_e32 v7, 0x70000000, v7
	v_add_f32_e32 v8, -0.5, v8
	v_mul_f32_e32 v7, 0x7800000, v7
	v_cmp_gt_u32_e32 vcc, s17, v3
	v_bfe_i32 v4, v4, 0, 16
	v_cndmask_b32_e32 v3, v7, v8, vcc
	s_brev_b32 s16, 1
	v_and_or_b32 v3, v4, s16, v3
	v_cvt_i32_f32_e32 v3, v3
.LBB118_1694:
	s_mov_b64 s[16:17], 0
	s_mov_b64 s[20:21], -1
.LBB118_1695:
	s_andn2_b64 vcc, exec, s[16:17]
	s_mov_b64 s[16:17], 0
	s_cbranch_vccnz .LBB118_1706
; %bb.1696:
	s_cmp_gt_i32 s15, 14
	s_cbranch_scc0 .LBB118_1699
; %bb.1697:
	s_cmp_eq_u32 s15, 15
	s_cbranch_scc0 .LBB118_1702
; %bb.1698:
	global_load_ushort v3, v[1:2], off
	s_mov_b64 s[0:1], 0
	s_mov_b64 s[20:21], -1
	s_waitcnt vmcnt(0)
	v_lshlrev_b32_e32 v3, 16, v3
	v_cvt_i32_f32_e32 v3, v3
	s_branch .LBB118_1703
.LBB118_1699:
	s_mov_b64 s[22:23], -1
                                        ; implicit-def: $vgpr3
	s_branch .LBB118_1704
.LBB118_1700:
	s_andn2_saveexec_b64 s[16:17], s[16:17]
	s_cbranch_execz .LBB118_1681
.LBB118_1701:
	v_cmp_ne_u16_e32 vcc, 0, v4
	s_andn2_b64 s[20:21], s[20:21], exec
	s_and_b64 s[22:23], vcc, exec
	s_or_b64 s[20:21], s[20:21], s[22:23]
	s_or_b64 exec, exec, s[16:17]
	v_mov_b32_e32 v3, 0
	s_and_saveexec_b64 s[16:17], s[20:21]
	s_cbranch_execnz .LBB118_1682
	s_branch .LBB118_1683
.LBB118_1702:
	s_mov_b64 s[0:1], -1
                                        ; implicit-def: $vgpr3
.LBB118_1703:
	s_mov_b64 s[22:23], 0
.LBB118_1704:
	s_and_b64 vcc, exec, s[22:23]
	s_cbranch_vccz .LBB118_1706
; %bb.1705:
	s_cmp_lg_u32 s15, 11
	s_mov_b64 s[16:17], -1
	s_cselect_b64 s[0:1], -1, 0
.LBB118_1706:
	s_and_b64 vcc, exec, s[0:1]
	s_cbranch_vccnz .LBB118_1769
; %bb.1707:
	s_andn2_b64 vcc, exec, s[16:17]
	s_cbranch_vccnz .LBB118_1709
.LBB118_1708:
	global_load_ubyte v3, v[1:2], off
	s_mov_b64 s[20:21], -1
	s_waitcnt vmcnt(0)
	v_cmp_ne_u16_e32 vcc, 0, v3
	v_cndmask_b32_e64 v3, 0, 1, vcc
.LBB118_1709:
	s_branch .LBB118_1640
.LBB118_1710:
	s_and_b32 s15, 0xffff, s25
	s_cmp_lt_i32 s15, 5
	s_cbranch_scc1 .LBB118_1715
; %bb.1711:
	s_cmp_lt_i32 s15, 8
	s_cbranch_scc1 .LBB118_1716
; %bb.1712:
	;; [unrolled: 3-line block ×3, first 2 shown]
	s_cmp_gt_i32 s15, 9
	s_cbranch_scc0 .LBB118_1718
; %bb.1714:
	global_load_dwordx2 v[3:4], v[1:2], off
	s_mov_b64 s[0:1], 0
	s_waitcnt vmcnt(0)
	v_cvt_i32_f64_e32 v3, v[3:4]
	s_branch .LBB118_1719
.LBB118_1715:
                                        ; implicit-def: $vgpr3
	s_branch .LBB118_1737
.LBB118_1716:
	s_mov_b64 s[0:1], -1
                                        ; implicit-def: $vgpr3
	s_branch .LBB118_1725
.LBB118_1717:
	s_mov_b64 s[0:1], -1
                                        ; implicit-def: $vgpr3
	s_branch .LBB118_1722
.LBB118_1718:
	s_mov_b64 s[0:1], -1
                                        ; implicit-def: $vgpr3
.LBB118_1719:
	s_andn2_b64 vcc, exec, s[0:1]
	s_cbranch_vccnz .LBB118_1721
; %bb.1720:
	global_load_dword v3, v[1:2], off
	s_waitcnt vmcnt(0)
	v_cvt_i32_f32_e32 v3, v3
.LBB118_1721:
	s_mov_b64 s[0:1], 0
.LBB118_1722:
	s_andn2_b64 vcc, exec, s[0:1]
	s_cbranch_vccnz .LBB118_1724
; %bb.1723:
	global_load_dword v3, v[1:2], off
	s_waitcnt vmcnt(0)
	v_cvt_i16_f16_e32 v3, v3
.LBB118_1724:
	s_mov_b64 s[0:1], 0
.LBB118_1725:
	s_andn2_b64 vcc, exec, s[0:1]
	s_cbranch_vccnz .LBB118_1736
; %bb.1726:
	s_cmp_lt_i32 s15, 6
	s_cbranch_scc1 .LBB118_1729
; %bb.1727:
	s_cmp_gt_i32 s15, 6
	s_cbranch_scc0 .LBB118_1730
; %bb.1728:
	global_load_dwordx2 v[3:4], v[1:2], off
	s_mov_b64 s[0:1], 0
	s_waitcnt vmcnt(0)
	v_cvt_i32_f64_e32 v3, v[3:4]
	s_branch .LBB118_1731
.LBB118_1729:
	s_mov_b64 s[0:1], -1
                                        ; implicit-def: $vgpr3
	s_branch .LBB118_1734
.LBB118_1730:
	s_mov_b64 s[0:1], -1
                                        ; implicit-def: $vgpr3
.LBB118_1731:
	s_andn2_b64 vcc, exec, s[0:1]
	s_cbranch_vccnz .LBB118_1733
; %bb.1732:
	global_load_dword v3, v[1:2], off
	s_waitcnt vmcnt(0)
	v_cvt_i32_f32_e32 v3, v3
.LBB118_1733:
	s_mov_b64 s[0:1], 0
.LBB118_1734:
	s_andn2_b64 vcc, exec, s[0:1]
	s_cbranch_vccnz .LBB118_1736
; %bb.1735:
	global_load_ushort v3, v[1:2], off
	s_waitcnt vmcnt(0)
	v_cvt_i16_f16_e32 v3, v3
.LBB118_1736:
	s_cbranch_execnz .LBB118_1756
.LBB118_1737:
	s_cmp_lt_i32 s15, 2
	s_cbranch_scc1 .LBB118_1741
; %bb.1738:
	s_cmp_lt_i32 s15, 3
	s_cbranch_scc1 .LBB118_1742
; %bb.1739:
	s_cmp_gt_i32 s15, 3
	s_cbranch_scc0 .LBB118_1743
; %bb.1740:
	global_load_dwordx2 v[3:4], v[1:2], off
	s_mov_b64 s[0:1], 0
	s_branch .LBB118_1744
.LBB118_1741:
	s_mov_b64 s[0:1], -1
                                        ; implicit-def: $vgpr3
	s_branch .LBB118_1750
.LBB118_1742:
	s_mov_b64 s[0:1], -1
                                        ; implicit-def: $vgpr3
	s_branch .LBB118_1747
.LBB118_1743:
	s_mov_b64 s[0:1], -1
                                        ; implicit-def: $vgpr3
.LBB118_1744:
	s_andn2_b64 vcc, exec, s[0:1]
	s_cbranch_vccnz .LBB118_1746
; %bb.1745:
	global_load_dword v3, v[1:2], off
.LBB118_1746:
	s_mov_b64 s[0:1], 0
.LBB118_1747:
	s_andn2_b64 vcc, exec, s[0:1]
	s_cbranch_vccnz .LBB118_1749
; %bb.1748:
	global_load_ushort v3, v[1:2], off
.LBB118_1749:
	s_mov_b64 s[0:1], 0
.LBB118_1750:
	s_andn2_b64 vcc, exec, s[0:1]
	s_cbranch_vccnz .LBB118_1756
; %bb.1751:
	s_cmp_gt_i32 s15, 0
	s_cbranch_scc0 .LBB118_1753
; %bb.1752:
	global_load_sbyte v3, v[1:2], off
	s_mov_b64 s[0:1], 0
	s_branch .LBB118_1754
.LBB118_1753:
	s_mov_b64 s[0:1], -1
                                        ; implicit-def: $vgpr3
.LBB118_1754:
	s_andn2_b64 vcc, exec, s[0:1]
	s_cbranch_vccnz .LBB118_1756
; %bb.1755:
	global_load_ubyte v3, v[1:2], off
.LBB118_1756:
.LBB118_1757:
	s_lshl_b32 s13, s13, 7
	v_add_u32_e32 v8, s13, v5
	v_ashrrev_i32_e32 v1, 31, v8
	v_mov_b32_e32 v2, s11
	s_waitcnt vmcnt(0)
	v_add_co_u32_e32 v4, vcc, s10, v8
	s_cmp_lt_i32 s24, 11
	v_addc_co_u32_e32 v5, vcc, v2, v1, vcc
	s_cbranch_scc1 .LBB118_1764
; %bb.1758:
	s_and_b32 s15, 0xffff, s24
	s_cmp_gt_i32 s15, 25
	s_mov_b64 s[16:17], 0
	s_cbranch_scc0 .LBB118_1766
; %bb.1759:
	s_cmp_gt_i32 s15, 28
	s_cbranch_scc0 .LBB118_1767
; %bb.1760:
	s_cmp_gt_i32 s15, 43
	;; [unrolled: 3-line block ×3, first 2 shown]
	s_cbranch_scc0 .LBB118_1770
; %bb.1762:
	s_cmp_eq_u32 s15, 46
	s_mov_b64 s[22:23], 0
	s_cbranch_scc0 .LBB118_1771
; %bb.1763:
	global_load_dword v1, v[4:5], off
	s_mov_b64 s[0:1], 0
	s_mov_b64 s[20:21], -1
	s_waitcnt vmcnt(0)
	v_lshlrev_b32_e32 v1, 16, v1
	v_cvt_i32_f32_e32 v1, v1
	s_branch .LBB118_1772
.LBB118_1764:
	s_mov_b64 s[20:21], 0
                                        ; implicit-def: $vgpr1
	s_cbranch_execnz .LBB118_1834
.LBB118_1765:
	s_andn2_b64 vcc, exec, s[20:21]
	s_cbranch_vccnz .LBB118_2947
	s_branch .LBB118_1882
.LBB118_1766:
	s_mov_b64 s[22:23], -1
	s_mov_b64 s[20:21], 0
	s_mov_b64 s[0:1], 0
                                        ; implicit-def: $vgpr1
	s_branch .LBB118_1799
.LBB118_1767:
	s_mov_b64 s[22:23], -1
	s_mov_b64 s[20:21], 0
	s_mov_b64 s[0:1], 0
                                        ; implicit-def: $vgpr1
	s_branch .LBB118_1782
.LBB118_1768:
	s_mov_b64 s[22:23], -1
	s_mov_b64 s[20:21], 0
	s_mov_b64 s[0:1], 0
                                        ; implicit-def: $vgpr1
	s_branch .LBB118_1777
.LBB118_1769:
	s_trap 2
	s_or_b64 s[18:19], s[18:19], exec
	s_cbranch_execz .LBB118_1708
	s_branch .LBB118_1709
.LBB118_1770:
	s_mov_b64 s[22:23], -1
	s_mov_b64 s[20:21], 0
	s_mov_b64 s[0:1], 0
                                        ; implicit-def: $vgpr1
	s_branch .LBB118_1772
.LBB118_1771:
	s_mov_b64 s[0:1], -1
                                        ; implicit-def: $vgpr1
	s_mov_b64 s[20:21], 0
.LBB118_1772:
	s_and_b64 vcc, exec, s[22:23]
	s_cbranch_vccz .LBB118_1776
; %bb.1773:
	s_cmp_eq_u32 s15, 44
	s_cbranch_scc0 .LBB118_1775
; %bb.1774:
	global_load_ubyte v1, v[4:5], off
	s_mov_b64 s[0:1], 0
	s_mov_b64 s[20:21], -1
	s_waitcnt vmcnt(0)
	v_lshlrev_b32_e32 v2, 23, v1
	v_cvt_i32_f32_e32 v2, v2
	v_cmp_ne_u32_e32 vcc, 0, v1
	v_cndmask_b32_e32 v1, 0, v2, vcc
	s_branch .LBB118_1776
.LBB118_1775:
	s_mov_b64 s[0:1], -1
                                        ; implicit-def: $vgpr1
.LBB118_1776:
	s_mov_b64 s[22:23], 0
.LBB118_1777:
	s_and_b64 vcc, exec, s[22:23]
	s_cbranch_vccz .LBB118_1781
; %bb.1778:
	s_cmp_eq_u32 s15, 29
	s_cbranch_scc0 .LBB118_1780
; %bb.1779:
	global_load_dwordx2 v[1:2], v[4:5], off
	s_mov_b64 s[0:1], 0
	s_mov_b64 s[20:21], -1
	s_branch .LBB118_1781
.LBB118_1780:
	s_mov_b64 s[0:1], -1
                                        ; implicit-def: $vgpr1
.LBB118_1781:
	s_mov_b64 s[22:23], 0
.LBB118_1782:
	s_and_b64 vcc, exec, s[22:23]
	s_cbranch_vccz .LBB118_1798
; %bb.1783:
	s_cmp_lt_i32 s15, 27
	s_cbranch_scc1 .LBB118_1786
; %bb.1784:
	s_cmp_gt_i32 s15, 27
	s_cbranch_scc0 .LBB118_1787
; %bb.1785:
	global_load_dword v1, v[4:5], off
	s_mov_b64 s[20:21], 0
	s_branch .LBB118_1788
.LBB118_1786:
	s_mov_b64 s[20:21], -1
                                        ; implicit-def: $vgpr1
	s_branch .LBB118_1791
.LBB118_1787:
	s_mov_b64 s[20:21], -1
                                        ; implicit-def: $vgpr1
.LBB118_1788:
	s_andn2_b64 vcc, exec, s[20:21]
	s_cbranch_vccnz .LBB118_1790
; %bb.1789:
	global_load_ushort v1, v[4:5], off
.LBB118_1790:
	s_mov_b64 s[20:21], 0
.LBB118_1791:
	s_andn2_b64 vcc, exec, s[20:21]
	s_cbranch_vccnz .LBB118_1797
; %bb.1792:
	global_load_ubyte v2, v[4:5], off
	s_movk_i32 s20, 0x7f
	s_mov_b64 s[22:23], 0
	s_waitcnt vmcnt(0)
	v_cmp_lt_i16_e32 vcc, s20, v2
	s_and_saveexec_b64 s[20:21], vcc
	s_xor_b64 s[20:21], exec, s[20:21]
	s_cbranch_execz .LBB118_1809
; %bb.1793:
	s_movk_i32 s22, 0x80
	v_cmp_ne_u16_e32 vcc, s22, v2
	s_and_b64 s[22:23], vcc, exec
	s_andn2_saveexec_b64 s[20:21], s[20:21]
	s_cbranch_execnz .LBB118_1810
.LBB118_1794:
	s_or_b64 exec, exec, s[20:21]
	v_mov_b32_e32 v1, 0
	s_and_saveexec_b64 s[20:21], s[22:23]
	s_cbranch_execz .LBB118_1796
.LBB118_1795:
	v_lshlrev_b32_e32 v1, 24, v2
	v_and_b32_e32 v2, 0xffff, v2
	v_and_b32_e32 v7, 7, v2
	v_ffbh_u32_e32 v10, v7
	v_min_u32_e32 v10, 32, v10
	v_subrev_u32_e32 v11, 28, v10
	v_bfe_u32 v9, v2, 3, 4
	v_lshlrev_b32_e32 v2, v11, v2
	v_sub_u32_e32 v10, 29, v10
	v_and_b32_e32 v2, 7, v2
	v_cmp_eq_u32_e32 vcc, 0, v9
	v_cndmask_b32_e32 v9, v9, v10, vcc
	v_cndmask_b32_e32 v2, v7, v2, vcc
	v_mov_b32_e32 v7, 0x3b800000
	v_lshlrev_b32_e32 v2, 20, v2
	v_and_b32_e32 v1, 0x80000000, v1
	v_lshl_add_u32 v7, v9, 23, v7
	v_or3_b32 v1, v1, v7, v2
	v_cvt_i32_f32_e32 v1, v1
.LBB118_1796:
	s_or_b64 exec, exec, s[20:21]
.LBB118_1797:
	s_mov_b64 s[20:21], -1
.LBB118_1798:
	s_mov_b64 s[22:23], 0
.LBB118_1799:
	s_and_b64 vcc, exec, s[22:23]
	s_cbranch_vccz .LBB118_1830
; %bb.1800:
	s_cmp_gt_i32 s15, 22
	s_cbranch_scc0 .LBB118_1808
; %bb.1801:
	s_cmp_lt_i32 s15, 24
	s_cbranch_scc1 .LBB118_1811
; %bb.1802:
	s_cmp_gt_i32 s15, 24
	s_cbranch_scc0 .LBB118_1812
; %bb.1803:
	global_load_ubyte v2, v[4:5], off
	s_movk_i32 s16, 0x7f
	s_mov_b64 s[20:21], 0
	s_waitcnt vmcnt(0)
	v_cmp_lt_i16_e32 vcc, s16, v2
	s_and_saveexec_b64 s[16:17], vcc
	s_xor_b64 s[16:17], exec, s[16:17]
	s_cbranch_execz .LBB118_1824
; %bb.1804:
	s_movk_i32 s20, 0x80
	v_cmp_ne_u16_e32 vcc, s20, v2
	s_and_b64 s[20:21], vcc, exec
	s_andn2_saveexec_b64 s[16:17], s[16:17]
	s_cbranch_execnz .LBB118_1825
.LBB118_1805:
	s_or_b64 exec, exec, s[16:17]
	v_mov_b32_e32 v1, 0
	s_and_saveexec_b64 s[16:17], s[20:21]
	s_cbranch_execz .LBB118_1807
.LBB118_1806:
	v_lshlrev_b32_e32 v1, 24, v2
	v_and_b32_e32 v2, 0xffff, v2
	v_and_b32_e32 v7, 3, v2
	v_ffbh_u32_e32 v10, v7
	v_min_u32_e32 v10, 32, v10
	v_subrev_u32_e32 v11, 29, v10
	v_bfe_u32 v9, v2, 2, 5
	v_lshlrev_b32_e32 v2, v11, v2
	v_sub_u32_e32 v10, 30, v10
	v_and_b32_e32 v2, 3, v2
	v_cmp_eq_u32_e32 vcc, 0, v9
	v_cndmask_b32_e32 v9, v9, v10, vcc
	v_cndmask_b32_e32 v2, v7, v2, vcc
	v_mov_b32_e32 v7, 0x37800000
	v_lshlrev_b32_e32 v2, 21, v2
	v_and_b32_e32 v1, 0x80000000, v1
	v_lshl_add_u32 v7, v9, 23, v7
	v_or3_b32 v1, v1, v7, v2
	v_cvt_i32_f32_e32 v1, v1
.LBB118_1807:
	s_or_b64 exec, exec, s[16:17]
	s_mov_b64 s[16:17], 0
	s_branch .LBB118_1813
.LBB118_1808:
	s_mov_b64 s[16:17], -1
                                        ; implicit-def: $vgpr1
	s_branch .LBB118_1819
.LBB118_1809:
	s_andn2_saveexec_b64 s[20:21], s[20:21]
	s_cbranch_execz .LBB118_1794
.LBB118_1810:
	v_cmp_ne_u16_e32 vcc, 0, v2
	s_andn2_b64 s[22:23], s[22:23], exec
	s_and_b64 s[26:27], vcc, exec
	s_or_b64 s[22:23], s[22:23], s[26:27]
	s_or_b64 exec, exec, s[20:21]
	v_mov_b32_e32 v1, 0
	s_and_saveexec_b64 s[20:21], s[22:23]
	s_cbranch_execnz .LBB118_1795
	s_branch .LBB118_1796
.LBB118_1811:
	s_mov_b64 s[16:17], -1
                                        ; implicit-def: $vgpr1
	s_branch .LBB118_1816
.LBB118_1812:
	s_mov_b64 s[16:17], -1
                                        ; implicit-def: $vgpr1
.LBB118_1813:
	s_and_b64 vcc, exec, s[16:17]
	s_cbranch_vccz .LBB118_1815
; %bb.1814:
	global_load_ubyte v1, v[4:5], off
	s_mov_b32 s16, 0x7f800000
	s_waitcnt vmcnt(0)
	v_lshlrev_b32_e32 v1, 24, v1
	v_and_b32_e32 v2, 0x7f000000, v1
	v_ffbh_u32_e32 v7, v2
	v_min_u32_e32 v7, 32, v7
	v_sub_u32_e64 v7, v7, 4 clamp
	v_lshlrev_b32_e32 v10, v7, v2
	v_lshlrev_b32_e32 v7, 23, v7
	v_lshrrev_b32_e32 v10, 4, v10
	v_add_u32_e32 v9, 0x1000000, v2
	v_sub_u32_e32 v7, v10, v7
	v_ashrrev_i32_e32 v9, 8, v9
	v_add_u32_e32 v7, 0x3c000000, v7
	v_and_or_b32 v7, v9, s16, v7
	v_cmp_ne_u32_e32 vcc, 0, v2
	v_cndmask_b32_e32 v2, 0, v7, vcc
	s_brev_b32 s16, 1
	v_and_or_b32 v1, v1, s16, v2
	v_cvt_i32_f32_e32 v1, v1
.LBB118_1815:
	s_mov_b64 s[16:17], 0
.LBB118_1816:
	s_andn2_b64 vcc, exec, s[16:17]
	s_cbranch_vccnz .LBB118_1818
; %bb.1817:
	global_load_ubyte v1, v[4:5], off
	s_movk_i32 s16, 0x7f00
	s_brev_b32 s17, 16
	s_waitcnt vmcnt(0)
	v_lshlrev_b16_e32 v2, 8, v1
	v_lshlrev_b32_e32 v1, 25, v1
	v_lshrrev_b32_e32 v7, 4, v1
	v_and_or_b32 v9, v2, s16, 0.5
	v_or_b32_e32 v7, 0x70000000, v7
	v_add_f32_e32 v9, -0.5, v9
	v_mul_f32_e32 v7, 0x7800000, v7
	v_cmp_gt_u32_e32 vcc, s17, v1
	v_bfe_i32 v2, v2, 0, 16
	v_cndmask_b32_e32 v1, v7, v9, vcc
	s_brev_b32 s16, 1
	v_and_or_b32 v1, v2, s16, v1
	v_cvt_i32_f32_e32 v1, v1
.LBB118_1818:
	s_mov_b64 s[16:17], 0
	s_mov_b64 s[20:21], -1
.LBB118_1819:
	s_andn2_b64 vcc, exec, s[16:17]
	s_mov_b64 s[16:17], 0
	s_cbranch_vccnz .LBB118_1830
; %bb.1820:
	s_cmp_gt_i32 s15, 14
	s_cbranch_scc0 .LBB118_1823
; %bb.1821:
	s_cmp_eq_u32 s15, 15
	s_cbranch_scc0 .LBB118_1826
; %bb.1822:
	global_load_ushort v1, v[4:5], off
	s_mov_b64 s[0:1], 0
	s_mov_b64 s[20:21], -1
	s_waitcnt vmcnt(0)
	v_lshlrev_b32_e32 v1, 16, v1
	v_cvt_i32_f32_e32 v1, v1
	s_branch .LBB118_1827
.LBB118_1823:
	s_mov_b64 s[22:23], -1
                                        ; implicit-def: $vgpr1
	s_branch .LBB118_1828
.LBB118_1824:
	s_andn2_saveexec_b64 s[16:17], s[16:17]
	s_cbranch_execz .LBB118_1805
.LBB118_1825:
	v_cmp_ne_u16_e32 vcc, 0, v2
	s_andn2_b64 s[20:21], s[20:21], exec
	s_and_b64 s[22:23], vcc, exec
	s_or_b64 s[20:21], s[20:21], s[22:23]
	s_or_b64 exec, exec, s[16:17]
	v_mov_b32_e32 v1, 0
	s_and_saveexec_b64 s[16:17], s[20:21]
	s_cbranch_execnz .LBB118_1806
	s_branch .LBB118_1807
.LBB118_1826:
	s_mov_b64 s[0:1], -1
                                        ; implicit-def: $vgpr1
.LBB118_1827:
	s_mov_b64 s[22:23], 0
.LBB118_1828:
	s_and_b64 vcc, exec, s[22:23]
	s_cbranch_vccz .LBB118_1830
; %bb.1829:
	s_cmp_lg_u32 s15, 11
	s_mov_b64 s[16:17], -1
	s_cselect_b64 s[0:1], -1, 0
.LBB118_1830:
	s_and_b64 vcc, exec, s[0:1]
	s_cbranch_vccnz .LBB118_1893
; %bb.1831:
	s_andn2_b64 vcc, exec, s[16:17]
	s_cbranch_vccnz .LBB118_1833
.LBB118_1832:
	global_load_ubyte v1, v[4:5], off
	s_mov_b64 s[20:21], -1
	s_waitcnt vmcnt(0)
	v_cmp_ne_u16_e32 vcc, 0, v1
	v_cndmask_b32_e64 v1, 0, 1, vcc
.LBB118_1833:
	s_branch .LBB118_1765
.LBB118_1834:
	s_and_b32 s15, 0xffff, s24
	s_cmp_lt_i32 s15, 5
	s_cbranch_scc1 .LBB118_1839
; %bb.1835:
	s_cmp_lt_i32 s15, 8
	s_cbranch_scc1 .LBB118_1840
; %bb.1836:
	s_cmp_lt_i32 s15, 9
	s_cbranch_scc1 .LBB118_1841
; %bb.1837:
	s_cmp_gt_i32 s15, 9
	s_cbranch_scc0 .LBB118_1842
; %bb.1838:
	global_load_dwordx2 v[1:2], v[4:5], off
	s_mov_b64 s[0:1], 0
	s_waitcnt vmcnt(0)
	v_cvt_i32_f64_e32 v1, v[1:2]
	s_branch .LBB118_1843
.LBB118_1839:
	s_mov_b64 s[0:1], -1
                                        ; implicit-def: $vgpr1
	s_branch .LBB118_1861
.LBB118_1840:
	s_mov_b64 s[0:1], -1
                                        ; implicit-def: $vgpr1
	s_branch .LBB118_1849
.LBB118_1841:
	s_mov_b64 s[0:1], -1
                                        ; implicit-def: $vgpr1
	s_branch .LBB118_1846
.LBB118_1842:
	s_mov_b64 s[0:1], -1
                                        ; implicit-def: $vgpr1
.LBB118_1843:
	s_andn2_b64 vcc, exec, s[0:1]
	s_cbranch_vccnz .LBB118_1845
; %bb.1844:
	global_load_dword v1, v[4:5], off
	s_waitcnt vmcnt(0)
	v_cvt_i32_f32_e32 v1, v1
.LBB118_1845:
	s_mov_b64 s[0:1], 0
.LBB118_1846:
	s_andn2_b64 vcc, exec, s[0:1]
	s_cbranch_vccnz .LBB118_1848
; %bb.1847:
	global_load_dword v1, v[4:5], off
	s_waitcnt vmcnt(0)
	v_cvt_i16_f16_e32 v1, v1
.LBB118_1848:
	s_mov_b64 s[0:1], 0
.LBB118_1849:
	s_andn2_b64 vcc, exec, s[0:1]
	s_cbranch_vccnz .LBB118_1860
; %bb.1850:
	s_cmp_lt_i32 s15, 6
	s_cbranch_scc1 .LBB118_1853
; %bb.1851:
	s_cmp_gt_i32 s15, 6
	s_cbranch_scc0 .LBB118_1854
; %bb.1852:
	global_load_dwordx2 v[1:2], v[4:5], off
	s_mov_b64 s[0:1], 0
	s_waitcnt vmcnt(0)
	v_cvt_i32_f64_e32 v1, v[1:2]
	s_branch .LBB118_1855
.LBB118_1853:
	s_mov_b64 s[0:1], -1
                                        ; implicit-def: $vgpr1
	s_branch .LBB118_1858
.LBB118_1854:
	s_mov_b64 s[0:1], -1
                                        ; implicit-def: $vgpr1
.LBB118_1855:
	s_andn2_b64 vcc, exec, s[0:1]
	s_cbranch_vccnz .LBB118_1857
; %bb.1856:
	global_load_dword v1, v[4:5], off
	s_waitcnt vmcnt(0)
	v_cvt_i32_f32_e32 v1, v1
.LBB118_1857:
	s_mov_b64 s[0:1], 0
.LBB118_1858:
	s_andn2_b64 vcc, exec, s[0:1]
	s_cbranch_vccnz .LBB118_1860
; %bb.1859:
	global_load_ushort v1, v[4:5], off
	s_waitcnt vmcnt(0)
	v_cvt_i16_f16_e32 v1, v1
.LBB118_1860:
	s_mov_b64 s[0:1], 0
.LBB118_1861:
	s_andn2_b64 vcc, exec, s[0:1]
	s_cbranch_vccnz .LBB118_1881
; %bb.1862:
	s_cmp_lt_i32 s15, 2
	s_cbranch_scc1 .LBB118_1866
; %bb.1863:
	s_cmp_lt_i32 s15, 3
	s_cbranch_scc1 .LBB118_1867
; %bb.1864:
	s_cmp_gt_i32 s15, 3
	s_cbranch_scc0 .LBB118_1868
; %bb.1865:
	global_load_dwordx2 v[1:2], v[4:5], off
	s_mov_b64 s[0:1], 0
	s_branch .LBB118_1869
.LBB118_1866:
	s_mov_b64 s[0:1], -1
                                        ; implicit-def: $vgpr1
	s_branch .LBB118_1875
.LBB118_1867:
	s_mov_b64 s[0:1], -1
                                        ; implicit-def: $vgpr1
	s_branch .LBB118_1872
.LBB118_1868:
	s_mov_b64 s[0:1], -1
                                        ; implicit-def: $vgpr1
.LBB118_1869:
	s_andn2_b64 vcc, exec, s[0:1]
	s_cbranch_vccnz .LBB118_1871
; %bb.1870:
	global_load_dword v1, v[4:5], off
.LBB118_1871:
	s_mov_b64 s[0:1], 0
.LBB118_1872:
	s_andn2_b64 vcc, exec, s[0:1]
	s_cbranch_vccnz .LBB118_1874
; %bb.1873:
	global_load_ushort v1, v[4:5], off
.LBB118_1874:
	s_mov_b64 s[0:1], 0
.LBB118_1875:
	s_andn2_b64 vcc, exec, s[0:1]
	s_cbranch_vccnz .LBB118_1881
; %bb.1876:
	s_cmp_gt_i32 s15, 0
	s_cbranch_scc0 .LBB118_1878
; %bb.1877:
	global_load_sbyte v1, v[4:5], off
	s_mov_b64 s[0:1], 0
	s_branch .LBB118_1879
.LBB118_1878:
	s_mov_b64 s[0:1], -1
                                        ; implicit-def: $vgpr1
.LBB118_1879:
	s_andn2_b64 vcc, exec, s[0:1]
	s_cbranch_vccnz .LBB118_1881
; %bb.1880:
	global_load_ubyte v1, v[4:5], off
.LBB118_1881:
.LBB118_1882:
	s_lshl_b32 s22, s14, 7
	s_waitcnt vmcnt(0)
	v_add_u32_e32 v2, s22, v6
	v_ashrrev_i32_e32 v5, 31, v2
	v_mov_b32_e32 v6, s3
	v_add_co_u32_e32 v4, vcc, s2, v2
	s_cmp_lt_i32 s25, 11
	v_addc_co_u32_e32 v5, vcc, v6, v5, vcc
	s_cbranch_scc1 .LBB118_1889
; %bb.1883:
	s_and_b32 s23, 0xffff, s25
	s_cmp_gt_i32 s23, 25
	s_mov_b64 s[14:15], 0
	s_cbranch_scc0 .LBB118_1890
; %bb.1884:
	s_cmp_gt_i32 s23, 28
	s_cbranch_scc0 .LBB118_1891
; %bb.1885:
	s_cmp_gt_i32 s23, 43
	s_cbranch_scc0 .LBB118_1892
; %bb.1886:
	s_cmp_gt_i32 s23, 45
	s_cbranch_scc0 .LBB118_1894
; %bb.1887:
	s_cmp_eq_u32 s23, 46
	s_mov_b64 s[20:21], 0
	s_cbranch_scc0 .LBB118_1895
; %bb.1888:
	global_load_dword v6, v[4:5], off
	s_mov_b64 s[0:1], 0
	s_mov_b64 s[16:17], -1
	s_waitcnt vmcnt(0)
	v_lshlrev_b32_e32 v6, 16, v6
	v_cvt_i32_f32_e32 v6, v6
	s_branch .LBB118_1896
.LBB118_1889:
	s_mov_b64 s[0:1], -1
	s_mov_b64 s[16:17], 0
                                        ; implicit-def: $vgpr6
	s_branch .LBB118_1958
.LBB118_1890:
	s_mov_b64 s[20:21], -1
	s_mov_b64 s[16:17], 0
	s_mov_b64 s[0:1], 0
                                        ; implicit-def: $vgpr6
	s_branch .LBB118_1923
.LBB118_1891:
	s_mov_b64 s[20:21], -1
	s_mov_b64 s[16:17], 0
	s_mov_b64 s[0:1], 0
                                        ; implicit-def: $vgpr6
	s_branch .LBB118_1906
.LBB118_1892:
	s_mov_b64 s[20:21], -1
	s_mov_b64 s[16:17], 0
	s_mov_b64 s[0:1], 0
                                        ; implicit-def: $vgpr6
	s_branch .LBB118_1901
.LBB118_1893:
	s_trap 2
	s_or_b64 s[18:19], s[18:19], exec
	s_cbranch_execz .LBB118_1832
	s_branch .LBB118_1833
.LBB118_1894:
	s_mov_b64 s[20:21], -1
	s_mov_b64 s[16:17], 0
	s_mov_b64 s[0:1], 0
                                        ; implicit-def: $vgpr6
	s_branch .LBB118_1896
.LBB118_1895:
	s_mov_b64 s[0:1], -1
                                        ; implicit-def: $vgpr6
	s_mov_b64 s[16:17], 0
.LBB118_1896:
	s_and_b64 vcc, exec, s[20:21]
	s_cbranch_vccz .LBB118_1900
; %bb.1897:
	s_cmp_eq_u32 s23, 44
	s_cbranch_scc0 .LBB118_1899
; %bb.1898:
	global_load_ubyte v6, v[4:5], off
	s_mov_b64 s[0:1], 0
	s_mov_b64 s[16:17], -1
	s_waitcnt vmcnt(0)
	v_lshlrev_b32_e32 v7, 23, v6
	v_cvt_i32_f32_e32 v7, v7
	v_cmp_ne_u32_e32 vcc, 0, v6
	v_cndmask_b32_e32 v6, 0, v7, vcc
	s_branch .LBB118_1900
.LBB118_1899:
	s_mov_b64 s[0:1], -1
                                        ; implicit-def: $vgpr6
.LBB118_1900:
	s_mov_b64 s[20:21], 0
.LBB118_1901:
	s_and_b64 vcc, exec, s[20:21]
	s_cbranch_vccz .LBB118_1905
; %bb.1902:
	s_cmp_eq_u32 s23, 29
	s_cbranch_scc0 .LBB118_1904
; %bb.1903:
	global_load_dwordx2 v[6:7], v[4:5], off
	s_mov_b64 s[0:1], 0
	s_mov_b64 s[16:17], -1
	s_branch .LBB118_1905
.LBB118_1904:
	s_mov_b64 s[0:1], -1
                                        ; implicit-def: $vgpr6
.LBB118_1905:
	s_mov_b64 s[20:21], 0
.LBB118_1906:
	s_and_b64 vcc, exec, s[20:21]
	s_cbranch_vccz .LBB118_1922
; %bb.1907:
	s_cmp_lt_i32 s23, 27
	s_cbranch_scc1 .LBB118_1910
; %bb.1908:
	s_cmp_gt_i32 s23, 27
	s_cbranch_scc0 .LBB118_1911
; %bb.1909:
	global_load_dword v6, v[4:5], off
	s_mov_b64 s[16:17], 0
	s_branch .LBB118_1912
.LBB118_1910:
	s_mov_b64 s[16:17], -1
                                        ; implicit-def: $vgpr6
	s_branch .LBB118_1915
.LBB118_1911:
	s_mov_b64 s[16:17], -1
                                        ; implicit-def: $vgpr6
.LBB118_1912:
	s_andn2_b64 vcc, exec, s[16:17]
	s_cbranch_vccnz .LBB118_1914
; %bb.1913:
	global_load_ushort v6, v[4:5], off
.LBB118_1914:
	s_mov_b64 s[16:17], 0
.LBB118_1915:
	s_andn2_b64 vcc, exec, s[16:17]
	s_cbranch_vccnz .LBB118_1921
; %bb.1916:
	global_load_ubyte v7, v[4:5], off
	s_movk_i32 s16, 0x7f
	s_mov_b64 s[20:21], 0
	s_waitcnt vmcnt(0)
	v_cmp_lt_i16_e32 vcc, s16, v7
	s_and_saveexec_b64 s[16:17], vcc
	s_xor_b64 s[16:17], exec, s[16:17]
	s_cbranch_execz .LBB118_1933
; %bb.1917:
	s_movk_i32 s20, 0x80
	v_cmp_ne_u16_e32 vcc, s20, v7
	s_and_b64 s[20:21], vcc, exec
	s_andn2_saveexec_b64 s[16:17], s[16:17]
	s_cbranch_execnz .LBB118_1934
.LBB118_1918:
	s_or_b64 exec, exec, s[16:17]
	v_mov_b32_e32 v6, 0
	s_and_saveexec_b64 s[16:17], s[20:21]
	s_cbranch_execz .LBB118_1920
.LBB118_1919:
	v_lshlrev_b32_e32 v6, 24, v7
	v_and_b32_e32 v7, 0xffff, v7
	v_and_b32_e32 v9, 7, v7
	v_ffbh_u32_e32 v11, v9
	v_min_u32_e32 v11, 32, v11
	v_subrev_u32_e32 v12, 28, v11
	v_bfe_u32 v10, v7, 3, 4
	v_lshlrev_b32_e32 v7, v12, v7
	v_sub_u32_e32 v11, 29, v11
	v_and_b32_e32 v7, 7, v7
	v_cmp_eq_u32_e32 vcc, 0, v10
	v_cndmask_b32_e32 v10, v10, v11, vcc
	v_cndmask_b32_e32 v7, v9, v7, vcc
	v_mov_b32_e32 v9, 0x3b800000
	v_lshlrev_b32_e32 v7, 20, v7
	v_and_b32_e32 v6, 0x80000000, v6
	v_lshl_add_u32 v9, v10, 23, v9
	v_or3_b32 v6, v6, v9, v7
	v_cvt_i32_f32_e32 v6, v6
.LBB118_1920:
	s_or_b64 exec, exec, s[16:17]
.LBB118_1921:
	s_mov_b64 s[16:17], -1
.LBB118_1922:
	s_mov_b64 s[20:21], 0
.LBB118_1923:
	s_and_b64 vcc, exec, s[20:21]
	s_cbranch_vccz .LBB118_1954
; %bb.1924:
	s_cmp_gt_i32 s23, 22
	s_cbranch_scc0 .LBB118_1932
; %bb.1925:
	s_cmp_lt_i32 s23, 24
	s_cbranch_scc1 .LBB118_1935
; %bb.1926:
	s_cmp_gt_i32 s23, 24
	s_cbranch_scc0 .LBB118_1936
; %bb.1927:
	global_load_ubyte v7, v[4:5], off
	s_movk_i32 s14, 0x7f
	s_mov_b64 s[16:17], 0
	s_waitcnt vmcnt(0)
	v_cmp_lt_i16_e32 vcc, s14, v7
	s_and_saveexec_b64 s[14:15], vcc
	s_xor_b64 s[14:15], exec, s[14:15]
	s_cbranch_execz .LBB118_1948
; %bb.1928:
	s_movk_i32 s16, 0x80
	v_cmp_ne_u16_e32 vcc, s16, v7
	s_and_b64 s[16:17], vcc, exec
	s_andn2_saveexec_b64 s[14:15], s[14:15]
	s_cbranch_execnz .LBB118_1949
.LBB118_1929:
	s_or_b64 exec, exec, s[14:15]
	v_mov_b32_e32 v6, 0
	s_and_saveexec_b64 s[14:15], s[16:17]
	s_cbranch_execz .LBB118_1931
.LBB118_1930:
	v_lshlrev_b32_e32 v6, 24, v7
	v_and_b32_e32 v7, 0xffff, v7
	v_and_b32_e32 v9, 3, v7
	v_ffbh_u32_e32 v11, v9
	v_min_u32_e32 v11, 32, v11
	v_subrev_u32_e32 v12, 29, v11
	v_bfe_u32 v10, v7, 2, 5
	v_lshlrev_b32_e32 v7, v12, v7
	v_sub_u32_e32 v11, 30, v11
	v_and_b32_e32 v7, 3, v7
	v_cmp_eq_u32_e32 vcc, 0, v10
	v_cndmask_b32_e32 v10, v10, v11, vcc
	v_cndmask_b32_e32 v7, v9, v7, vcc
	v_mov_b32_e32 v9, 0x37800000
	v_lshlrev_b32_e32 v7, 21, v7
	v_and_b32_e32 v6, 0x80000000, v6
	v_lshl_add_u32 v9, v10, 23, v9
	v_or3_b32 v6, v6, v9, v7
	v_cvt_i32_f32_e32 v6, v6
.LBB118_1931:
	s_or_b64 exec, exec, s[14:15]
	s_mov_b64 s[14:15], 0
	s_branch .LBB118_1937
.LBB118_1932:
	s_mov_b64 s[14:15], -1
                                        ; implicit-def: $vgpr6
	s_branch .LBB118_1943
.LBB118_1933:
	s_andn2_saveexec_b64 s[16:17], s[16:17]
	s_cbranch_execz .LBB118_1918
.LBB118_1934:
	v_cmp_ne_u16_e32 vcc, 0, v7
	s_andn2_b64 s[20:21], s[20:21], exec
	s_and_b64 s[26:27], vcc, exec
	s_or_b64 s[20:21], s[20:21], s[26:27]
	s_or_b64 exec, exec, s[16:17]
	v_mov_b32_e32 v6, 0
	s_and_saveexec_b64 s[16:17], s[20:21]
	s_cbranch_execnz .LBB118_1919
	s_branch .LBB118_1920
.LBB118_1935:
	s_mov_b64 s[14:15], -1
                                        ; implicit-def: $vgpr6
	s_branch .LBB118_1940
.LBB118_1936:
	s_mov_b64 s[14:15], -1
                                        ; implicit-def: $vgpr6
.LBB118_1937:
	s_and_b64 vcc, exec, s[14:15]
	s_cbranch_vccz .LBB118_1939
; %bb.1938:
	global_load_ubyte v6, v[4:5], off
	s_mov_b32 s14, 0x7f800000
	s_waitcnt vmcnt(0)
	v_lshlrev_b32_e32 v6, 24, v6
	v_and_b32_e32 v7, 0x7f000000, v6
	v_ffbh_u32_e32 v9, v7
	v_min_u32_e32 v9, 32, v9
	v_sub_u32_e64 v9, v9, 4 clamp
	v_lshlrev_b32_e32 v11, v9, v7
	v_lshlrev_b32_e32 v9, 23, v9
	v_lshrrev_b32_e32 v11, 4, v11
	v_add_u32_e32 v10, 0x1000000, v7
	v_sub_u32_e32 v9, v11, v9
	v_ashrrev_i32_e32 v10, 8, v10
	v_add_u32_e32 v9, 0x3c000000, v9
	v_and_or_b32 v9, v10, s14, v9
	v_cmp_ne_u32_e32 vcc, 0, v7
	v_cndmask_b32_e32 v7, 0, v9, vcc
	s_brev_b32 s14, 1
	v_and_or_b32 v6, v6, s14, v7
	v_cvt_i32_f32_e32 v6, v6
.LBB118_1939:
	s_mov_b64 s[14:15], 0
.LBB118_1940:
	s_andn2_b64 vcc, exec, s[14:15]
	s_cbranch_vccnz .LBB118_1942
; %bb.1941:
	global_load_ubyte v6, v[4:5], off
	s_movk_i32 s14, 0x7f00
	s_brev_b32 s15, 16
	s_waitcnt vmcnt(0)
	v_lshlrev_b16_e32 v7, 8, v6
	v_lshlrev_b32_e32 v6, 25, v6
	v_lshrrev_b32_e32 v9, 4, v6
	v_and_or_b32 v10, v7, s14, 0.5
	v_or_b32_e32 v9, 0x70000000, v9
	v_add_f32_e32 v10, -0.5, v10
	v_mul_f32_e32 v9, 0x7800000, v9
	v_cmp_gt_u32_e32 vcc, s15, v6
	v_bfe_i32 v7, v7, 0, 16
	v_cndmask_b32_e32 v6, v9, v10, vcc
	s_brev_b32 s14, 1
	v_and_or_b32 v6, v7, s14, v6
	v_cvt_i32_f32_e32 v6, v6
.LBB118_1942:
	s_mov_b64 s[14:15], 0
	s_mov_b64 s[16:17], -1
.LBB118_1943:
	s_andn2_b64 vcc, exec, s[14:15]
	s_mov_b64 s[14:15], 0
	s_cbranch_vccnz .LBB118_1954
; %bb.1944:
	s_cmp_gt_i32 s23, 14
	s_cbranch_scc0 .LBB118_1947
; %bb.1945:
	s_cmp_eq_u32 s23, 15
	s_cbranch_scc0 .LBB118_1950
; %bb.1946:
	global_load_ushort v6, v[4:5], off
	s_mov_b64 s[0:1], 0
	s_mov_b64 s[16:17], -1
	s_waitcnt vmcnt(0)
	v_lshlrev_b32_e32 v6, 16, v6
	v_cvt_i32_f32_e32 v6, v6
	s_branch .LBB118_1951
.LBB118_1947:
	s_mov_b64 s[20:21], -1
                                        ; implicit-def: $vgpr6
	s_branch .LBB118_1952
.LBB118_1948:
	s_andn2_saveexec_b64 s[14:15], s[14:15]
	s_cbranch_execz .LBB118_1929
.LBB118_1949:
	v_cmp_ne_u16_e32 vcc, 0, v7
	s_andn2_b64 s[16:17], s[16:17], exec
	s_and_b64 s[20:21], vcc, exec
	s_or_b64 s[16:17], s[16:17], s[20:21]
	s_or_b64 exec, exec, s[14:15]
	v_mov_b32_e32 v6, 0
	s_and_saveexec_b64 s[14:15], s[16:17]
	s_cbranch_execnz .LBB118_1930
	s_branch .LBB118_1931
.LBB118_1950:
	s_mov_b64 s[0:1], -1
                                        ; implicit-def: $vgpr6
.LBB118_1951:
	s_mov_b64 s[20:21], 0
.LBB118_1952:
	s_and_b64 vcc, exec, s[20:21]
	s_cbranch_vccz .LBB118_1954
; %bb.1953:
	s_cmp_lg_u32 s23, 11
	s_mov_b64 s[14:15], -1
	s_cselect_b64 s[0:1], -1, 0
.LBB118_1954:
	s_and_b64 vcc, exec, s[0:1]
	s_cbranch_vccnz .LBB118_2019
; %bb.1955:
	s_andn2_b64 vcc, exec, s[14:15]
	s_cbranch_vccnz .LBB118_1957
.LBB118_1956:
	global_load_ubyte v6, v[4:5], off
	s_mov_b64 s[16:17], -1
	s_waitcnt vmcnt(0)
	v_cmp_ne_u16_e32 vcc, 0, v6
	v_cndmask_b32_e64 v6, 0, 1, vcc
.LBB118_1957:
	s_mov_b64 s[0:1], 0
.LBB118_1958:
	s_and_b64 vcc, exec, s[0:1]
	s_cbranch_vccz .LBB118_2007
; %bb.1959:
	s_and_b32 s14, 0xffff, s25
	s_cmp_lt_i32 s14, 5
	s_cbranch_scc1 .LBB118_1964
; %bb.1960:
	s_cmp_lt_i32 s14, 8
	s_cbranch_scc1 .LBB118_1965
; %bb.1961:
	;; [unrolled: 3-line block ×3, first 2 shown]
	s_cmp_gt_i32 s14, 9
	s_cbranch_scc0 .LBB118_1967
; %bb.1963:
	global_load_dwordx2 v[6:7], v[4:5], off
	s_mov_b64 s[0:1], 0
	s_waitcnt vmcnt(0)
	v_cvt_i32_f64_e32 v6, v[6:7]
	s_branch .LBB118_1968
.LBB118_1964:
	s_mov_b64 s[0:1], -1
                                        ; implicit-def: $vgpr6
	s_branch .LBB118_1986
.LBB118_1965:
	s_mov_b64 s[0:1], -1
                                        ; implicit-def: $vgpr6
	s_branch .LBB118_1974
.LBB118_1966:
	s_mov_b64 s[0:1], -1
                                        ; implicit-def: $vgpr6
	s_branch .LBB118_1971
.LBB118_1967:
	s_mov_b64 s[0:1], -1
                                        ; implicit-def: $vgpr6
.LBB118_1968:
	s_andn2_b64 vcc, exec, s[0:1]
	s_cbranch_vccnz .LBB118_1970
; %bb.1969:
	global_load_dword v6, v[4:5], off
	s_waitcnt vmcnt(0)
	v_cvt_i32_f32_e32 v6, v6
.LBB118_1970:
	s_mov_b64 s[0:1], 0
.LBB118_1971:
	s_andn2_b64 vcc, exec, s[0:1]
	s_cbranch_vccnz .LBB118_1973
; %bb.1972:
	global_load_dword v6, v[4:5], off
	s_waitcnt vmcnt(0)
	v_cvt_i16_f16_e32 v6, v6
.LBB118_1973:
	s_mov_b64 s[0:1], 0
.LBB118_1974:
	s_andn2_b64 vcc, exec, s[0:1]
	s_cbranch_vccnz .LBB118_1985
; %bb.1975:
	s_cmp_lt_i32 s14, 6
	s_cbranch_scc1 .LBB118_1978
; %bb.1976:
	s_cmp_gt_i32 s14, 6
	s_cbranch_scc0 .LBB118_1979
; %bb.1977:
	global_load_dwordx2 v[6:7], v[4:5], off
	s_mov_b64 s[0:1], 0
	s_waitcnt vmcnt(0)
	v_cvt_i32_f64_e32 v6, v[6:7]
	s_branch .LBB118_1980
.LBB118_1978:
	s_mov_b64 s[0:1], -1
                                        ; implicit-def: $vgpr6
	s_branch .LBB118_1983
.LBB118_1979:
	s_mov_b64 s[0:1], -1
                                        ; implicit-def: $vgpr6
.LBB118_1980:
	s_andn2_b64 vcc, exec, s[0:1]
	s_cbranch_vccnz .LBB118_1982
; %bb.1981:
	global_load_dword v6, v[4:5], off
	s_waitcnt vmcnt(0)
	v_cvt_i32_f32_e32 v6, v6
.LBB118_1982:
	s_mov_b64 s[0:1], 0
.LBB118_1983:
	s_andn2_b64 vcc, exec, s[0:1]
	s_cbranch_vccnz .LBB118_1985
; %bb.1984:
	global_load_ushort v6, v[4:5], off
	s_waitcnt vmcnt(0)
	v_cvt_i16_f16_e32 v6, v6
.LBB118_1985:
	s_mov_b64 s[0:1], 0
.LBB118_1986:
	s_andn2_b64 vcc, exec, s[0:1]
	s_cbranch_vccnz .LBB118_2006
; %bb.1987:
	s_cmp_lt_i32 s14, 2
	s_cbranch_scc1 .LBB118_1991
; %bb.1988:
	s_cmp_lt_i32 s14, 3
	s_cbranch_scc1 .LBB118_1992
; %bb.1989:
	s_cmp_gt_i32 s14, 3
	s_cbranch_scc0 .LBB118_1993
; %bb.1990:
	global_load_dwordx2 v[6:7], v[4:5], off
	s_mov_b64 s[0:1], 0
	s_branch .LBB118_1994
.LBB118_1991:
	s_mov_b64 s[0:1], -1
                                        ; implicit-def: $vgpr6
	s_branch .LBB118_2000
.LBB118_1992:
	s_mov_b64 s[0:1], -1
                                        ; implicit-def: $vgpr6
	s_branch .LBB118_1997
.LBB118_1993:
	s_mov_b64 s[0:1], -1
                                        ; implicit-def: $vgpr6
.LBB118_1994:
	s_andn2_b64 vcc, exec, s[0:1]
	s_cbranch_vccnz .LBB118_1996
; %bb.1995:
	global_load_dword v6, v[4:5], off
.LBB118_1996:
	s_mov_b64 s[0:1], 0
.LBB118_1997:
	s_andn2_b64 vcc, exec, s[0:1]
	s_cbranch_vccnz .LBB118_1999
; %bb.1998:
	global_load_ushort v6, v[4:5], off
.LBB118_1999:
	s_mov_b64 s[0:1], 0
.LBB118_2000:
	s_andn2_b64 vcc, exec, s[0:1]
	s_cbranch_vccnz .LBB118_2006
; %bb.2001:
	s_cmp_gt_i32 s14, 0
	s_cbranch_scc0 .LBB118_2003
; %bb.2002:
	global_load_sbyte v6, v[4:5], off
	s_mov_b64 s[0:1], 0
	s_branch .LBB118_2004
.LBB118_2003:
	s_mov_b64 s[0:1], -1
                                        ; implicit-def: $vgpr6
.LBB118_2004:
	s_andn2_b64 vcc, exec, s[0:1]
	s_cbranch_vccnz .LBB118_2006
; %bb.2005:
	global_load_ubyte v6, v[4:5], off
.LBB118_2006:
	s_mov_b64 s[16:17], -1
.LBB118_2007:
	s_andn2_b64 vcc, exec, s[16:17]
	s_cbranch_vccnz .LBB118_2947
; %bb.2008:
	v_add_u32_e32 v11, s13, v8
	v_ashrrev_i32_e32 v4, 31, v11
	v_mov_b32_e32 v5, s11
	s_waitcnt vmcnt(0)
	v_add_co_u32_e32 v7, vcc, s10, v11
	s_cmp_lt_i32 s24, 11
	v_addc_co_u32_e32 v8, vcc, v5, v4, vcc
	s_cbranch_scc1 .LBB118_2015
; %bb.2009:
	s_and_b32 s23, 0xffff, s24
	s_cmp_gt_i32 s23, 25
	s_mov_b64 s[14:15], 0
	s_cbranch_scc0 .LBB118_2016
; %bb.2010:
	s_cmp_gt_i32 s23, 28
	s_cbranch_scc0 .LBB118_2017
; %bb.2011:
	s_cmp_gt_i32 s23, 43
	;; [unrolled: 3-line block ×3, first 2 shown]
	s_cbranch_scc0 .LBB118_2020
; %bb.2013:
	s_cmp_eq_u32 s23, 46
	s_mov_b64 s[20:21], 0
	s_cbranch_scc0 .LBB118_2021
; %bb.2014:
	global_load_dword v4, v[7:8], off
	s_mov_b64 s[0:1], 0
	s_mov_b64 s[16:17], -1
	s_waitcnt vmcnt(0)
	v_lshlrev_b32_e32 v4, 16, v4
	v_cvt_i32_f32_e32 v4, v4
	s_branch .LBB118_2022
.LBB118_2015:
	s_mov_b64 s[0:1], -1
	s_mov_b64 s[16:17], 0
                                        ; implicit-def: $vgpr4
	s_branch .LBB118_2084
.LBB118_2016:
	s_mov_b64 s[20:21], -1
	s_mov_b64 s[16:17], 0
	s_mov_b64 s[0:1], 0
                                        ; implicit-def: $vgpr4
	s_branch .LBB118_2049
.LBB118_2017:
	s_mov_b64 s[20:21], -1
	s_mov_b64 s[16:17], 0
	s_mov_b64 s[0:1], 0
                                        ; implicit-def: $vgpr4
	s_branch .LBB118_2032
.LBB118_2018:
	s_mov_b64 s[20:21], -1
	s_mov_b64 s[16:17], 0
	s_mov_b64 s[0:1], 0
                                        ; implicit-def: $vgpr4
	s_branch .LBB118_2027
.LBB118_2019:
	s_trap 2
	s_or_b64 s[18:19], s[18:19], exec
	s_cbranch_execz .LBB118_1956
	s_branch .LBB118_1957
.LBB118_2020:
	s_mov_b64 s[20:21], -1
	s_mov_b64 s[16:17], 0
	s_mov_b64 s[0:1], 0
                                        ; implicit-def: $vgpr4
	s_branch .LBB118_2022
.LBB118_2021:
	s_mov_b64 s[0:1], -1
                                        ; implicit-def: $vgpr4
	s_mov_b64 s[16:17], 0
.LBB118_2022:
	s_and_b64 vcc, exec, s[20:21]
	s_cbranch_vccz .LBB118_2026
; %bb.2023:
	s_cmp_eq_u32 s23, 44
	s_cbranch_scc0 .LBB118_2025
; %bb.2024:
	global_load_ubyte v4, v[7:8], off
	s_mov_b64 s[0:1], 0
	s_mov_b64 s[16:17], -1
	s_waitcnt vmcnt(0)
	v_lshlrev_b32_e32 v5, 23, v4
	v_cvt_i32_f32_e32 v5, v5
	v_cmp_ne_u32_e32 vcc, 0, v4
	v_cndmask_b32_e32 v4, 0, v5, vcc
	s_branch .LBB118_2026
.LBB118_2025:
	s_mov_b64 s[0:1], -1
                                        ; implicit-def: $vgpr4
.LBB118_2026:
	s_mov_b64 s[20:21], 0
.LBB118_2027:
	s_and_b64 vcc, exec, s[20:21]
	s_cbranch_vccz .LBB118_2031
; %bb.2028:
	s_cmp_eq_u32 s23, 29
	s_cbranch_scc0 .LBB118_2030
; %bb.2029:
	global_load_dwordx2 v[4:5], v[7:8], off
	s_mov_b64 s[0:1], 0
	s_mov_b64 s[16:17], -1
	s_branch .LBB118_2031
.LBB118_2030:
	s_mov_b64 s[0:1], -1
                                        ; implicit-def: $vgpr4
.LBB118_2031:
	s_mov_b64 s[20:21], 0
.LBB118_2032:
	s_and_b64 vcc, exec, s[20:21]
	s_cbranch_vccz .LBB118_2048
; %bb.2033:
	s_cmp_lt_i32 s23, 27
	s_cbranch_scc1 .LBB118_2036
; %bb.2034:
	s_cmp_gt_i32 s23, 27
	s_cbranch_scc0 .LBB118_2037
; %bb.2035:
	global_load_dword v4, v[7:8], off
	s_mov_b64 s[16:17], 0
	s_branch .LBB118_2038
.LBB118_2036:
	s_mov_b64 s[16:17], -1
                                        ; implicit-def: $vgpr4
	s_branch .LBB118_2041
.LBB118_2037:
	s_mov_b64 s[16:17], -1
                                        ; implicit-def: $vgpr4
.LBB118_2038:
	s_andn2_b64 vcc, exec, s[16:17]
	s_cbranch_vccnz .LBB118_2040
; %bb.2039:
	global_load_ushort v4, v[7:8], off
.LBB118_2040:
	s_mov_b64 s[16:17], 0
.LBB118_2041:
	s_andn2_b64 vcc, exec, s[16:17]
	s_cbranch_vccnz .LBB118_2047
; %bb.2042:
	global_load_ubyte v5, v[7:8], off
	s_movk_i32 s16, 0x7f
	s_mov_b64 s[20:21], 0
	s_waitcnt vmcnt(0)
	v_cmp_lt_i16_e32 vcc, s16, v5
	s_and_saveexec_b64 s[16:17], vcc
	s_xor_b64 s[16:17], exec, s[16:17]
	s_cbranch_execz .LBB118_2059
; %bb.2043:
	s_movk_i32 s20, 0x80
	v_cmp_ne_u16_e32 vcc, s20, v5
	s_and_b64 s[20:21], vcc, exec
	s_andn2_saveexec_b64 s[16:17], s[16:17]
	s_cbranch_execnz .LBB118_2060
.LBB118_2044:
	s_or_b64 exec, exec, s[16:17]
	v_mov_b32_e32 v4, 0
	s_and_saveexec_b64 s[16:17], s[20:21]
	s_cbranch_execz .LBB118_2046
.LBB118_2045:
	v_lshlrev_b32_e32 v4, 24, v5
	v_and_b32_e32 v5, 0xffff, v5
	v_and_b32_e32 v9, 7, v5
	v_ffbh_u32_e32 v12, v9
	v_min_u32_e32 v12, 32, v12
	v_subrev_u32_e32 v13, 28, v12
	v_bfe_u32 v10, v5, 3, 4
	v_lshlrev_b32_e32 v5, v13, v5
	v_sub_u32_e32 v12, 29, v12
	v_and_b32_e32 v5, 7, v5
	v_cmp_eq_u32_e32 vcc, 0, v10
	v_cndmask_b32_e32 v10, v10, v12, vcc
	v_cndmask_b32_e32 v5, v9, v5, vcc
	v_mov_b32_e32 v9, 0x3b800000
	v_lshlrev_b32_e32 v5, 20, v5
	v_and_b32_e32 v4, 0x80000000, v4
	v_lshl_add_u32 v9, v10, 23, v9
	v_or3_b32 v4, v4, v9, v5
	v_cvt_i32_f32_e32 v4, v4
.LBB118_2046:
	s_or_b64 exec, exec, s[16:17]
.LBB118_2047:
	s_mov_b64 s[16:17], -1
.LBB118_2048:
	s_mov_b64 s[20:21], 0
.LBB118_2049:
	s_and_b64 vcc, exec, s[20:21]
	s_cbranch_vccz .LBB118_2080
; %bb.2050:
	s_cmp_gt_i32 s23, 22
	s_cbranch_scc0 .LBB118_2058
; %bb.2051:
	s_cmp_lt_i32 s23, 24
	s_cbranch_scc1 .LBB118_2061
; %bb.2052:
	s_cmp_gt_i32 s23, 24
	s_cbranch_scc0 .LBB118_2062
; %bb.2053:
	global_load_ubyte v5, v[7:8], off
	s_movk_i32 s14, 0x7f
	s_mov_b64 s[16:17], 0
	s_waitcnt vmcnt(0)
	v_cmp_lt_i16_e32 vcc, s14, v5
	s_and_saveexec_b64 s[14:15], vcc
	s_xor_b64 s[14:15], exec, s[14:15]
	s_cbranch_execz .LBB118_2074
; %bb.2054:
	s_movk_i32 s16, 0x80
	v_cmp_ne_u16_e32 vcc, s16, v5
	s_and_b64 s[16:17], vcc, exec
	s_andn2_saveexec_b64 s[14:15], s[14:15]
	s_cbranch_execnz .LBB118_2075
.LBB118_2055:
	s_or_b64 exec, exec, s[14:15]
	v_mov_b32_e32 v4, 0
	s_and_saveexec_b64 s[14:15], s[16:17]
	s_cbranch_execz .LBB118_2057
.LBB118_2056:
	v_lshlrev_b32_e32 v4, 24, v5
	v_and_b32_e32 v5, 0xffff, v5
	v_and_b32_e32 v9, 3, v5
	v_ffbh_u32_e32 v12, v9
	v_min_u32_e32 v12, 32, v12
	v_subrev_u32_e32 v13, 29, v12
	v_bfe_u32 v10, v5, 2, 5
	v_lshlrev_b32_e32 v5, v13, v5
	v_sub_u32_e32 v12, 30, v12
	v_and_b32_e32 v5, 3, v5
	v_cmp_eq_u32_e32 vcc, 0, v10
	v_cndmask_b32_e32 v10, v10, v12, vcc
	v_cndmask_b32_e32 v5, v9, v5, vcc
	v_mov_b32_e32 v9, 0x37800000
	v_lshlrev_b32_e32 v5, 21, v5
	v_and_b32_e32 v4, 0x80000000, v4
	v_lshl_add_u32 v9, v10, 23, v9
	v_or3_b32 v4, v4, v9, v5
	v_cvt_i32_f32_e32 v4, v4
.LBB118_2057:
	s_or_b64 exec, exec, s[14:15]
	s_mov_b64 s[14:15], 0
	s_branch .LBB118_2063
.LBB118_2058:
	s_mov_b64 s[14:15], -1
                                        ; implicit-def: $vgpr4
	s_branch .LBB118_2069
.LBB118_2059:
	s_andn2_saveexec_b64 s[16:17], s[16:17]
	s_cbranch_execz .LBB118_2044
.LBB118_2060:
	v_cmp_ne_u16_e32 vcc, 0, v5
	s_andn2_b64 s[20:21], s[20:21], exec
	s_and_b64 s[26:27], vcc, exec
	s_or_b64 s[20:21], s[20:21], s[26:27]
	s_or_b64 exec, exec, s[16:17]
	v_mov_b32_e32 v4, 0
	s_and_saveexec_b64 s[16:17], s[20:21]
	s_cbranch_execnz .LBB118_2045
	s_branch .LBB118_2046
.LBB118_2061:
	s_mov_b64 s[14:15], -1
                                        ; implicit-def: $vgpr4
	s_branch .LBB118_2066
.LBB118_2062:
	s_mov_b64 s[14:15], -1
                                        ; implicit-def: $vgpr4
.LBB118_2063:
	s_and_b64 vcc, exec, s[14:15]
	s_cbranch_vccz .LBB118_2065
; %bb.2064:
	global_load_ubyte v4, v[7:8], off
	s_mov_b32 s14, 0x7f800000
	s_waitcnt vmcnt(0)
	v_lshlrev_b32_e32 v4, 24, v4
	v_and_b32_e32 v5, 0x7f000000, v4
	v_ffbh_u32_e32 v9, v5
	v_min_u32_e32 v9, 32, v9
	v_sub_u32_e64 v9, v9, 4 clamp
	v_lshlrev_b32_e32 v12, v9, v5
	v_lshlrev_b32_e32 v9, 23, v9
	v_lshrrev_b32_e32 v12, 4, v12
	v_add_u32_e32 v10, 0x1000000, v5
	v_sub_u32_e32 v9, v12, v9
	v_ashrrev_i32_e32 v10, 8, v10
	v_add_u32_e32 v9, 0x3c000000, v9
	v_and_or_b32 v9, v10, s14, v9
	v_cmp_ne_u32_e32 vcc, 0, v5
	v_cndmask_b32_e32 v5, 0, v9, vcc
	s_brev_b32 s14, 1
	v_and_or_b32 v4, v4, s14, v5
	v_cvt_i32_f32_e32 v4, v4
.LBB118_2065:
	s_mov_b64 s[14:15], 0
.LBB118_2066:
	s_andn2_b64 vcc, exec, s[14:15]
	s_cbranch_vccnz .LBB118_2068
; %bb.2067:
	global_load_ubyte v4, v[7:8], off
	s_movk_i32 s14, 0x7f00
	s_brev_b32 s15, 16
	s_waitcnt vmcnt(0)
	v_lshlrev_b16_e32 v5, 8, v4
	v_lshlrev_b32_e32 v4, 25, v4
	v_lshrrev_b32_e32 v9, 4, v4
	v_and_or_b32 v10, v5, s14, 0.5
	v_or_b32_e32 v9, 0x70000000, v9
	v_add_f32_e32 v10, -0.5, v10
	v_mul_f32_e32 v9, 0x7800000, v9
	v_cmp_gt_u32_e32 vcc, s15, v4
	v_bfe_i32 v5, v5, 0, 16
	v_cndmask_b32_e32 v4, v9, v10, vcc
	s_brev_b32 s14, 1
	v_and_or_b32 v4, v5, s14, v4
	v_cvt_i32_f32_e32 v4, v4
.LBB118_2068:
	s_mov_b64 s[14:15], 0
	s_mov_b64 s[16:17], -1
.LBB118_2069:
	s_andn2_b64 vcc, exec, s[14:15]
	s_mov_b64 s[14:15], 0
	s_cbranch_vccnz .LBB118_2080
; %bb.2070:
	s_cmp_gt_i32 s23, 14
	s_cbranch_scc0 .LBB118_2073
; %bb.2071:
	s_cmp_eq_u32 s23, 15
	s_cbranch_scc0 .LBB118_2076
; %bb.2072:
	global_load_ushort v4, v[7:8], off
	s_mov_b64 s[0:1], 0
	s_mov_b64 s[16:17], -1
	s_waitcnt vmcnt(0)
	v_lshlrev_b32_e32 v4, 16, v4
	v_cvt_i32_f32_e32 v4, v4
	s_branch .LBB118_2077
.LBB118_2073:
	s_mov_b64 s[20:21], -1
                                        ; implicit-def: $vgpr4
	s_branch .LBB118_2078
.LBB118_2074:
	s_andn2_saveexec_b64 s[14:15], s[14:15]
	s_cbranch_execz .LBB118_2055
.LBB118_2075:
	v_cmp_ne_u16_e32 vcc, 0, v5
	s_andn2_b64 s[16:17], s[16:17], exec
	s_and_b64 s[20:21], vcc, exec
	s_or_b64 s[16:17], s[16:17], s[20:21]
	s_or_b64 exec, exec, s[14:15]
	v_mov_b32_e32 v4, 0
	s_and_saveexec_b64 s[14:15], s[16:17]
	s_cbranch_execnz .LBB118_2056
	s_branch .LBB118_2057
.LBB118_2076:
	s_mov_b64 s[0:1], -1
                                        ; implicit-def: $vgpr4
.LBB118_2077:
	s_mov_b64 s[20:21], 0
.LBB118_2078:
	s_and_b64 vcc, exec, s[20:21]
	s_cbranch_vccz .LBB118_2080
; %bb.2079:
	s_cmp_lg_u32 s23, 11
	s_mov_b64 s[14:15], -1
	s_cselect_b64 s[0:1], -1, 0
.LBB118_2080:
	s_and_b64 vcc, exec, s[0:1]
	s_cbranch_vccnz .LBB118_2145
; %bb.2081:
	s_andn2_b64 vcc, exec, s[14:15]
	s_cbranch_vccnz .LBB118_2083
.LBB118_2082:
	global_load_ubyte v4, v[7:8], off
	s_mov_b64 s[16:17], -1
	s_waitcnt vmcnt(0)
	v_cmp_ne_u16_e32 vcc, 0, v4
	v_cndmask_b32_e64 v4, 0, 1, vcc
.LBB118_2083:
	s_mov_b64 s[0:1], 0
.LBB118_2084:
	s_and_b64 vcc, exec, s[0:1]
	s_cbranch_vccz .LBB118_2133
; %bb.2085:
	s_and_b32 s14, 0xffff, s24
	s_cmp_lt_i32 s14, 5
	s_cbranch_scc1 .LBB118_2090
; %bb.2086:
	s_cmp_lt_i32 s14, 8
	s_cbranch_scc1 .LBB118_2091
; %bb.2087:
	;; [unrolled: 3-line block ×3, first 2 shown]
	s_cmp_gt_i32 s14, 9
	s_cbranch_scc0 .LBB118_2093
; %bb.2089:
	global_load_dwordx2 v[4:5], v[7:8], off
	s_mov_b64 s[0:1], 0
	s_waitcnt vmcnt(0)
	v_cvt_i32_f64_e32 v4, v[4:5]
	s_branch .LBB118_2094
.LBB118_2090:
	s_mov_b64 s[0:1], -1
                                        ; implicit-def: $vgpr4
	s_branch .LBB118_2112
.LBB118_2091:
	s_mov_b64 s[0:1], -1
                                        ; implicit-def: $vgpr4
	s_branch .LBB118_2100
.LBB118_2092:
	s_mov_b64 s[0:1], -1
                                        ; implicit-def: $vgpr4
	s_branch .LBB118_2097
.LBB118_2093:
	s_mov_b64 s[0:1], -1
                                        ; implicit-def: $vgpr4
.LBB118_2094:
	s_andn2_b64 vcc, exec, s[0:1]
	s_cbranch_vccnz .LBB118_2096
; %bb.2095:
	global_load_dword v4, v[7:8], off
	s_waitcnt vmcnt(0)
	v_cvt_i32_f32_e32 v4, v4
.LBB118_2096:
	s_mov_b64 s[0:1], 0
.LBB118_2097:
	s_andn2_b64 vcc, exec, s[0:1]
	s_cbranch_vccnz .LBB118_2099
; %bb.2098:
	global_load_dword v4, v[7:8], off
	s_waitcnt vmcnt(0)
	v_cvt_i16_f16_e32 v4, v4
.LBB118_2099:
	s_mov_b64 s[0:1], 0
.LBB118_2100:
	s_andn2_b64 vcc, exec, s[0:1]
	s_cbranch_vccnz .LBB118_2111
; %bb.2101:
	s_cmp_lt_i32 s14, 6
	s_cbranch_scc1 .LBB118_2104
; %bb.2102:
	s_cmp_gt_i32 s14, 6
	s_cbranch_scc0 .LBB118_2105
; %bb.2103:
	global_load_dwordx2 v[4:5], v[7:8], off
	s_mov_b64 s[0:1], 0
	s_waitcnt vmcnt(0)
	v_cvt_i32_f64_e32 v4, v[4:5]
	s_branch .LBB118_2106
.LBB118_2104:
	s_mov_b64 s[0:1], -1
                                        ; implicit-def: $vgpr4
	s_branch .LBB118_2109
.LBB118_2105:
	s_mov_b64 s[0:1], -1
                                        ; implicit-def: $vgpr4
.LBB118_2106:
	s_andn2_b64 vcc, exec, s[0:1]
	s_cbranch_vccnz .LBB118_2108
; %bb.2107:
	global_load_dword v4, v[7:8], off
	s_waitcnt vmcnt(0)
	v_cvt_i32_f32_e32 v4, v4
.LBB118_2108:
	s_mov_b64 s[0:1], 0
.LBB118_2109:
	s_andn2_b64 vcc, exec, s[0:1]
	s_cbranch_vccnz .LBB118_2111
; %bb.2110:
	global_load_ushort v4, v[7:8], off
	s_waitcnt vmcnt(0)
	v_cvt_i16_f16_e32 v4, v4
.LBB118_2111:
	s_mov_b64 s[0:1], 0
.LBB118_2112:
	s_andn2_b64 vcc, exec, s[0:1]
	s_cbranch_vccnz .LBB118_2132
; %bb.2113:
	s_cmp_lt_i32 s14, 2
	s_cbranch_scc1 .LBB118_2117
; %bb.2114:
	s_cmp_lt_i32 s14, 3
	s_cbranch_scc1 .LBB118_2118
; %bb.2115:
	s_cmp_gt_i32 s14, 3
	s_cbranch_scc0 .LBB118_2119
; %bb.2116:
	global_load_dwordx2 v[4:5], v[7:8], off
	s_mov_b64 s[0:1], 0
	s_branch .LBB118_2120
.LBB118_2117:
	s_mov_b64 s[0:1], -1
                                        ; implicit-def: $vgpr4
	s_branch .LBB118_2126
.LBB118_2118:
	s_mov_b64 s[0:1], -1
                                        ; implicit-def: $vgpr4
	s_branch .LBB118_2123
.LBB118_2119:
	s_mov_b64 s[0:1], -1
                                        ; implicit-def: $vgpr4
.LBB118_2120:
	s_andn2_b64 vcc, exec, s[0:1]
	s_cbranch_vccnz .LBB118_2122
; %bb.2121:
	global_load_dword v4, v[7:8], off
.LBB118_2122:
	s_mov_b64 s[0:1], 0
.LBB118_2123:
	s_andn2_b64 vcc, exec, s[0:1]
	s_cbranch_vccnz .LBB118_2125
; %bb.2124:
	global_load_ushort v4, v[7:8], off
.LBB118_2125:
	s_mov_b64 s[0:1], 0
.LBB118_2126:
	s_andn2_b64 vcc, exec, s[0:1]
	s_cbranch_vccnz .LBB118_2132
; %bb.2127:
	s_cmp_gt_i32 s14, 0
	s_cbranch_scc0 .LBB118_2129
; %bb.2128:
	global_load_sbyte v4, v[7:8], off
	s_mov_b64 s[0:1], 0
	s_branch .LBB118_2130
.LBB118_2129:
	s_mov_b64 s[0:1], -1
                                        ; implicit-def: $vgpr4
.LBB118_2130:
	s_andn2_b64 vcc, exec, s[0:1]
	s_cbranch_vccnz .LBB118_2132
; %bb.2131:
	global_load_ubyte v4, v[7:8], off
.LBB118_2132:
	s_mov_b64 s[16:17], -1
.LBB118_2133:
	s_andn2_b64 vcc, exec, s[16:17]
	s_cbranch_vccnz .LBB118_2947
; %bb.2134:
	v_add_u32_e32 v2, s22, v2
	s_waitcnt vmcnt(0)
	v_ashrrev_i32_e32 v5, 31, v2
	v_mov_b32_e32 v8, s3
	v_add_co_u32_e32 v7, vcc, s2, v2
	s_cmp_lt_i32 s25, 11
	v_addc_co_u32_e32 v8, vcc, v8, v5, vcc
	s_cbranch_scc1 .LBB118_2141
; %bb.2135:
	s_and_b32 s23, 0xffff, s25
	s_cmp_gt_i32 s23, 25
	s_mov_b64 s[14:15], 0
	s_cbranch_scc0 .LBB118_2142
; %bb.2136:
	s_cmp_gt_i32 s23, 28
	s_cbranch_scc0 .LBB118_2143
; %bb.2137:
	s_cmp_gt_i32 s23, 43
	;; [unrolled: 3-line block ×3, first 2 shown]
	s_cbranch_scc0 .LBB118_2146
; %bb.2139:
	s_cmp_eq_u32 s23, 46
	s_mov_b64 s[20:21], 0
	s_cbranch_scc0 .LBB118_2149
; %bb.2140:
	global_load_dword v5, v[7:8], off
	s_mov_b64 s[0:1], 0
	s_mov_b64 s[16:17], -1
	s_waitcnt vmcnt(0)
	v_lshlrev_b32_e32 v5, 16, v5
	v_cvt_i32_f32_e32 v9, v5
	s_branch .LBB118_2150
.LBB118_2141:
	s_mov_b64 s[0:1], -1
	s_mov_b64 s[16:17], 0
                                        ; implicit-def: $vgpr9
	s_branch .LBB118_2212
.LBB118_2142:
	s_mov_b64 s[20:21], -1
	s_mov_b64 s[16:17], 0
	s_mov_b64 s[0:1], 0
                                        ; implicit-def: $vgpr9
	s_branch .LBB118_2177
.LBB118_2143:
	s_mov_b64 s[20:21], -1
	s_mov_b64 s[16:17], 0
	s_mov_b64 s[0:1], 0
                                        ; implicit-def: $vgpr9
	s_branch .LBB118_2160
.LBB118_2144:
	s_mov_b64 s[20:21], -1
	s_mov_b64 s[16:17], 0
	s_mov_b64 s[0:1], 0
                                        ; implicit-def: $vgpr9
	s_branch .LBB118_2155
.LBB118_2145:
	s_trap 2
	s_or_b64 s[18:19], s[18:19], exec
	s_cbranch_execz .LBB118_2082
	s_branch .LBB118_2083
.LBB118_2146:
	s_mov_b64 s[20:21], -1
	s_mov_b64 s[16:17], 0
	s_mov_b64 s[0:1], 0
                                        ; implicit-def: $vgpr9
	s_branch .LBB118_2150
.LBB118_2147:
	s_andn2_saveexec_b64 s[44:45], s[44:45]
	s_cbranch_execz .LBB118_1061
.LBB118_2148:
	s_mov_b32 s49, 0x42800000
	v_add_f32_e64 v3, |v2|, s49
	v_and_b32_e32 v3, 0xff, v3
	v_cmp_ne_u32_e32 vcc, 0, v3
	s_andn2_b64 s[42:43], s[42:43], exec
	s_and_b64 s[50:51], vcc, exec
	s_or_b64 s[42:43], s[42:43], s[50:51]
	s_or_b64 exec, exec, s[44:45]
	v_mov_b32_e32 v5, 0
	s_and_saveexec_b64 s[44:45], s[42:43]
	s_cbranch_execnz .LBB118_1062
	s_branch .LBB118_1063
.LBB118_2149:
	s_mov_b64 s[0:1], -1
                                        ; implicit-def: $vgpr9
	s_mov_b64 s[16:17], 0
.LBB118_2150:
	s_and_b64 vcc, exec, s[20:21]
	s_cbranch_vccz .LBB118_2154
; %bb.2151:
	s_cmp_eq_u32 s23, 44
	s_cbranch_scc0 .LBB118_2153
; %bb.2152:
	global_load_ubyte v5, v[7:8], off
	s_mov_b64 s[0:1], 0
	s_mov_b64 s[16:17], -1
	s_waitcnt vmcnt(0)
	v_lshlrev_b32_e32 v9, 23, v5
	v_cvt_i32_f32_e32 v9, v9
	v_cmp_ne_u32_e32 vcc, 0, v5
	v_cndmask_b32_e32 v9, 0, v9, vcc
	s_branch .LBB118_2154
.LBB118_2153:
	s_mov_b64 s[0:1], -1
                                        ; implicit-def: $vgpr9
.LBB118_2154:
	s_mov_b64 s[20:21], 0
.LBB118_2155:
	s_and_b64 vcc, exec, s[20:21]
	s_cbranch_vccz .LBB118_2159
; %bb.2156:
	s_cmp_eq_u32 s23, 29
	s_cbranch_scc0 .LBB118_2158
; %bb.2157:
	global_load_dwordx2 v[9:10], v[7:8], off
	s_mov_b64 s[0:1], 0
	s_mov_b64 s[16:17], -1
	s_branch .LBB118_2159
.LBB118_2158:
	s_mov_b64 s[0:1], -1
                                        ; implicit-def: $vgpr9
.LBB118_2159:
	s_mov_b64 s[20:21], 0
.LBB118_2160:
	s_and_b64 vcc, exec, s[20:21]
	s_cbranch_vccz .LBB118_2176
; %bb.2161:
	s_cmp_lt_i32 s23, 27
	s_cbranch_scc1 .LBB118_2164
; %bb.2162:
	s_cmp_gt_i32 s23, 27
	s_cbranch_scc0 .LBB118_2165
; %bb.2163:
	global_load_dword v9, v[7:8], off
	s_mov_b64 s[16:17], 0
	s_branch .LBB118_2166
.LBB118_2164:
	s_mov_b64 s[16:17], -1
                                        ; implicit-def: $vgpr9
	s_branch .LBB118_2169
.LBB118_2165:
	s_mov_b64 s[16:17], -1
                                        ; implicit-def: $vgpr9
.LBB118_2166:
	s_andn2_b64 vcc, exec, s[16:17]
	s_cbranch_vccnz .LBB118_2168
; %bb.2167:
	global_load_ushort v9, v[7:8], off
.LBB118_2168:
	s_mov_b64 s[16:17], 0
.LBB118_2169:
	s_andn2_b64 vcc, exec, s[16:17]
	s_cbranch_vccnz .LBB118_2175
; %bb.2170:
	global_load_ubyte v5, v[7:8], off
	s_movk_i32 s16, 0x7f
	s_mov_b64 s[20:21], 0
	s_waitcnt vmcnt(0)
	v_cmp_lt_i16_e32 vcc, s16, v5
	s_and_saveexec_b64 s[16:17], vcc
	s_xor_b64 s[16:17], exec, s[16:17]
	s_cbranch_execz .LBB118_2187
; %bb.2171:
	s_movk_i32 s20, 0x80
	v_cmp_ne_u16_e32 vcc, s20, v5
	s_and_b64 s[20:21], vcc, exec
	s_andn2_saveexec_b64 s[16:17], s[16:17]
	s_cbranch_execnz .LBB118_2188
.LBB118_2172:
	s_or_b64 exec, exec, s[16:17]
	v_mov_b32_e32 v9, 0
	s_and_saveexec_b64 s[16:17], s[20:21]
	s_cbranch_execz .LBB118_2174
.LBB118_2173:
	v_lshlrev_b32_e32 v9, 24, v5
	v_and_b32_e32 v5, 0xffff, v5
	v_and_b32_e32 v10, 7, v5
	v_ffbh_u32_e32 v13, v10
	v_min_u32_e32 v13, 32, v13
	v_subrev_u32_e32 v15, 28, v13
	v_bfe_u32 v12, v5, 3, 4
	v_lshlrev_b32_e32 v5, v15, v5
	v_sub_u32_e32 v13, 29, v13
	v_and_b32_e32 v5, 7, v5
	v_cmp_eq_u32_e32 vcc, 0, v12
	v_cndmask_b32_e32 v12, v12, v13, vcc
	v_cndmask_b32_e32 v5, v10, v5, vcc
	v_mov_b32_e32 v10, 0x3b800000
	v_lshlrev_b32_e32 v5, 20, v5
	v_and_b32_e32 v9, 0x80000000, v9
	v_lshl_add_u32 v10, v12, 23, v10
	v_or3_b32 v5, v9, v10, v5
	v_cvt_i32_f32_e32 v9, v5
.LBB118_2174:
	s_or_b64 exec, exec, s[16:17]
.LBB118_2175:
	s_mov_b64 s[16:17], -1
.LBB118_2176:
	s_mov_b64 s[20:21], 0
.LBB118_2177:
	s_and_b64 vcc, exec, s[20:21]
	s_cbranch_vccz .LBB118_2208
; %bb.2178:
	s_cmp_gt_i32 s23, 22
	s_cbranch_scc0 .LBB118_2186
; %bb.2179:
	s_cmp_lt_i32 s23, 24
	s_cbranch_scc1 .LBB118_2189
; %bb.2180:
	s_cmp_gt_i32 s23, 24
	s_cbranch_scc0 .LBB118_2190
; %bb.2181:
	global_load_ubyte v5, v[7:8], off
	s_movk_i32 s14, 0x7f
	s_mov_b64 s[16:17], 0
	s_waitcnt vmcnt(0)
	v_cmp_lt_i16_e32 vcc, s14, v5
	s_and_saveexec_b64 s[14:15], vcc
	s_xor_b64 s[14:15], exec, s[14:15]
	s_cbranch_execz .LBB118_2202
; %bb.2182:
	s_movk_i32 s16, 0x80
	v_cmp_ne_u16_e32 vcc, s16, v5
	s_and_b64 s[16:17], vcc, exec
	s_andn2_saveexec_b64 s[14:15], s[14:15]
	s_cbranch_execnz .LBB118_2203
.LBB118_2183:
	s_or_b64 exec, exec, s[14:15]
	v_mov_b32_e32 v9, 0
	s_and_saveexec_b64 s[14:15], s[16:17]
	s_cbranch_execz .LBB118_2185
.LBB118_2184:
	v_lshlrev_b32_e32 v9, 24, v5
	v_and_b32_e32 v5, 0xffff, v5
	v_and_b32_e32 v10, 3, v5
	v_ffbh_u32_e32 v13, v10
	v_min_u32_e32 v13, 32, v13
	v_subrev_u32_e32 v15, 29, v13
	v_bfe_u32 v12, v5, 2, 5
	v_lshlrev_b32_e32 v5, v15, v5
	v_sub_u32_e32 v13, 30, v13
	v_and_b32_e32 v5, 3, v5
	v_cmp_eq_u32_e32 vcc, 0, v12
	v_cndmask_b32_e32 v12, v12, v13, vcc
	v_cndmask_b32_e32 v5, v10, v5, vcc
	v_mov_b32_e32 v10, 0x37800000
	v_lshlrev_b32_e32 v5, 21, v5
	v_and_b32_e32 v9, 0x80000000, v9
	v_lshl_add_u32 v10, v12, 23, v10
	v_or3_b32 v5, v9, v10, v5
	v_cvt_i32_f32_e32 v9, v5
.LBB118_2185:
	s_or_b64 exec, exec, s[14:15]
	s_mov_b64 s[14:15], 0
	s_branch .LBB118_2191
.LBB118_2186:
	s_mov_b64 s[14:15], -1
                                        ; implicit-def: $vgpr9
	s_branch .LBB118_2197
.LBB118_2187:
	s_andn2_saveexec_b64 s[16:17], s[16:17]
	s_cbranch_execz .LBB118_2172
.LBB118_2188:
	v_cmp_ne_u16_e32 vcc, 0, v5
	s_andn2_b64 s[20:21], s[20:21], exec
	s_and_b64 s[26:27], vcc, exec
	s_or_b64 s[20:21], s[20:21], s[26:27]
	s_or_b64 exec, exec, s[16:17]
	v_mov_b32_e32 v9, 0
	s_and_saveexec_b64 s[16:17], s[20:21]
	s_cbranch_execnz .LBB118_2173
	s_branch .LBB118_2174
.LBB118_2189:
	s_mov_b64 s[14:15], -1
                                        ; implicit-def: $vgpr9
	s_branch .LBB118_2194
.LBB118_2190:
	s_mov_b64 s[14:15], -1
                                        ; implicit-def: $vgpr9
.LBB118_2191:
	s_and_b64 vcc, exec, s[14:15]
	s_cbranch_vccz .LBB118_2193
; %bb.2192:
	global_load_ubyte v5, v[7:8], off
	s_mov_b32 s14, 0x7f800000
	s_waitcnt vmcnt(0)
	v_lshlrev_b32_e32 v5, 24, v5
	v_and_b32_e32 v9, 0x7f000000, v5
	v_ffbh_u32_e32 v10, v9
	v_min_u32_e32 v10, 32, v10
	v_sub_u32_e64 v10, v10, 4 clamp
	v_lshlrev_b32_e32 v13, v10, v9
	v_lshlrev_b32_e32 v10, 23, v10
	v_lshrrev_b32_e32 v13, 4, v13
	v_add_u32_e32 v12, 0x1000000, v9
	v_sub_u32_e32 v10, v13, v10
	v_ashrrev_i32_e32 v12, 8, v12
	v_add_u32_e32 v10, 0x3c000000, v10
	v_and_or_b32 v10, v12, s14, v10
	v_cmp_ne_u32_e32 vcc, 0, v9
	v_cndmask_b32_e32 v9, 0, v10, vcc
	s_brev_b32 s14, 1
	v_and_or_b32 v5, v5, s14, v9
	v_cvt_i32_f32_e32 v9, v5
.LBB118_2193:
	s_mov_b64 s[14:15], 0
.LBB118_2194:
	s_andn2_b64 vcc, exec, s[14:15]
	s_cbranch_vccnz .LBB118_2196
; %bb.2195:
	global_load_ubyte v5, v[7:8], off
	s_movk_i32 s14, 0x7f00
	s_brev_b32 s15, 16
	s_waitcnt vmcnt(0)
	v_lshlrev_b16_e32 v9, 8, v5
	v_lshlrev_b32_e32 v5, 25, v5
	v_lshrrev_b32_e32 v10, 4, v5
	v_and_or_b32 v12, v9, s14, 0.5
	v_or_b32_e32 v10, 0x70000000, v10
	v_add_f32_e32 v12, -0.5, v12
	v_mul_f32_e32 v10, 0x7800000, v10
	v_cmp_gt_u32_e32 vcc, s15, v5
	v_bfe_i32 v9, v9, 0, 16
	v_cndmask_b32_e32 v5, v10, v12, vcc
	s_brev_b32 s14, 1
	v_and_or_b32 v5, v9, s14, v5
	v_cvt_i32_f32_e32 v9, v5
.LBB118_2196:
	s_mov_b64 s[14:15], 0
	s_mov_b64 s[16:17], -1
.LBB118_2197:
	s_andn2_b64 vcc, exec, s[14:15]
	s_mov_b64 s[14:15], 0
	s_cbranch_vccnz .LBB118_2208
; %bb.2198:
	s_cmp_gt_i32 s23, 14
	s_cbranch_scc0 .LBB118_2201
; %bb.2199:
	s_cmp_eq_u32 s23, 15
	s_cbranch_scc0 .LBB118_2204
; %bb.2200:
	global_load_ushort v5, v[7:8], off
	s_mov_b64 s[0:1], 0
	s_mov_b64 s[16:17], -1
	s_waitcnt vmcnt(0)
	v_lshlrev_b32_e32 v5, 16, v5
	v_cvt_i32_f32_e32 v9, v5
	s_branch .LBB118_2205
.LBB118_2201:
	s_mov_b64 s[20:21], -1
                                        ; implicit-def: $vgpr9
	s_branch .LBB118_2206
.LBB118_2202:
	s_andn2_saveexec_b64 s[14:15], s[14:15]
	s_cbranch_execz .LBB118_2183
.LBB118_2203:
	v_cmp_ne_u16_e32 vcc, 0, v5
	s_andn2_b64 s[16:17], s[16:17], exec
	s_and_b64 s[20:21], vcc, exec
	s_or_b64 s[16:17], s[16:17], s[20:21]
	s_or_b64 exec, exec, s[14:15]
	v_mov_b32_e32 v9, 0
	s_and_saveexec_b64 s[14:15], s[16:17]
	s_cbranch_execnz .LBB118_2184
	s_branch .LBB118_2185
.LBB118_2204:
	s_mov_b64 s[0:1], -1
                                        ; implicit-def: $vgpr9
.LBB118_2205:
	s_mov_b64 s[20:21], 0
.LBB118_2206:
	s_and_b64 vcc, exec, s[20:21]
	s_cbranch_vccz .LBB118_2208
; %bb.2207:
	s_cmp_lg_u32 s23, 11
	s_mov_b64 s[14:15], -1
	s_cselect_b64 s[0:1], -1, 0
.LBB118_2208:
	s_and_b64 vcc, exec, s[0:1]
	s_cbranch_vccnz .LBB118_2273
; %bb.2209:
	s_andn2_b64 vcc, exec, s[14:15]
	s_cbranch_vccnz .LBB118_2211
.LBB118_2210:
	global_load_ubyte v5, v[7:8], off
	s_mov_b64 s[16:17], -1
	s_waitcnt vmcnt(0)
	v_cmp_ne_u16_e32 vcc, 0, v5
	v_cndmask_b32_e64 v9, 0, 1, vcc
.LBB118_2211:
	s_mov_b64 s[0:1], 0
.LBB118_2212:
	s_and_b64 vcc, exec, s[0:1]
	s_cbranch_vccz .LBB118_2261
; %bb.2213:
	s_and_b32 s14, 0xffff, s25
	s_cmp_lt_i32 s14, 5
	s_cbranch_scc1 .LBB118_2218
; %bb.2214:
	s_cmp_lt_i32 s14, 8
	s_cbranch_scc1 .LBB118_2219
; %bb.2215:
	;; [unrolled: 3-line block ×3, first 2 shown]
	s_cmp_gt_i32 s14, 9
	s_cbranch_scc0 .LBB118_2221
; %bb.2217:
	global_load_dwordx2 v[9:10], v[7:8], off
	s_mov_b64 s[0:1], 0
	s_waitcnt vmcnt(0)
	v_cvt_i32_f64_e32 v9, v[9:10]
	s_branch .LBB118_2222
.LBB118_2218:
	s_mov_b64 s[0:1], -1
                                        ; implicit-def: $vgpr9
	s_branch .LBB118_2240
.LBB118_2219:
	s_mov_b64 s[0:1], -1
                                        ; implicit-def: $vgpr9
	s_branch .LBB118_2228
.LBB118_2220:
	s_mov_b64 s[0:1], -1
                                        ; implicit-def: $vgpr9
	s_branch .LBB118_2225
.LBB118_2221:
	s_mov_b64 s[0:1], -1
                                        ; implicit-def: $vgpr9
.LBB118_2222:
	s_andn2_b64 vcc, exec, s[0:1]
	s_cbranch_vccnz .LBB118_2224
; %bb.2223:
	global_load_dword v5, v[7:8], off
	s_waitcnt vmcnt(0)
	v_cvt_i32_f32_e32 v9, v5
.LBB118_2224:
	s_mov_b64 s[0:1], 0
.LBB118_2225:
	s_andn2_b64 vcc, exec, s[0:1]
	s_cbranch_vccnz .LBB118_2227
; %bb.2226:
	global_load_dword v5, v[7:8], off
	s_waitcnt vmcnt(0)
	v_cvt_i16_f16_e32 v9, v5
.LBB118_2227:
	s_mov_b64 s[0:1], 0
.LBB118_2228:
	s_andn2_b64 vcc, exec, s[0:1]
	s_cbranch_vccnz .LBB118_2239
; %bb.2229:
	s_cmp_lt_i32 s14, 6
	s_cbranch_scc1 .LBB118_2232
; %bb.2230:
	s_cmp_gt_i32 s14, 6
	s_cbranch_scc0 .LBB118_2233
; %bb.2231:
	global_load_dwordx2 v[9:10], v[7:8], off
	s_mov_b64 s[0:1], 0
	s_waitcnt vmcnt(0)
	v_cvt_i32_f64_e32 v9, v[9:10]
	s_branch .LBB118_2234
.LBB118_2232:
	s_mov_b64 s[0:1], -1
                                        ; implicit-def: $vgpr9
	s_branch .LBB118_2237
.LBB118_2233:
	s_mov_b64 s[0:1], -1
                                        ; implicit-def: $vgpr9
.LBB118_2234:
	s_andn2_b64 vcc, exec, s[0:1]
	s_cbranch_vccnz .LBB118_2236
; %bb.2235:
	global_load_dword v5, v[7:8], off
	s_waitcnt vmcnt(0)
	v_cvt_i32_f32_e32 v9, v5
.LBB118_2236:
	s_mov_b64 s[0:1], 0
.LBB118_2237:
	s_andn2_b64 vcc, exec, s[0:1]
	s_cbranch_vccnz .LBB118_2239
; %bb.2238:
	global_load_ushort v5, v[7:8], off
	s_waitcnt vmcnt(0)
	v_cvt_i16_f16_e32 v9, v5
.LBB118_2239:
	s_mov_b64 s[0:1], 0
.LBB118_2240:
	s_andn2_b64 vcc, exec, s[0:1]
	s_cbranch_vccnz .LBB118_2260
; %bb.2241:
	s_cmp_lt_i32 s14, 2
	s_cbranch_scc1 .LBB118_2245
; %bb.2242:
	s_cmp_lt_i32 s14, 3
	s_cbranch_scc1 .LBB118_2246
; %bb.2243:
	s_cmp_gt_i32 s14, 3
	s_cbranch_scc0 .LBB118_2247
; %bb.2244:
	global_load_dwordx2 v[9:10], v[7:8], off
	s_mov_b64 s[0:1], 0
	s_branch .LBB118_2248
.LBB118_2245:
	s_mov_b64 s[0:1], -1
                                        ; implicit-def: $vgpr9
	s_branch .LBB118_2254
.LBB118_2246:
	s_mov_b64 s[0:1], -1
                                        ; implicit-def: $vgpr9
	s_branch .LBB118_2251
.LBB118_2247:
	s_mov_b64 s[0:1], -1
                                        ; implicit-def: $vgpr9
.LBB118_2248:
	s_andn2_b64 vcc, exec, s[0:1]
	s_cbranch_vccnz .LBB118_2250
; %bb.2249:
	global_load_dword v9, v[7:8], off
.LBB118_2250:
	s_mov_b64 s[0:1], 0
.LBB118_2251:
	s_andn2_b64 vcc, exec, s[0:1]
	s_cbranch_vccnz .LBB118_2253
; %bb.2252:
	global_load_ushort v9, v[7:8], off
.LBB118_2253:
	s_mov_b64 s[0:1], 0
.LBB118_2254:
	s_andn2_b64 vcc, exec, s[0:1]
	s_cbranch_vccnz .LBB118_2260
; %bb.2255:
	s_cmp_gt_i32 s14, 0
	s_cbranch_scc0 .LBB118_2257
; %bb.2256:
	global_load_sbyte v9, v[7:8], off
	s_mov_b64 s[0:1], 0
	s_branch .LBB118_2258
.LBB118_2257:
	s_mov_b64 s[0:1], -1
                                        ; implicit-def: $vgpr9
.LBB118_2258:
	s_andn2_b64 vcc, exec, s[0:1]
	s_cbranch_vccnz .LBB118_2260
; %bb.2259:
	global_load_ubyte v9, v[7:8], off
.LBB118_2260:
	s_mov_b64 s[16:17], -1
.LBB118_2261:
	s_andn2_b64 vcc, exec, s[16:17]
	s_cbranch_vccnz .LBB118_2947
; %bb.2262:
	v_add_u32_e32 v5, s13, v11
	v_ashrrev_i32_e32 v7, 31, v5
	v_mov_b32_e32 v8, s11
	s_waitcnt vmcnt(0)
	v_add_co_u32_e32 v10, vcc, s10, v5
	s_cmp_lt_i32 s24, 11
	v_addc_co_u32_e32 v11, vcc, v8, v7, vcc
	s_cbranch_scc1 .LBB118_2269
; %bb.2263:
	s_and_b32 s13, 0xffff, s24
	s_cmp_gt_i32 s13, 25
	s_mov_b64 s[10:11], 0
	s_cbranch_scc0 .LBB118_2270
; %bb.2264:
	s_cmp_gt_i32 s13, 28
	s_cbranch_scc0 .LBB118_2271
; %bb.2265:
	s_cmp_gt_i32 s13, 43
	;; [unrolled: 3-line block ×3, first 2 shown]
	s_cbranch_scc0 .LBB118_2274
; %bb.2267:
	s_cmp_eq_u32 s13, 46
	s_mov_b64 s[16:17], 0
	s_cbranch_scc0 .LBB118_2275
; %bb.2268:
	global_load_dword v5, v[10:11], off
	s_mov_b64 s[0:1], 0
	s_mov_b64 s[14:15], -1
	s_waitcnt vmcnt(0)
	v_lshlrev_b32_e32 v5, 16, v5
	v_cvt_i32_f32_e32 v7, v5
	s_branch .LBB118_2276
.LBB118_2269:
	s_mov_b64 s[0:1], -1
	s_mov_b64 s[14:15], 0
                                        ; implicit-def: $vgpr7
	s_branch .LBB118_2338
.LBB118_2270:
	s_mov_b64 s[16:17], -1
	s_mov_b64 s[14:15], 0
	s_mov_b64 s[0:1], 0
                                        ; implicit-def: $vgpr7
	s_branch .LBB118_2303
.LBB118_2271:
	s_mov_b64 s[16:17], -1
	s_mov_b64 s[14:15], 0
	s_mov_b64 s[0:1], 0
                                        ; implicit-def: $vgpr7
	s_branch .LBB118_2286
.LBB118_2272:
	s_mov_b64 s[16:17], -1
	s_mov_b64 s[14:15], 0
	s_mov_b64 s[0:1], 0
                                        ; implicit-def: $vgpr7
	s_branch .LBB118_2281
.LBB118_2273:
	s_trap 2
	s_or_b64 s[18:19], s[18:19], exec
	s_cbranch_execz .LBB118_2210
	s_branch .LBB118_2211
.LBB118_2274:
	s_mov_b64 s[16:17], -1
	s_mov_b64 s[14:15], 0
	s_mov_b64 s[0:1], 0
                                        ; implicit-def: $vgpr7
	s_branch .LBB118_2276
.LBB118_2275:
	s_mov_b64 s[0:1], -1
                                        ; implicit-def: $vgpr7
	s_mov_b64 s[14:15], 0
.LBB118_2276:
	s_and_b64 vcc, exec, s[16:17]
	s_cbranch_vccz .LBB118_2280
; %bb.2277:
	s_cmp_eq_u32 s13, 44
	s_cbranch_scc0 .LBB118_2279
; %bb.2278:
	global_load_ubyte v5, v[10:11], off
	s_mov_b64 s[0:1], 0
	s_mov_b64 s[14:15], -1
	s_waitcnt vmcnt(0)
	v_lshlrev_b32_e32 v7, 23, v5
	v_cvt_i32_f32_e32 v7, v7
	v_cmp_ne_u32_e32 vcc, 0, v5
	v_cndmask_b32_e32 v7, 0, v7, vcc
	s_branch .LBB118_2280
.LBB118_2279:
	s_mov_b64 s[0:1], -1
                                        ; implicit-def: $vgpr7
.LBB118_2280:
	s_mov_b64 s[16:17], 0
.LBB118_2281:
	s_and_b64 vcc, exec, s[16:17]
	s_cbranch_vccz .LBB118_2285
; %bb.2282:
	s_cmp_eq_u32 s13, 29
	s_cbranch_scc0 .LBB118_2284
; %bb.2283:
	global_load_dwordx2 v[7:8], v[10:11], off
	s_mov_b64 s[0:1], 0
	s_mov_b64 s[14:15], -1
	s_branch .LBB118_2285
.LBB118_2284:
	s_mov_b64 s[0:1], -1
                                        ; implicit-def: $vgpr7
.LBB118_2285:
	s_mov_b64 s[16:17], 0
.LBB118_2286:
	s_and_b64 vcc, exec, s[16:17]
	s_cbranch_vccz .LBB118_2302
; %bb.2287:
	s_cmp_lt_i32 s13, 27
	s_cbranch_scc1 .LBB118_2290
; %bb.2288:
	s_cmp_gt_i32 s13, 27
	s_cbranch_scc0 .LBB118_2291
; %bb.2289:
	global_load_dword v7, v[10:11], off
	s_mov_b64 s[14:15], 0
	s_branch .LBB118_2292
.LBB118_2290:
	s_mov_b64 s[14:15], -1
                                        ; implicit-def: $vgpr7
	s_branch .LBB118_2295
.LBB118_2291:
	s_mov_b64 s[14:15], -1
                                        ; implicit-def: $vgpr7
.LBB118_2292:
	s_andn2_b64 vcc, exec, s[14:15]
	s_cbranch_vccnz .LBB118_2294
; %bb.2293:
	global_load_ushort v7, v[10:11], off
.LBB118_2294:
	s_mov_b64 s[14:15], 0
.LBB118_2295:
	s_andn2_b64 vcc, exec, s[14:15]
	s_cbranch_vccnz .LBB118_2301
; %bb.2296:
	global_load_ubyte v5, v[10:11], off
	s_movk_i32 s14, 0x7f
	s_mov_b64 s[16:17], 0
	s_waitcnt vmcnt(0)
	v_cmp_lt_i16_e32 vcc, s14, v5
	s_and_saveexec_b64 s[14:15], vcc
	s_xor_b64 s[14:15], exec, s[14:15]
	s_cbranch_execz .LBB118_2313
; %bb.2297:
	s_movk_i32 s16, 0x80
	v_cmp_ne_u16_e32 vcc, s16, v5
	s_and_b64 s[16:17], vcc, exec
	s_andn2_saveexec_b64 s[14:15], s[14:15]
	s_cbranch_execnz .LBB118_2314
.LBB118_2298:
	s_or_b64 exec, exec, s[14:15]
	v_mov_b32_e32 v7, 0
	s_and_saveexec_b64 s[14:15], s[16:17]
	s_cbranch_execz .LBB118_2300
.LBB118_2299:
	v_lshlrev_b32_e32 v7, 24, v5
	v_and_b32_e32 v5, 0xffff, v5
	v_and_b32_e32 v8, 7, v5
	v_ffbh_u32_e32 v13, v8
	v_min_u32_e32 v13, 32, v13
	v_subrev_u32_e32 v15, 28, v13
	v_bfe_u32 v12, v5, 3, 4
	v_lshlrev_b32_e32 v5, v15, v5
	v_sub_u32_e32 v13, 29, v13
	v_and_b32_e32 v5, 7, v5
	v_cmp_eq_u32_e32 vcc, 0, v12
	v_cndmask_b32_e32 v12, v12, v13, vcc
	v_cndmask_b32_e32 v5, v8, v5, vcc
	v_mov_b32_e32 v8, 0x3b800000
	v_lshlrev_b32_e32 v5, 20, v5
	v_and_b32_e32 v7, 0x80000000, v7
	v_lshl_add_u32 v8, v12, 23, v8
	v_or3_b32 v5, v7, v8, v5
	v_cvt_i32_f32_e32 v7, v5
.LBB118_2300:
	s_or_b64 exec, exec, s[14:15]
.LBB118_2301:
	s_mov_b64 s[14:15], -1
.LBB118_2302:
	s_mov_b64 s[16:17], 0
.LBB118_2303:
	s_and_b64 vcc, exec, s[16:17]
	s_cbranch_vccz .LBB118_2334
; %bb.2304:
	s_cmp_gt_i32 s13, 22
	s_cbranch_scc0 .LBB118_2312
; %bb.2305:
	s_cmp_lt_i32 s13, 24
	s_cbranch_scc1 .LBB118_2315
; %bb.2306:
	s_cmp_gt_i32 s13, 24
	s_cbranch_scc0 .LBB118_2316
; %bb.2307:
	global_load_ubyte v5, v[10:11], off
	s_movk_i32 s10, 0x7f
	s_mov_b64 s[14:15], 0
	s_waitcnt vmcnt(0)
	v_cmp_lt_i16_e32 vcc, s10, v5
	s_and_saveexec_b64 s[10:11], vcc
	s_xor_b64 s[10:11], exec, s[10:11]
	s_cbranch_execz .LBB118_2328
; %bb.2308:
	s_movk_i32 s14, 0x80
	v_cmp_ne_u16_e32 vcc, s14, v5
	s_and_b64 s[14:15], vcc, exec
	s_andn2_saveexec_b64 s[10:11], s[10:11]
	s_cbranch_execnz .LBB118_2329
.LBB118_2309:
	s_or_b64 exec, exec, s[10:11]
	v_mov_b32_e32 v7, 0
	s_and_saveexec_b64 s[10:11], s[14:15]
	s_cbranch_execz .LBB118_2311
.LBB118_2310:
	v_lshlrev_b32_e32 v7, 24, v5
	v_and_b32_e32 v5, 0xffff, v5
	v_and_b32_e32 v8, 3, v5
	v_ffbh_u32_e32 v13, v8
	v_min_u32_e32 v13, 32, v13
	v_subrev_u32_e32 v15, 29, v13
	v_bfe_u32 v12, v5, 2, 5
	v_lshlrev_b32_e32 v5, v15, v5
	v_sub_u32_e32 v13, 30, v13
	v_and_b32_e32 v5, 3, v5
	v_cmp_eq_u32_e32 vcc, 0, v12
	v_cndmask_b32_e32 v12, v12, v13, vcc
	v_cndmask_b32_e32 v5, v8, v5, vcc
	v_mov_b32_e32 v8, 0x37800000
	v_lshlrev_b32_e32 v5, 21, v5
	v_and_b32_e32 v7, 0x80000000, v7
	v_lshl_add_u32 v8, v12, 23, v8
	v_or3_b32 v5, v7, v8, v5
	v_cvt_i32_f32_e32 v7, v5
.LBB118_2311:
	s_or_b64 exec, exec, s[10:11]
	s_mov_b64 s[10:11], 0
	s_branch .LBB118_2317
.LBB118_2312:
	s_mov_b64 s[10:11], -1
                                        ; implicit-def: $vgpr7
	s_branch .LBB118_2323
.LBB118_2313:
	s_andn2_saveexec_b64 s[14:15], s[14:15]
	s_cbranch_execz .LBB118_2298
.LBB118_2314:
	v_cmp_ne_u16_e32 vcc, 0, v5
	s_andn2_b64 s[16:17], s[16:17], exec
	s_and_b64 s[20:21], vcc, exec
	s_or_b64 s[16:17], s[16:17], s[20:21]
	s_or_b64 exec, exec, s[14:15]
	v_mov_b32_e32 v7, 0
	s_and_saveexec_b64 s[14:15], s[16:17]
	s_cbranch_execnz .LBB118_2299
	s_branch .LBB118_2300
.LBB118_2315:
	s_mov_b64 s[10:11], -1
                                        ; implicit-def: $vgpr7
	s_branch .LBB118_2320
.LBB118_2316:
	s_mov_b64 s[10:11], -1
                                        ; implicit-def: $vgpr7
.LBB118_2317:
	s_and_b64 vcc, exec, s[10:11]
	s_cbranch_vccz .LBB118_2319
; %bb.2318:
	global_load_ubyte v5, v[10:11], off
	s_mov_b32 s10, 0x7f800000
	s_waitcnt vmcnt(0)
	v_lshlrev_b32_e32 v5, 24, v5
	v_and_b32_e32 v7, 0x7f000000, v5
	v_ffbh_u32_e32 v8, v7
	v_min_u32_e32 v8, 32, v8
	v_sub_u32_e64 v8, v8, 4 clamp
	v_lshlrev_b32_e32 v13, v8, v7
	v_lshlrev_b32_e32 v8, 23, v8
	v_lshrrev_b32_e32 v13, 4, v13
	v_add_u32_e32 v12, 0x1000000, v7
	v_sub_u32_e32 v8, v13, v8
	v_ashrrev_i32_e32 v12, 8, v12
	v_add_u32_e32 v8, 0x3c000000, v8
	v_and_or_b32 v8, v12, s10, v8
	v_cmp_ne_u32_e32 vcc, 0, v7
	v_cndmask_b32_e32 v7, 0, v8, vcc
	s_brev_b32 s10, 1
	v_and_or_b32 v5, v5, s10, v7
	v_cvt_i32_f32_e32 v7, v5
.LBB118_2319:
	s_mov_b64 s[10:11], 0
.LBB118_2320:
	s_andn2_b64 vcc, exec, s[10:11]
	s_cbranch_vccnz .LBB118_2322
; %bb.2321:
	global_load_ubyte v5, v[10:11], off
	s_movk_i32 s10, 0x7f00
	s_brev_b32 s11, 16
	s_waitcnt vmcnt(0)
	v_lshlrev_b16_e32 v7, 8, v5
	v_lshlrev_b32_e32 v5, 25, v5
	v_lshrrev_b32_e32 v8, 4, v5
	v_and_or_b32 v12, v7, s10, 0.5
	v_or_b32_e32 v8, 0x70000000, v8
	v_add_f32_e32 v12, -0.5, v12
	v_mul_f32_e32 v8, 0x7800000, v8
	v_cmp_gt_u32_e32 vcc, s11, v5
	v_bfe_i32 v7, v7, 0, 16
	v_cndmask_b32_e32 v5, v8, v12, vcc
	s_brev_b32 s10, 1
	v_and_or_b32 v5, v7, s10, v5
	v_cvt_i32_f32_e32 v7, v5
.LBB118_2322:
	s_mov_b64 s[10:11], 0
	s_mov_b64 s[14:15], -1
.LBB118_2323:
	s_andn2_b64 vcc, exec, s[10:11]
	s_mov_b64 s[10:11], 0
	s_cbranch_vccnz .LBB118_2334
; %bb.2324:
	s_cmp_gt_i32 s13, 14
	s_cbranch_scc0 .LBB118_2327
; %bb.2325:
	s_cmp_eq_u32 s13, 15
	s_cbranch_scc0 .LBB118_2330
; %bb.2326:
	global_load_ushort v5, v[10:11], off
	s_mov_b64 s[0:1], 0
	s_mov_b64 s[14:15], -1
	s_waitcnt vmcnt(0)
	v_lshlrev_b32_e32 v5, 16, v5
	v_cvt_i32_f32_e32 v7, v5
	s_branch .LBB118_2331
.LBB118_2327:
	s_mov_b64 s[16:17], -1
                                        ; implicit-def: $vgpr7
	s_branch .LBB118_2332
.LBB118_2328:
	s_andn2_saveexec_b64 s[10:11], s[10:11]
	s_cbranch_execz .LBB118_2309
.LBB118_2329:
	v_cmp_ne_u16_e32 vcc, 0, v5
	s_andn2_b64 s[14:15], s[14:15], exec
	s_and_b64 s[16:17], vcc, exec
	s_or_b64 s[14:15], s[14:15], s[16:17]
	s_or_b64 exec, exec, s[10:11]
	v_mov_b32_e32 v7, 0
	s_and_saveexec_b64 s[10:11], s[14:15]
	s_cbranch_execnz .LBB118_2310
	s_branch .LBB118_2311
.LBB118_2330:
	s_mov_b64 s[0:1], -1
                                        ; implicit-def: $vgpr7
.LBB118_2331:
	s_mov_b64 s[16:17], 0
.LBB118_2332:
	s_and_b64 vcc, exec, s[16:17]
	s_cbranch_vccz .LBB118_2334
; %bb.2333:
	s_cmp_lg_u32 s13, 11
	s_mov_b64 s[10:11], -1
	s_cselect_b64 s[0:1], -1, 0
.LBB118_2334:
	s_and_b64 vcc, exec, s[0:1]
	s_cbranch_vccnz .LBB118_2399
; %bb.2335:
	s_andn2_b64 vcc, exec, s[10:11]
	s_cbranch_vccnz .LBB118_2337
.LBB118_2336:
	global_load_ubyte v5, v[10:11], off
	s_mov_b64 s[14:15], -1
	s_waitcnt vmcnt(0)
	v_cmp_ne_u16_e32 vcc, 0, v5
	v_cndmask_b32_e64 v7, 0, 1, vcc
.LBB118_2337:
	s_mov_b64 s[0:1], 0
.LBB118_2338:
	s_and_b64 vcc, exec, s[0:1]
	s_cbranch_vccz .LBB118_2387
; %bb.2339:
	s_and_b32 s10, 0xffff, s24
	s_cmp_lt_i32 s10, 5
	s_cbranch_scc1 .LBB118_2344
; %bb.2340:
	s_cmp_lt_i32 s10, 8
	s_cbranch_scc1 .LBB118_2345
; %bb.2341:
	;; [unrolled: 3-line block ×3, first 2 shown]
	s_cmp_gt_i32 s10, 9
	s_cbranch_scc0 .LBB118_2347
; %bb.2343:
	global_load_dwordx2 v[7:8], v[10:11], off
	s_mov_b64 s[0:1], 0
	s_waitcnt vmcnt(0)
	v_cvt_i32_f64_e32 v7, v[7:8]
	s_branch .LBB118_2348
.LBB118_2344:
	s_mov_b64 s[0:1], -1
                                        ; implicit-def: $vgpr7
	s_branch .LBB118_2366
.LBB118_2345:
	s_mov_b64 s[0:1], -1
                                        ; implicit-def: $vgpr7
	s_branch .LBB118_2354
.LBB118_2346:
	s_mov_b64 s[0:1], -1
                                        ; implicit-def: $vgpr7
	s_branch .LBB118_2351
.LBB118_2347:
	s_mov_b64 s[0:1], -1
                                        ; implicit-def: $vgpr7
.LBB118_2348:
	s_andn2_b64 vcc, exec, s[0:1]
	s_cbranch_vccnz .LBB118_2350
; %bb.2349:
	global_load_dword v5, v[10:11], off
	s_waitcnt vmcnt(0)
	v_cvt_i32_f32_e32 v7, v5
.LBB118_2350:
	s_mov_b64 s[0:1], 0
.LBB118_2351:
	s_andn2_b64 vcc, exec, s[0:1]
	s_cbranch_vccnz .LBB118_2353
; %bb.2352:
	global_load_dword v5, v[10:11], off
	s_waitcnt vmcnt(0)
	v_cvt_i16_f16_e32 v7, v5
.LBB118_2353:
	s_mov_b64 s[0:1], 0
.LBB118_2354:
	s_andn2_b64 vcc, exec, s[0:1]
	s_cbranch_vccnz .LBB118_2365
; %bb.2355:
	s_cmp_lt_i32 s10, 6
	s_cbranch_scc1 .LBB118_2358
; %bb.2356:
	s_cmp_gt_i32 s10, 6
	s_cbranch_scc0 .LBB118_2359
; %bb.2357:
	global_load_dwordx2 v[7:8], v[10:11], off
	s_mov_b64 s[0:1], 0
	s_waitcnt vmcnt(0)
	v_cvt_i32_f64_e32 v7, v[7:8]
	s_branch .LBB118_2360
.LBB118_2358:
	s_mov_b64 s[0:1], -1
                                        ; implicit-def: $vgpr7
	s_branch .LBB118_2363
.LBB118_2359:
	s_mov_b64 s[0:1], -1
                                        ; implicit-def: $vgpr7
.LBB118_2360:
	s_andn2_b64 vcc, exec, s[0:1]
	s_cbranch_vccnz .LBB118_2362
; %bb.2361:
	global_load_dword v5, v[10:11], off
	s_waitcnt vmcnt(0)
	v_cvt_i32_f32_e32 v7, v5
.LBB118_2362:
	s_mov_b64 s[0:1], 0
.LBB118_2363:
	s_andn2_b64 vcc, exec, s[0:1]
	s_cbranch_vccnz .LBB118_2365
; %bb.2364:
	global_load_ushort v5, v[10:11], off
	s_waitcnt vmcnt(0)
	v_cvt_i16_f16_e32 v7, v5
.LBB118_2365:
	s_mov_b64 s[0:1], 0
.LBB118_2366:
	s_andn2_b64 vcc, exec, s[0:1]
	s_cbranch_vccnz .LBB118_2386
; %bb.2367:
	s_cmp_lt_i32 s10, 2
	s_cbranch_scc1 .LBB118_2371
; %bb.2368:
	s_cmp_lt_i32 s10, 3
	s_cbranch_scc1 .LBB118_2372
; %bb.2369:
	s_cmp_gt_i32 s10, 3
	s_cbranch_scc0 .LBB118_2373
; %bb.2370:
	global_load_dwordx2 v[7:8], v[10:11], off
	s_mov_b64 s[0:1], 0
	s_branch .LBB118_2374
.LBB118_2371:
	s_mov_b64 s[0:1], -1
                                        ; implicit-def: $vgpr7
	s_branch .LBB118_2380
.LBB118_2372:
	s_mov_b64 s[0:1], -1
                                        ; implicit-def: $vgpr7
	s_branch .LBB118_2377
.LBB118_2373:
	s_mov_b64 s[0:1], -1
                                        ; implicit-def: $vgpr7
.LBB118_2374:
	s_andn2_b64 vcc, exec, s[0:1]
	s_cbranch_vccnz .LBB118_2376
; %bb.2375:
	global_load_dword v7, v[10:11], off
.LBB118_2376:
	s_mov_b64 s[0:1], 0
.LBB118_2377:
	s_andn2_b64 vcc, exec, s[0:1]
	s_cbranch_vccnz .LBB118_2379
; %bb.2378:
	global_load_ushort v7, v[10:11], off
.LBB118_2379:
	s_mov_b64 s[0:1], 0
.LBB118_2380:
	s_andn2_b64 vcc, exec, s[0:1]
	s_cbranch_vccnz .LBB118_2386
; %bb.2381:
	s_cmp_gt_i32 s10, 0
	s_cbranch_scc0 .LBB118_2383
; %bb.2382:
	global_load_sbyte v7, v[10:11], off
	s_mov_b64 s[0:1], 0
	s_branch .LBB118_2384
.LBB118_2383:
	s_mov_b64 s[0:1], -1
                                        ; implicit-def: $vgpr7
.LBB118_2384:
	s_andn2_b64 vcc, exec, s[0:1]
	s_cbranch_vccnz .LBB118_2386
; %bb.2385:
	global_load_ubyte v7, v[10:11], off
.LBB118_2386:
	s_mov_b64 s[14:15], -1
.LBB118_2387:
	s_andn2_b64 vcc, exec, s[14:15]
	s_cbranch_vccnz .LBB118_2947
; %bb.2388:
	v_add_u32_e32 v2, s22, v2
	v_ashrrev_i32_e32 v5, 31, v2
	s_waitcnt vmcnt(0)
	v_mov_b32_e32 v8, s3
	v_add_co_u32_e32 v12, vcc, s2, v2
	s_cmp_lt_i32 s25, 11
	v_addc_co_u32_e32 v13, vcc, v8, v5, vcc
	s_cbranch_scc1 .LBB118_2395
; %bb.2389:
	s_and_b32 s13, 0xffff, s25
	s_cmp_gt_i32 s13, 25
	s_mov_b64 s[2:3], 0
	s_cbranch_scc0 .LBB118_2396
; %bb.2390:
	s_cmp_gt_i32 s13, 28
	s_cbranch_scc0 .LBB118_2397
; %bb.2391:
	s_cmp_gt_i32 s13, 43
	s_cbranch_scc0 .LBB118_2398
; %bb.2392:
	s_cmp_gt_i32 s13, 45
	s_cbranch_scc0 .LBB118_2400
; %bb.2393:
	s_cmp_eq_u32 s13, 46
	s_mov_b64 s[14:15], 0
	s_cbranch_scc0 .LBB118_2401
; %bb.2394:
	global_load_dword v2, v[12:13], off
	s_mov_b64 s[0:1], 0
	s_mov_b64 s[10:11], -1
	s_waitcnt vmcnt(0)
	v_lshlrev_b32_e32 v2, 16, v2
	v_cvt_i32_f32_e32 v10, v2
	s_branch .LBB118_2402
.LBB118_2395:
	s_mov_b64 s[0:1], -1
	s_mov_b64 s[10:11], 0
                                        ; implicit-def: $vgpr10
	s_branch .LBB118_2464
.LBB118_2396:
	s_mov_b64 s[14:15], -1
	s_mov_b64 s[10:11], 0
	s_mov_b64 s[0:1], 0
                                        ; implicit-def: $vgpr10
	s_branch .LBB118_2429
.LBB118_2397:
	s_mov_b64 s[14:15], -1
	s_mov_b64 s[10:11], 0
	s_mov_b64 s[0:1], 0
                                        ; implicit-def: $vgpr10
	s_branch .LBB118_2412
.LBB118_2398:
	s_mov_b64 s[14:15], -1
	s_mov_b64 s[10:11], 0
	s_mov_b64 s[0:1], 0
                                        ; implicit-def: $vgpr10
	s_branch .LBB118_2407
.LBB118_2399:
	s_trap 2
	s_or_b64 s[18:19], s[18:19], exec
	s_cbranch_execz .LBB118_2336
	s_branch .LBB118_2337
.LBB118_2400:
	s_mov_b64 s[14:15], -1
	s_mov_b64 s[10:11], 0
	s_mov_b64 s[0:1], 0
                                        ; implicit-def: $vgpr10
	s_branch .LBB118_2402
.LBB118_2401:
	s_mov_b64 s[0:1], -1
                                        ; implicit-def: $vgpr10
	s_mov_b64 s[10:11], 0
.LBB118_2402:
	s_and_b64 vcc, exec, s[14:15]
	s_cbranch_vccz .LBB118_2406
; %bb.2403:
	s_cmp_eq_u32 s13, 44
	s_cbranch_scc0 .LBB118_2405
; %bb.2404:
	global_load_ubyte v2, v[12:13], off
	s_mov_b64 s[0:1], 0
	s_mov_b64 s[10:11], -1
	s_waitcnt vmcnt(0)
	v_lshlrev_b32_e32 v5, 23, v2
	v_cvt_i32_f32_e32 v5, v5
	v_cmp_ne_u32_e32 vcc, 0, v2
	v_cndmask_b32_e32 v10, 0, v5, vcc
	s_branch .LBB118_2406
.LBB118_2405:
	s_mov_b64 s[0:1], -1
                                        ; implicit-def: $vgpr10
.LBB118_2406:
	s_mov_b64 s[14:15], 0
.LBB118_2407:
	s_and_b64 vcc, exec, s[14:15]
	s_cbranch_vccz .LBB118_2411
; %bb.2408:
	s_cmp_eq_u32 s13, 29
	s_cbranch_scc0 .LBB118_2410
; %bb.2409:
	global_load_dwordx2 v[10:11], v[12:13], off
	s_mov_b64 s[0:1], 0
	s_mov_b64 s[10:11], -1
	s_branch .LBB118_2411
.LBB118_2410:
	s_mov_b64 s[0:1], -1
                                        ; implicit-def: $vgpr10
.LBB118_2411:
	s_mov_b64 s[14:15], 0
.LBB118_2412:
	s_and_b64 vcc, exec, s[14:15]
	s_cbranch_vccz .LBB118_2428
; %bb.2413:
	s_cmp_lt_i32 s13, 27
	s_cbranch_scc1 .LBB118_2416
; %bb.2414:
	s_cmp_gt_i32 s13, 27
	s_cbranch_scc0 .LBB118_2417
; %bb.2415:
	global_load_dword v10, v[12:13], off
	s_mov_b64 s[10:11], 0
	s_branch .LBB118_2418
.LBB118_2416:
	s_mov_b64 s[10:11], -1
                                        ; implicit-def: $vgpr10
	s_branch .LBB118_2421
.LBB118_2417:
	s_mov_b64 s[10:11], -1
                                        ; implicit-def: $vgpr10
.LBB118_2418:
	s_andn2_b64 vcc, exec, s[10:11]
	s_cbranch_vccnz .LBB118_2420
; %bb.2419:
	global_load_ushort v10, v[12:13], off
.LBB118_2420:
	s_mov_b64 s[10:11], 0
.LBB118_2421:
	s_andn2_b64 vcc, exec, s[10:11]
	s_cbranch_vccnz .LBB118_2427
; %bb.2422:
	global_load_ubyte v2, v[12:13], off
	s_movk_i32 s10, 0x7f
	s_mov_b64 s[14:15], 0
	s_waitcnt vmcnt(0)
	v_cmp_lt_i16_e32 vcc, s10, v2
	s_and_saveexec_b64 s[10:11], vcc
	s_xor_b64 s[10:11], exec, s[10:11]
	s_cbranch_execz .LBB118_2439
; %bb.2423:
	s_movk_i32 s14, 0x80
	v_cmp_ne_u16_e32 vcc, s14, v2
	s_and_b64 s[14:15], vcc, exec
	s_andn2_saveexec_b64 s[10:11], s[10:11]
	s_cbranch_execnz .LBB118_2440
.LBB118_2424:
	s_or_b64 exec, exec, s[10:11]
	v_mov_b32_e32 v10, 0
	s_and_saveexec_b64 s[10:11], s[14:15]
	s_cbranch_execz .LBB118_2426
.LBB118_2425:
	v_lshlrev_b32_e32 v5, 24, v2
	v_and_b32_e32 v2, 0xffff, v2
	v_and_b32_e32 v8, 7, v2
	v_ffbh_u32_e32 v11, v8
	v_min_u32_e32 v11, 32, v11
	v_subrev_u32_e32 v15, 28, v11
	v_bfe_u32 v10, v2, 3, 4
	v_lshlrev_b32_e32 v2, v15, v2
	v_sub_u32_e32 v11, 29, v11
	v_and_b32_e32 v2, 7, v2
	v_cmp_eq_u32_e32 vcc, 0, v10
	v_cndmask_b32_e32 v10, v10, v11, vcc
	v_cndmask_b32_e32 v2, v8, v2, vcc
	v_mov_b32_e32 v8, 0x3b800000
	v_lshlrev_b32_e32 v2, 20, v2
	v_and_b32_e32 v5, 0x80000000, v5
	v_lshl_add_u32 v8, v10, 23, v8
	v_or3_b32 v2, v5, v8, v2
	v_cvt_i32_f32_e32 v10, v2
.LBB118_2426:
	s_or_b64 exec, exec, s[10:11]
.LBB118_2427:
	s_mov_b64 s[10:11], -1
.LBB118_2428:
	s_mov_b64 s[14:15], 0
.LBB118_2429:
	s_and_b64 vcc, exec, s[14:15]
	s_cbranch_vccz .LBB118_2460
; %bb.2430:
	s_cmp_gt_i32 s13, 22
	s_cbranch_scc0 .LBB118_2438
; %bb.2431:
	s_cmp_lt_i32 s13, 24
	s_cbranch_scc1 .LBB118_2441
; %bb.2432:
	s_cmp_gt_i32 s13, 24
	s_cbranch_scc0 .LBB118_2442
; %bb.2433:
	global_load_ubyte v2, v[12:13], off
	s_movk_i32 s2, 0x7f
	s_mov_b64 s[10:11], 0
	s_waitcnt vmcnt(0)
	v_cmp_lt_i16_e32 vcc, s2, v2
	s_and_saveexec_b64 s[2:3], vcc
	s_xor_b64 s[2:3], exec, s[2:3]
	s_cbranch_execz .LBB118_2454
; %bb.2434:
	s_movk_i32 s10, 0x80
	v_cmp_ne_u16_e32 vcc, s10, v2
	s_and_b64 s[10:11], vcc, exec
	s_andn2_saveexec_b64 s[2:3], s[2:3]
	s_cbranch_execnz .LBB118_2455
.LBB118_2435:
	s_or_b64 exec, exec, s[2:3]
	v_mov_b32_e32 v10, 0
	s_and_saveexec_b64 s[2:3], s[10:11]
	s_cbranch_execz .LBB118_2437
.LBB118_2436:
	v_lshlrev_b32_e32 v5, 24, v2
	v_and_b32_e32 v2, 0xffff, v2
	v_and_b32_e32 v8, 3, v2
	v_ffbh_u32_e32 v11, v8
	v_min_u32_e32 v11, 32, v11
	v_subrev_u32_e32 v15, 29, v11
	v_bfe_u32 v10, v2, 2, 5
	v_lshlrev_b32_e32 v2, v15, v2
	v_sub_u32_e32 v11, 30, v11
	v_and_b32_e32 v2, 3, v2
	v_cmp_eq_u32_e32 vcc, 0, v10
	v_cndmask_b32_e32 v10, v10, v11, vcc
	v_cndmask_b32_e32 v2, v8, v2, vcc
	v_mov_b32_e32 v8, 0x37800000
	v_lshlrev_b32_e32 v2, 21, v2
	v_and_b32_e32 v5, 0x80000000, v5
	v_lshl_add_u32 v8, v10, 23, v8
	v_or3_b32 v2, v5, v8, v2
	v_cvt_i32_f32_e32 v10, v2
.LBB118_2437:
	s_or_b64 exec, exec, s[2:3]
	s_mov_b64 s[2:3], 0
	s_branch .LBB118_2443
.LBB118_2438:
	s_mov_b64 s[2:3], -1
                                        ; implicit-def: $vgpr10
	s_branch .LBB118_2449
.LBB118_2439:
	s_andn2_saveexec_b64 s[10:11], s[10:11]
	s_cbranch_execz .LBB118_2424
.LBB118_2440:
	v_cmp_ne_u16_e32 vcc, 0, v2
	s_andn2_b64 s[14:15], s[14:15], exec
	s_and_b64 s[16:17], vcc, exec
	s_or_b64 s[14:15], s[14:15], s[16:17]
	s_or_b64 exec, exec, s[10:11]
	v_mov_b32_e32 v10, 0
	s_and_saveexec_b64 s[10:11], s[14:15]
	s_cbranch_execnz .LBB118_2425
	s_branch .LBB118_2426
.LBB118_2441:
	s_mov_b64 s[2:3], -1
                                        ; implicit-def: $vgpr10
	s_branch .LBB118_2446
.LBB118_2442:
	s_mov_b64 s[2:3], -1
                                        ; implicit-def: $vgpr10
.LBB118_2443:
	s_and_b64 vcc, exec, s[2:3]
	s_cbranch_vccz .LBB118_2445
; %bb.2444:
	global_load_ubyte v2, v[12:13], off
	s_mov_b32 s2, 0x7f800000
	s_waitcnt vmcnt(0)
	v_lshlrev_b32_e32 v2, 24, v2
	v_and_b32_e32 v5, 0x7f000000, v2
	v_ffbh_u32_e32 v8, v5
	v_min_u32_e32 v8, 32, v8
	v_sub_u32_e64 v8, v8, 4 clamp
	v_lshlrev_b32_e32 v11, v8, v5
	v_lshlrev_b32_e32 v8, 23, v8
	v_lshrrev_b32_e32 v11, 4, v11
	v_add_u32_e32 v10, 0x1000000, v5
	v_sub_u32_e32 v8, v11, v8
	v_ashrrev_i32_e32 v10, 8, v10
	v_add_u32_e32 v8, 0x3c000000, v8
	v_and_or_b32 v8, v10, s2, v8
	v_cmp_ne_u32_e32 vcc, 0, v5
	v_cndmask_b32_e32 v5, 0, v8, vcc
	s_brev_b32 s2, 1
	v_and_or_b32 v2, v2, s2, v5
	v_cvt_i32_f32_e32 v10, v2
.LBB118_2445:
	s_mov_b64 s[2:3], 0
.LBB118_2446:
	s_andn2_b64 vcc, exec, s[2:3]
	s_cbranch_vccnz .LBB118_2448
; %bb.2447:
	global_load_ubyte v2, v[12:13], off
	s_movk_i32 s2, 0x7f00
	s_brev_b32 s3, 16
	s_waitcnt vmcnt(0)
	v_lshlrev_b16_e32 v5, 8, v2
	v_lshlrev_b32_e32 v2, 25, v2
	v_lshrrev_b32_e32 v8, 4, v2
	v_and_or_b32 v10, v5, s2, 0.5
	v_or_b32_e32 v8, 0x70000000, v8
	v_add_f32_e32 v10, -0.5, v10
	v_mul_f32_e32 v8, 0x7800000, v8
	v_cmp_gt_u32_e32 vcc, s3, v2
	v_bfe_i32 v5, v5, 0, 16
	v_cndmask_b32_e32 v2, v8, v10, vcc
	s_brev_b32 s2, 1
	v_and_or_b32 v2, v5, s2, v2
	v_cvt_i32_f32_e32 v10, v2
.LBB118_2448:
	s_mov_b64 s[2:3], 0
	s_mov_b64 s[10:11], -1
.LBB118_2449:
	s_andn2_b64 vcc, exec, s[2:3]
	s_mov_b64 s[2:3], 0
	s_cbranch_vccnz .LBB118_2460
; %bb.2450:
	s_cmp_gt_i32 s13, 14
	s_cbranch_scc0 .LBB118_2453
; %bb.2451:
	s_cmp_eq_u32 s13, 15
	s_cbranch_scc0 .LBB118_2456
; %bb.2452:
	global_load_ushort v2, v[12:13], off
	s_mov_b64 s[0:1], 0
	s_mov_b64 s[10:11], -1
	s_waitcnt vmcnt(0)
	v_lshlrev_b32_e32 v2, 16, v2
	v_cvt_i32_f32_e32 v10, v2
	s_branch .LBB118_2457
.LBB118_2453:
	s_mov_b64 s[14:15], -1
                                        ; implicit-def: $vgpr10
	s_branch .LBB118_2458
.LBB118_2454:
	s_andn2_saveexec_b64 s[2:3], s[2:3]
	s_cbranch_execz .LBB118_2435
.LBB118_2455:
	v_cmp_ne_u16_e32 vcc, 0, v2
	s_andn2_b64 s[10:11], s[10:11], exec
	s_and_b64 s[14:15], vcc, exec
	s_or_b64 s[10:11], s[10:11], s[14:15]
	s_or_b64 exec, exec, s[2:3]
	v_mov_b32_e32 v10, 0
	s_and_saveexec_b64 s[2:3], s[10:11]
	s_cbranch_execnz .LBB118_2436
	s_branch .LBB118_2437
.LBB118_2456:
	s_mov_b64 s[0:1], -1
                                        ; implicit-def: $vgpr10
.LBB118_2457:
	s_mov_b64 s[14:15], 0
.LBB118_2458:
	s_and_b64 vcc, exec, s[14:15]
	s_cbranch_vccz .LBB118_2460
; %bb.2459:
	s_cmp_lg_u32 s13, 11
	s_mov_b64 s[2:3], -1
	s_cselect_b64 s[0:1], -1, 0
.LBB118_2460:
	s_and_b64 vcc, exec, s[0:1]
	s_cbranch_vccnz .LBB118_2993
; %bb.2461:
	s_andn2_b64 vcc, exec, s[2:3]
	s_cbranch_vccnz .LBB118_2463
.LBB118_2462:
	global_load_ubyte v2, v[12:13], off
	s_mov_b64 s[10:11], -1
	s_waitcnt vmcnt(0)
	v_cmp_ne_u16_e32 vcc, 0, v2
	v_cndmask_b32_e64 v10, 0, 1, vcc
.LBB118_2463:
	s_mov_b64 s[0:1], 0
.LBB118_2464:
	s_and_b64 vcc, exec, s[0:1]
	s_cbranch_vccz .LBB118_2513
; %bb.2465:
	s_and_b32 s2, 0xffff, s25
	s_cmp_lt_i32 s2, 5
	s_cbranch_scc1 .LBB118_2470
; %bb.2466:
	s_cmp_lt_i32 s2, 8
	s_cbranch_scc1 .LBB118_2471
; %bb.2467:
	;; [unrolled: 3-line block ×3, first 2 shown]
	s_cmp_gt_i32 s2, 9
	s_cbranch_scc0 .LBB118_2473
; %bb.2469:
	global_load_dwordx2 v[10:11], v[12:13], off
	s_mov_b64 s[0:1], 0
	s_waitcnt vmcnt(0)
	v_cvt_i32_f64_e32 v10, v[10:11]
	s_branch .LBB118_2474
.LBB118_2470:
	s_mov_b64 s[0:1], -1
                                        ; implicit-def: $vgpr10
	s_branch .LBB118_2492
.LBB118_2471:
	s_mov_b64 s[0:1], -1
                                        ; implicit-def: $vgpr10
	s_branch .LBB118_2480
.LBB118_2472:
	s_mov_b64 s[0:1], -1
                                        ; implicit-def: $vgpr10
	s_branch .LBB118_2477
.LBB118_2473:
	s_mov_b64 s[0:1], -1
                                        ; implicit-def: $vgpr10
.LBB118_2474:
	s_andn2_b64 vcc, exec, s[0:1]
	s_cbranch_vccnz .LBB118_2476
; %bb.2475:
	global_load_dword v2, v[12:13], off
	s_waitcnt vmcnt(0)
	v_cvt_i32_f32_e32 v10, v2
.LBB118_2476:
	s_mov_b64 s[0:1], 0
.LBB118_2477:
	s_andn2_b64 vcc, exec, s[0:1]
	s_cbranch_vccnz .LBB118_2479
; %bb.2478:
	global_load_dword v2, v[12:13], off
	s_waitcnt vmcnt(0)
	v_cvt_i16_f16_e32 v10, v2
.LBB118_2479:
	s_mov_b64 s[0:1], 0
.LBB118_2480:
	s_andn2_b64 vcc, exec, s[0:1]
	s_cbranch_vccnz .LBB118_2491
; %bb.2481:
	s_cmp_lt_i32 s2, 6
	s_cbranch_scc1 .LBB118_2484
; %bb.2482:
	s_cmp_gt_i32 s2, 6
	s_cbranch_scc0 .LBB118_2485
; %bb.2483:
	global_load_dwordx2 v[10:11], v[12:13], off
	s_mov_b64 s[0:1], 0
	s_waitcnt vmcnt(0)
	v_cvt_i32_f64_e32 v10, v[10:11]
	s_branch .LBB118_2486
.LBB118_2484:
	s_mov_b64 s[0:1], -1
                                        ; implicit-def: $vgpr10
	s_branch .LBB118_2489
.LBB118_2485:
	s_mov_b64 s[0:1], -1
                                        ; implicit-def: $vgpr10
.LBB118_2486:
	s_andn2_b64 vcc, exec, s[0:1]
	s_cbranch_vccnz .LBB118_2488
; %bb.2487:
	global_load_dword v2, v[12:13], off
	s_waitcnt vmcnt(0)
	v_cvt_i32_f32_e32 v10, v2
.LBB118_2488:
	s_mov_b64 s[0:1], 0
.LBB118_2489:
	s_andn2_b64 vcc, exec, s[0:1]
	s_cbranch_vccnz .LBB118_2491
; %bb.2490:
	global_load_ushort v2, v[12:13], off
	s_waitcnt vmcnt(0)
	v_cvt_i16_f16_e32 v10, v2
.LBB118_2491:
	s_mov_b64 s[0:1], 0
.LBB118_2492:
	s_andn2_b64 vcc, exec, s[0:1]
	s_cbranch_vccnz .LBB118_2512
; %bb.2493:
	s_cmp_lt_i32 s2, 2
	s_cbranch_scc1 .LBB118_2497
; %bb.2494:
	s_cmp_lt_i32 s2, 3
	s_cbranch_scc1 .LBB118_2498
; %bb.2495:
	s_cmp_gt_i32 s2, 3
	s_cbranch_scc0 .LBB118_2499
; %bb.2496:
	global_load_dwordx2 v[10:11], v[12:13], off
	s_mov_b64 s[0:1], 0
	s_branch .LBB118_2500
.LBB118_2497:
	s_mov_b64 s[0:1], -1
                                        ; implicit-def: $vgpr10
	s_branch .LBB118_2506
.LBB118_2498:
	s_mov_b64 s[0:1], -1
                                        ; implicit-def: $vgpr10
	s_branch .LBB118_2503
.LBB118_2499:
	s_mov_b64 s[0:1], -1
                                        ; implicit-def: $vgpr10
.LBB118_2500:
	s_andn2_b64 vcc, exec, s[0:1]
	s_cbranch_vccnz .LBB118_2502
; %bb.2501:
	global_load_dword v10, v[12:13], off
.LBB118_2502:
	s_mov_b64 s[0:1], 0
.LBB118_2503:
	s_andn2_b64 vcc, exec, s[0:1]
	s_cbranch_vccnz .LBB118_2505
; %bb.2504:
	global_load_ushort v10, v[12:13], off
.LBB118_2505:
	s_mov_b64 s[0:1], 0
.LBB118_2506:
	s_andn2_b64 vcc, exec, s[0:1]
	s_cbranch_vccnz .LBB118_2512
; %bb.2507:
	s_cmp_gt_i32 s2, 0
	s_cbranch_scc0 .LBB118_2509
; %bb.2508:
	global_load_sbyte v10, v[12:13], off
	s_mov_b64 s[0:1], 0
	s_branch .LBB118_2510
.LBB118_2509:
	s_mov_b64 s[0:1], -1
                                        ; implicit-def: $vgpr10
.LBB118_2510:
	s_andn2_b64 vcc, exec, s[0:1]
	s_cbranch_vccnz .LBB118_2512
; %bb.2511:
	global_load_ubyte v10, v[12:13], off
.LBB118_2512:
	s_mov_b64 s[10:11], -1
.LBB118_2513:
	s_andn2_b64 vcc, exec, s[10:11]
	s_cbranch_vccnz .LBB118_2947
; %bb.2514:
	v_mul_lo_u32 v5, s12, v14
	v_lshlrev_b32_sdwa v0, v3, v0 dst_sel:DWORD dst_unused:UNUSED_PAD src0_sel:WORD_0 src1_sel:DWORD
	v_cmp_gt_u16_e32 vcc, 16, v3
	v_cndmask_b32_e32 v0, 0, v0, vcc
	v_ashrrev_i32_e32 v3, 31, v5
	v_mov_b32_e32 v8, s9
	s_and_b32 s20, s33, 0xff
	v_add_co_u32_e32 v2, vcc, s8, v5
	s_cmp_lt_i32 s20, 11
	v_addc_co_u32_e32 v3, vcc, v8, v3, vcc
	s_cbranch_scc1 .LBB118_2592
; %bb.2515:
	s_and_b32 s13, 0xffff, s20
	s_mov_b64 s[14:15], -1
	s_mov_b64 s[2:3], 0
	s_cmp_gt_i32 s13, 25
	s_mov_b64 s[10:11], 0
	s_mov_b64 s[0:1], 0
	s_cbranch_scc0 .LBB118_2548
; %bb.2516:
	s_cmp_gt_i32 s13, 28
	s_cbranch_scc0 .LBB118_2531
; %bb.2517:
	s_cmp_gt_i32 s13, 43
	;; [unrolled: 3-line block ×3, first 2 shown]
	s_cbranch_scc0 .LBB118_2521
; %bb.2519:
	s_mov_b64 s[0:1], -1
	s_mov_b64 s[14:15], 0
	s_cmp_eq_u32 s13, 46
	s_cbranch_scc0 .LBB118_2521
; %bb.2520:
	v_cvt_f32_i32_sdwa v8, sext(v0) dst_sel:DWORD dst_unused:UNUSED_PAD src0_sel:WORD_0
	s_movk_i32 s10, 0x7fff
	s_mov_b64 s[0:1], 0
	s_waitcnt vmcnt(0)
	v_bfe_u32 v11, v8, 16, 1
	v_add3_u32 v8, v8, v11, s10
	v_lshrrev_b32_e32 v8, 16, v8
	global_store_dword v[2:3], v8, off
	s_mov_b64 s[10:11], -1
.LBB118_2521:
	s_and_b64 vcc, exec, s[14:15]
	s_cbranch_vccz .LBB118_2526
; %bb.2522:
	s_cmp_eq_u32 s13, 44
	s_mov_b64 s[0:1], -1
	s_cbranch_scc0 .LBB118_2526
; %bb.2523:
	v_cvt_f32_i32_sdwa v8, sext(v0) dst_sel:DWORD dst_unused:UNUSED_PAD src0_sel:WORD_0
	s_movk_i32 s0, 0xff
	v_mov_b32_e32 v12, 0xff
	s_waitcnt vmcnt(0)
	v_bfe_u32 v11, v8, 23, 8
	v_cmp_ne_u32_e32 vcc, s0, v11
	s_and_saveexec_b64 s[10:11], vcc
; %bb.2524:
	s_mov_b32 s0, 0x3fffff
	v_lshrrev_b32_e32 v12, 23, v8
	v_and_b32_e32 v13, 0x400000, v8
	v_and_or_b32 v8, v8, s0, v11
	v_cmp_ne_u32_e32 vcc, 0, v13
	v_cmp_ne_u32_e64 s[0:1], 0, v8
	s_and_b64 s[0:1], vcc, s[0:1]
	v_cndmask_b32_e64 v8, 0, 1, s[0:1]
	v_add_u32_e32 v12, v12, v8
; %bb.2525:
	s_or_b64 exec, exec, s[10:11]
	s_mov_b64 s[0:1], 0
	s_mov_b64 s[10:11], -1
	global_store_byte v[2:3], v12, off
.LBB118_2526:
	s_mov_b64 s[14:15], 0
.LBB118_2527:
	s_and_b64 vcc, exec, s[14:15]
	s_cbranch_vccz .LBB118_2530
; %bb.2528:
	s_cmp_eq_u32 s13, 29
	s_mov_b64 s[0:1], -1
	s_cbranch_scc0 .LBB118_2530
; %bb.2529:
	s_waitcnt vmcnt(0)
	v_bfe_i32 v11, v0, 0, 16
	v_ashrrev_i32_e32 v12, 31, v11
	global_store_dwordx2 v[2:3], v[11:12], off
	s_mov_b64 s[0:1], 0
	s_mov_b64 s[10:11], -1
.LBB118_2530:
	s_mov_b64 s[14:15], 0
.LBB118_2531:
	s_and_b64 vcc, exec, s[14:15]
	s_cbranch_vccz .LBB118_2547
; %bb.2532:
	s_cmp_lt_i32 s13, 27
	s_mov_b64 s[10:11], -1
	s_cbranch_scc1 .LBB118_2538
; %bb.2533:
	s_cmp_gt_i32 s13, 27
	s_cbranch_scc0 .LBB118_2535
; %bb.2534:
	v_bfe_i32 v8, v0, 0, 16
	s_mov_b64 s[10:11], 0
	global_store_dword v[2:3], v8, off
.LBB118_2535:
	s_andn2_b64 vcc, exec, s[10:11]
	s_cbranch_vccnz .LBB118_2537
; %bb.2536:
	global_store_short v[2:3], v0, off
.LBB118_2537:
	s_mov_b64 s[10:11], 0
.LBB118_2538:
	s_andn2_b64 vcc, exec, s[10:11]
	s_cbranch_vccnz .LBB118_2546
; %bb.2539:
	v_cvt_f32_i32_sdwa v8, sext(v0) dst_sel:DWORD dst_unused:UNUSED_PAD src0_sel:WORD_0
	s_mov_b32 s10, 0x43800000
	v_mov_b32_e32 v12, 0x80
	s_waitcnt vmcnt(0)
	v_and_b32_e32 v11, 0x7fffffff, v8
	v_cmp_gt_u32_e32 vcc, s10, v11
	s_and_saveexec_b64 s[10:11], vcc
	s_cbranch_execz .LBB118_2545
; %bb.2540:
	s_mov_b32 s14, 0x3bffffff
	v_cmp_lt_u32_e32 vcc, s14, v11
	s_mov_b64 s[14:15], 0
                                        ; implicit-def: $vgpr11
	s_and_saveexec_b64 s[16:17], vcc
	s_xor_b64 s[16:17], exec, s[16:17]
	s_cbranch_execz .LBB118_2994
; %bb.2541:
	v_bfe_u32 v11, v8, 20, 1
	s_mov_b32 s21, 0x487ffff
	v_add3_u32 v11, v8, v11, s21
	s_mov_b64 s[14:15], exec
	v_lshrrev_b32_e32 v11, 20, v11
	s_andn2_saveexec_b64 s[16:17], s[16:17]
	s_cbranch_execnz .LBB118_2995
.LBB118_2542:
	s_or_b64 exec, exec, s[16:17]
	v_mov_b32_e32 v12, 0
	s_and_saveexec_b64 s[16:17], s[14:15]
.LBB118_2543:
	v_lshrrev_b32_e32 v8, 24, v8
	s_movk_i32 s14, 0x80
	v_and_or_b32 v12, v8, s14, v11
.LBB118_2544:
	s_or_b64 exec, exec, s[16:17]
.LBB118_2545:
	s_or_b64 exec, exec, s[10:11]
	global_store_byte v[2:3], v12, off
.LBB118_2546:
	s_mov_b64 s[10:11], -1
.LBB118_2547:
	s_mov_b64 s[14:15], 0
.LBB118_2548:
	s_and_b64 vcc, exec, s[14:15]
	s_cbranch_vccz .LBB118_2588
; %bb.2549:
	s_cmp_gt_i32 s13, 22
	s_mov_b64 s[2:3], -1
	s_cbranch_scc0 .LBB118_2581
; %bb.2550:
	s_cmp_lt_i32 s13, 24
	s_cbranch_scc1 .LBB118_2570
; %bb.2551:
	s_cmp_gt_i32 s13, 24
	s_cbranch_scc0 .LBB118_2559
; %bb.2552:
	v_cvt_f32_i32_sdwa v8, sext(v0) dst_sel:DWORD dst_unused:UNUSED_PAD src0_sel:WORD_0
	s_mov_b32 s2, 0x47800000
	v_mov_b32_e32 v12, 0x80
	s_waitcnt vmcnt(0)
	v_and_b32_e32 v11, 0x7fffffff, v8
	v_cmp_gt_u32_e32 vcc, s2, v11
	s_and_saveexec_b64 s[2:3], vcc
	s_cbranch_execz .LBB118_2558
; %bb.2553:
	s_mov_b32 s10, 0x37ffffff
	v_cmp_lt_u32_e32 vcc, s10, v11
	s_mov_b64 s[10:11], 0
                                        ; implicit-def: $vgpr11
	s_and_saveexec_b64 s[14:15], vcc
	s_xor_b64 s[14:15], exec, s[14:15]
	s_cbranch_execz .LBB118_2997
; %bb.2554:
	v_bfe_u32 v11, v8, 21, 1
	s_mov_b32 s16, 0x88fffff
	v_add3_u32 v11, v8, v11, s16
	s_mov_b64 s[10:11], exec
	v_lshrrev_b32_e32 v11, 21, v11
	s_andn2_saveexec_b64 s[14:15], s[14:15]
	s_cbranch_execnz .LBB118_2998
.LBB118_2555:
	s_or_b64 exec, exec, s[14:15]
	v_mov_b32_e32 v12, 0
	s_and_saveexec_b64 s[14:15], s[10:11]
.LBB118_2556:
	v_lshrrev_b32_e32 v8, 24, v8
	s_movk_i32 s10, 0x80
	v_and_or_b32 v12, v8, s10, v11
.LBB118_2557:
	s_or_b64 exec, exec, s[14:15]
.LBB118_2558:
	s_or_b64 exec, exec, s[2:3]
	s_mov_b64 s[2:3], 0
	global_store_byte v[2:3], v12, off
.LBB118_2559:
	s_and_b64 vcc, exec, s[2:3]
	s_cbranch_vccz .LBB118_2569
; %bb.2560:
	v_cvt_f32_i32_sdwa v8, sext(v0) dst_sel:DWORD dst_unused:UNUSED_PAD src0_sel:WORD_0
	s_mov_b32 s2, 0x43f00000
                                        ; implicit-def: $vgpr11
	v_and_b32_e32 v12, 0x7fffffff, v8
	v_cmp_gt_u32_e32 vcc, s2, v12
	s_and_saveexec_b64 s[2:3], vcc
	s_xor_b64 s[2:3], exec, s[2:3]
	s_cbranch_execz .LBB118_2566
; %bb.2561:
	s_mov_b32 s10, 0x3c7fffff
	v_cmp_lt_u32_e32 vcc, s10, v12
                                        ; implicit-def: $vgpr11
	s_and_saveexec_b64 s[10:11], vcc
	s_xor_b64 s[10:11], exec, s[10:11]
	s_cbranch_execz .LBB118_2563
; %bb.2562:
	s_waitcnt vmcnt(0)
	v_bfe_u32 v11, v8, 20, 1
	s_mov_b32 s14, 0x407ffff
	v_add3_u32 v11, v8, v11, s14
	v_lshrrev_b32_e32 v12, 20, v11
	v_and_b32_e32 v11, 0xff00000, v11
	s_mov_b32 s14, 0x7f00000
	v_mov_b32_e32 v13, 0x7e
	v_cmp_ne_u32_e32 vcc, s14, v11
	v_cndmask_b32_e32 v11, v13, v12, vcc
.LBB118_2563:
	s_andn2_saveexec_b64 s[10:11], s[10:11]
	s_cbranch_execz .LBB118_2565
; %bb.2564:
	s_mov_b32 s14, 0x46800000
	s_waitcnt vmcnt(0)
	v_add_f32_e64 v11, |v8|, s14
.LBB118_2565:
	s_or_b64 exec, exec, s[10:11]
                                        ; implicit-def: $vgpr12
.LBB118_2566:
	s_andn2_saveexec_b64 s[2:3], s[2:3]
	s_cbranch_execz .LBB118_2568
; %bb.2567:
	s_mov_b32 s10, 0x7f800000
	s_waitcnt vmcnt(0)
	v_mov_b32_e32 v11, 0x7e
	v_mov_b32_e32 v13, 0x7f
	v_cmp_lt_u32_e32 vcc, s10, v12
	v_cndmask_b32_e32 v11, v11, v13, vcc
.LBB118_2568:
	s_or_b64 exec, exec, s[2:3]
	v_lshrrev_b32_e32 v8, 24, v8
	s_movk_i32 s2, 0x80
	s_waitcnt vmcnt(0)
	v_and_or_b32 v8, v8, s2, v11
	global_store_byte v[2:3], v8, off
.LBB118_2569:
	s_mov_b64 s[2:3], 0
.LBB118_2570:
	s_andn2_b64 vcc, exec, s[2:3]
	s_cbranch_vccnz .LBB118_2580
; %bb.2571:
	v_cvt_f32_i32_sdwa v8, sext(v0) dst_sel:DWORD dst_unused:UNUSED_PAD src0_sel:WORD_0
	s_mov_b32 s2, 0x47800000
                                        ; implicit-def: $vgpr11
	v_and_b32_e32 v12, 0x7fffffff, v8
	v_cmp_gt_u32_e32 vcc, s2, v12
	s_and_saveexec_b64 s[2:3], vcc
	s_xor_b64 s[2:3], exec, s[2:3]
	s_cbranch_execz .LBB118_2577
; %bb.2572:
	s_mov_b32 s10, 0x387fffff
	v_cmp_lt_u32_e32 vcc, s10, v12
                                        ; implicit-def: $vgpr11
	s_and_saveexec_b64 s[10:11], vcc
	s_xor_b64 s[10:11], exec, s[10:11]
	s_cbranch_execz .LBB118_2574
; %bb.2573:
	s_waitcnt vmcnt(0)
	v_bfe_u32 v11, v8, 21, 1
	s_mov_b32 s14, 0x80fffff
	v_add3_u32 v11, v8, v11, s14
	v_lshrrev_b32_e32 v11, 21, v11
.LBB118_2574:
	s_andn2_saveexec_b64 s[10:11], s[10:11]
	s_cbranch_execz .LBB118_2576
; %bb.2575:
	s_mov_b32 s14, 0x43000000
	s_waitcnt vmcnt(0)
	v_add_f32_e64 v11, |v8|, s14
.LBB118_2576:
	s_or_b64 exec, exec, s[10:11]
                                        ; implicit-def: $vgpr12
.LBB118_2577:
	s_andn2_saveexec_b64 s[2:3], s[2:3]
	s_cbranch_execz .LBB118_2579
; %bb.2578:
	s_mov_b32 s10, 0x7f800000
	s_waitcnt vmcnt(0)
	v_mov_b32_e32 v11, 0x7c
	v_mov_b32_e32 v13, 0x7f
	v_cmp_lt_u32_e32 vcc, s10, v12
	v_cndmask_b32_e32 v11, v11, v13, vcc
.LBB118_2579:
	s_or_b64 exec, exec, s[2:3]
	v_lshrrev_b32_e32 v8, 24, v8
	s_movk_i32 s2, 0x80
	s_waitcnt vmcnt(0)
	v_and_or_b32 v8, v8, s2, v11
	global_store_byte v[2:3], v8, off
.LBB118_2580:
	s_mov_b64 s[2:3], 0
	s_mov_b64 s[10:11], -1
.LBB118_2581:
	s_andn2_b64 vcc, exec, s[2:3]
	s_mov_b64 s[2:3], 0
	s_cbranch_vccnz .LBB118_2588
; %bb.2582:
	s_cmp_gt_i32 s13, 14
	s_mov_b64 s[14:15], -1
	s_cbranch_scc0 .LBB118_2586
; %bb.2583:
	s_cmp_eq_u32 s13, 15
	s_mov_b64 s[0:1], -1
	s_cbranch_scc0 .LBB118_2585
; %bb.2584:
	v_cvt_f32_i32_sdwa v8, sext(v0) dst_sel:DWORD dst_unused:UNUSED_PAD src0_sel:WORD_0
	s_movk_i32 s2, 0x7fff
	s_mov_b64 s[0:1], 0
	s_mov_b64 s[10:11], -1
	s_waitcnt vmcnt(0)
	v_bfe_u32 v11, v8, 16, 1
	v_add3_u32 v8, v8, v11, s2
	global_store_short_d16_hi v[2:3], v8, off
.LBB118_2585:
	s_mov_b64 s[14:15], 0
.LBB118_2586:
	s_mov_b64 s[2:3], 0
	s_and_b64 vcc, exec, s[14:15]
	s_cbranch_vccz .LBB118_2588
; %bb.2587:
	s_cmp_lg_u32 s13, 11
	s_mov_b64 s[2:3], -1
	s_cselect_b64 s[0:1], -1, 0
.LBB118_2588:
	s_and_b64 vcc, exec, s[0:1]
	s_cbranch_vccnz .LBB118_2996
; %bb.2589:
	s_andn2_b64 vcc, exec, s[2:3]
	s_cbranch_vccnz .LBB118_2591
.LBB118_2590:
	v_cmp_ne_u16_e32 vcc, 0, v0
	v_cndmask_b32_e64 v8, 0, 1, vcc
	s_mov_b64 s[10:11], -1
	global_store_byte v[2:3], v8, off
.LBB118_2591:
	s_mov_b64 s[0:1], 0
	s_branch .LBB118_2593
.LBB118_2592:
	s_mov_b64 s[0:1], -1
	s_mov_b64 s[10:11], 0
.LBB118_2593:
	s_and_b64 vcc, exec, s[0:1]
	s_cbranch_vccz .LBB118_2632
; %bb.2594:
	s_and_b32 s2, 0xffff, s20
	s_cmp_lt_i32 s2, 5
	s_mov_b64 s[0:1], -1
	s_cbranch_scc1 .LBB118_2615
; %bb.2595:
	s_cmp_lt_i32 s2, 8
	s_cbranch_scc1 .LBB118_2605
; %bb.2596:
	s_cmp_lt_i32 s2, 9
	s_cbranch_scc1 .LBB118_2602
; %bb.2597:
	s_cmp_gt_i32 s2, 9
	s_cbranch_scc0 .LBB118_2599
; %bb.2598:
	v_bfe_i32 v8, v0, 0, 16
	s_waitcnt vmcnt(0)
	v_cvt_f64_i32_e32 v[11:12], v8
	v_mov_b32_e32 v13, 0
	v_mov_b32_e32 v14, v13
	s_mov_b64 s[0:1], 0
	global_store_dwordx4 v[2:3], v[11:14], off
.LBB118_2599:
	s_andn2_b64 vcc, exec, s[0:1]
	s_cbranch_vccnz .LBB118_2601
; %bb.2600:
	s_waitcnt vmcnt(0)
	v_cvt_f32_i32_sdwa v11, sext(v0) dst_sel:DWORD dst_unused:UNUSED_PAD src0_sel:WORD_0
	v_mov_b32_e32 v12, 0
	global_store_dwordx2 v[2:3], v[11:12], off
.LBB118_2601:
	s_mov_b64 s[0:1], 0
.LBB118_2602:
	s_andn2_b64 vcc, exec, s[0:1]
	s_cbranch_vccnz .LBB118_2604
; %bb.2603:
	v_cvt_f16_i16_e32 v8, v0
	global_store_dword v[2:3], v8, off
.LBB118_2604:
	s_mov_b64 s[0:1], 0
.LBB118_2605:
	s_andn2_b64 vcc, exec, s[0:1]
	s_cbranch_vccnz .LBB118_2614
; %bb.2606:
	s_cmp_lt_i32 s2, 6
	s_mov_b64 s[0:1], -1
	s_cbranch_scc1 .LBB118_2612
; %bb.2607:
	s_cmp_gt_i32 s2, 6
	s_cbranch_scc0 .LBB118_2609
; %bb.2608:
	v_bfe_i32 v8, v0, 0, 16
	s_waitcnt vmcnt(0)
	v_cvt_f64_i32_e32 v[11:12], v8
	s_mov_b64 s[0:1], 0
	global_store_dwordx2 v[2:3], v[11:12], off
.LBB118_2609:
	s_andn2_b64 vcc, exec, s[0:1]
	s_cbranch_vccnz .LBB118_2611
; %bb.2610:
	v_cvt_f32_i32_sdwa v8, sext(v0) dst_sel:DWORD dst_unused:UNUSED_PAD src0_sel:WORD_0
	global_store_dword v[2:3], v8, off
.LBB118_2611:
	s_mov_b64 s[0:1], 0
.LBB118_2612:
	s_andn2_b64 vcc, exec, s[0:1]
	s_cbranch_vccnz .LBB118_2614
; %bb.2613:
	v_cvt_f16_i16_e32 v8, v0
	global_store_short v[2:3], v8, off
.LBB118_2614:
	s_mov_b64 s[0:1], 0
.LBB118_2615:
	s_andn2_b64 vcc, exec, s[0:1]
	s_cbranch_vccnz .LBB118_2631
; %bb.2616:
	s_cmp_lt_i32 s2, 2
	s_mov_b64 s[0:1], -1
	s_cbranch_scc1 .LBB118_2626
; %bb.2617:
	s_cmp_lt_i32 s2, 3
	s_cbranch_scc1 .LBB118_2623
; %bb.2618:
	s_cmp_gt_i32 s2, 3
	s_waitcnt vmcnt(0)
	v_bfe_i32 v11, v0, 0, 16
	s_cbranch_scc0 .LBB118_2620
; %bb.2619:
	v_ashrrev_i32_e32 v12, 31, v11
	global_store_dwordx2 v[2:3], v[11:12], off
	s_mov_b64 s[0:1], 0
.LBB118_2620:
	s_andn2_b64 vcc, exec, s[0:1]
	s_cbranch_vccnz .LBB118_2622
; %bb.2621:
	global_store_dword v[2:3], v11, off
.LBB118_2622:
	s_mov_b64 s[0:1], 0
.LBB118_2623:
	s_andn2_b64 vcc, exec, s[0:1]
	s_cbranch_vccnz .LBB118_2625
; %bb.2624:
	global_store_short v[2:3], v0, off
.LBB118_2625:
	s_mov_b64 s[0:1], 0
.LBB118_2626:
	s_andn2_b64 vcc, exec, s[0:1]
	s_cbranch_vccnz .LBB118_2631
; %bb.2627:
	s_cmp_gt_i32 s2, 0
	s_mov_b64 s[0:1], -1
	s_cbranch_scc0 .LBB118_2629
; %bb.2628:
	global_store_byte v[2:3], v0, off
	s_mov_b64 s[0:1], 0
.LBB118_2629:
	s_andn2_b64 vcc, exec, s[0:1]
	s_cbranch_vccnz .LBB118_2631
; %bb.2630:
	global_store_byte v[2:3], v0, off
.LBB118_2631:
	s_mov_b64 s[10:11], -1
.LBB118_2632:
	s_andn2_b64 vcc, exec, s[10:11]
	s_cbranch_vccnz .LBB118_2947
; %bb.2633:
	s_lshl_b32 s16, s12, 7
	v_lshlrev_b32_sdwa v0, v6, v1 dst_sel:DWORD dst_unused:UNUSED_PAD src0_sel:WORD_0 src1_sel:DWORD
	v_cmp_gt_u16_e32 vcc, 16, v6
	v_add_u32_e32 v5, s16, v5
	v_cndmask_b32_e32 v6, 0, v0, vcc
	v_ashrrev_i32_e32 v1, 31, v5
	v_mov_b32_e32 v2, s9
	v_add_co_u32_e32 v0, vcc, s8, v5
	s_cmp_lt_i32 s20, 11
	v_addc_co_u32_e32 v1, vcc, v2, v1, vcc
	s_cbranch_scc1 .LBB118_2711
; %bb.2634:
	s_and_b32 s17, 0xffff, s20
	s_mov_b64 s[12:13], -1
	s_mov_b64 s[2:3], 0
	s_cmp_gt_i32 s17, 25
	s_mov_b64 s[10:11], 0
	s_mov_b64 s[0:1], 0
	s_cbranch_scc0 .LBB118_2667
; %bb.2635:
	s_cmp_gt_i32 s17, 28
	s_cbranch_scc0 .LBB118_2650
; %bb.2636:
	s_cmp_gt_i32 s17, 43
	;; [unrolled: 3-line block ×3, first 2 shown]
	s_cbranch_scc0 .LBB118_2640
; %bb.2638:
	s_mov_b64 s[0:1], -1
	s_mov_b64 s[12:13], 0
	s_cmp_eq_u32 s17, 46
	s_cbranch_scc0 .LBB118_2640
; %bb.2639:
	v_cvt_f32_i32_sdwa v2, sext(v6) dst_sel:DWORD dst_unused:UNUSED_PAD src0_sel:WORD_0
	s_movk_i32 s10, 0x7fff
	s_mov_b64 s[0:1], 0
	v_bfe_u32 v3, v2, 16, 1
	v_add3_u32 v2, v2, v3, s10
	v_lshrrev_b32_e32 v2, 16, v2
	global_store_dword v[0:1], v2, off
	s_mov_b64 s[10:11], -1
.LBB118_2640:
	s_and_b64 vcc, exec, s[12:13]
	s_cbranch_vccz .LBB118_2645
; %bb.2641:
	s_cmp_eq_u32 s17, 44
	s_mov_b64 s[0:1], -1
	s_cbranch_scc0 .LBB118_2645
; %bb.2642:
	v_cvt_f32_i32_sdwa v2, sext(v6) dst_sel:DWORD dst_unused:UNUSED_PAD src0_sel:WORD_0
	s_movk_i32 s0, 0xff
	v_mov_b32_e32 v8, 0xff
	v_bfe_u32 v3, v2, 23, 8
	v_cmp_ne_u32_e32 vcc, s0, v3
	s_and_saveexec_b64 s[10:11], vcc
	s_cbranch_execz .LBB118_2644
; %bb.2643:
	s_mov_b32 s0, 0x3fffff
	v_lshrrev_b32_e32 v8, 23, v2
	s_waitcnt vmcnt(0)
	v_and_b32_e32 v11, 0x400000, v2
	v_and_or_b32 v2, v2, s0, v3
	v_cmp_ne_u32_e32 vcc, 0, v11
	v_cmp_ne_u32_e64 s[0:1], 0, v2
	s_and_b64 s[0:1], vcc, s[0:1]
	v_cndmask_b32_e64 v2, 0, 1, s[0:1]
	v_add_u32_e32 v8, v8, v2
.LBB118_2644:
	s_or_b64 exec, exec, s[10:11]
	s_mov_b64 s[0:1], 0
	s_mov_b64 s[10:11], -1
	global_store_byte v[0:1], v8, off
.LBB118_2645:
	s_mov_b64 s[12:13], 0
.LBB118_2646:
	s_and_b64 vcc, exec, s[12:13]
	s_cbranch_vccz .LBB118_2649
; %bb.2647:
	s_cmp_eq_u32 s17, 29
	s_mov_b64 s[0:1], -1
	s_cbranch_scc0 .LBB118_2649
; %bb.2648:
	v_bfe_i32 v2, v6, 0, 16
	v_ashrrev_i32_e32 v3, 31, v2
	global_store_dwordx2 v[0:1], v[2:3], off
	s_mov_b64 s[0:1], 0
	s_mov_b64 s[10:11], -1
.LBB118_2649:
	s_mov_b64 s[12:13], 0
.LBB118_2650:
	s_and_b64 vcc, exec, s[12:13]
	s_cbranch_vccz .LBB118_2666
; %bb.2651:
	s_cmp_lt_i32 s17, 27
	s_mov_b64 s[10:11], -1
	s_cbranch_scc1 .LBB118_2657
; %bb.2652:
	s_cmp_gt_i32 s17, 27
	s_cbranch_scc0 .LBB118_2654
; %bb.2653:
	v_bfe_i32 v2, v6, 0, 16
	s_mov_b64 s[10:11], 0
	global_store_dword v[0:1], v2, off
.LBB118_2654:
	s_andn2_b64 vcc, exec, s[10:11]
	s_cbranch_vccnz .LBB118_2656
; %bb.2655:
	global_store_short v[0:1], v6, off
.LBB118_2656:
	s_mov_b64 s[10:11], 0
.LBB118_2657:
	s_andn2_b64 vcc, exec, s[10:11]
	s_cbranch_vccnz .LBB118_2665
; %bb.2658:
	v_cvt_f32_i32_sdwa v2, sext(v6) dst_sel:DWORD dst_unused:UNUSED_PAD src0_sel:WORD_0
	s_mov_b32 s10, 0x43800000
	v_mov_b32_e32 v8, 0x80
	v_and_b32_e32 v3, 0x7fffffff, v2
	v_cmp_gt_u32_e32 vcc, s10, v3
	s_and_saveexec_b64 s[10:11], vcc
	s_cbranch_execz .LBB118_2664
; %bb.2659:
	s_mov_b32 s12, 0x3bffffff
	v_cmp_lt_u32_e32 vcc, s12, v3
	s_mov_b64 s[12:13], 0
                                        ; implicit-def: $vgpr3
	s_and_saveexec_b64 s[14:15], vcc
	s_xor_b64 s[14:15], exec, s[14:15]
	s_cbranch_execz .LBB118_2999
; %bb.2660:
	v_bfe_u32 v3, v2, 20, 1
	s_mov_b32 s21, 0x487ffff
	v_add3_u32 v3, v2, v3, s21
	s_mov_b64 s[12:13], exec
	v_lshrrev_b32_e32 v3, 20, v3
	s_andn2_saveexec_b64 s[14:15], s[14:15]
	s_cbranch_execnz .LBB118_3000
.LBB118_2661:
	s_or_b64 exec, exec, s[14:15]
	v_mov_b32_e32 v8, 0
	s_and_saveexec_b64 s[14:15], s[12:13]
.LBB118_2662:
	v_lshrrev_b32_e32 v2, 24, v2
	s_movk_i32 s12, 0x80
	v_and_or_b32 v8, v2, s12, v3
.LBB118_2663:
	s_or_b64 exec, exec, s[14:15]
.LBB118_2664:
	s_or_b64 exec, exec, s[10:11]
	global_store_byte v[0:1], v8, off
.LBB118_2665:
	s_mov_b64 s[10:11], -1
.LBB118_2666:
	s_mov_b64 s[12:13], 0
.LBB118_2667:
	s_and_b64 vcc, exec, s[12:13]
	s_cbranch_vccz .LBB118_2707
; %bb.2668:
	s_cmp_gt_i32 s17, 22
	s_mov_b64 s[2:3], -1
	s_cbranch_scc0 .LBB118_2700
; %bb.2669:
	s_cmp_lt_i32 s17, 24
	s_cbranch_scc1 .LBB118_2689
; %bb.2670:
	s_cmp_gt_i32 s17, 24
	s_cbranch_scc0 .LBB118_2678
; %bb.2671:
	v_cvt_f32_i32_sdwa v2, sext(v6) dst_sel:DWORD dst_unused:UNUSED_PAD src0_sel:WORD_0
	s_mov_b32 s2, 0x47800000
	v_mov_b32_e32 v8, 0x80
	v_and_b32_e32 v3, 0x7fffffff, v2
	v_cmp_gt_u32_e32 vcc, s2, v3
	s_and_saveexec_b64 s[2:3], vcc
	s_cbranch_execz .LBB118_2677
; %bb.2672:
	s_mov_b32 s10, 0x37ffffff
	v_cmp_lt_u32_e32 vcc, s10, v3
	s_mov_b64 s[10:11], 0
                                        ; implicit-def: $vgpr3
	s_and_saveexec_b64 s[12:13], vcc
	s_xor_b64 s[12:13], exec, s[12:13]
	s_cbranch_execz .LBB118_3002
; %bb.2673:
	v_bfe_u32 v3, v2, 21, 1
	s_mov_b32 s14, 0x88fffff
	v_add3_u32 v3, v2, v3, s14
	s_mov_b64 s[10:11], exec
	v_lshrrev_b32_e32 v3, 21, v3
	s_andn2_saveexec_b64 s[12:13], s[12:13]
	s_cbranch_execnz .LBB118_3003
.LBB118_2674:
	s_or_b64 exec, exec, s[12:13]
	v_mov_b32_e32 v8, 0
	s_and_saveexec_b64 s[12:13], s[10:11]
.LBB118_2675:
	v_lshrrev_b32_e32 v2, 24, v2
	s_movk_i32 s10, 0x80
	v_and_or_b32 v8, v2, s10, v3
.LBB118_2676:
	s_or_b64 exec, exec, s[12:13]
.LBB118_2677:
	s_or_b64 exec, exec, s[2:3]
	s_mov_b64 s[2:3], 0
	global_store_byte v[0:1], v8, off
.LBB118_2678:
	s_and_b64 vcc, exec, s[2:3]
	s_cbranch_vccz .LBB118_2688
; %bb.2679:
	v_cvt_f32_i32_sdwa v2, sext(v6) dst_sel:DWORD dst_unused:UNUSED_PAD src0_sel:WORD_0
	s_mov_b32 s2, 0x43f00000
                                        ; implicit-def: $vgpr3
	v_and_b32_e32 v8, 0x7fffffff, v2
	v_cmp_gt_u32_e32 vcc, s2, v8
	s_and_saveexec_b64 s[2:3], vcc
	s_xor_b64 s[2:3], exec, s[2:3]
	s_cbranch_execz .LBB118_2685
; %bb.2680:
	s_mov_b32 s10, 0x3c7fffff
	v_cmp_lt_u32_e32 vcc, s10, v8
                                        ; implicit-def: $vgpr3
	s_and_saveexec_b64 s[10:11], vcc
	s_xor_b64 s[10:11], exec, s[10:11]
	s_cbranch_execz .LBB118_2682
; %bb.2681:
	v_bfe_u32 v3, v2, 20, 1
	s_mov_b32 s12, 0x407ffff
	v_add3_u32 v3, v2, v3, s12
	v_lshrrev_b32_e32 v8, 20, v3
	v_and_b32_e32 v3, 0xff00000, v3
	s_mov_b32 s12, 0x7f00000
	s_waitcnt vmcnt(0)
	v_mov_b32_e32 v11, 0x7e
	v_cmp_ne_u32_e32 vcc, s12, v3
	v_cndmask_b32_e32 v3, v11, v8, vcc
.LBB118_2682:
	s_andn2_saveexec_b64 s[10:11], s[10:11]
; %bb.2683:
	s_mov_b32 s12, 0x46800000
	v_add_f32_e64 v3, |v2|, s12
; %bb.2684:
	s_or_b64 exec, exec, s[10:11]
                                        ; implicit-def: $vgpr8
.LBB118_2685:
	s_andn2_saveexec_b64 s[2:3], s[2:3]
	s_cbranch_execz .LBB118_2687
; %bb.2686:
	s_mov_b32 s10, 0x7f800000
	v_mov_b32_e32 v3, 0x7e
	s_waitcnt vmcnt(0)
	v_mov_b32_e32 v11, 0x7f
	v_cmp_lt_u32_e32 vcc, s10, v8
	v_cndmask_b32_e32 v3, v3, v11, vcc
.LBB118_2687:
	s_or_b64 exec, exec, s[2:3]
	v_lshrrev_b32_e32 v2, 24, v2
	s_movk_i32 s2, 0x80
	v_and_or_b32 v2, v2, s2, v3
	global_store_byte v[0:1], v2, off
.LBB118_2688:
	s_mov_b64 s[2:3], 0
.LBB118_2689:
	s_andn2_b64 vcc, exec, s[2:3]
	s_cbranch_vccnz .LBB118_2699
; %bb.2690:
	v_cvt_f32_i32_sdwa v2, sext(v6) dst_sel:DWORD dst_unused:UNUSED_PAD src0_sel:WORD_0
	s_mov_b32 s2, 0x47800000
                                        ; implicit-def: $vgpr3
	v_and_b32_e32 v8, 0x7fffffff, v2
	v_cmp_gt_u32_e32 vcc, s2, v8
	s_and_saveexec_b64 s[2:3], vcc
	s_xor_b64 s[2:3], exec, s[2:3]
	s_cbranch_execz .LBB118_2696
; %bb.2691:
	s_mov_b32 s10, 0x387fffff
	v_cmp_lt_u32_e32 vcc, s10, v8
                                        ; implicit-def: $vgpr3
	s_and_saveexec_b64 s[10:11], vcc
	s_xor_b64 s[10:11], exec, s[10:11]
; %bb.2692:
	v_bfe_u32 v3, v2, 21, 1
	s_mov_b32 s12, 0x80fffff
	v_add3_u32 v3, v2, v3, s12
	v_lshrrev_b32_e32 v3, 21, v3
; %bb.2693:
	s_andn2_saveexec_b64 s[10:11], s[10:11]
; %bb.2694:
	s_mov_b32 s12, 0x43000000
	v_add_f32_e64 v3, |v2|, s12
; %bb.2695:
	s_or_b64 exec, exec, s[10:11]
                                        ; implicit-def: $vgpr8
.LBB118_2696:
	s_andn2_saveexec_b64 s[2:3], s[2:3]
	s_cbranch_execz .LBB118_2698
; %bb.2697:
	s_mov_b32 s10, 0x7f800000
	v_mov_b32_e32 v3, 0x7c
	s_waitcnt vmcnt(0)
	v_mov_b32_e32 v11, 0x7f
	v_cmp_lt_u32_e32 vcc, s10, v8
	v_cndmask_b32_e32 v3, v3, v11, vcc
.LBB118_2698:
	s_or_b64 exec, exec, s[2:3]
	v_lshrrev_b32_e32 v2, 24, v2
	s_movk_i32 s2, 0x80
	v_and_or_b32 v2, v2, s2, v3
	global_store_byte v[0:1], v2, off
.LBB118_2699:
	s_mov_b64 s[2:3], 0
	s_mov_b64 s[10:11], -1
.LBB118_2700:
	s_andn2_b64 vcc, exec, s[2:3]
	s_mov_b64 s[2:3], 0
	s_cbranch_vccnz .LBB118_2707
; %bb.2701:
	s_cmp_gt_i32 s17, 14
	s_mov_b64 s[12:13], -1
	s_cbranch_scc0 .LBB118_2705
; %bb.2702:
	s_cmp_eq_u32 s17, 15
	s_mov_b64 s[0:1], -1
	s_cbranch_scc0 .LBB118_2704
; %bb.2703:
	v_cvt_f32_i32_sdwa v2, sext(v6) dst_sel:DWORD dst_unused:UNUSED_PAD src0_sel:WORD_0
	s_movk_i32 s2, 0x7fff
	s_mov_b64 s[0:1], 0
	s_mov_b64 s[10:11], -1
	v_bfe_u32 v3, v2, 16, 1
	v_add3_u32 v2, v2, v3, s2
	global_store_short_d16_hi v[0:1], v2, off
.LBB118_2704:
	s_mov_b64 s[12:13], 0
.LBB118_2705:
	s_mov_b64 s[2:3], 0
	s_and_b64 vcc, exec, s[12:13]
	s_cbranch_vccz .LBB118_2707
; %bb.2706:
	s_cmp_lg_u32 s17, 11
	s_mov_b64 s[2:3], -1
	s_cselect_b64 s[0:1], -1, 0
.LBB118_2707:
	s_and_b64 vcc, exec, s[0:1]
	s_cbranch_vccnz .LBB118_3001
; %bb.2708:
	s_andn2_b64 vcc, exec, s[2:3]
	s_cbranch_vccnz .LBB118_2710
.LBB118_2709:
	v_cmp_ne_u16_e32 vcc, 0, v6
	v_cndmask_b32_e64 v2, 0, 1, vcc
	s_mov_b64 s[10:11], -1
	global_store_byte v[0:1], v2, off
.LBB118_2710:
	s_mov_b64 s[0:1], 0
	s_branch .LBB118_2712
.LBB118_2711:
	s_mov_b64 s[0:1], -1
	s_mov_b64 s[10:11], 0
.LBB118_2712:
	s_and_b64 vcc, exec, s[0:1]
	s_cbranch_vccz .LBB118_2751
; %bb.2713:
	s_and_b32 s2, 0xffff, s20
	s_cmp_lt_i32 s2, 5
	s_mov_b64 s[0:1], -1
	s_cbranch_scc1 .LBB118_2734
; %bb.2714:
	s_cmp_lt_i32 s2, 8
	s_cbranch_scc1 .LBB118_2724
; %bb.2715:
	s_cmp_lt_i32 s2, 9
	s_cbranch_scc1 .LBB118_2721
; %bb.2716:
	s_cmp_gt_i32 s2, 9
	s_cbranch_scc0 .LBB118_2718
; %bb.2717:
	v_bfe_i32 v2, v6, 0, 16
	s_waitcnt vmcnt(0)
	v_cvt_f64_i32_e32 v[11:12], v2
	v_mov_b32_e32 v13, 0
	v_mov_b32_e32 v14, v13
	s_mov_b64 s[0:1], 0
	global_store_dwordx4 v[0:1], v[11:14], off
.LBB118_2718:
	s_andn2_b64 vcc, exec, s[0:1]
	s_cbranch_vccnz .LBB118_2720
; %bb.2719:
	v_cvt_f32_i32_sdwa v2, sext(v6) dst_sel:DWORD dst_unused:UNUSED_PAD src0_sel:WORD_0
	v_mov_b32_e32 v3, 0
	global_store_dwordx2 v[0:1], v[2:3], off
.LBB118_2720:
	s_mov_b64 s[0:1], 0
.LBB118_2721:
	s_andn2_b64 vcc, exec, s[0:1]
	s_cbranch_vccnz .LBB118_2723
; %bb.2722:
	v_cvt_f16_i16_e32 v2, v6
	global_store_dword v[0:1], v2, off
.LBB118_2723:
	s_mov_b64 s[0:1], 0
.LBB118_2724:
	s_andn2_b64 vcc, exec, s[0:1]
	s_cbranch_vccnz .LBB118_2733
; %bb.2725:
	s_cmp_lt_i32 s2, 6
	s_mov_b64 s[0:1], -1
	s_cbranch_scc1 .LBB118_2731
; %bb.2726:
	s_cmp_gt_i32 s2, 6
	s_cbranch_scc0 .LBB118_2728
; %bb.2727:
	v_bfe_i32 v2, v6, 0, 16
	v_cvt_f64_i32_e32 v[2:3], v2
	s_mov_b64 s[0:1], 0
	global_store_dwordx2 v[0:1], v[2:3], off
.LBB118_2728:
	s_andn2_b64 vcc, exec, s[0:1]
	s_cbranch_vccnz .LBB118_2730
; %bb.2729:
	v_cvt_f32_i32_sdwa v2, sext(v6) dst_sel:DWORD dst_unused:UNUSED_PAD src0_sel:WORD_0
	global_store_dword v[0:1], v2, off
.LBB118_2730:
	s_mov_b64 s[0:1], 0
.LBB118_2731:
	s_andn2_b64 vcc, exec, s[0:1]
	s_cbranch_vccnz .LBB118_2733
; %bb.2732:
	v_cvt_f16_i16_e32 v2, v6
	global_store_short v[0:1], v2, off
.LBB118_2733:
	s_mov_b64 s[0:1], 0
.LBB118_2734:
	s_andn2_b64 vcc, exec, s[0:1]
	s_cbranch_vccnz .LBB118_2750
; %bb.2735:
	s_cmp_lt_i32 s2, 2
	s_mov_b64 s[0:1], -1
	s_cbranch_scc1 .LBB118_2745
; %bb.2736:
	s_cmp_lt_i32 s2, 3
	s_cbranch_scc1 .LBB118_2742
; %bb.2737:
	s_cmp_gt_i32 s2, 3
	v_bfe_i32 v2, v6, 0, 16
	s_cbranch_scc0 .LBB118_2739
; %bb.2738:
	v_ashrrev_i32_e32 v3, 31, v2
	global_store_dwordx2 v[0:1], v[2:3], off
	s_mov_b64 s[0:1], 0
.LBB118_2739:
	s_andn2_b64 vcc, exec, s[0:1]
	s_cbranch_vccnz .LBB118_2741
; %bb.2740:
	global_store_dword v[0:1], v2, off
.LBB118_2741:
	s_mov_b64 s[0:1], 0
.LBB118_2742:
	s_andn2_b64 vcc, exec, s[0:1]
	s_cbranch_vccnz .LBB118_2744
; %bb.2743:
	global_store_short v[0:1], v6, off
.LBB118_2744:
	s_mov_b64 s[0:1], 0
.LBB118_2745:
	s_andn2_b64 vcc, exec, s[0:1]
	s_cbranch_vccnz .LBB118_2750
; %bb.2746:
	s_cmp_gt_i32 s2, 0
	s_mov_b64 s[0:1], -1
	s_cbranch_scc0 .LBB118_2748
; %bb.2747:
	global_store_byte v[0:1], v6, off
	s_mov_b64 s[0:1], 0
.LBB118_2748:
	s_andn2_b64 vcc, exec, s[0:1]
	s_cbranch_vccnz .LBB118_2750
; %bb.2749:
	global_store_byte v[0:1], v6, off
.LBB118_2750:
	s_mov_b64 s[10:11], -1
.LBB118_2751:
	s_andn2_b64 vcc, exec, s[10:11]
	s_cbranch_vccnz .LBB118_2947
; %bb.2752:
	v_lshlrev_b32_sdwa v0, v9, v4 dst_sel:DWORD dst_unused:UNUSED_PAD src0_sel:WORD_0 src1_sel:DWORD
	v_cmp_gt_u16_e32 vcc, 16, v9
	v_add_u32_e32 v5, s16, v5
	v_cndmask_b32_e32 v4, 0, v0, vcc
	v_ashrrev_i32_e32 v1, 31, v5
	v_mov_b32_e32 v2, s9
	v_add_co_u32_e32 v0, vcc, s8, v5
	s_cmp_lt_i32 s20, 11
	v_addc_co_u32_e32 v1, vcc, v2, v1, vcc
	s_cbranch_scc1 .LBB118_2830
; %bb.2753:
	s_and_b32 s17, 0xffff, s20
	s_mov_b64 s[12:13], -1
	s_mov_b64 s[2:3], 0
	s_cmp_gt_i32 s17, 25
	s_mov_b64 s[10:11], 0
	s_mov_b64 s[0:1], 0
	s_cbranch_scc0 .LBB118_2786
; %bb.2754:
	s_cmp_gt_i32 s17, 28
	s_cbranch_scc0 .LBB118_2769
; %bb.2755:
	s_cmp_gt_i32 s17, 43
	;; [unrolled: 3-line block ×3, first 2 shown]
	s_cbranch_scc0 .LBB118_2759
; %bb.2757:
	s_mov_b64 s[0:1], -1
	s_mov_b64 s[12:13], 0
	s_cmp_eq_u32 s17, 46
	s_cbranch_scc0 .LBB118_2759
; %bb.2758:
	v_cvt_f32_i32_sdwa v2, sext(v4) dst_sel:DWORD dst_unused:UNUSED_PAD src0_sel:WORD_0
	s_movk_i32 s10, 0x7fff
	s_mov_b64 s[0:1], 0
	v_bfe_u32 v3, v2, 16, 1
	v_add3_u32 v2, v2, v3, s10
	v_lshrrev_b32_e32 v2, 16, v2
	global_store_dword v[0:1], v2, off
	s_mov_b64 s[10:11], -1
.LBB118_2759:
	s_and_b64 vcc, exec, s[12:13]
	s_cbranch_vccz .LBB118_2764
; %bb.2760:
	s_cmp_eq_u32 s17, 44
	s_mov_b64 s[0:1], -1
	s_cbranch_scc0 .LBB118_2764
; %bb.2761:
	v_cvt_f32_i32_sdwa v2, sext(v4) dst_sel:DWORD dst_unused:UNUSED_PAD src0_sel:WORD_0
	s_movk_i32 s0, 0xff
	v_mov_b32_e32 v6, 0xff
	v_bfe_u32 v3, v2, 23, 8
	v_cmp_ne_u32_e32 vcc, s0, v3
	s_and_saveexec_b64 s[10:11], vcc
; %bb.2762:
	s_mov_b32 s0, 0x3fffff
	v_lshrrev_b32_e32 v6, 23, v2
	v_and_b32_e32 v8, 0x400000, v2
	v_and_or_b32 v2, v2, s0, v3
	v_cmp_ne_u32_e32 vcc, 0, v8
	v_cmp_ne_u32_e64 s[0:1], 0, v2
	s_and_b64 s[0:1], vcc, s[0:1]
	v_cndmask_b32_e64 v2, 0, 1, s[0:1]
	v_add_u32_e32 v6, v6, v2
; %bb.2763:
	s_or_b64 exec, exec, s[10:11]
	s_mov_b64 s[0:1], 0
	s_mov_b64 s[10:11], -1
	global_store_byte v[0:1], v6, off
.LBB118_2764:
	s_mov_b64 s[12:13], 0
.LBB118_2765:
	s_and_b64 vcc, exec, s[12:13]
	s_cbranch_vccz .LBB118_2768
; %bb.2766:
	s_cmp_eq_u32 s17, 29
	s_mov_b64 s[0:1], -1
	s_cbranch_scc0 .LBB118_2768
; %bb.2767:
	v_bfe_i32 v2, v4, 0, 16
	v_ashrrev_i32_e32 v3, 31, v2
	global_store_dwordx2 v[0:1], v[2:3], off
	s_mov_b64 s[0:1], 0
	s_mov_b64 s[10:11], -1
.LBB118_2768:
	s_mov_b64 s[12:13], 0
.LBB118_2769:
	s_and_b64 vcc, exec, s[12:13]
	s_cbranch_vccz .LBB118_2785
; %bb.2770:
	s_cmp_lt_i32 s17, 27
	s_mov_b64 s[10:11], -1
	s_cbranch_scc1 .LBB118_2776
; %bb.2771:
	s_cmp_gt_i32 s17, 27
	s_cbranch_scc0 .LBB118_2773
; %bb.2772:
	v_bfe_i32 v2, v4, 0, 16
	s_mov_b64 s[10:11], 0
	global_store_dword v[0:1], v2, off
.LBB118_2773:
	s_andn2_b64 vcc, exec, s[10:11]
	s_cbranch_vccnz .LBB118_2775
; %bb.2774:
	global_store_short v[0:1], v4, off
.LBB118_2775:
	s_mov_b64 s[10:11], 0
.LBB118_2776:
	s_andn2_b64 vcc, exec, s[10:11]
	s_cbranch_vccnz .LBB118_2784
; %bb.2777:
	v_cvt_f32_i32_sdwa v2, sext(v4) dst_sel:DWORD dst_unused:UNUSED_PAD src0_sel:WORD_0
	s_mov_b32 s10, 0x43800000
	v_mov_b32_e32 v6, 0x80
	v_and_b32_e32 v3, 0x7fffffff, v2
	v_cmp_gt_u32_e32 vcc, s10, v3
	s_and_saveexec_b64 s[10:11], vcc
	s_cbranch_execz .LBB118_2783
; %bb.2778:
	s_mov_b32 s12, 0x3bffffff
	v_cmp_lt_u32_e32 vcc, s12, v3
	s_mov_b64 s[12:13], 0
                                        ; implicit-def: $vgpr3
	s_and_saveexec_b64 s[14:15], vcc
	s_xor_b64 s[14:15], exec, s[14:15]
	s_cbranch_execz .LBB118_3004
; %bb.2779:
	v_bfe_u32 v3, v2, 20, 1
	s_mov_b32 s21, 0x487ffff
	v_add3_u32 v3, v2, v3, s21
	s_mov_b64 s[12:13], exec
	v_lshrrev_b32_e32 v3, 20, v3
	s_andn2_saveexec_b64 s[14:15], s[14:15]
	s_cbranch_execnz .LBB118_3005
.LBB118_2780:
	s_or_b64 exec, exec, s[14:15]
	v_mov_b32_e32 v6, 0
	s_and_saveexec_b64 s[14:15], s[12:13]
.LBB118_2781:
	v_lshrrev_b32_e32 v2, 24, v2
	s_movk_i32 s12, 0x80
	v_and_or_b32 v6, v2, s12, v3
.LBB118_2782:
	s_or_b64 exec, exec, s[14:15]
.LBB118_2783:
	s_or_b64 exec, exec, s[10:11]
	global_store_byte v[0:1], v6, off
.LBB118_2784:
	s_mov_b64 s[10:11], -1
.LBB118_2785:
	s_mov_b64 s[12:13], 0
.LBB118_2786:
	s_and_b64 vcc, exec, s[12:13]
	s_cbranch_vccz .LBB118_2826
; %bb.2787:
	s_cmp_gt_i32 s17, 22
	s_mov_b64 s[2:3], -1
	s_cbranch_scc0 .LBB118_2819
; %bb.2788:
	s_cmp_lt_i32 s17, 24
	s_cbranch_scc1 .LBB118_2808
; %bb.2789:
	s_cmp_gt_i32 s17, 24
	s_cbranch_scc0 .LBB118_2797
; %bb.2790:
	v_cvt_f32_i32_sdwa v2, sext(v4) dst_sel:DWORD dst_unused:UNUSED_PAD src0_sel:WORD_0
	s_mov_b32 s2, 0x47800000
	v_mov_b32_e32 v6, 0x80
	v_and_b32_e32 v3, 0x7fffffff, v2
	v_cmp_gt_u32_e32 vcc, s2, v3
	s_and_saveexec_b64 s[2:3], vcc
	s_cbranch_execz .LBB118_2796
; %bb.2791:
	s_mov_b32 s10, 0x37ffffff
	v_cmp_lt_u32_e32 vcc, s10, v3
	s_mov_b64 s[10:11], 0
                                        ; implicit-def: $vgpr3
	s_and_saveexec_b64 s[12:13], vcc
	s_xor_b64 s[12:13], exec, s[12:13]
	s_cbranch_execz .LBB118_3007
; %bb.2792:
	v_bfe_u32 v3, v2, 21, 1
	s_mov_b32 s14, 0x88fffff
	v_add3_u32 v3, v2, v3, s14
	s_mov_b64 s[10:11], exec
	v_lshrrev_b32_e32 v3, 21, v3
	s_andn2_saveexec_b64 s[12:13], s[12:13]
	s_cbranch_execnz .LBB118_3008
.LBB118_2793:
	s_or_b64 exec, exec, s[12:13]
	v_mov_b32_e32 v6, 0
	s_and_saveexec_b64 s[12:13], s[10:11]
.LBB118_2794:
	v_lshrrev_b32_e32 v2, 24, v2
	s_movk_i32 s10, 0x80
	v_and_or_b32 v6, v2, s10, v3
.LBB118_2795:
	s_or_b64 exec, exec, s[12:13]
.LBB118_2796:
	s_or_b64 exec, exec, s[2:3]
	s_mov_b64 s[2:3], 0
	global_store_byte v[0:1], v6, off
.LBB118_2797:
	s_and_b64 vcc, exec, s[2:3]
	s_cbranch_vccz .LBB118_2807
; %bb.2798:
	v_cvt_f32_i32_sdwa v2, sext(v4) dst_sel:DWORD dst_unused:UNUSED_PAD src0_sel:WORD_0
	s_mov_b32 s2, 0x43f00000
                                        ; implicit-def: $vgpr3
	v_and_b32_e32 v6, 0x7fffffff, v2
	v_cmp_gt_u32_e32 vcc, s2, v6
	s_and_saveexec_b64 s[2:3], vcc
	s_xor_b64 s[2:3], exec, s[2:3]
	s_cbranch_execz .LBB118_2804
; %bb.2799:
	s_mov_b32 s10, 0x3c7fffff
	v_cmp_lt_u32_e32 vcc, s10, v6
                                        ; implicit-def: $vgpr3
	s_and_saveexec_b64 s[10:11], vcc
	s_xor_b64 s[10:11], exec, s[10:11]
; %bb.2800:
	v_bfe_u32 v3, v2, 20, 1
	s_mov_b32 s12, 0x407ffff
	v_add3_u32 v3, v2, v3, s12
	v_lshrrev_b32_e32 v6, 20, v3
	v_and_b32_e32 v3, 0xff00000, v3
	s_mov_b32 s12, 0x7f00000
	v_mov_b32_e32 v8, 0x7e
	v_cmp_ne_u32_e32 vcc, s12, v3
	v_cndmask_b32_e32 v3, v8, v6, vcc
; %bb.2801:
	s_andn2_saveexec_b64 s[10:11], s[10:11]
; %bb.2802:
	s_mov_b32 s12, 0x46800000
	v_add_f32_e64 v3, |v2|, s12
; %bb.2803:
	s_or_b64 exec, exec, s[10:11]
                                        ; implicit-def: $vgpr6
.LBB118_2804:
	s_andn2_saveexec_b64 s[2:3], s[2:3]
; %bb.2805:
	s_mov_b32 s10, 0x7f800000
	v_mov_b32_e32 v3, 0x7e
	v_mov_b32_e32 v8, 0x7f
	v_cmp_lt_u32_e32 vcc, s10, v6
	v_cndmask_b32_e32 v3, v3, v8, vcc
; %bb.2806:
	s_or_b64 exec, exec, s[2:3]
	v_lshrrev_b32_e32 v2, 24, v2
	s_movk_i32 s2, 0x80
	v_and_or_b32 v2, v2, s2, v3
	global_store_byte v[0:1], v2, off
.LBB118_2807:
	s_mov_b64 s[2:3], 0
.LBB118_2808:
	s_andn2_b64 vcc, exec, s[2:3]
	s_cbranch_vccnz .LBB118_2818
; %bb.2809:
	v_cvt_f32_i32_sdwa v2, sext(v4) dst_sel:DWORD dst_unused:UNUSED_PAD src0_sel:WORD_0
	s_mov_b32 s2, 0x47800000
                                        ; implicit-def: $vgpr3
	v_and_b32_e32 v6, 0x7fffffff, v2
	v_cmp_gt_u32_e32 vcc, s2, v6
	s_and_saveexec_b64 s[2:3], vcc
	s_xor_b64 s[2:3], exec, s[2:3]
	s_cbranch_execz .LBB118_2815
; %bb.2810:
	s_mov_b32 s10, 0x387fffff
	v_cmp_lt_u32_e32 vcc, s10, v6
                                        ; implicit-def: $vgpr3
	s_and_saveexec_b64 s[10:11], vcc
	s_xor_b64 s[10:11], exec, s[10:11]
; %bb.2811:
	v_bfe_u32 v3, v2, 21, 1
	s_mov_b32 s12, 0x80fffff
	v_add3_u32 v3, v2, v3, s12
	v_lshrrev_b32_e32 v3, 21, v3
; %bb.2812:
	s_andn2_saveexec_b64 s[10:11], s[10:11]
; %bb.2813:
	s_mov_b32 s12, 0x43000000
	v_add_f32_e64 v3, |v2|, s12
; %bb.2814:
	s_or_b64 exec, exec, s[10:11]
                                        ; implicit-def: $vgpr6
.LBB118_2815:
	s_andn2_saveexec_b64 s[2:3], s[2:3]
; %bb.2816:
	s_mov_b32 s10, 0x7f800000
	v_mov_b32_e32 v3, 0x7c
	v_mov_b32_e32 v8, 0x7f
	v_cmp_lt_u32_e32 vcc, s10, v6
	v_cndmask_b32_e32 v3, v3, v8, vcc
; %bb.2817:
	s_or_b64 exec, exec, s[2:3]
	v_lshrrev_b32_e32 v2, 24, v2
	s_movk_i32 s2, 0x80
	v_and_or_b32 v2, v2, s2, v3
	global_store_byte v[0:1], v2, off
.LBB118_2818:
	s_mov_b64 s[2:3], 0
	s_mov_b64 s[10:11], -1
.LBB118_2819:
	s_andn2_b64 vcc, exec, s[2:3]
	s_mov_b64 s[2:3], 0
	s_cbranch_vccnz .LBB118_2826
; %bb.2820:
	s_cmp_gt_i32 s17, 14
	s_mov_b64 s[12:13], -1
	s_cbranch_scc0 .LBB118_2824
; %bb.2821:
	s_cmp_eq_u32 s17, 15
	s_mov_b64 s[0:1], -1
	s_cbranch_scc0 .LBB118_2823
; %bb.2822:
	v_cvt_f32_i32_sdwa v2, sext(v4) dst_sel:DWORD dst_unused:UNUSED_PAD src0_sel:WORD_0
	s_movk_i32 s2, 0x7fff
	s_mov_b64 s[0:1], 0
	s_mov_b64 s[10:11], -1
	v_bfe_u32 v3, v2, 16, 1
	v_add3_u32 v2, v2, v3, s2
	global_store_short_d16_hi v[0:1], v2, off
.LBB118_2823:
	s_mov_b64 s[12:13], 0
.LBB118_2824:
	s_mov_b64 s[2:3], 0
	s_and_b64 vcc, exec, s[12:13]
	s_cbranch_vccz .LBB118_2826
; %bb.2825:
	s_cmp_lg_u32 s17, 11
	s_mov_b64 s[2:3], -1
	s_cselect_b64 s[0:1], -1, 0
.LBB118_2826:
	s_and_b64 vcc, exec, s[0:1]
	s_cbranch_vccnz .LBB118_3006
; %bb.2827:
	s_andn2_b64 vcc, exec, s[2:3]
	s_cbranch_vccnz .LBB118_2829
.LBB118_2828:
	v_cmp_ne_u16_e32 vcc, 0, v4
	v_cndmask_b32_e64 v2, 0, 1, vcc
	s_mov_b64 s[10:11], -1
	global_store_byte v[0:1], v2, off
.LBB118_2829:
	s_mov_b64 s[0:1], 0
	s_branch .LBB118_2831
.LBB118_2830:
	s_mov_b64 s[0:1], -1
	s_mov_b64 s[10:11], 0
.LBB118_2831:
	s_and_b64 vcc, exec, s[0:1]
	s_cbranch_vccz .LBB118_2870
; %bb.2832:
	s_and_b32 s2, 0xffff, s20
	s_cmp_lt_i32 s2, 5
	s_mov_b64 s[0:1], -1
	s_cbranch_scc1 .LBB118_2853
; %bb.2833:
	s_cmp_lt_i32 s2, 8
	s_cbranch_scc1 .LBB118_2843
; %bb.2834:
	s_cmp_lt_i32 s2, 9
	s_cbranch_scc1 .LBB118_2840
; %bb.2835:
	s_cmp_gt_i32 s2, 9
	s_cbranch_scc0 .LBB118_2837
; %bb.2836:
	v_bfe_i32 v2, v4, 0, 16
	s_waitcnt vmcnt(0)
	v_cvt_f64_i32_e32 v[11:12], v2
	v_mov_b32_e32 v13, 0
	v_mov_b32_e32 v14, v13
	s_mov_b64 s[0:1], 0
	global_store_dwordx4 v[0:1], v[11:14], off
.LBB118_2837:
	s_andn2_b64 vcc, exec, s[0:1]
	s_cbranch_vccnz .LBB118_2839
; %bb.2838:
	v_cvt_f32_i32_sdwa v2, sext(v4) dst_sel:DWORD dst_unused:UNUSED_PAD src0_sel:WORD_0
	v_mov_b32_e32 v3, 0
	global_store_dwordx2 v[0:1], v[2:3], off
.LBB118_2839:
	s_mov_b64 s[0:1], 0
.LBB118_2840:
	s_andn2_b64 vcc, exec, s[0:1]
	s_cbranch_vccnz .LBB118_2842
; %bb.2841:
	v_cvt_f16_i16_e32 v2, v4
	global_store_dword v[0:1], v2, off
.LBB118_2842:
	s_mov_b64 s[0:1], 0
.LBB118_2843:
	s_andn2_b64 vcc, exec, s[0:1]
	s_cbranch_vccnz .LBB118_2852
; %bb.2844:
	s_cmp_lt_i32 s2, 6
	s_mov_b64 s[0:1], -1
	s_cbranch_scc1 .LBB118_2850
; %bb.2845:
	s_cmp_gt_i32 s2, 6
	s_cbranch_scc0 .LBB118_2847
; %bb.2846:
	v_bfe_i32 v2, v4, 0, 16
	v_cvt_f64_i32_e32 v[2:3], v2
	s_mov_b64 s[0:1], 0
	global_store_dwordx2 v[0:1], v[2:3], off
.LBB118_2847:
	s_andn2_b64 vcc, exec, s[0:1]
	s_cbranch_vccnz .LBB118_2849
; %bb.2848:
	v_cvt_f32_i32_sdwa v2, sext(v4) dst_sel:DWORD dst_unused:UNUSED_PAD src0_sel:WORD_0
	global_store_dword v[0:1], v2, off
.LBB118_2849:
	s_mov_b64 s[0:1], 0
.LBB118_2850:
	s_andn2_b64 vcc, exec, s[0:1]
	s_cbranch_vccnz .LBB118_2852
; %bb.2851:
	v_cvt_f16_i16_e32 v2, v4
	global_store_short v[0:1], v2, off
.LBB118_2852:
	s_mov_b64 s[0:1], 0
.LBB118_2853:
	s_andn2_b64 vcc, exec, s[0:1]
	s_cbranch_vccnz .LBB118_2869
; %bb.2854:
	s_cmp_lt_i32 s2, 2
	s_mov_b64 s[0:1], -1
	s_cbranch_scc1 .LBB118_2864
; %bb.2855:
	s_cmp_lt_i32 s2, 3
	s_cbranch_scc1 .LBB118_2861
; %bb.2856:
	s_cmp_gt_i32 s2, 3
	v_bfe_i32 v2, v4, 0, 16
	s_cbranch_scc0 .LBB118_2858
; %bb.2857:
	v_ashrrev_i32_e32 v3, 31, v2
	global_store_dwordx2 v[0:1], v[2:3], off
	s_mov_b64 s[0:1], 0
.LBB118_2858:
	s_andn2_b64 vcc, exec, s[0:1]
	s_cbranch_vccnz .LBB118_2860
; %bb.2859:
	global_store_dword v[0:1], v2, off
.LBB118_2860:
	s_mov_b64 s[0:1], 0
.LBB118_2861:
	s_andn2_b64 vcc, exec, s[0:1]
	s_cbranch_vccnz .LBB118_2863
; %bb.2862:
	global_store_short v[0:1], v4, off
.LBB118_2863:
	s_mov_b64 s[0:1], 0
.LBB118_2864:
	s_andn2_b64 vcc, exec, s[0:1]
	s_cbranch_vccnz .LBB118_2869
; %bb.2865:
	s_cmp_gt_i32 s2, 0
	s_mov_b64 s[0:1], -1
	s_cbranch_scc0 .LBB118_2867
; %bb.2866:
	global_store_byte v[0:1], v4, off
	s_mov_b64 s[0:1], 0
.LBB118_2867:
	s_andn2_b64 vcc, exec, s[0:1]
	s_cbranch_vccnz .LBB118_2869
; %bb.2868:
	global_store_byte v[0:1], v4, off
.LBB118_2869:
	s_mov_b64 s[10:11], -1
.LBB118_2870:
	s_andn2_b64 vcc, exec, s[10:11]
	s_cbranch_vccnz .LBB118_2947
; %bb.2871:
	s_waitcnt vmcnt(0)
	v_lshlrev_b32_sdwa v0, v10, v7 dst_sel:DWORD dst_unused:UNUSED_PAD src0_sel:WORD_0 src1_sel:DWORD
	v_cmp_gt_u16_e32 vcc, 16, v10
	v_cndmask_b32_e32 v4, 0, v0, vcc
	v_add_u32_e32 v0, s16, v5
	v_ashrrev_i32_e32 v1, 31, v0
	v_mov_b32_e32 v2, s9
	v_add_co_u32_e32 v0, vcc, s8, v0
	s_cmp_lt_i32 s20, 11
	v_addc_co_u32_e32 v1, vcc, v2, v1, vcc
	s_cbranch_scc1 .LBB118_2992
; %bb.2872:
	s_and_b32 s14, 0xffff, s20
	s_mov_b64 s[8:9], -1
	s_mov_b64 s[2:3], 0
	s_cmp_gt_i32 s14, 25
	s_mov_b64 s[0:1], 0
	s_cbranch_scc0 .LBB118_2905
; %bb.2873:
	s_cmp_gt_i32 s14, 28
	s_cbranch_scc0 .LBB118_2889
; %bb.2874:
	s_cmp_gt_i32 s14, 43
	;; [unrolled: 3-line block ×3, first 2 shown]
	s_cbranch_scc0 .LBB118_2879
; %bb.2876:
	s_cmp_eq_u32 s14, 46
	s_mov_b64 s[0:1], -1
	s_cbranch_scc0 .LBB118_2878
; %bb.2877:
	v_cvt_f32_i32_sdwa v2, sext(v4) dst_sel:DWORD dst_unused:UNUSED_PAD src0_sel:WORD_0
	s_movk_i32 s0, 0x7fff
	v_bfe_u32 v3, v2, 16, 1
	v_add3_u32 v2, v2, v3, s0
	v_lshrrev_b32_e32 v2, 16, v2
	global_store_dword v[0:1], v2, off
	s_mov_b64 s[0:1], 0
.LBB118_2878:
	s_mov_b64 s[8:9], 0
.LBB118_2879:
	s_and_b64 vcc, exec, s[8:9]
	s_cbranch_vccz .LBB118_2884
; %bb.2880:
	s_cmp_eq_u32 s14, 44
	s_mov_b64 s[0:1], -1
	s_cbranch_scc0 .LBB118_2884
; %bb.2881:
	v_cvt_f32_i32_sdwa v2, sext(v4) dst_sel:DWORD dst_unused:UNUSED_PAD src0_sel:WORD_0
	s_movk_i32 s0, 0xff
	v_mov_b32_e32 v5, 0xff
	v_bfe_u32 v3, v2, 23, 8
	v_cmp_ne_u32_e32 vcc, s0, v3
	s_and_saveexec_b64 s[8:9], vcc
; %bb.2882:
	s_mov_b32 s0, 0x3fffff
	v_lshrrev_b32_e32 v5, 23, v2
	v_and_b32_e32 v6, 0x400000, v2
	v_and_or_b32 v2, v2, s0, v3
	v_cmp_ne_u32_e32 vcc, 0, v6
	v_cmp_ne_u32_e64 s[0:1], 0, v2
	s_and_b64 s[0:1], vcc, s[0:1]
	v_cndmask_b32_e64 v2, 0, 1, s[0:1]
	v_add_u32_e32 v5, v5, v2
; %bb.2883:
	s_or_b64 exec, exec, s[8:9]
	s_mov_b64 s[0:1], 0
	global_store_byte v[0:1], v5, off
.LBB118_2884:
	s_mov_b64 s[8:9], 0
.LBB118_2885:
	s_and_b64 vcc, exec, s[8:9]
	s_cbranch_vccz .LBB118_2888
; %bb.2886:
	s_cmp_eq_u32 s14, 29
	s_mov_b64 s[0:1], -1
	s_cbranch_scc0 .LBB118_2888
; %bb.2887:
	v_bfe_i32 v2, v4, 0, 16
	v_ashrrev_i32_e32 v3, 31, v2
	global_store_dwordx2 v[0:1], v[2:3], off
	s_mov_b64 s[0:1], 0
.LBB118_2888:
	s_mov_b64 s[8:9], 0
.LBB118_2889:
	s_and_b64 vcc, exec, s[8:9]
	s_cbranch_vccz .LBB118_2904
; %bb.2890:
	s_cmp_lt_i32 s14, 27
	s_mov_b64 s[8:9], -1
	s_cbranch_scc1 .LBB118_2896
; %bb.2891:
	s_cmp_gt_i32 s14, 27
	s_cbranch_scc0 .LBB118_2893
; %bb.2892:
	v_bfe_i32 v2, v4, 0, 16
	global_store_dword v[0:1], v2, off
	s_mov_b64 s[8:9], 0
.LBB118_2893:
	s_andn2_b64 vcc, exec, s[8:9]
	s_cbranch_vccnz .LBB118_2895
; %bb.2894:
	global_store_short v[0:1], v4, off
.LBB118_2895:
	s_mov_b64 s[8:9], 0
.LBB118_2896:
	s_andn2_b64 vcc, exec, s[8:9]
	s_cbranch_vccnz .LBB118_2904
; %bb.2897:
	v_cvt_f32_i32_sdwa v2, sext(v4) dst_sel:DWORD dst_unused:UNUSED_PAD src0_sel:WORD_0
	s_mov_b32 s8, 0x43800000
	v_mov_b32_e32 v5, 0x80
	v_and_b32_e32 v3, 0x7fffffff, v2
	v_cmp_gt_u32_e32 vcc, s8, v3
	s_and_saveexec_b64 s[8:9], vcc
	s_cbranch_execz .LBB118_2903
; %bb.2898:
	s_mov_b32 s10, 0x3bffffff
	v_cmp_lt_u32_e32 vcc, s10, v3
	s_mov_b64 s[10:11], 0
                                        ; implicit-def: $vgpr3
	s_and_saveexec_b64 s[12:13], vcc
	s_xor_b64 s[12:13], exec, s[12:13]
	s_cbranch_execz .LBB118_3009
; %bb.2899:
	v_bfe_u32 v3, v2, 20, 1
	s_mov_b32 s15, 0x487ffff
	v_add3_u32 v3, v2, v3, s15
	s_mov_b64 s[10:11], exec
	v_lshrrev_b32_e32 v3, 20, v3
	s_andn2_saveexec_b64 s[12:13], s[12:13]
	s_cbranch_execnz .LBB118_3010
.LBB118_2900:
	s_or_b64 exec, exec, s[12:13]
	v_mov_b32_e32 v5, 0
	s_and_saveexec_b64 s[12:13], s[10:11]
.LBB118_2901:
	v_lshrrev_b32_e32 v2, 24, v2
	s_movk_i32 s10, 0x80
	v_and_or_b32 v5, v2, s10, v3
.LBB118_2902:
	s_or_b64 exec, exec, s[12:13]
.LBB118_2903:
	s_or_b64 exec, exec, s[8:9]
	global_store_byte v[0:1], v5, off
.LBB118_2904:
	s_mov_b64 s[8:9], 0
.LBB118_2905:
	s_and_b64 vcc, exec, s[8:9]
	s_cbranch_vccz .LBB118_2945
; %bb.2906:
	s_cmp_gt_i32 s14, 22
	s_mov_b64 s[2:3], -1
	s_cbranch_scc0 .LBB118_2938
; %bb.2907:
	s_cmp_lt_i32 s14, 24
	s_cbranch_scc1 .LBB118_2927
; %bb.2908:
	s_cmp_gt_i32 s14, 24
	s_cbranch_scc0 .LBB118_2916
; %bb.2909:
	v_cvt_f32_i32_sdwa v2, sext(v4) dst_sel:DWORD dst_unused:UNUSED_PAD src0_sel:WORD_0
	s_mov_b32 s2, 0x47800000
	v_mov_b32_e32 v5, 0x80
	v_and_b32_e32 v3, 0x7fffffff, v2
	v_cmp_gt_u32_e32 vcc, s2, v3
	s_and_saveexec_b64 s[2:3], vcc
	s_cbranch_execz .LBB118_2915
; %bb.2910:
	s_mov_b32 s8, 0x37ffffff
	v_cmp_lt_u32_e32 vcc, s8, v3
	s_mov_b64 s[8:9], 0
                                        ; implicit-def: $vgpr3
	s_and_saveexec_b64 s[10:11], vcc
	s_xor_b64 s[10:11], exec, s[10:11]
	s_cbranch_execz .LBB118_3012
; %bb.2911:
	v_bfe_u32 v3, v2, 21, 1
	s_mov_b32 s12, 0x88fffff
	v_add3_u32 v3, v2, v3, s12
	s_mov_b64 s[8:9], exec
	v_lshrrev_b32_e32 v3, 21, v3
	s_andn2_saveexec_b64 s[10:11], s[10:11]
	s_cbranch_execnz .LBB118_3013
.LBB118_2912:
	s_or_b64 exec, exec, s[10:11]
	v_mov_b32_e32 v5, 0
	s_and_saveexec_b64 s[10:11], s[8:9]
.LBB118_2913:
	v_lshrrev_b32_e32 v2, 24, v2
	s_movk_i32 s8, 0x80
	v_and_or_b32 v5, v2, s8, v3
.LBB118_2914:
	s_or_b64 exec, exec, s[10:11]
.LBB118_2915:
	s_or_b64 exec, exec, s[2:3]
	s_mov_b64 s[2:3], 0
	global_store_byte v[0:1], v5, off
.LBB118_2916:
	s_and_b64 vcc, exec, s[2:3]
	s_cbranch_vccz .LBB118_2926
; %bb.2917:
	v_cvt_f32_i32_sdwa v2, sext(v4) dst_sel:DWORD dst_unused:UNUSED_PAD src0_sel:WORD_0
	s_mov_b32 s2, 0x43f00000
                                        ; implicit-def: $vgpr3
	v_and_b32_e32 v5, 0x7fffffff, v2
	v_cmp_gt_u32_e32 vcc, s2, v5
	s_and_saveexec_b64 s[2:3], vcc
	s_xor_b64 s[2:3], exec, s[2:3]
	s_cbranch_execz .LBB118_2923
; %bb.2918:
	s_mov_b32 s8, 0x3c7fffff
	v_cmp_lt_u32_e32 vcc, s8, v5
                                        ; implicit-def: $vgpr3
	s_and_saveexec_b64 s[8:9], vcc
	s_xor_b64 s[8:9], exec, s[8:9]
; %bb.2919:
	v_bfe_u32 v3, v2, 20, 1
	s_mov_b32 s10, 0x407ffff
	v_add3_u32 v3, v2, v3, s10
	v_lshrrev_b32_e32 v5, 20, v3
	v_and_b32_e32 v3, 0xff00000, v3
	s_mov_b32 s10, 0x7f00000
	v_mov_b32_e32 v6, 0x7e
	v_cmp_ne_u32_e32 vcc, s10, v3
	v_cndmask_b32_e32 v3, v6, v5, vcc
; %bb.2920:
	s_andn2_saveexec_b64 s[8:9], s[8:9]
; %bb.2921:
	s_mov_b32 s10, 0x46800000
	v_add_f32_e64 v3, |v2|, s10
; %bb.2922:
	s_or_b64 exec, exec, s[8:9]
                                        ; implicit-def: $vgpr5
.LBB118_2923:
	s_andn2_saveexec_b64 s[2:3], s[2:3]
; %bb.2924:
	s_mov_b32 s8, 0x7f800000
	v_mov_b32_e32 v3, 0x7e
	v_mov_b32_e32 v6, 0x7f
	v_cmp_lt_u32_e32 vcc, s8, v5
	v_cndmask_b32_e32 v3, v3, v6, vcc
; %bb.2925:
	s_or_b64 exec, exec, s[2:3]
	v_lshrrev_b32_e32 v2, 24, v2
	s_movk_i32 s2, 0x80
	v_and_or_b32 v2, v2, s2, v3
	global_store_byte v[0:1], v2, off
.LBB118_2926:
	s_mov_b64 s[2:3], 0
.LBB118_2927:
	s_andn2_b64 vcc, exec, s[2:3]
	s_cbranch_vccnz .LBB118_2937
; %bb.2928:
	v_cvt_f32_i32_sdwa v2, sext(v4) dst_sel:DWORD dst_unused:UNUSED_PAD src0_sel:WORD_0
	s_mov_b32 s2, 0x47800000
                                        ; implicit-def: $vgpr3
	v_and_b32_e32 v5, 0x7fffffff, v2
	v_cmp_gt_u32_e32 vcc, s2, v5
	s_and_saveexec_b64 s[2:3], vcc
	s_xor_b64 s[2:3], exec, s[2:3]
	s_cbranch_execz .LBB118_2934
; %bb.2929:
	s_mov_b32 s8, 0x387fffff
	v_cmp_lt_u32_e32 vcc, s8, v5
                                        ; implicit-def: $vgpr3
	s_and_saveexec_b64 s[8:9], vcc
	s_xor_b64 s[8:9], exec, s[8:9]
; %bb.2930:
	v_bfe_u32 v3, v2, 21, 1
	s_mov_b32 s10, 0x80fffff
	v_add3_u32 v3, v2, v3, s10
	v_lshrrev_b32_e32 v3, 21, v3
; %bb.2931:
	s_andn2_saveexec_b64 s[8:9], s[8:9]
; %bb.2932:
	s_mov_b32 s10, 0x43000000
	v_add_f32_e64 v3, |v2|, s10
; %bb.2933:
	s_or_b64 exec, exec, s[8:9]
                                        ; implicit-def: $vgpr5
.LBB118_2934:
	s_andn2_saveexec_b64 s[2:3], s[2:3]
; %bb.2935:
	s_mov_b32 s8, 0x7f800000
	v_mov_b32_e32 v3, 0x7c
	v_mov_b32_e32 v6, 0x7f
	v_cmp_lt_u32_e32 vcc, s8, v5
	v_cndmask_b32_e32 v3, v3, v6, vcc
; %bb.2936:
	s_or_b64 exec, exec, s[2:3]
	v_lshrrev_b32_e32 v2, 24, v2
	s_movk_i32 s2, 0x80
	v_and_or_b32 v2, v2, s2, v3
	global_store_byte v[0:1], v2, off
.LBB118_2937:
	s_mov_b64 s[2:3], 0
.LBB118_2938:
	s_andn2_b64 vcc, exec, s[2:3]
	s_mov_b64 s[2:3], 0
	s_cbranch_vccnz .LBB118_2945
; %bb.2939:
	s_cmp_gt_i32 s14, 14
	s_mov_b64 s[8:9], -1
	s_cbranch_scc0 .LBB118_2943
; %bb.2940:
	s_cmp_eq_u32 s14, 15
	s_mov_b64 s[0:1], -1
	s_cbranch_scc0 .LBB118_2942
; %bb.2941:
	v_cvt_f32_i32_sdwa v2, sext(v4) dst_sel:DWORD dst_unused:UNUSED_PAD src0_sel:WORD_0
	s_movk_i32 s0, 0x7fff
	v_bfe_u32 v3, v2, 16, 1
	v_add3_u32 v2, v2, v3, s0
	global_store_short_d16_hi v[0:1], v2, off
	s_mov_b64 s[0:1], 0
.LBB118_2942:
	s_mov_b64 s[8:9], 0
.LBB118_2943:
	s_and_b64 vcc, exec, s[8:9]
	s_cbranch_vccz .LBB118_2945
; %bb.2944:
	s_cmp_lg_u32 s14, 11
	s_mov_b64 s[2:3], -1
	s_cselect_b64 s[0:1], -1, 0
.LBB118_2945:
	s_and_b64 vcc, exec, s[0:1]
	s_cbranch_vccnz .LBB118_3011
.LBB118_2946:
	s_mov_b64 s[0:1], 0
	s_branch .LBB118_2948
.LBB118_2947:
	s_mov_b64 s[0:1], 0
	s_mov_b64 s[2:3], 0
                                        ; implicit-def: $sgpr20
                                        ; implicit-def: $vgpr0_vgpr1
                                        ; implicit-def: $vgpr4
.LBB118_2948:
	s_and_b64 s[16:17], s[2:3], exec
	s_andn2_b64 s[2:3], s[6:7], exec
	s_and_b64 s[6:7], s[18:19], exec
	s_and_b64 s[0:1], s[0:1], exec
	s_or_b64 s[6:7], s[2:3], s[6:7]
.LBB118_2949:
	s_or_b64 exec, exec, s[4:5]
	s_and_saveexec_b64 s[2:3], s[6:7]
	s_cbranch_execz .LBB118_2952
; %bb.2950:
	; divergent unreachable
	s_or_b64 exec, exec, s[2:3]
	s_and_saveexec_b64 s[2:3], s[16:17]
	s_xor_b64 s[2:3], exec, s[2:3]
	s_cbranch_execnz .LBB118_2953
.LBB118_2951:
	s_or_b64 exec, exec, s[2:3]
	s_and_saveexec_b64 s[2:3], s[0:1]
	s_cbranch_execnz .LBB118_2954
	s_branch .LBB118_2991
.LBB118_2952:
	s_or_b64 exec, exec, s[2:3]
	s_and_saveexec_b64 s[2:3], s[16:17]
	s_xor_b64 s[2:3], exec, s[2:3]
	s_cbranch_execz .LBB118_2951
.LBB118_2953:
	s_waitcnt vmcnt(0)
	v_cmp_ne_u16_e32 vcc, 0, v4
	v_cndmask_b32_e64 v2, 0, 1, vcc
	global_store_byte v[0:1], v2, off
	s_or_b64 exec, exec, s[2:3]
	s_and_saveexec_b64 s[2:3], s[0:1]
	s_cbranch_execz .LBB118_2991
.LBB118_2954:
	s_sext_i32_i16 s2, s20
	s_cmp_lt_i32 s2, 5
	s_mov_b64 s[0:1], -1
	s_cbranch_scc1 .LBB118_2975
; %bb.2955:
	s_cmp_lt_i32 s2, 8
	s_cbranch_scc1 .LBB118_2965
; %bb.2956:
	s_cmp_lt_i32 s2, 9
	s_cbranch_scc1 .LBB118_2962
; %bb.2957:
	s_cmp_gt_i32 s2, 9
	s_cbranch_scc0 .LBB118_2959
; %bb.2958:
	s_waitcnt vmcnt(0)
	v_bfe_i32 v2, v4, 0, 16
	v_cvt_f64_i32_e32 v[5:6], v2
	v_mov_b32_e32 v7, 0
	v_mov_b32_e32 v8, v7
	s_mov_b64 s[0:1], 0
	global_store_dwordx4 v[0:1], v[5:8], off
.LBB118_2959:
	s_andn2_b64 vcc, exec, s[0:1]
	s_cbranch_vccnz .LBB118_2961
; %bb.2960:
	s_waitcnt vmcnt(0)
	v_cvt_f32_i32_sdwa v2, sext(v4) dst_sel:DWORD dst_unused:UNUSED_PAD src0_sel:WORD_0
	v_mov_b32_e32 v3, 0
	global_store_dwordx2 v[0:1], v[2:3], off
.LBB118_2961:
	s_mov_b64 s[0:1], 0
.LBB118_2962:
	s_andn2_b64 vcc, exec, s[0:1]
	s_cbranch_vccnz .LBB118_2964
; %bb.2963:
	s_waitcnt vmcnt(0)
	v_cvt_f16_i16_e32 v2, v4
	global_store_dword v[0:1], v2, off
.LBB118_2964:
	s_mov_b64 s[0:1], 0
.LBB118_2965:
	s_andn2_b64 vcc, exec, s[0:1]
	s_cbranch_vccnz .LBB118_2974
; %bb.2966:
	s_sext_i32_i16 s2, s20
	s_cmp_lt_i32 s2, 6
	s_mov_b64 s[0:1], -1
	s_cbranch_scc1 .LBB118_2972
; %bb.2967:
	s_cmp_gt_i32 s2, 6
	s_cbranch_scc0 .LBB118_2969
; %bb.2968:
	s_waitcnt vmcnt(0)
	v_bfe_i32 v2, v4, 0, 16
	v_cvt_f64_i32_e32 v[2:3], v2
	s_mov_b64 s[0:1], 0
	global_store_dwordx2 v[0:1], v[2:3], off
.LBB118_2969:
	s_andn2_b64 vcc, exec, s[0:1]
	s_cbranch_vccnz .LBB118_2971
; %bb.2970:
	s_waitcnt vmcnt(0)
	v_cvt_f32_i32_sdwa v2, sext(v4) dst_sel:DWORD dst_unused:UNUSED_PAD src0_sel:WORD_0
	global_store_dword v[0:1], v2, off
.LBB118_2971:
	s_mov_b64 s[0:1], 0
.LBB118_2972:
	s_andn2_b64 vcc, exec, s[0:1]
	s_cbranch_vccnz .LBB118_2974
; %bb.2973:
	s_waitcnt vmcnt(0)
	v_cvt_f16_i16_e32 v2, v4
	global_store_short v[0:1], v2, off
.LBB118_2974:
	s_mov_b64 s[0:1], 0
.LBB118_2975:
	s_andn2_b64 vcc, exec, s[0:1]
	s_cbranch_vccnz .LBB118_2991
; %bb.2976:
	s_sext_i32_i16 s2, s20
	s_cmp_lt_i32 s2, 2
	s_mov_b64 s[0:1], -1
	s_cbranch_scc1 .LBB118_2986
; %bb.2977:
	s_cmp_lt_i32 s2, 3
	s_cbranch_scc1 .LBB118_2983
; %bb.2978:
	s_cmp_gt_i32 s2, 3
	s_waitcnt vmcnt(0)
	v_bfe_i32 v2, v4, 0, 16
	s_cbranch_scc0 .LBB118_2980
; %bb.2979:
	v_ashrrev_i32_e32 v3, 31, v2
	global_store_dwordx2 v[0:1], v[2:3], off
	s_mov_b64 s[0:1], 0
.LBB118_2980:
	s_andn2_b64 vcc, exec, s[0:1]
	s_cbranch_vccnz .LBB118_2982
; %bb.2981:
	global_store_dword v[0:1], v2, off
.LBB118_2982:
	s_mov_b64 s[0:1], 0
.LBB118_2983:
	s_andn2_b64 vcc, exec, s[0:1]
	s_cbranch_vccnz .LBB118_2985
; %bb.2984:
	s_waitcnt vmcnt(0)
	global_store_short v[0:1], v4, off
.LBB118_2985:
	s_mov_b64 s[0:1], 0
.LBB118_2986:
	s_andn2_b64 vcc, exec, s[0:1]
	s_cbranch_vccnz .LBB118_2991
; %bb.2987:
	s_sext_i32_i16 s0, s20
	s_cmp_gt_i32 s0, 0
	s_mov_b64 s[0:1], -1
	s_cbranch_scc0 .LBB118_2989
; %bb.2988:
	s_waitcnt vmcnt(0)
	global_store_byte v[0:1], v4, off
	s_mov_b64 s[0:1], 0
.LBB118_2989:
	s_andn2_b64 vcc, exec, s[0:1]
	s_cbranch_vccnz .LBB118_2991
; %bb.2990:
	s_waitcnt vmcnt(0)
	global_store_byte v[0:1], v4, off
	s_endpgm
.LBB118_2991:
	s_endpgm
.LBB118_2992:
	s_mov_b64 s[2:3], 0
	s_mov_b64 s[0:1], -1
	s_branch .LBB118_2948
.LBB118_2993:
	s_trap 2
	s_or_b64 s[18:19], s[18:19], exec
	s_cbranch_execz .LBB118_2462
	s_branch .LBB118_2463
.LBB118_2994:
	s_andn2_saveexec_b64 s[16:17], s[16:17]
	s_cbranch_execz .LBB118_2542
.LBB118_2995:
	s_mov_b32 s21, 0x46000000
	v_add_f32_e64 v11, |v8|, s21
	v_and_b32_e32 v11, 0xff, v11
	v_cmp_ne_u32_e32 vcc, 0, v11
	s_andn2_b64 s[14:15], s[14:15], exec
	s_and_b64 s[22:23], vcc, exec
	s_or_b64 s[14:15], s[14:15], s[22:23]
	s_or_b64 exec, exec, s[16:17]
	v_mov_b32_e32 v12, 0
	s_and_saveexec_b64 s[16:17], s[14:15]
	s_cbranch_execnz .LBB118_2543
	s_branch .LBB118_2544
.LBB118_2996:
	s_trap 2
	s_or_b64 s[18:19], s[18:19], exec
	s_cbranch_execz .LBB118_2590
	s_branch .LBB118_2591
.LBB118_2997:
	s_andn2_saveexec_b64 s[14:15], s[14:15]
	s_cbranch_execz .LBB118_2555
.LBB118_2998:
	s_mov_b32 s16, 0x42800000
	v_add_f32_e64 v11, |v8|, s16
	v_and_b32_e32 v11, 0xff, v11
	v_cmp_ne_u32_e32 vcc, 0, v11
	s_andn2_b64 s[10:11], s[10:11], exec
	s_and_b64 s[16:17], vcc, exec
	s_or_b64 s[10:11], s[10:11], s[16:17]
	s_or_b64 exec, exec, s[14:15]
	v_mov_b32_e32 v12, 0
	s_and_saveexec_b64 s[14:15], s[10:11]
	s_cbranch_execnz .LBB118_2556
	s_branch .LBB118_2557
.LBB118_2999:
	s_andn2_saveexec_b64 s[14:15], s[14:15]
	s_cbranch_execz .LBB118_2661
.LBB118_3000:
	s_mov_b32 s21, 0x46000000
	v_add_f32_e64 v3, |v2|, s21
	v_and_b32_e32 v3, 0xff, v3
	v_cmp_ne_u32_e32 vcc, 0, v3
	s_andn2_b64 s[12:13], s[12:13], exec
	s_and_b64 s[22:23], vcc, exec
	s_or_b64 s[12:13], s[12:13], s[22:23]
	s_or_b64 exec, exec, s[14:15]
	v_mov_b32_e32 v8, 0
	s_and_saveexec_b64 s[14:15], s[12:13]
	s_cbranch_execnz .LBB118_2662
	s_branch .LBB118_2663
.LBB118_3001:
	s_trap 2
	s_or_b64 s[18:19], s[18:19], exec
	s_cbranch_execz .LBB118_2709
	s_branch .LBB118_2710
.LBB118_3002:
	s_andn2_saveexec_b64 s[12:13], s[12:13]
	s_cbranch_execz .LBB118_2674
.LBB118_3003:
	s_mov_b32 s14, 0x42800000
	v_add_f32_e64 v3, |v2|, s14
	v_and_b32_e32 v3, 0xff, v3
	v_cmp_ne_u32_e32 vcc, 0, v3
	s_andn2_b64 s[10:11], s[10:11], exec
	s_and_b64 s[14:15], vcc, exec
	s_or_b64 s[10:11], s[10:11], s[14:15]
	s_or_b64 exec, exec, s[12:13]
	v_mov_b32_e32 v8, 0
	s_and_saveexec_b64 s[12:13], s[10:11]
	s_cbranch_execnz .LBB118_2675
	s_branch .LBB118_2676
.LBB118_3004:
	s_andn2_saveexec_b64 s[14:15], s[14:15]
	s_cbranch_execz .LBB118_2780
.LBB118_3005:
	s_mov_b32 s21, 0x46000000
	v_add_f32_e64 v3, |v2|, s21
	v_and_b32_e32 v3, 0xff, v3
	v_cmp_ne_u32_e32 vcc, 0, v3
	s_andn2_b64 s[12:13], s[12:13], exec
	s_and_b64 s[22:23], vcc, exec
	s_or_b64 s[12:13], s[12:13], s[22:23]
	s_or_b64 exec, exec, s[14:15]
	v_mov_b32_e32 v6, 0
	s_and_saveexec_b64 s[14:15], s[12:13]
	s_cbranch_execnz .LBB118_2781
	s_branch .LBB118_2782
.LBB118_3006:
	s_trap 2
	s_or_b64 s[18:19], s[18:19], exec
	s_cbranch_execz .LBB118_2828
	s_branch .LBB118_2829
.LBB118_3007:
	s_andn2_saveexec_b64 s[12:13], s[12:13]
	s_cbranch_execz .LBB118_2793
.LBB118_3008:
	s_mov_b32 s14, 0x42800000
	v_add_f32_e64 v3, |v2|, s14
	v_and_b32_e32 v3, 0xff, v3
	v_cmp_ne_u32_e32 vcc, 0, v3
	s_andn2_b64 s[10:11], s[10:11], exec
	s_and_b64 s[14:15], vcc, exec
	s_or_b64 s[10:11], s[10:11], s[14:15]
	s_or_b64 exec, exec, s[12:13]
	v_mov_b32_e32 v6, 0
	s_and_saveexec_b64 s[12:13], s[10:11]
	s_cbranch_execnz .LBB118_2794
	s_branch .LBB118_2795
.LBB118_3009:
	s_andn2_saveexec_b64 s[12:13], s[12:13]
	s_cbranch_execz .LBB118_2900
.LBB118_3010:
	s_mov_b32 s15, 0x46000000
	v_add_f32_e64 v3, |v2|, s15
	v_and_b32_e32 v3, 0xff, v3
	v_cmp_ne_u32_e32 vcc, 0, v3
	s_andn2_b64 s[10:11], s[10:11], exec
	s_and_b64 s[16:17], vcc, exec
	s_or_b64 s[10:11], s[10:11], s[16:17]
	s_or_b64 exec, exec, s[12:13]
	v_mov_b32_e32 v5, 0
	s_and_saveexec_b64 s[12:13], s[10:11]
	s_cbranch_execnz .LBB118_2901
	s_branch .LBB118_2902
.LBB118_3011:
	s_mov_b64 s[2:3], 0
	s_or_b64 s[18:19], s[18:19], exec
	s_trap 2
	s_branch .LBB118_2946
.LBB118_3012:
	s_andn2_saveexec_b64 s[10:11], s[10:11]
	s_cbranch_execz .LBB118_2912
.LBB118_3013:
	s_mov_b32 s12, 0x42800000
	v_add_f32_e64 v3, |v2|, s12
	v_and_b32_e32 v3, 0xff, v3
	v_cmp_ne_u32_e32 vcc, 0, v3
	s_andn2_b64 s[8:9], s[8:9], exec
	s_and_b64 s[12:13], vcc, exec
	s_or_b64 s[8:9], s[8:9], s[12:13]
	s_or_b64 exec, exec, s[10:11]
	v_mov_b32_e32 v5, 0
	s_and_saveexec_b64 s[10:11], s[8:9]
	s_cbranch_execnz .LBB118_2913
	s_branch .LBB118_2914
	.section	.rodata,"a",@progbits
	.p2align	6, 0x0
	.amdhsa_kernel _ZN2at6native32elementwise_kernel_manual_unrollILi128ELi4EZNS0_15gpu_kernel_implINS0_13BinaryFunctorIsssZZZNS0_18lshift_kernel_cudaERNS_18TensorIteratorBaseEENKUlvE_clEvENKUlvE3_clEvEUlssE_EEEEvS5_RKT_EUlibE_EEviT1_
		.amdhsa_group_segment_fixed_size 0
		.amdhsa_private_segment_fixed_size 0
		.amdhsa_kernarg_size 48
		.amdhsa_user_sgpr_count 6
		.amdhsa_user_sgpr_private_segment_buffer 1
		.amdhsa_user_sgpr_dispatch_ptr 0
		.amdhsa_user_sgpr_queue_ptr 0
		.amdhsa_user_sgpr_kernarg_segment_ptr 1
		.amdhsa_user_sgpr_dispatch_id 0
		.amdhsa_user_sgpr_flat_scratch_init 0
		.amdhsa_user_sgpr_private_segment_size 0
		.amdhsa_uses_dynamic_stack 0
		.amdhsa_system_sgpr_private_segment_wavefront_offset 0
		.amdhsa_system_sgpr_workgroup_id_x 1
		.amdhsa_system_sgpr_workgroup_id_y 0
		.amdhsa_system_sgpr_workgroup_id_z 0
		.amdhsa_system_sgpr_workgroup_info 0
		.amdhsa_system_vgpr_workitem_id 0
		.amdhsa_next_free_vgpr 16
		.amdhsa_next_free_sgpr 56
		.amdhsa_reserve_vcc 1
		.amdhsa_reserve_flat_scratch 0
		.amdhsa_float_round_mode_32 0
		.amdhsa_float_round_mode_16_64 0
		.amdhsa_float_denorm_mode_32 3
		.amdhsa_float_denorm_mode_16_64 3
		.amdhsa_dx10_clamp 1
		.amdhsa_ieee_mode 1
		.amdhsa_fp16_overflow 0
		.amdhsa_exception_fp_ieee_invalid_op 0
		.amdhsa_exception_fp_denorm_src 0
		.amdhsa_exception_fp_ieee_div_zero 0
		.amdhsa_exception_fp_ieee_overflow 0
		.amdhsa_exception_fp_ieee_underflow 0
		.amdhsa_exception_fp_ieee_inexact 0
		.amdhsa_exception_int_div_zero 0
	.end_amdhsa_kernel
	.section	.text._ZN2at6native32elementwise_kernel_manual_unrollILi128ELi4EZNS0_15gpu_kernel_implINS0_13BinaryFunctorIsssZZZNS0_18lshift_kernel_cudaERNS_18TensorIteratorBaseEENKUlvE_clEvENKUlvE3_clEvEUlssE_EEEEvS5_RKT_EUlibE_EEviT1_,"axG",@progbits,_ZN2at6native32elementwise_kernel_manual_unrollILi128ELi4EZNS0_15gpu_kernel_implINS0_13BinaryFunctorIsssZZZNS0_18lshift_kernel_cudaERNS_18TensorIteratorBaseEENKUlvE_clEvENKUlvE3_clEvEUlssE_EEEEvS5_RKT_EUlibE_EEviT1_,comdat
.Lfunc_end118:
	.size	_ZN2at6native32elementwise_kernel_manual_unrollILi128ELi4EZNS0_15gpu_kernel_implINS0_13BinaryFunctorIsssZZZNS0_18lshift_kernel_cudaERNS_18TensorIteratorBaseEENKUlvE_clEvENKUlvE3_clEvEUlssE_EEEEvS5_RKT_EUlibE_EEviT1_, .Lfunc_end118-_ZN2at6native32elementwise_kernel_manual_unrollILi128ELi4EZNS0_15gpu_kernel_implINS0_13BinaryFunctorIsssZZZNS0_18lshift_kernel_cudaERNS_18TensorIteratorBaseEENKUlvE_clEvENKUlvE3_clEvEUlssE_EEEEvS5_RKT_EUlibE_EEviT1_
                                        ; -- End function
	.set _ZN2at6native32elementwise_kernel_manual_unrollILi128ELi4EZNS0_15gpu_kernel_implINS0_13BinaryFunctorIsssZZZNS0_18lshift_kernel_cudaERNS_18TensorIteratorBaseEENKUlvE_clEvENKUlvE3_clEvEUlssE_EEEEvS5_RKT_EUlibE_EEviT1_.num_vgpr, 16
	.set _ZN2at6native32elementwise_kernel_manual_unrollILi128ELi4EZNS0_15gpu_kernel_implINS0_13BinaryFunctorIsssZZZNS0_18lshift_kernel_cudaERNS_18TensorIteratorBaseEENKUlvE_clEvENKUlvE3_clEvEUlssE_EEEEvS5_RKT_EUlibE_EEviT1_.num_agpr, 0
	.set _ZN2at6native32elementwise_kernel_manual_unrollILi128ELi4EZNS0_15gpu_kernel_implINS0_13BinaryFunctorIsssZZZNS0_18lshift_kernel_cudaERNS_18TensorIteratorBaseEENKUlvE_clEvENKUlvE3_clEvEUlssE_EEEEvS5_RKT_EUlibE_EEviT1_.numbered_sgpr, 56
	.set _ZN2at6native32elementwise_kernel_manual_unrollILi128ELi4EZNS0_15gpu_kernel_implINS0_13BinaryFunctorIsssZZZNS0_18lshift_kernel_cudaERNS_18TensorIteratorBaseEENKUlvE_clEvENKUlvE3_clEvEUlssE_EEEEvS5_RKT_EUlibE_EEviT1_.num_named_barrier, 0
	.set _ZN2at6native32elementwise_kernel_manual_unrollILi128ELi4EZNS0_15gpu_kernel_implINS0_13BinaryFunctorIsssZZZNS0_18lshift_kernel_cudaERNS_18TensorIteratorBaseEENKUlvE_clEvENKUlvE3_clEvEUlssE_EEEEvS5_RKT_EUlibE_EEviT1_.private_seg_size, 0
	.set _ZN2at6native32elementwise_kernel_manual_unrollILi128ELi4EZNS0_15gpu_kernel_implINS0_13BinaryFunctorIsssZZZNS0_18lshift_kernel_cudaERNS_18TensorIteratorBaseEENKUlvE_clEvENKUlvE3_clEvEUlssE_EEEEvS5_RKT_EUlibE_EEviT1_.uses_vcc, 1
	.set _ZN2at6native32elementwise_kernel_manual_unrollILi128ELi4EZNS0_15gpu_kernel_implINS0_13BinaryFunctorIsssZZZNS0_18lshift_kernel_cudaERNS_18TensorIteratorBaseEENKUlvE_clEvENKUlvE3_clEvEUlssE_EEEEvS5_RKT_EUlibE_EEviT1_.uses_flat_scratch, 0
	.set _ZN2at6native32elementwise_kernel_manual_unrollILi128ELi4EZNS0_15gpu_kernel_implINS0_13BinaryFunctorIsssZZZNS0_18lshift_kernel_cudaERNS_18TensorIteratorBaseEENKUlvE_clEvENKUlvE3_clEvEUlssE_EEEEvS5_RKT_EUlibE_EEviT1_.has_dyn_sized_stack, 0
	.set _ZN2at6native32elementwise_kernel_manual_unrollILi128ELi4EZNS0_15gpu_kernel_implINS0_13BinaryFunctorIsssZZZNS0_18lshift_kernel_cudaERNS_18TensorIteratorBaseEENKUlvE_clEvENKUlvE3_clEvEUlssE_EEEEvS5_RKT_EUlibE_EEviT1_.has_recursion, 0
	.set _ZN2at6native32elementwise_kernel_manual_unrollILi128ELi4EZNS0_15gpu_kernel_implINS0_13BinaryFunctorIsssZZZNS0_18lshift_kernel_cudaERNS_18TensorIteratorBaseEENKUlvE_clEvENKUlvE3_clEvEUlssE_EEEEvS5_RKT_EUlibE_EEviT1_.has_indirect_call, 0
	.section	.AMDGPU.csdata,"",@progbits
; Kernel info:
; codeLenInByte = 44320
; TotalNumSgprs: 60
; NumVgprs: 16
; ScratchSize: 0
; MemoryBound: 1
; FloatMode: 240
; IeeeMode: 1
; LDSByteSize: 0 bytes/workgroup (compile time only)
; SGPRBlocks: 7
; VGPRBlocks: 3
; NumSGPRsForWavesPerEU: 60
; NumVGPRsForWavesPerEU: 16
; Occupancy: 10
; WaveLimiterHint : 0
; COMPUTE_PGM_RSRC2:SCRATCH_EN: 0
; COMPUTE_PGM_RSRC2:USER_SGPR: 6
; COMPUTE_PGM_RSRC2:TRAP_HANDLER: 0
; COMPUTE_PGM_RSRC2:TGID_X_EN: 1
; COMPUTE_PGM_RSRC2:TGID_Y_EN: 0
; COMPUTE_PGM_RSRC2:TGID_Z_EN: 0
; COMPUTE_PGM_RSRC2:TIDIG_COMP_CNT: 0
	.section	.text._ZN2at6native32elementwise_kernel_manual_unrollILi128ELi4EZNS0_15gpu_kernel_implINS0_13BinaryFunctorIsssZZZNS0_18lshift_kernel_cudaERNS_18TensorIteratorBaseEENKUlvE_clEvENKUlvE3_clEvEUlssE_EEEEvS5_RKT_EUlibE0_EEviT1_,"axG",@progbits,_ZN2at6native32elementwise_kernel_manual_unrollILi128ELi4EZNS0_15gpu_kernel_implINS0_13BinaryFunctorIsssZZZNS0_18lshift_kernel_cudaERNS_18TensorIteratorBaseEENKUlvE_clEvENKUlvE3_clEvEUlssE_EEEEvS5_RKT_EUlibE0_EEviT1_,comdat
	.globl	_ZN2at6native32elementwise_kernel_manual_unrollILi128ELi4EZNS0_15gpu_kernel_implINS0_13BinaryFunctorIsssZZZNS0_18lshift_kernel_cudaERNS_18TensorIteratorBaseEENKUlvE_clEvENKUlvE3_clEvEUlssE_EEEEvS5_RKT_EUlibE0_EEviT1_ ; -- Begin function _ZN2at6native32elementwise_kernel_manual_unrollILi128ELi4EZNS0_15gpu_kernel_implINS0_13BinaryFunctorIsssZZZNS0_18lshift_kernel_cudaERNS_18TensorIteratorBaseEENKUlvE_clEvENKUlvE3_clEvEUlssE_EEEEvS5_RKT_EUlibE0_EEviT1_
	.p2align	8
	.type	_ZN2at6native32elementwise_kernel_manual_unrollILi128ELi4EZNS0_15gpu_kernel_implINS0_13BinaryFunctorIsssZZZNS0_18lshift_kernel_cudaERNS_18TensorIteratorBaseEENKUlvE_clEvENKUlvE3_clEvEUlssE_EEEEvS5_RKT_EUlibE0_EEviT1_,@function
_ZN2at6native32elementwise_kernel_manual_unrollILi128ELi4EZNS0_15gpu_kernel_implINS0_13BinaryFunctorIsssZZZNS0_18lshift_kernel_cudaERNS_18TensorIteratorBaseEENKUlvE_clEvENKUlvE3_clEvEUlssE_EEEEvS5_RKT_EUlibE0_EEviT1_: ; @_ZN2at6native32elementwise_kernel_manual_unrollILi128ELi4EZNS0_15gpu_kernel_implINS0_13BinaryFunctorIsssZZZNS0_18lshift_kernel_cudaERNS_18TensorIteratorBaseEENKUlvE_clEvENKUlvE3_clEvEUlssE_EEEEvS5_RKT_EUlibE0_EEviT1_
; %bb.0:
	s_load_dword s66, s[4:5], 0x0
	s_load_dword s33, s[4:5], 0x8
	s_add_u32 s2, s4, 8
	s_addc_u32 s3, s5, 0
	v_lshl_or_b32 v10, s6, 9, v0
	v_or_b32_e32 v21, 0x180, v10
	s_waitcnt lgkmcnt(0)
	s_add_i32 s68, s33, -1
	s_cmp_gt_u32 s68, 1
	v_cmp_le_i32_e32 vcc, s66, v21
	s_cselect_b64 s[20:21], -1, 0
	s_mov_b64 s[6:7], 0
	s_mov_b64 s[12:13], 0
	s_and_saveexec_b64 s[0:1], vcc
	s_xor_b64 s[22:23], exec, s[0:1]
	s_cbranch_execz .LBB119_1557
; %bb.1:
	v_mov_b32_e32 v0, 0
	global_load_ushort v1, v0, s[2:3] offset:417
	global_load_sbyte v2, v0, s[2:3] offset:419
	s_load_dwordx4 s[16:19], s[2:3], 0x4
	s_load_dwordx2 s[28:29], s[2:3], 0x14
	s_load_dwordx4 s[12:15], s[2:3], 0xc4
	s_load_dwordx2 s[26:27], s[2:3], 0xd4
	s_load_dwordx2 s[24:25], s[2:3], 0x198
	s_load_dwordx4 s[8:11], s[2:3], 0x188
	s_cmp_lg_u32 s33, 0
	s_cselect_b64 s[34:35], -1, 0
	s_min_u32 s72, s68, 15
	s_cmp_gt_u32 s33, 1
	v_cmp_gt_i32_e32 vcc, s66, v10
	s_mov_b64 s[0:1], -1
	s_mov_b64 s[46:47], 0
	s_mov_b64 s[40:41], 0
	;; [unrolled: 1-line block ×3, first 2 shown]
	s_cselect_b64 s[30:31], -1, 0
	s_mov_b64 s[36:37], 0
	s_waitcnt vmcnt(1)
	v_readfirstlane_b32 s69, v1
	s_waitcnt vmcnt(0)
	v_readfirstlane_b32 s70, v2
	s_lshr_b32 s71, s69, 8
	s_and_saveexec_b64 s[42:43], vcc
	s_cbranch_execz .LBB119_386
; %bb.2:
	s_andn2_b64 vcc, exec, s[20:21]
	s_cbranch_vccnz .LBB119_8
; %bb.3:
	s_andn2_b64 vcc, exec, s[34:35]
	s_cbranch_vccnz .LBB119_9
; %bb.4:
	s_add_i32 s0, s72, 1
	s_and_b32 s36, s0, 30
	s_add_u32 s0, s2, 0xffffffe8
	s_addc_u32 s1, s3, -1
	v_mov_b32_e32 v3, 0
	v_mov_b32_e32 v5, 0
	;; [unrolled: 1-line block ×4, first 2 shown]
.LBB119_5:                              ; =>This Inner Loop Header: Depth=1
	s_load_dwordx4 s[48:51], s[0:1], 0x1c
	s_load_dwordx2 s[38:39], s[0:1], 0x2c
	s_load_dwordx2 s[40:41], s[0:1], 0xec
	s_load_dwordx4 s[52:55], s[0:1], 0xdc
	s_add_u32 s0, s0, 24
	s_waitcnt lgkmcnt(0)
	v_mul_hi_u32 v2, s49, v1
	s_addc_u32 s1, s1, 0
	s_add_i32 s36, s36, -2
	s_cmp_lg_u32 s36, 0
	v_add_u32_e32 v2, v1, v2
	v_lshrrev_b32_e32 v2, s50, v2
	v_mul_lo_u32 v4, v2, s48
	v_mul_hi_u32 v6, s38, v2
	v_sub_u32_e32 v4, v1, v4
	v_add_u32_e32 v1, v2, v6
	v_lshrrev_b32_e32 v1, s39, v1
	v_mul_lo_u32 v8, v1, s51
	v_mul_lo_u32 v6, v4, s52
	;; [unrolled: 1-line block ×4, first 2 shown]
	v_sub_u32_e32 v2, v2, v8
	v_mul_lo_u32 v8, v2, s55
	v_mul_lo_u32 v9, v2, s40
	;; [unrolled: 1-line block ×3, first 2 shown]
	v_add3_u32 v0, v6, v0, v8
	v_add3_u32 v5, v7, v5, v9
	;; [unrolled: 1-line block ×3, first 2 shown]
	s_cbranch_scc1 .LBB119_5
; %bb.6:
	s_bitcmp1_b32 s72, 0
	s_cselect_b64 s[36:37], -1, 0
	s_and_b64 vcc, exec, s[36:37]
	s_cbranch_vccnz .LBB119_10
; %bb.7:
	s_load_dwordx2 s[36:37], s[0:1], 0x1c
	s_load_dword s40, s[0:1], 0x24
	s_load_dwordx2 s[38:39], s[0:1], 0xdc
	s_waitcnt lgkmcnt(0)
	v_mul_hi_u32 v2, s37, v1
	v_add_u32_e32 v2, v1, v2
	v_lshrrev_b32_e32 v2, s40, v2
	v_mul_lo_u32 v2, v2, s36
	s_load_dword s36, s[0:1], 0xe4
	v_sub_u32_e32 v2, v1, v2
	v_mad_u64_u32 v[0:1], s[0:1], v2, s38, v[0:1]
	v_mad_u64_u32 v[5:6], s[0:1], v2, s39, v[5:6]
	s_waitcnt lgkmcnt(0)
	v_mad_u64_u32 v[3:4], s[0:1], v2, s36, v[3:4]
	s_cbranch_execz .LBB119_11
	s_branch .LBB119_13
.LBB119_8:
                                        ; implicit-def: $vgpr0
                                        ; implicit-def: $vgpr5
                                        ; implicit-def: $vgpr3
	s_andn2_b64 vcc, exec, s[0:1]
	s_cbranch_vccz .LBB119_11
	s_branch .LBB119_13
.LBB119_9:
	v_mov_b32_e32 v0, 0
	v_mov_b32_e32 v5, 0
	;; [unrolled: 1-line block ×3, first 2 shown]
.LBB119_10:
	s_cbranch_execnz .LBB119_13
.LBB119_11:
	s_waitcnt lgkmcnt(0)
	v_mul_hi_u32 v0, s17, v10
	s_andn2_b64 vcc, exec, s[30:31]
	v_add_u32_e32 v0, v10, v0
	v_lshrrev_b32_e32 v1, s18, v0
	v_mul_lo_u32 v0, v1, s16
	v_sub_u32_e32 v2, v10, v0
	v_mul_lo_u32 v0, v2, s12
	v_mul_lo_u32 v5, v2, s13
	;; [unrolled: 1-line block ×3, first 2 shown]
	s_cbranch_vccnz .LBB119_13
; %bb.12:
	v_mul_hi_u32 v2, s28, v1
	v_add_u32_e32 v2, v1, v2
	v_lshrrev_b32_e32 v2, s29, v2
	v_mul_lo_u32 v2, v2, s19
	v_sub_u32_e32 v2, v1, v2
	v_mad_u64_u32 v[0:1], s[0:1], v2, s15, v[0:1]
	v_mad_u64_u32 v[5:6], s[0:1], v2, s26, v[5:6]
	;; [unrolled: 1-line block ×3, first 2 shown]
.LBB119_13:
	s_waitcnt lgkmcnt(0)
	v_mov_b32_e32 v1, s11
	s_and_b32 s38, s71, 0xff
	v_add_co_u32_e32 v4, vcc, s10, v5
	s_cmp_lt_i32 s38, 11
	v_addc_co_u32_e32 v5, vcc, 0, v1, vcc
	s_cbranch_scc1 .LBB119_20
; %bb.14:
	s_and_b32 s39, 0xffff, s38
	s_cmp_gt_i32 s39, 25
	s_cbranch_scc0 .LBB119_29
; %bb.15:
	s_cmp_gt_i32 s39, 28
	s_cbranch_scc0 .LBB119_39
; %bb.16:
	;; [unrolled: 3-line block ×4, first 2 shown]
	s_cmp_eq_u32 s39, 46
	s_mov_b64 s[36:37], 0
	s_cbranch_scc0 .LBB119_48
; %bb.19:
	global_load_dword v1, v[4:5], off
	s_mov_b64 s[0:1], -1
	s_mov_b64 s[40:41], 0
	s_waitcnt vmcnt(0)
	v_lshlrev_b32_e32 v1, 16, v1
	v_cvt_i32_f32_e32 v1, v1
	s_branch .LBB119_50
.LBB119_20:
	s_mov_b64 s[40:41], 0
                                        ; implicit-def: $vgpr1
	s_mov_b64 s[0:1], 0
	s_cbranch_execnz .LBB119_112
.LBB119_21:
	s_andn2_b64 vcc, exec, s[0:1]
	s_cbranch_vccnz .LBB119_159
.LBB119_22:
	v_mov_b32_e32 v4, s25
	s_and_b32 s44, s70, 0xff
	s_waitcnt vmcnt(0)
	v_add_co_u32_e32 v2, vcc, s24, v3
	s_cmp_lt_i32 s44, 11
	v_addc_co_u32_e32 v3, vcc, 0, v4, vcc
	s_cbranch_scc1 .LBB119_30
; %bb.23:
	s_and_b32 s45, 0xffff, s44
	s_cmp_gt_i32 s45, 25
	s_cbranch_scc0 .LBB119_40
; %bb.24:
	s_cmp_gt_i32 s45, 28
	s_cbranch_scc0 .LBB119_43
; %bb.25:
	;; [unrolled: 3-line block ×4, first 2 shown]
	s_cmp_eq_u32 s45, 46
	s_mov_b64 s[36:37], 0
	s_cbranch_scc0 .LBB119_160
; %bb.28:
	global_load_dword v4, v[2:3], off
	s_mov_b64 s[0:1], -1
	s_mov_b64 s[38:39], 0
	s_waitcnt vmcnt(0)
	v_lshlrev_b32_e32 v4, 16, v4
	v_cvt_i32_f32_e32 v4, v4
	s_branch .LBB119_162
.LBB119_29:
	s_mov_b64 s[40:41], 0
	s_mov_b64 s[0:1], 0
                                        ; implicit-def: $vgpr1
	s_cbranch_execnz .LBB119_79
	s_branch .LBB119_111
.LBB119_30:
	s_mov_b64 s[38:39], 0
                                        ; implicit-def: $vgpr4
	s_mov_b64 s[0:1], 0
	s_cbranch_execnz .LBB119_335
.LBB119_31:
	s_andn2_b64 vcc, exec, s[0:1]
	s_cbranch_vccnz .LBB119_383
.LBB119_32:
	s_waitcnt vmcnt(0)
	v_lshlrev_b32_sdwa v1, v4, v1 dst_sel:DWORD dst_unused:UNUSED_PAD src0_sel:WORD_0 src1_sel:DWORD
	v_cmp_gt_u16_e32 vcc, 16, v4
	v_cndmask_b32_e32 v4, 0, v1, vcc
	v_mov_b32_e32 v1, s9
	s_and_b32 s50, s69, 0xff
	v_add_co_u32_e32 v0, vcc, s8, v0
	s_cmp_lt_i32 s50, 11
	v_addc_co_u32_e32 v1, vcc, 0, v1, vcc
	s_cbranch_scc1 .LBB119_41
; %bb.33:
	s_and_b32 s51, 0xffff, s50
	s_cmp_gt_i32 s51, 25
	s_cbranch_scc0 .LBB119_44
; %bb.34:
	s_cmp_gt_i32 s51, 28
	s_cbranch_scc0 .LBB119_47
; %bb.35:
	;; [unrolled: 3-line block ×4, first 2 shown]
	s_mov_b64 s[44:45], 0
	s_mov_b64 s[0:1], -1
	s_cmp_eq_u32 s51, 46
	s_mov_b64 s[36:37], 0
	s_cbranch_scc0 .LBB119_166
; %bb.38:
	v_cvt_f32_i32_sdwa v2, sext(v4) dst_sel:DWORD dst_unused:UNUSED_PAD src0_sel:WORD_0
	s_movk_i32 s0, 0x7fff
	s_mov_b64 s[36:37], -1
	v_bfe_u32 v3, v2, 16, 1
	v_add3_u32 v2, v2, v3, s0
	v_lshrrev_b32_e32 v2, 16, v2
	global_store_dword v[0:1], v2, off
	s_mov_b64 s[0:1], 0
	s_branch .LBB119_166
.LBB119_39:
	s_mov_b64 s[36:37], -1
	s_mov_b64 s[40:41], 0
	s_mov_b64 s[0:1], 0
                                        ; implicit-def: $vgpr1
	s_branch .LBB119_62
.LBB119_40:
	s_mov_b64 s[36:37], -1
	s_mov_b64 s[38:39], 0
	s_mov_b64 s[0:1], 0
                                        ; implicit-def: $vgpr4
	s_branch .LBB119_301
.LBB119_41:
	s_mov_b64 s[44:45], -1
	s_mov_b64 s[0:1], 0
	s_mov_b64 s[36:37], 0
	s_branch .LBB119_235
.LBB119_42:
	s_mov_b64 s[36:37], -1
	s_mov_b64 s[40:41], 0
	s_mov_b64 s[0:1], 0
                                        ; implicit-def: $vgpr1
	s_branch .LBB119_57
.LBB119_43:
	s_mov_b64 s[36:37], -1
	s_mov_b64 s[38:39], 0
	s_mov_b64 s[0:1], 0
                                        ; implicit-def: $vgpr4
	s_branch .LBB119_284
.LBB119_44:
	s_mov_b64 s[44:45], -1
	s_mov_b64 s[0:1], 0
	s_mov_b64 s[36:37], 0
	s_branch .LBB119_193
.LBB119_45:
	s_mov_b64 s[36:37], -1
	s_mov_b64 s[40:41], 0
	s_branch .LBB119_49
.LBB119_46:
	s_mov_b64 s[36:37], -1
	s_mov_b64 s[38:39], 0
	s_mov_b64 s[0:1], 0
                                        ; implicit-def: $vgpr4
	s_branch .LBB119_279
.LBB119_47:
	s_mov_b64 s[44:45], -1
	s_mov_b64 s[0:1], 0
	s_mov_b64 s[36:37], 0
	s_branch .LBB119_176
.LBB119_48:
	s_mov_b64 s[40:41], -1
.LBB119_49:
	s_mov_b64 s[0:1], 0
                                        ; implicit-def: $vgpr1
.LBB119_50:
	s_and_b64 vcc, exec, s[36:37]
	s_cbranch_vccz .LBB119_56
; %bb.51:
	s_cmp_eq_u32 s39, 44
	s_cbranch_scc0 .LBB119_55
; %bb.52:
	global_load_ubyte v1, v[4:5], off
	s_mov_b64 s[0:1], -1
	s_mov_b64 s[40:41], 0
	s_waitcnt vmcnt(0)
	v_lshlrev_b32_e32 v2, 23, v1
	v_cvt_i32_f32_e32 v2, v2
	v_cmp_ne_u32_e32 vcc, 0, v1
	v_cndmask_b32_e32 v1, 0, v2, vcc
	s_branch .LBB119_56
.LBB119_53:
	s_mov_b64 s[36:37], -1
	s_mov_b64 s[38:39], 0
	s_branch .LBB119_161
.LBB119_54:
	s_mov_b64 s[44:45], -1
	s_mov_b64 s[0:1], 0
	s_mov_b64 s[36:37], 0
	s_branch .LBB119_172
.LBB119_55:
	s_mov_b64 s[40:41], -1
                                        ; implicit-def: $vgpr1
.LBB119_56:
	s_mov_b64 s[36:37], 0
.LBB119_57:
	s_and_b64 vcc, exec, s[36:37]
	s_cbranch_vccz .LBB119_61
; %bb.58:
	s_cmp_eq_u32 s39, 29
	s_cbranch_scc0 .LBB119_60
; %bb.59:
	global_load_dwordx2 v[1:2], v[4:5], off
	s_mov_b64 s[0:1], -1
	s_mov_b64 s[40:41], 0
	s_branch .LBB119_61
.LBB119_60:
	s_mov_b64 s[40:41], -1
                                        ; implicit-def: $vgpr1
.LBB119_61:
	s_mov_b64 s[36:37], 0
.LBB119_62:
	s_and_b64 vcc, exec, s[36:37]
	s_cbranch_vccz .LBB119_78
; %bb.63:
	s_cmp_lt_i32 s39, 27
	s_cbranch_scc1 .LBB119_66
; %bb.64:
	s_cmp_gt_i32 s39, 27
	s_cbranch_scc0 .LBB119_67
; %bb.65:
	global_load_dword v1, v[4:5], off
	s_mov_b64 s[0:1], 0
	s_branch .LBB119_68
.LBB119_66:
	s_mov_b64 s[0:1], -1
                                        ; implicit-def: $vgpr1
	s_branch .LBB119_71
.LBB119_67:
	s_mov_b64 s[0:1], -1
                                        ; implicit-def: $vgpr1
.LBB119_68:
	s_andn2_b64 vcc, exec, s[0:1]
	s_cbranch_vccnz .LBB119_70
; %bb.69:
	global_load_ushort v1, v[4:5], off
.LBB119_70:
	s_mov_b64 s[0:1], 0
.LBB119_71:
	s_andn2_b64 vcc, exec, s[0:1]
	s_cbranch_vccnz .LBB119_77
; %bb.72:
	global_load_ubyte v2, v[4:5], off
	s_movk_i32 s0, 0x7f
	s_mov_b64 s[36:37], 0
	s_waitcnt vmcnt(0)
	v_cmp_lt_i16_e32 vcc, s0, v2
	s_and_saveexec_b64 s[0:1], vcc
	s_xor_b64 s[0:1], exec, s[0:1]
	s_cbranch_execz .LBB119_88
; %bb.73:
	s_movk_i32 s36, 0x80
	v_cmp_ne_u16_e32 vcc, s36, v2
	s_and_b64 s[36:37], vcc, exec
	s_andn2_saveexec_b64 s[0:1], s[0:1]
	s_cbranch_execnz .LBB119_89
.LBB119_74:
	s_or_b64 exec, exec, s[0:1]
	v_mov_b32_e32 v1, 0
	s_and_saveexec_b64 s[0:1], s[36:37]
	s_cbranch_execz .LBB119_76
.LBB119_75:
	v_lshlrev_b32_e32 v1, 24, v2
	v_and_b32_e32 v2, 0xffff, v2
	v_and_b32_e32 v6, 7, v2
	v_ffbh_u32_e32 v8, v6
	v_min_u32_e32 v8, 32, v8
	v_subrev_u32_e32 v9, 28, v8
	v_bfe_u32 v7, v2, 3, 4
	v_lshlrev_b32_e32 v2, v9, v2
	v_sub_u32_e32 v8, 29, v8
	v_and_b32_e32 v2, 7, v2
	v_cmp_eq_u32_e32 vcc, 0, v7
	v_cndmask_b32_e32 v7, v7, v8, vcc
	v_cndmask_b32_e32 v2, v6, v2, vcc
	v_mov_b32_e32 v6, 0x3b800000
	v_lshlrev_b32_e32 v2, 20, v2
	v_and_b32_e32 v1, 0x80000000, v1
	v_lshl_add_u32 v6, v7, 23, v6
	v_or3_b32 v1, v1, v6, v2
	v_cvt_i32_f32_e32 v1, v1
.LBB119_76:
	s_or_b64 exec, exec, s[0:1]
.LBB119_77:
	s_mov_b64 s[0:1], -1
.LBB119_78:
	s_branch .LBB119_111
.LBB119_79:
	s_cmp_gt_i32 s39, 22
	s_cbranch_scc0 .LBB119_87
; %bb.80:
	s_cmp_lt_i32 s39, 24
	s_cbranch_scc1 .LBB119_90
; %bb.81:
	s_cmp_gt_i32 s39, 24
	s_cbranch_scc0 .LBB119_91
; %bb.82:
	global_load_ubyte v2, v[4:5], off
	s_movk_i32 s0, 0x7f
	s_mov_b64 s[36:37], 0
	s_waitcnt vmcnt(0)
	v_cmp_lt_i16_e32 vcc, s0, v2
	s_and_saveexec_b64 s[0:1], vcc
	s_xor_b64 s[0:1], exec, s[0:1]
	s_cbranch_execz .LBB119_103
; %bb.83:
	s_movk_i32 s36, 0x80
	v_cmp_ne_u16_e32 vcc, s36, v2
	s_and_b64 s[36:37], vcc, exec
	s_andn2_saveexec_b64 s[0:1], s[0:1]
	s_cbranch_execnz .LBB119_104
.LBB119_84:
	s_or_b64 exec, exec, s[0:1]
	v_mov_b32_e32 v1, 0
	s_and_saveexec_b64 s[0:1], s[36:37]
	s_cbranch_execz .LBB119_86
.LBB119_85:
	v_lshlrev_b32_e32 v1, 24, v2
	v_and_b32_e32 v2, 0xffff, v2
	v_and_b32_e32 v6, 3, v2
	v_ffbh_u32_e32 v8, v6
	v_min_u32_e32 v8, 32, v8
	v_subrev_u32_e32 v9, 29, v8
	v_bfe_u32 v7, v2, 2, 5
	v_lshlrev_b32_e32 v2, v9, v2
	v_sub_u32_e32 v8, 30, v8
	v_and_b32_e32 v2, 3, v2
	v_cmp_eq_u32_e32 vcc, 0, v7
	v_cndmask_b32_e32 v7, v7, v8, vcc
	v_cndmask_b32_e32 v2, v6, v2, vcc
	v_mov_b32_e32 v6, 0x37800000
	v_lshlrev_b32_e32 v2, 21, v2
	v_and_b32_e32 v1, 0x80000000, v1
	v_lshl_add_u32 v6, v7, 23, v6
	v_or3_b32 v1, v1, v6, v2
	v_cvt_i32_f32_e32 v1, v1
.LBB119_86:
	s_or_b64 exec, exec, s[0:1]
	s_mov_b64 s[0:1], 0
	s_branch .LBB119_92
.LBB119_87:
	s_mov_b64 s[36:37], -1
                                        ; implicit-def: $vgpr1
	s_branch .LBB119_98
.LBB119_88:
	s_andn2_saveexec_b64 s[0:1], s[0:1]
	s_cbranch_execz .LBB119_74
.LBB119_89:
	v_cmp_ne_u16_e32 vcc, 0, v2
	s_andn2_b64 s[36:37], s[36:37], exec
	s_and_b64 s[44:45], vcc, exec
	s_or_b64 s[36:37], s[36:37], s[44:45]
	s_or_b64 exec, exec, s[0:1]
	v_mov_b32_e32 v1, 0
	s_and_saveexec_b64 s[0:1], s[36:37]
	s_cbranch_execnz .LBB119_75
	s_branch .LBB119_76
.LBB119_90:
	s_mov_b64 s[0:1], -1
                                        ; implicit-def: $vgpr1
	s_branch .LBB119_95
.LBB119_91:
	s_mov_b64 s[0:1], -1
                                        ; implicit-def: $vgpr1
.LBB119_92:
	s_and_b64 vcc, exec, s[0:1]
	s_cbranch_vccz .LBB119_94
; %bb.93:
	global_load_ubyte v1, v[4:5], off
	s_mov_b32 s0, 0x7f800000
	s_waitcnt vmcnt(0)
	v_lshlrev_b32_e32 v1, 24, v1
	v_and_b32_e32 v2, 0x7f000000, v1
	v_ffbh_u32_e32 v6, v2
	v_min_u32_e32 v6, 32, v6
	v_sub_u32_e64 v6, v6, 4 clamp
	v_lshlrev_b32_e32 v8, v6, v2
	v_lshlrev_b32_e32 v6, 23, v6
	v_lshrrev_b32_e32 v8, 4, v8
	v_add_u32_e32 v7, 0x1000000, v2
	v_sub_u32_e32 v6, v8, v6
	v_ashrrev_i32_e32 v7, 8, v7
	v_add_u32_e32 v6, 0x3c000000, v6
	v_and_or_b32 v6, v7, s0, v6
	v_cmp_ne_u32_e32 vcc, 0, v2
	v_cndmask_b32_e32 v2, 0, v6, vcc
	s_brev_b32 s0, 1
	v_and_or_b32 v1, v1, s0, v2
	v_cvt_i32_f32_e32 v1, v1
.LBB119_94:
	s_mov_b64 s[0:1], 0
.LBB119_95:
	s_andn2_b64 vcc, exec, s[0:1]
	s_cbranch_vccnz .LBB119_97
; %bb.96:
	global_load_ubyte v1, v[4:5], off
	s_movk_i32 s0, 0x7f00
	s_brev_b32 s1, 16
	s_waitcnt vmcnt(0)
	v_lshlrev_b16_e32 v2, 8, v1
	v_lshlrev_b32_e32 v1, 25, v1
	v_lshrrev_b32_e32 v6, 4, v1
	v_and_or_b32 v7, v2, s0, 0.5
	v_or_b32_e32 v6, 0x70000000, v6
	v_add_f32_e32 v7, -0.5, v7
	v_mul_f32_e32 v6, 0x7800000, v6
	v_cmp_gt_u32_e32 vcc, s1, v1
	v_bfe_i32 v2, v2, 0, 16
	v_cndmask_b32_e32 v1, v6, v7, vcc
	s_brev_b32 s0, 1
	v_and_or_b32 v1, v2, s0, v1
	v_cvt_i32_f32_e32 v1, v1
.LBB119_97:
	s_mov_b64 s[36:37], 0
	s_mov_b64 s[0:1], -1
.LBB119_98:
	s_andn2_b64 vcc, exec, s[36:37]
	s_cbranch_vccnz .LBB119_111
; %bb.99:
	s_cmp_gt_i32 s39, 14
	s_cbranch_scc0 .LBB119_102
; %bb.100:
	s_cmp_eq_u32 s39, 15
	s_cbranch_scc0 .LBB119_105
; %bb.101:
	global_load_ushort v1, v[4:5], off
	s_mov_b64 s[0:1], -1
	s_mov_b64 s[40:41], 0
	s_waitcnt vmcnt(0)
	v_lshlrev_b32_e32 v1, 16, v1
	v_cvt_i32_f32_e32 v1, v1
	s_branch .LBB119_106
.LBB119_102:
	s_mov_b64 s[36:37], -1
                                        ; implicit-def: $vgpr1
	s_branch .LBB119_107
.LBB119_103:
	s_andn2_saveexec_b64 s[0:1], s[0:1]
	s_cbranch_execz .LBB119_84
.LBB119_104:
	v_cmp_ne_u16_e32 vcc, 0, v2
	s_andn2_b64 s[36:37], s[36:37], exec
	s_and_b64 s[44:45], vcc, exec
	s_or_b64 s[36:37], s[36:37], s[44:45]
	s_or_b64 exec, exec, s[0:1]
	v_mov_b32_e32 v1, 0
	s_and_saveexec_b64 s[0:1], s[36:37]
	s_cbranch_execnz .LBB119_85
	s_branch .LBB119_86
.LBB119_105:
	s_mov_b64 s[40:41], -1
                                        ; implicit-def: $vgpr1
.LBB119_106:
	s_mov_b64 s[36:37], 0
.LBB119_107:
	s_and_b64 vcc, exec, s[36:37]
	s_cbranch_vccz .LBB119_111
; %bb.108:
	s_cmp_eq_u32 s39, 11
	s_cbranch_scc0 .LBB119_110
; %bb.109:
	global_load_ubyte v1, v[4:5], off
	s_mov_b64 s[0:1], -1
	s_mov_b64 s[40:41], 0
	s_waitcnt vmcnt(0)
	v_cmp_ne_u16_e32 vcc, 0, v1
	v_cndmask_b32_e64 v1, 0, 1, vcc
	s_branch .LBB119_111
.LBB119_110:
	s_mov_b64 s[40:41], -1
                                        ; implicit-def: $vgpr1
.LBB119_111:
	s_branch .LBB119_21
.LBB119_112:
	s_and_b32 s36, 0xffff, s38
	s_cmp_lt_i32 s36, 5
	s_cbranch_scc1 .LBB119_117
; %bb.113:
	s_cmp_lt_i32 s36, 8
	s_cbranch_scc1 .LBB119_118
; %bb.114:
	;; [unrolled: 3-line block ×3, first 2 shown]
	s_cmp_gt_i32 s36, 9
	s_cbranch_scc0 .LBB119_120
; %bb.116:
	global_load_dwordx2 v[1:2], v[4:5], off
	s_mov_b64 s[0:1], 0
	s_waitcnt vmcnt(0)
	v_cvt_i32_f64_e32 v1, v[1:2]
	s_branch .LBB119_121
.LBB119_117:
                                        ; implicit-def: $vgpr1
	s_branch .LBB119_139
.LBB119_118:
	s_mov_b64 s[0:1], -1
                                        ; implicit-def: $vgpr1
	s_branch .LBB119_127
.LBB119_119:
	s_mov_b64 s[0:1], -1
                                        ; implicit-def: $vgpr1
	s_branch .LBB119_124
.LBB119_120:
	s_mov_b64 s[0:1], -1
                                        ; implicit-def: $vgpr1
.LBB119_121:
	s_andn2_b64 vcc, exec, s[0:1]
	s_cbranch_vccnz .LBB119_123
; %bb.122:
	global_load_dword v1, v[4:5], off
	s_waitcnt vmcnt(0)
	v_cvt_i32_f32_e32 v1, v1
.LBB119_123:
	s_mov_b64 s[0:1], 0
.LBB119_124:
	s_andn2_b64 vcc, exec, s[0:1]
	s_cbranch_vccnz .LBB119_126
; %bb.125:
	global_load_dword v1, v[4:5], off
	s_waitcnt vmcnt(0)
	v_cvt_i16_f16_e32 v1, v1
.LBB119_126:
	s_mov_b64 s[0:1], 0
.LBB119_127:
	s_andn2_b64 vcc, exec, s[0:1]
	s_cbranch_vccnz .LBB119_138
; %bb.128:
	s_cmp_lt_i32 s36, 6
	s_cbranch_scc1 .LBB119_131
; %bb.129:
	s_cmp_gt_i32 s36, 6
	s_cbranch_scc0 .LBB119_132
; %bb.130:
	global_load_dwordx2 v[1:2], v[4:5], off
	s_mov_b64 s[0:1], 0
	s_waitcnt vmcnt(0)
	v_cvt_i32_f64_e32 v1, v[1:2]
	s_branch .LBB119_133
.LBB119_131:
	s_mov_b64 s[0:1], -1
                                        ; implicit-def: $vgpr1
	s_branch .LBB119_136
.LBB119_132:
	s_mov_b64 s[0:1], -1
                                        ; implicit-def: $vgpr1
.LBB119_133:
	s_andn2_b64 vcc, exec, s[0:1]
	s_cbranch_vccnz .LBB119_135
; %bb.134:
	global_load_dword v1, v[4:5], off
	s_waitcnt vmcnt(0)
	v_cvt_i32_f32_e32 v1, v1
.LBB119_135:
	s_mov_b64 s[0:1], 0
.LBB119_136:
	s_andn2_b64 vcc, exec, s[0:1]
	s_cbranch_vccnz .LBB119_138
; %bb.137:
	global_load_ushort v1, v[4:5], off
	s_waitcnt vmcnt(0)
	v_cvt_i16_f16_e32 v1, v1
.LBB119_138:
	s_cbranch_execnz .LBB119_158
.LBB119_139:
	s_cmp_lt_i32 s36, 2
	s_cbranch_scc1 .LBB119_143
; %bb.140:
	s_cmp_lt_i32 s36, 3
	s_cbranch_scc1 .LBB119_144
; %bb.141:
	s_cmp_gt_i32 s36, 3
	s_cbranch_scc0 .LBB119_145
; %bb.142:
	global_load_dwordx2 v[1:2], v[4:5], off
	s_mov_b64 s[0:1], 0
	s_branch .LBB119_146
.LBB119_143:
	s_mov_b64 s[0:1], -1
                                        ; implicit-def: $vgpr1
	s_branch .LBB119_152
.LBB119_144:
	s_mov_b64 s[0:1], -1
                                        ; implicit-def: $vgpr1
	s_branch .LBB119_149
.LBB119_145:
	s_mov_b64 s[0:1], -1
                                        ; implicit-def: $vgpr1
.LBB119_146:
	s_andn2_b64 vcc, exec, s[0:1]
	s_cbranch_vccnz .LBB119_148
; %bb.147:
	global_load_dword v1, v[4:5], off
.LBB119_148:
	s_mov_b64 s[0:1], 0
.LBB119_149:
	s_andn2_b64 vcc, exec, s[0:1]
	s_cbranch_vccnz .LBB119_151
; %bb.150:
	global_load_ushort v1, v[4:5], off
.LBB119_151:
	s_mov_b64 s[0:1], 0
.LBB119_152:
	s_andn2_b64 vcc, exec, s[0:1]
	s_cbranch_vccnz .LBB119_158
; %bb.153:
	s_cmp_gt_i32 s36, 0
	s_cbranch_scc0 .LBB119_155
; %bb.154:
	global_load_sbyte v1, v[4:5], off
	s_mov_b64 s[0:1], 0
	s_branch .LBB119_156
.LBB119_155:
	s_mov_b64 s[0:1], -1
                                        ; implicit-def: $vgpr1
.LBB119_156:
	s_andn2_b64 vcc, exec, s[0:1]
	s_cbranch_vccnz .LBB119_158
; %bb.157:
	global_load_ubyte v1, v[4:5], off
.LBB119_158:
	s_branch .LBB119_22
.LBB119_159:
	s_mov_b64 s[0:1], 0
	s_mov_b64 s[38:39], 0
	s_branch .LBB119_384
.LBB119_160:
	s_mov_b64 s[38:39], -1
.LBB119_161:
	s_mov_b64 s[0:1], 0
                                        ; implicit-def: $vgpr4
.LBB119_162:
	s_and_b64 vcc, exec, s[36:37]
	s_cbranch_vccz .LBB119_278
; %bb.163:
	s_cmp_eq_u32 s45, 44
	s_cbranch_scc0 .LBB119_277
; %bb.164:
	global_load_ubyte v4, v[2:3], off
	s_mov_b64 s[0:1], -1
	s_mov_b64 s[38:39], 0
	s_waitcnt vmcnt(0)
	v_lshlrev_b32_e32 v5, 23, v4
	v_cvt_i32_f32_e32 v5, v5
	v_cmp_ne_u32_e32 vcc, 0, v4
	v_cndmask_b32_e32 v4, 0, v5, vcc
	s_branch .LBB119_278
.LBB119_165:
	s_mov_b64 s[44:45], -1
	s_mov_b64 s[0:1], 0
	s_mov_b64 s[36:37], 0
.LBB119_166:
	s_and_b64 vcc, exec, s[44:45]
	s_cbranch_vccz .LBB119_171
; %bb.167:
	s_cmp_eq_u32 s51, 44
	s_mov_b64 s[0:1], -1
	s_cbranch_scc0 .LBB119_171
; %bb.168:
	v_cvt_f32_i32_sdwa v2, sext(v4) dst_sel:DWORD dst_unused:UNUSED_PAD src0_sel:WORD_0
	s_movk_i32 s0, 0xff
	v_mov_b32_e32 v5, 0xff
	v_bfe_u32 v3, v2, 23, 8
	v_cmp_ne_u32_e32 vcc, s0, v3
	s_and_saveexec_b64 s[36:37], vcc
; %bb.169:
	s_mov_b32 s0, 0x3fffff
	v_lshrrev_b32_e32 v5, 23, v2
	v_and_b32_e32 v6, 0x400000, v2
	v_and_or_b32 v2, v2, s0, v3
	v_cmp_ne_u32_e32 vcc, 0, v6
	v_cmp_ne_u32_e64 s[0:1], 0, v2
	s_and_b64 s[0:1], vcc, s[0:1]
	v_cndmask_b32_e64 v2, 0, 1, s[0:1]
	v_add_u32_e32 v5, v5, v2
; %bb.170:
	s_or_b64 exec, exec, s[36:37]
	s_mov_b64 s[36:37], -1
	s_mov_b64 s[0:1], 0
	global_store_byte v[0:1], v5, off
.LBB119_171:
	s_mov_b64 s[44:45], 0
.LBB119_172:
	s_and_b64 vcc, exec, s[44:45]
	s_cbranch_vccz .LBB119_175
; %bb.173:
	s_cmp_eq_u32 s51, 29
	s_mov_b64 s[0:1], -1
	s_cbranch_scc0 .LBB119_175
; %bb.174:
	v_bfe_i32 v2, v4, 0, 16
	v_ashrrev_i32_e32 v3, 31, v2
	global_store_dwordx2 v[0:1], v[2:3], off
	s_mov_b64 s[36:37], -1
	s_mov_b64 s[0:1], 0
.LBB119_175:
	s_mov_b64 s[44:45], 0
.LBB119_176:
	s_and_b64 vcc, exec, s[44:45]
	s_cbranch_vccz .LBB119_192
; %bb.177:
	s_cmp_lt_i32 s51, 27
	s_mov_b64 s[36:37], -1
	s_cbranch_scc1 .LBB119_183
; %bb.178:
	s_cmp_gt_i32 s51, 27
	s_cbranch_scc0 .LBB119_180
; %bb.179:
	v_bfe_i32 v2, v4, 0, 16
	s_mov_b64 s[36:37], 0
	global_store_dword v[0:1], v2, off
.LBB119_180:
	s_andn2_b64 vcc, exec, s[36:37]
	s_cbranch_vccnz .LBB119_182
; %bb.181:
	global_store_short v[0:1], v4, off
.LBB119_182:
	s_mov_b64 s[36:37], 0
.LBB119_183:
	s_andn2_b64 vcc, exec, s[36:37]
	s_cbranch_vccnz .LBB119_191
; %bb.184:
	v_cvt_f32_i32_sdwa v2, sext(v4) dst_sel:DWORD dst_unused:UNUSED_PAD src0_sel:WORD_0
	s_mov_b32 s36, 0x43800000
	v_mov_b32_e32 v5, 0x80
	v_and_b32_e32 v3, 0x7fffffff, v2
	v_cmp_gt_u32_e32 vcc, s36, v3
	s_and_saveexec_b64 s[36:37], vcc
	s_cbranch_execz .LBB119_190
; %bb.185:
	s_mov_b32 s44, 0x3bffffff
	v_cmp_lt_u32_e32 vcc, s44, v3
	s_mov_b64 s[44:45], 0
                                        ; implicit-def: $vgpr3
	s_and_saveexec_b64 s[48:49], vcc
	s_xor_b64 s[48:49], exec, s[48:49]
	s_cbranch_execz .LBB119_426
; %bb.186:
	v_bfe_u32 v3, v2, 20, 1
	s_mov_b32 s52, 0x487ffff
	v_add3_u32 v3, v2, v3, s52
	s_mov_b64 s[44:45], exec
	v_lshrrev_b32_e32 v3, 20, v3
	s_andn2_saveexec_b64 s[48:49], s[48:49]
	s_cbranch_execnz .LBB119_427
.LBB119_187:
	s_or_b64 exec, exec, s[48:49]
	v_mov_b32_e32 v5, 0
	s_and_saveexec_b64 s[48:49], s[44:45]
.LBB119_188:
	v_lshrrev_b32_e32 v2, 24, v2
	s_movk_i32 s44, 0x80
	v_and_or_b32 v5, v2, s44, v3
.LBB119_189:
	s_or_b64 exec, exec, s[48:49]
.LBB119_190:
	s_or_b64 exec, exec, s[36:37]
	global_store_byte v[0:1], v5, off
.LBB119_191:
	s_mov_b64 s[36:37], -1
.LBB119_192:
	s_mov_b64 s[44:45], 0
.LBB119_193:
	s_and_b64 vcc, exec, s[44:45]
	s_cbranch_vccz .LBB119_234
; %bb.194:
	s_cmp_gt_i32 s51, 22
	s_mov_b64 s[44:45], -1
	s_cbranch_scc0 .LBB119_226
; %bb.195:
	s_cmp_lt_i32 s51, 24
	s_mov_b64 s[36:37], -1
	s_cbranch_scc1 .LBB119_215
; %bb.196:
	s_cmp_gt_i32 s51, 24
	s_cbranch_scc0 .LBB119_204
; %bb.197:
	v_cvt_f32_i32_sdwa v2, sext(v4) dst_sel:DWORD dst_unused:UNUSED_PAD src0_sel:WORD_0
	s_mov_b32 s36, 0x47800000
	v_mov_b32_e32 v5, 0x80
	v_and_b32_e32 v3, 0x7fffffff, v2
	v_cmp_gt_u32_e32 vcc, s36, v3
	s_and_saveexec_b64 s[36:37], vcc
	s_cbranch_execz .LBB119_203
; %bb.198:
	s_mov_b32 s44, 0x37ffffff
	v_cmp_lt_u32_e32 vcc, s44, v3
	s_mov_b64 s[44:45], 0
                                        ; implicit-def: $vgpr3
	s_and_saveexec_b64 s[48:49], vcc
	s_xor_b64 s[48:49], exec, s[48:49]
	s_cbranch_execz .LBB119_541
; %bb.199:
	v_bfe_u32 v3, v2, 21, 1
	s_mov_b32 s52, 0x88fffff
	v_add3_u32 v3, v2, v3, s52
	s_mov_b64 s[44:45], exec
	v_lshrrev_b32_e32 v3, 21, v3
	s_andn2_saveexec_b64 s[48:49], s[48:49]
	s_cbranch_execnz .LBB119_542
.LBB119_200:
	s_or_b64 exec, exec, s[48:49]
	v_mov_b32_e32 v5, 0
	s_and_saveexec_b64 s[48:49], s[44:45]
.LBB119_201:
	v_lshrrev_b32_e32 v2, 24, v2
	s_movk_i32 s44, 0x80
	v_and_or_b32 v5, v2, s44, v3
.LBB119_202:
	s_or_b64 exec, exec, s[48:49]
.LBB119_203:
	s_or_b64 exec, exec, s[36:37]
	s_mov_b64 s[36:37], 0
	global_store_byte v[0:1], v5, off
.LBB119_204:
	s_and_b64 vcc, exec, s[36:37]
	s_cbranch_vccz .LBB119_214
; %bb.205:
	v_cvt_f32_i32_sdwa v2, sext(v4) dst_sel:DWORD dst_unused:UNUSED_PAD src0_sel:WORD_0
	s_mov_b32 s36, 0x43f00000
                                        ; implicit-def: $vgpr3
	v_and_b32_e32 v5, 0x7fffffff, v2
	v_cmp_gt_u32_e32 vcc, s36, v5
	s_and_saveexec_b64 s[36:37], vcc
	s_xor_b64 s[36:37], exec, s[36:37]
	s_cbranch_execz .LBB119_211
; %bb.206:
	s_mov_b32 s44, 0x3c7fffff
	v_cmp_lt_u32_e32 vcc, s44, v5
                                        ; implicit-def: $vgpr3
	s_and_saveexec_b64 s[44:45], vcc
	s_xor_b64 s[44:45], exec, s[44:45]
; %bb.207:
	v_bfe_u32 v3, v2, 20, 1
	s_mov_b32 s48, 0x407ffff
	v_add3_u32 v3, v2, v3, s48
	v_lshrrev_b32_e32 v5, 20, v3
	v_and_b32_e32 v3, 0xff00000, v3
	s_mov_b32 s48, 0x7f00000
	v_mov_b32_e32 v6, 0x7e
	v_cmp_ne_u32_e32 vcc, s48, v3
	v_cndmask_b32_e32 v3, v6, v5, vcc
; %bb.208:
	s_andn2_saveexec_b64 s[44:45], s[44:45]
; %bb.209:
	s_mov_b32 s48, 0x46800000
	v_add_f32_e64 v3, |v2|, s48
; %bb.210:
	s_or_b64 exec, exec, s[44:45]
                                        ; implicit-def: $vgpr5
.LBB119_211:
	s_andn2_saveexec_b64 s[36:37], s[36:37]
; %bb.212:
	s_mov_b32 s44, 0x7f800000
	v_mov_b32_e32 v3, 0x7e
	v_mov_b32_e32 v6, 0x7f
	v_cmp_lt_u32_e32 vcc, s44, v5
	v_cndmask_b32_e32 v3, v3, v6, vcc
; %bb.213:
	s_or_b64 exec, exec, s[36:37]
	v_lshrrev_b32_e32 v2, 24, v2
	s_movk_i32 s36, 0x80
	v_and_or_b32 v2, v2, s36, v3
	global_store_byte v[0:1], v2, off
.LBB119_214:
	s_mov_b64 s[36:37], 0
.LBB119_215:
	s_andn2_b64 vcc, exec, s[36:37]
	s_cbranch_vccnz .LBB119_225
; %bb.216:
	v_cvt_f32_i32_sdwa v2, sext(v4) dst_sel:DWORD dst_unused:UNUSED_PAD src0_sel:WORD_0
	s_mov_b32 s36, 0x47800000
                                        ; implicit-def: $vgpr3
	v_and_b32_e32 v5, 0x7fffffff, v2
	v_cmp_gt_u32_e32 vcc, s36, v5
	s_and_saveexec_b64 s[36:37], vcc
	s_xor_b64 s[36:37], exec, s[36:37]
	s_cbranch_execz .LBB119_222
; %bb.217:
	s_mov_b32 s44, 0x387fffff
	v_cmp_lt_u32_e32 vcc, s44, v5
                                        ; implicit-def: $vgpr3
	s_and_saveexec_b64 s[44:45], vcc
	s_xor_b64 s[44:45], exec, s[44:45]
; %bb.218:
	v_bfe_u32 v3, v2, 21, 1
	s_mov_b32 s48, 0x80fffff
	v_add3_u32 v3, v2, v3, s48
	v_lshrrev_b32_e32 v3, 21, v3
; %bb.219:
	s_andn2_saveexec_b64 s[44:45], s[44:45]
; %bb.220:
	s_mov_b32 s48, 0x43000000
	v_add_f32_e64 v3, |v2|, s48
; %bb.221:
	s_or_b64 exec, exec, s[44:45]
                                        ; implicit-def: $vgpr5
.LBB119_222:
	s_andn2_saveexec_b64 s[36:37], s[36:37]
; %bb.223:
	s_mov_b32 s44, 0x7f800000
	v_mov_b32_e32 v3, 0x7c
	v_mov_b32_e32 v6, 0x7f
	v_cmp_lt_u32_e32 vcc, s44, v5
	v_cndmask_b32_e32 v3, v3, v6, vcc
; %bb.224:
	s_or_b64 exec, exec, s[36:37]
	v_lshrrev_b32_e32 v2, 24, v2
	s_movk_i32 s36, 0x80
	v_and_or_b32 v2, v2, s36, v3
	global_store_byte v[0:1], v2, off
.LBB119_225:
	s_mov_b64 s[44:45], 0
	s_mov_b64 s[36:37], -1
.LBB119_226:
	s_andn2_b64 vcc, exec, s[44:45]
	s_cbranch_vccnz .LBB119_234
; %bb.227:
	s_cmp_gt_i32 s51, 14
	s_mov_b64 s[44:45], -1
	s_cbranch_scc0 .LBB119_231
; %bb.228:
	s_cmp_eq_u32 s51, 15
	s_mov_b64 s[0:1], -1
	s_cbranch_scc0 .LBB119_230
; %bb.229:
	v_cvt_f32_i32_sdwa v2, sext(v4) dst_sel:DWORD dst_unused:UNUSED_PAD src0_sel:WORD_0
	s_movk_i32 s0, 0x7fff
	s_mov_b64 s[36:37], -1
	v_bfe_u32 v3, v2, 16, 1
	v_add3_u32 v2, v2, v3, s0
	global_store_short_d16_hi v[0:1], v2, off
	s_mov_b64 s[0:1], 0
.LBB119_230:
	s_mov_b64 s[44:45], 0
.LBB119_231:
	s_and_b64 vcc, exec, s[44:45]
	s_cbranch_vccz .LBB119_234
; %bb.232:
	s_cmp_eq_u32 s51, 11
	s_mov_b64 s[0:1], -1
	s_cbranch_scc0 .LBB119_234
; %bb.233:
	v_cmp_ne_u16_e32 vcc, 0, v4
	v_cndmask_b32_e64 v2, 0, 1, vcc
	s_mov_b64 s[36:37], -1
	s_mov_b64 s[0:1], 0
	global_store_byte v[0:1], v2, off
.LBB119_234:
	s_mov_b64 s[44:45], 0
.LBB119_235:
	s_and_b64 vcc, exec, s[44:45]
	s_cbranch_vccz .LBB119_274
; %bb.236:
	s_and_b32 s44, 0xffff, s50
	s_cmp_lt_i32 s44, 5
	s_mov_b64 s[36:37], -1
	s_cbranch_scc1 .LBB119_257
; %bb.237:
	s_cmp_lt_i32 s44, 8
	s_cbranch_scc1 .LBB119_247
; %bb.238:
	s_cmp_lt_i32 s44, 9
	s_cbranch_scc1 .LBB119_244
; %bb.239:
	s_cmp_gt_i32 s44, 9
	s_cbranch_scc0 .LBB119_241
; %bb.240:
	v_bfe_i32 v2, v4, 0, 16
	v_cvt_f64_i32_e32 v[5:6], v2
	v_mov_b32_e32 v7, 0
	v_mov_b32_e32 v8, v7
	s_mov_b64 s[36:37], 0
	global_store_dwordx4 v[0:1], v[5:8], off
.LBB119_241:
	s_andn2_b64 vcc, exec, s[36:37]
	s_cbranch_vccnz .LBB119_243
; %bb.242:
	v_cvt_f32_i32_sdwa v2, sext(v4) dst_sel:DWORD dst_unused:UNUSED_PAD src0_sel:WORD_0
	v_mov_b32_e32 v3, 0
	global_store_dwordx2 v[0:1], v[2:3], off
.LBB119_243:
	s_mov_b64 s[36:37], 0
.LBB119_244:
	s_andn2_b64 vcc, exec, s[36:37]
	s_cbranch_vccnz .LBB119_246
; %bb.245:
	v_cvt_f16_i16_e32 v2, v4
	global_store_dword v[0:1], v2, off
.LBB119_246:
	s_mov_b64 s[36:37], 0
.LBB119_247:
	s_andn2_b64 vcc, exec, s[36:37]
	s_cbranch_vccnz .LBB119_256
; %bb.248:
	s_cmp_lt_i32 s44, 6
	s_mov_b64 s[36:37], -1
	s_cbranch_scc1 .LBB119_254
; %bb.249:
	s_cmp_gt_i32 s44, 6
	s_cbranch_scc0 .LBB119_251
; %bb.250:
	v_bfe_i32 v2, v4, 0, 16
	v_cvt_f64_i32_e32 v[2:3], v2
	s_mov_b64 s[36:37], 0
	global_store_dwordx2 v[0:1], v[2:3], off
.LBB119_251:
	s_andn2_b64 vcc, exec, s[36:37]
	s_cbranch_vccnz .LBB119_253
; %bb.252:
	v_cvt_f32_i32_sdwa v2, sext(v4) dst_sel:DWORD dst_unused:UNUSED_PAD src0_sel:WORD_0
	global_store_dword v[0:1], v2, off
.LBB119_253:
	s_mov_b64 s[36:37], 0
.LBB119_254:
	s_andn2_b64 vcc, exec, s[36:37]
	s_cbranch_vccnz .LBB119_256
; %bb.255:
	v_cvt_f16_i16_e32 v2, v4
	global_store_short v[0:1], v2, off
.LBB119_256:
	s_mov_b64 s[36:37], 0
.LBB119_257:
	s_andn2_b64 vcc, exec, s[36:37]
	s_cbranch_vccnz .LBB119_273
; %bb.258:
	s_cmp_lt_i32 s44, 2
	s_mov_b64 s[36:37], -1
	s_cbranch_scc1 .LBB119_268
; %bb.259:
	s_cmp_lt_i32 s44, 3
	s_cbranch_scc1 .LBB119_265
; %bb.260:
	s_cmp_gt_i32 s44, 3
	v_bfe_i32 v2, v4, 0, 16
	s_cbranch_scc0 .LBB119_262
; %bb.261:
	v_ashrrev_i32_e32 v3, 31, v2
	global_store_dwordx2 v[0:1], v[2:3], off
	s_mov_b64 s[36:37], 0
.LBB119_262:
	s_andn2_b64 vcc, exec, s[36:37]
	s_cbranch_vccnz .LBB119_264
; %bb.263:
	global_store_dword v[0:1], v2, off
.LBB119_264:
	s_mov_b64 s[36:37], 0
.LBB119_265:
	s_andn2_b64 vcc, exec, s[36:37]
	s_cbranch_vccnz .LBB119_267
; %bb.266:
	global_store_short v[0:1], v4, off
.LBB119_267:
	s_mov_b64 s[36:37], 0
.LBB119_268:
	s_andn2_b64 vcc, exec, s[36:37]
	s_cbranch_vccnz .LBB119_273
; %bb.269:
	s_cmp_gt_i32 s44, 0
	s_mov_b64 s[36:37], -1
	s_cbranch_scc0 .LBB119_271
; %bb.270:
	global_store_byte v[0:1], v4, off
	s_mov_b64 s[36:37], 0
.LBB119_271:
	s_andn2_b64 vcc, exec, s[36:37]
	s_cbranch_vccnz .LBB119_273
; %bb.272:
	global_store_byte v[0:1], v4, off
.LBB119_273:
	s_mov_b64 s[36:37], -1
.LBB119_274:
	s_andn2_b64 vcc, exec, s[36:37]
	s_cbranch_vccnz .LBB119_276
; %bb.275:
	v_add_u32_e32 v10, 0x80, v10
	s_mov_b64 s[44:45], -1
	s_branch .LBB119_385
.LBB119_276:
	s_mov_b64 s[44:45], 0
                                        ; implicit-def: $vgpr10
	s_branch .LBB119_385
.LBB119_277:
	s_mov_b64 s[38:39], -1
                                        ; implicit-def: $vgpr4
.LBB119_278:
	s_mov_b64 s[36:37], 0
.LBB119_279:
	s_and_b64 vcc, exec, s[36:37]
	s_cbranch_vccz .LBB119_283
; %bb.280:
	s_cmp_eq_u32 s45, 29
	s_cbranch_scc0 .LBB119_282
; %bb.281:
	global_load_dwordx2 v[4:5], v[2:3], off
	s_mov_b64 s[0:1], -1
	s_mov_b64 s[38:39], 0
	s_branch .LBB119_283
.LBB119_282:
	s_mov_b64 s[38:39], -1
                                        ; implicit-def: $vgpr4
.LBB119_283:
	s_mov_b64 s[36:37], 0
.LBB119_284:
	s_and_b64 vcc, exec, s[36:37]
	s_cbranch_vccz .LBB119_300
; %bb.285:
	s_cmp_lt_i32 s45, 27
	s_cbranch_scc1 .LBB119_288
; %bb.286:
	s_cmp_gt_i32 s45, 27
	s_cbranch_scc0 .LBB119_289
; %bb.287:
	global_load_dword v4, v[2:3], off
	s_mov_b64 s[0:1], 0
	s_branch .LBB119_290
.LBB119_288:
	s_mov_b64 s[0:1], -1
                                        ; implicit-def: $vgpr4
	s_branch .LBB119_293
.LBB119_289:
	s_mov_b64 s[0:1], -1
                                        ; implicit-def: $vgpr4
.LBB119_290:
	s_andn2_b64 vcc, exec, s[0:1]
	s_cbranch_vccnz .LBB119_292
; %bb.291:
	global_load_ushort v4, v[2:3], off
.LBB119_292:
	s_mov_b64 s[0:1], 0
.LBB119_293:
	s_andn2_b64 vcc, exec, s[0:1]
	s_cbranch_vccnz .LBB119_299
; %bb.294:
	global_load_ubyte v5, v[2:3], off
	s_movk_i32 s0, 0x7f
	s_mov_b64 s[36:37], 0
	s_waitcnt vmcnt(0)
	v_cmp_lt_i16_e32 vcc, s0, v5
	s_and_saveexec_b64 s[0:1], vcc
	s_xor_b64 s[0:1], exec, s[0:1]
	s_cbranch_execz .LBB119_311
; %bb.295:
	s_movk_i32 s36, 0x80
	v_cmp_ne_u16_e32 vcc, s36, v5
	s_and_b64 s[36:37], vcc, exec
	s_andn2_saveexec_b64 s[0:1], s[0:1]
	s_cbranch_execnz .LBB119_312
.LBB119_296:
	s_or_b64 exec, exec, s[0:1]
	v_mov_b32_e32 v4, 0
	s_and_saveexec_b64 s[0:1], s[36:37]
	s_cbranch_execz .LBB119_298
.LBB119_297:
	v_lshlrev_b32_e32 v4, 24, v5
	v_and_b32_e32 v5, 0xffff, v5
	v_and_b32_e32 v6, 7, v5
	v_ffbh_u32_e32 v8, v6
	v_min_u32_e32 v8, 32, v8
	v_subrev_u32_e32 v9, 28, v8
	v_bfe_u32 v7, v5, 3, 4
	v_lshlrev_b32_e32 v5, v9, v5
	v_sub_u32_e32 v8, 29, v8
	v_and_b32_e32 v5, 7, v5
	v_cmp_eq_u32_e32 vcc, 0, v7
	v_cndmask_b32_e32 v7, v7, v8, vcc
	v_cndmask_b32_e32 v5, v6, v5, vcc
	v_mov_b32_e32 v6, 0x3b800000
	v_lshlrev_b32_e32 v5, 20, v5
	v_and_b32_e32 v4, 0x80000000, v4
	v_lshl_add_u32 v6, v7, 23, v6
	v_or3_b32 v4, v4, v6, v5
	v_cvt_i32_f32_e32 v4, v4
.LBB119_298:
	s_or_b64 exec, exec, s[0:1]
.LBB119_299:
	s_mov_b64 s[0:1], -1
.LBB119_300:
	s_mov_b64 s[36:37], 0
.LBB119_301:
	s_and_b64 vcc, exec, s[36:37]
	s_cbranch_vccz .LBB119_334
; %bb.302:
	s_cmp_gt_i32 s45, 22
	s_cbranch_scc0 .LBB119_310
; %bb.303:
	s_cmp_lt_i32 s45, 24
	s_cbranch_scc1 .LBB119_313
; %bb.304:
	s_cmp_gt_i32 s45, 24
	s_cbranch_scc0 .LBB119_314
; %bb.305:
	global_load_ubyte v5, v[2:3], off
	s_movk_i32 s0, 0x7f
	s_mov_b64 s[36:37], 0
	s_waitcnt vmcnt(0)
	v_cmp_lt_i16_e32 vcc, s0, v5
	s_and_saveexec_b64 s[0:1], vcc
	s_xor_b64 s[0:1], exec, s[0:1]
	s_cbranch_execz .LBB119_326
; %bb.306:
	s_movk_i32 s36, 0x80
	v_cmp_ne_u16_e32 vcc, s36, v5
	s_and_b64 s[36:37], vcc, exec
	s_andn2_saveexec_b64 s[0:1], s[0:1]
	s_cbranch_execnz .LBB119_327
.LBB119_307:
	s_or_b64 exec, exec, s[0:1]
	v_mov_b32_e32 v4, 0
	s_and_saveexec_b64 s[0:1], s[36:37]
	s_cbranch_execz .LBB119_309
.LBB119_308:
	v_lshlrev_b32_e32 v4, 24, v5
	v_and_b32_e32 v5, 0xffff, v5
	v_and_b32_e32 v6, 3, v5
	v_ffbh_u32_e32 v8, v6
	v_min_u32_e32 v8, 32, v8
	v_subrev_u32_e32 v9, 29, v8
	v_bfe_u32 v7, v5, 2, 5
	v_lshlrev_b32_e32 v5, v9, v5
	v_sub_u32_e32 v8, 30, v8
	v_and_b32_e32 v5, 3, v5
	v_cmp_eq_u32_e32 vcc, 0, v7
	v_cndmask_b32_e32 v7, v7, v8, vcc
	v_cndmask_b32_e32 v5, v6, v5, vcc
	v_mov_b32_e32 v6, 0x37800000
	v_lshlrev_b32_e32 v5, 21, v5
	v_and_b32_e32 v4, 0x80000000, v4
	v_lshl_add_u32 v6, v7, 23, v6
	v_or3_b32 v4, v4, v6, v5
	v_cvt_i32_f32_e32 v4, v4
.LBB119_309:
	s_or_b64 exec, exec, s[0:1]
	s_mov_b64 s[0:1], 0
	s_branch .LBB119_315
.LBB119_310:
	s_mov_b64 s[36:37], -1
                                        ; implicit-def: $vgpr4
	s_branch .LBB119_321
.LBB119_311:
	s_andn2_saveexec_b64 s[0:1], s[0:1]
	s_cbranch_execz .LBB119_296
.LBB119_312:
	v_cmp_ne_u16_e32 vcc, 0, v5
	s_andn2_b64 s[36:37], s[36:37], exec
	s_and_b64 s[48:49], vcc, exec
	s_or_b64 s[36:37], s[36:37], s[48:49]
	s_or_b64 exec, exec, s[0:1]
	v_mov_b32_e32 v4, 0
	s_and_saveexec_b64 s[0:1], s[36:37]
	s_cbranch_execnz .LBB119_297
	s_branch .LBB119_298
.LBB119_313:
	s_mov_b64 s[0:1], -1
                                        ; implicit-def: $vgpr4
	s_branch .LBB119_318
.LBB119_314:
	s_mov_b64 s[0:1], -1
                                        ; implicit-def: $vgpr4
.LBB119_315:
	s_and_b64 vcc, exec, s[0:1]
	s_cbranch_vccz .LBB119_317
; %bb.316:
	global_load_ubyte v4, v[2:3], off
	s_mov_b32 s0, 0x7f800000
	s_waitcnt vmcnt(0)
	v_lshlrev_b32_e32 v4, 24, v4
	v_and_b32_e32 v5, 0x7f000000, v4
	v_ffbh_u32_e32 v6, v5
	v_min_u32_e32 v6, 32, v6
	v_sub_u32_e64 v6, v6, 4 clamp
	v_lshlrev_b32_e32 v8, v6, v5
	v_lshlrev_b32_e32 v6, 23, v6
	v_lshrrev_b32_e32 v8, 4, v8
	v_add_u32_e32 v7, 0x1000000, v5
	v_sub_u32_e32 v6, v8, v6
	v_ashrrev_i32_e32 v7, 8, v7
	v_add_u32_e32 v6, 0x3c000000, v6
	v_and_or_b32 v6, v7, s0, v6
	v_cmp_ne_u32_e32 vcc, 0, v5
	v_cndmask_b32_e32 v5, 0, v6, vcc
	s_brev_b32 s0, 1
	v_and_or_b32 v4, v4, s0, v5
	v_cvt_i32_f32_e32 v4, v4
.LBB119_317:
	s_mov_b64 s[0:1], 0
.LBB119_318:
	s_andn2_b64 vcc, exec, s[0:1]
	s_cbranch_vccnz .LBB119_320
; %bb.319:
	global_load_ubyte v4, v[2:3], off
	s_movk_i32 s0, 0x7f00
	s_brev_b32 s1, 16
	s_waitcnt vmcnt(0)
	v_lshlrev_b16_e32 v5, 8, v4
	v_lshlrev_b32_e32 v4, 25, v4
	v_lshrrev_b32_e32 v6, 4, v4
	v_and_or_b32 v7, v5, s0, 0.5
	v_or_b32_e32 v6, 0x70000000, v6
	v_add_f32_e32 v7, -0.5, v7
	v_mul_f32_e32 v6, 0x7800000, v6
	v_cmp_gt_u32_e32 vcc, s1, v4
	v_bfe_i32 v5, v5, 0, 16
	v_cndmask_b32_e32 v4, v6, v7, vcc
	s_brev_b32 s0, 1
	v_and_or_b32 v4, v5, s0, v4
	v_cvt_i32_f32_e32 v4, v4
.LBB119_320:
	s_mov_b64 s[36:37], 0
	s_mov_b64 s[0:1], -1
.LBB119_321:
	s_andn2_b64 vcc, exec, s[36:37]
	s_cbranch_vccnz .LBB119_334
; %bb.322:
	s_cmp_gt_i32 s45, 14
	s_cbranch_scc0 .LBB119_325
; %bb.323:
	s_cmp_eq_u32 s45, 15
	s_cbranch_scc0 .LBB119_328
; %bb.324:
	global_load_ushort v4, v[2:3], off
	s_mov_b64 s[0:1], -1
	s_mov_b64 s[38:39], 0
	s_waitcnt vmcnt(0)
	v_lshlrev_b32_e32 v4, 16, v4
	v_cvt_i32_f32_e32 v4, v4
	s_branch .LBB119_329
.LBB119_325:
	s_mov_b64 s[36:37], -1
                                        ; implicit-def: $vgpr4
	s_branch .LBB119_330
.LBB119_326:
	s_andn2_saveexec_b64 s[0:1], s[0:1]
	s_cbranch_execz .LBB119_307
.LBB119_327:
	v_cmp_ne_u16_e32 vcc, 0, v5
	s_andn2_b64 s[36:37], s[36:37], exec
	s_and_b64 s[48:49], vcc, exec
	s_or_b64 s[36:37], s[36:37], s[48:49]
	s_or_b64 exec, exec, s[0:1]
	v_mov_b32_e32 v4, 0
	s_and_saveexec_b64 s[0:1], s[36:37]
	s_cbranch_execnz .LBB119_308
	s_branch .LBB119_309
.LBB119_328:
	s_mov_b64 s[38:39], -1
                                        ; implicit-def: $vgpr4
.LBB119_329:
	s_mov_b64 s[36:37], 0
.LBB119_330:
	s_and_b64 vcc, exec, s[36:37]
	s_cbranch_vccz .LBB119_334
; %bb.331:
	s_cmp_eq_u32 s45, 11
	s_cbranch_scc0 .LBB119_333
; %bb.332:
	global_load_ubyte v4, v[2:3], off
	s_mov_b64 s[0:1], -1
	s_mov_b64 s[38:39], 0
	s_waitcnt vmcnt(0)
	v_cmp_ne_u16_e32 vcc, 0, v4
	v_cndmask_b32_e64 v4, 0, 1, vcc
	s_branch .LBB119_334
.LBB119_333:
	s_mov_b64 s[38:39], -1
                                        ; implicit-def: $vgpr4
.LBB119_334:
	s_branch .LBB119_31
.LBB119_335:
	s_and_b32 s36, 0xffff, s44
	s_cmp_lt_i32 s36, 5
	s_cbranch_scc1 .LBB119_340
; %bb.336:
	s_cmp_lt_i32 s36, 8
	s_cbranch_scc1 .LBB119_341
; %bb.337:
	;; [unrolled: 3-line block ×3, first 2 shown]
	s_cmp_gt_i32 s36, 9
	s_cbranch_scc0 .LBB119_343
; %bb.339:
	global_load_dwordx2 v[4:5], v[2:3], off
	s_mov_b64 s[0:1], 0
	s_waitcnt vmcnt(0)
	v_cvt_i32_f64_e32 v4, v[4:5]
	s_branch .LBB119_344
.LBB119_340:
	s_mov_b64 s[0:1], -1
                                        ; implicit-def: $vgpr4
	s_branch .LBB119_362
.LBB119_341:
	s_mov_b64 s[0:1], -1
                                        ; implicit-def: $vgpr4
	s_branch .LBB119_350
.LBB119_342:
	s_mov_b64 s[0:1], -1
                                        ; implicit-def: $vgpr4
	s_branch .LBB119_347
.LBB119_343:
	s_mov_b64 s[0:1], -1
                                        ; implicit-def: $vgpr4
.LBB119_344:
	s_andn2_b64 vcc, exec, s[0:1]
	s_cbranch_vccnz .LBB119_346
; %bb.345:
	global_load_dword v4, v[2:3], off
	s_waitcnt vmcnt(0)
	v_cvt_i32_f32_e32 v4, v4
.LBB119_346:
	s_mov_b64 s[0:1], 0
.LBB119_347:
	s_andn2_b64 vcc, exec, s[0:1]
	s_cbranch_vccnz .LBB119_349
; %bb.348:
	global_load_dword v4, v[2:3], off
	s_waitcnt vmcnt(0)
	v_cvt_i16_f16_e32 v4, v4
.LBB119_349:
	s_mov_b64 s[0:1], 0
.LBB119_350:
	s_andn2_b64 vcc, exec, s[0:1]
	s_cbranch_vccnz .LBB119_361
; %bb.351:
	s_cmp_lt_i32 s36, 6
	s_cbranch_scc1 .LBB119_354
; %bb.352:
	s_cmp_gt_i32 s36, 6
	s_cbranch_scc0 .LBB119_355
; %bb.353:
	global_load_dwordx2 v[4:5], v[2:3], off
	s_mov_b64 s[0:1], 0
	s_waitcnt vmcnt(0)
	v_cvt_i32_f64_e32 v4, v[4:5]
	s_branch .LBB119_356
.LBB119_354:
	s_mov_b64 s[0:1], -1
                                        ; implicit-def: $vgpr4
	s_branch .LBB119_359
.LBB119_355:
	s_mov_b64 s[0:1], -1
                                        ; implicit-def: $vgpr4
.LBB119_356:
	s_andn2_b64 vcc, exec, s[0:1]
	s_cbranch_vccnz .LBB119_358
; %bb.357:
	global_load_dword v4, v[2:3], off
	s_waitcnt vmcnt(0)
	v_cvt_i32_f32_e32 v4, v4
.LBB119_358:
	s_mov_b64 s[0:1], 0
.LBB119_359:
	s_andn2_b64 vcc, exec, s[0:1]
	s_cbranch_vccnz .LBB119_361
; %bb.360:
	global_load_ushort v4, v[2:3], off
	s_waitcnt vmcnt(0)
	v_cvt_i16_f16_e32 v4, v4
.LBB119_361:
	s_mov_b64 s[0:1], 0
.LBB119_362:
	s_andn2_b64 vcc, exec, s[0:1]
	s_cbranch_vccnz .LBB119_382
; %bb.363:
	s_cmp_lt_i32 s36, 2
	s_cbranch_scc1 .LBB119_367
; %bb.364:
	s_cmp_lt_i32 s36, 3
	s_cbranch_scc1 .LBB119_368
; %bb.365:
	s_cmp_gt_i32 s36, 3
	s_cbranch_scc0 .LBB119_369
; %bb.366:
	global_load_dwordx2 v[4:5], v[2:3], off
	s_mov_b64 s[0:1], 0
	s_branch .LBB119_370
.LBB119_367:
	s_mov_b64 s[0:1], -1
                                        ; implicit-def: $vgpr4
	s_branch .LBB119_376
.LBB119_368:
	s_mov_b64 s[0:1], -1
                                        ; implicit-def: $vgpr4
	s_branch .LBB119_373
.LBB119_369:
	s_mov_b64 s[0:1], -1
                                        ; implicit-def: $vgpr4
.LBB119_370:
	s_andn2_b64 vcc, exec, s[0:1]
	s_cbranch_vccnz .LBB119_372
; %bb.371:
	global_load_dword v4, v[2:3], off
.LBB119_372:
	s_mov_b64 s[0:1], 0
.LBB119_373:
	s_andn2_b64 vcc, exec, s[0:1]
	s_cbranch_vccnz .LBB119_375
; %bb.374:
	global_load_ushort v4, v[2:3], off
.LBB119_375:
	s_mov_b64 s[0:1], 0
.LBB119_376:
	s_andn2_b64 vcc, exec, s[0:1]
	s_cbranch_vccnz .LBB119_382
; %bb.377:
	s_cmp_gt_i32 s36, 0
	s_cbranch_scc0 .LBB119_379
; %bb.378:
	global_load_sbyte v4, v[2:3], off
	s_mov_b64 s[0:1], 0
	s_branch .LBB119_380
.LBB119_379:
	s_mov_b64 s[0:1], -1
                                        ; implicit-def: $vgpr4
.LBB119_380:
	s_andn2_b64 vcc, exec, s[0:1]
	s_cbranch_vccnz .LBB119_382
; %bb.381:
	global_load_ubyte v4, v[2:3], off
.LBB119_382:
	s_branch .LBB119_32
.LBB119_383:
	s_mov_b64 s[0:1], 0
.LBB119_384:
                                        ; implicit-def: $vgpr10
	s_mov_b64 s[44:45], 0
.LBB119_385:
	s_and_b64 s[36:37], s[0:1], exec
	s_and_b64 s[38:39], s[38:39], exec
	;; [unrolled: 1-line block ×3, first 2 shown]
	s_orn2_b64 s[0:1], s[44:45], exec
.LBB119_386:
	s_or_b64 exec, exec, s[42:43]
	s_mov_b64 s[50:51], 0
	s_mov_b64 s[48:49], 0
                                        ; implicit-def: $sgpr73
                                        ; implicit-def: $vgpr4_vgpr5
                                        ; implicit-def: $vgpr0
                                        ; implicit-def: $vgpr3
                                        ; implicit-def: $vgpr1
	s_and_saveexec_b64 s[42:43], s[0:1]
	s_cbranch_execz .LBB119_394
; %bb.387:
	v_cmp_gt_i32_e32 vcc, s66, v10
	s_mov_b64 s[0:1], -1
	s_mov_b64 s[44:45], s[40:41]
	s_mov_b64 s[46:47], s[38:39]
	;; [unrolled: 1-line block ×3, first 2 shown]
	s_and_saveexec_b64 s[50:51], vcc
	s_cbranch_execz .LBB119_779
; %bb.388:
	s_andn2_b64 vcc, exec, s[20:21]
	s_cbranch_vccnz .LBB119_397
; %bb.389:
	s_andn2_b64 vcc, exec, s[34:35]
	s_cbranch_vccnz .LBB119_398
; %bb.390:
	s_add_i32 s0, s72, 1
	s_and_b32 s44, s0, 30
	s_add_u32 s0, s2, 0xffffffe8
	s_addc_u32 s1, s3, -1
	v_mov_b32_e32 v3, 0
	s_waitcnt vmcnt(0)
	v_mov_b32_e32 v5, 0
	v_mov_b32_e32 v0, 0
	;; [unrolled: 1-line block ×3, first 2 shown]
.LBB119_391:                            ; =>This Inner Loop Header: Depth=1
	s_load_dwordx4 s[52:55], s[0:1], 0x1c
	s_load_dwordx2 s[46:47], s[0:1], 0x2c
	s_load_dwordx2 s[48:49], s[0:1], 0xec
	s_load_dwordx4 s[56:59], s[0:1], 0xdc
	s_add_u32 s0, s0, 24
	s_waitcnt lgkmcnt(0)
	v_mul_hi_u32 v2, s53, v1
	s_addc_u32 s1, s1, 0
	s_add_i32 s44, s44, -2
	s_cmp_eq_u32 s44, 0
	v_add_u32_e32 v2, v1, v2
	v_lshrrev_b32_e32 v2, s54, v2
	v_mul_lo_u32 v4, v2, s52
	v_mul_hi_u32 v6, s46, v2
	v_sub_u32_e32 v4, v1, v4
	v_add_u32_e32 v1, v2, v6
	v_lshrrev_b32_e32 v1, s47, v1
	v_mul_lo_u32 v8, v1, s55
	v_mul_lo_u32 v6, v4, s56
	;; [unrolled: 1-line block ×4, first 2 shown]
	v_sub_u32_e32 v2, v2, v8
	v_mul_lo_u32 v8, v2, s59
	v_mul_lo_u32 v9, v2, s48
	;; [unrolled: 1-line block ×3, first 2 shown]
	v_add3_u32 v0, v6, v0, v8
	v_add3_u32 v5, v7, v5, v9
	;; [unrolled: 1-line block ×3, first 2 shown]
	s_cbranch_scc0 .LBB119_391
; %bb.392:
	s_bitcmp1_b32 s72, 0
	s_cselect_b64 s[44:45], -1, 0
	s_and_b64 vcc, exec, s[44:45]
	s_cbranch_vccnz .LBB119_399
; %bb.393:
	s_load_dwordx2 s[44:45], s[0:1], 0x1c
	s_load_dword s48, s[0:1], 0x24
	s_load_dwordx2 s[46:47], s[0:1], 0xdc
	s_waitcnt lgkmcnt(0)
	v_mul_hi_u32 v2, s45, v1
	v_add_u32_e32 v2, v1, v2
	v_lshrrev_b32_e32 v2, s48, v2
	v_mul_lo_u32 v2, v2, s44
	s_load_dword s44, s[0:1], 0xe4
	v_sub_u32_e32 v2, v1, v2
	v_mad_u64_u32 v[0:1], s[0:1], v2, s46, v[0:1]
	v_mad_u64_u32 v[5:6], s[0:1], v2, s47, v[5:6]
	s_waitcnt lgkmcnt(0)
	v_mad_u64_u32 v[3:4], s[0:1], v2, s44, v[3:4]
	s_branch .LBB119_399
.LBB119_394:
	s_or_b64 exec, exec, s[42:43]
	s_waitcnt lgkmcnt(0)
	s_mov_b64 s[10:11], 0
	s_and_saveexec_b64 s[0:1], s[40:41]
	s_cbranch_execnz .LBB119_1265
.LBB119_395:
	s_or_b64 exec, exec, s[0:1]
	s_and_saveexec_b64 s[0:1], s[46:47]
	s_xor_b64 s[0:1], exec, s[0:1]
	s_cbranch_execz .LBB119_1266
.LBB119_396:
	s_waitcnt vmcnt(0)
	global_load_ubyte v1, v[4:5], off
	s_or_b64 s[48:49], s[48:49], exec
	s_waitcnt vmcnt(0)
	v_cmp_ne_u16_e32 vcc, 0, v1
	v_cndmask_b32_e64 v1, 0, 1, vcc
	s_or_b64 exec, exec, s[0:1]
	s_and_saveexec_b64 s[0:1], s[50:51]
	s_cbranch_execz .LBB119_1312
	s_branch .LBB119_1267
.LBB119_397:
                                        ; implicit-def: $vgpr0
                                        ; implicit-def: $vgpr5
                                        ; implicit-def: $vgpr3
	s_andn2_b64 vcc, exec, s[0:1]
	s_cbranch_vccz .LBB119_400
	s_branch .LBB119_402
.LBB119_398:
	v_mov_b32_e32 v0, 0
	s_waitcnt vmcnt(0)
	v_mov_b32_e32 v5, 0
	v_mov_b32_e32 v3, 0
.LBB119_399:
	s_cbranch_execnz .LBB119_402
.LBB119_400:
	s_waitcnt lgkmcnt(0)
	v_mul_hi_u32 v0, s17, v10
	s_andn2_b64 vcc, exec, s[30:31]
	v_add_u32_e32 v0, v10, v0
	s_waitcnt vmcnt(0)
	v_lshrrev_b32_e32 v1, s18, v0
	v_mul_lo_u32 v0, v1, s16
	v_sub_u32_e32 v2, v10, v0
	v_mul_lo_u32 v0, v2, s12
	v_mul_lo_u32 v5, v2, s13
	;; [unrolled: 1-line block ×3, first 2 shown]
	s_cbranch_vccnz .LBB119_402
; %bb.401:
	v_mul_hi_u32 v2, s28, v1
	v_add_u32_e32 v2, v1, v2
	v_lshrrev_b32_e32 v2, s29, v2
	v_mul_lo_u32 v2, v2, s19
	v_sub_u32_e32 v2, v1, v2
	v_mad_u64_u32 v[0:1], s[0:1], v2, s15, v[0:1]
	v_mad_u64_u32 v[5:6], s[0:1], v2, s26, v[5:6]
	;; [unrolled: 1-line block ×3, first 2 shown]
.LBB119_402:
	s_waitcnt vmcnt(0) lgkmcnt(0)
	v_mov_b32_e32 v1, s11
	s_and_b32 s48, s71, 0xff
	v_add_co_u32_e32 v4, vcc, s10, v5
	s_cmp_lt_i32 s48, 11
	v_addc_co_u32_e32 v5, vcc, 0, v1, vcc
	s_cbranch_scc1 .LBB119_409
; %bb.403:
	s_and_b32 s49, 0xffff, s48
	s_cmp_gt_i32 s49, 25
	s_cbranch_scc0 .LBB119_418
; %bb.404:
	s_cmp_gt_i32 s49, 28
	s_cbranch_scc0 .LBB119_420
; %bb.405:
	;; [unrolled: 3-line block ×4, first 2 shown]
	s_cmp_eq_u32 s49, 46
	s_mov_b64 s[46:47], 0
	s_cbranch_scc0 .LBB119_428
; %bb.408:
	global_load_dword v1, v[4:5], off
	s_mov_b64 s[0:1], -1
	s_mov_b64 s[44:45], 0
	s_waitcnt vmcnt(0)
	v_lshlrev_b32_e32 v1, 16, v1
	v_cvt_i32_f32_e32 v1, v1
	s_branch .LBB119_429
.LBB119_409:
	s_mov_b64 s[0:1], 0
                                        ; implicit-def: $vgpr1
	s_mov_b64 s[44:45], s[40:41]
	s_cbranch_execnz .LBB119_491
.LBB119_410:
	s_andn2_b64 vcc, exec, s[0:1]
	s_cbranch_vccnz .LBB119_539
.LBB119_411:
	v_mov_b32_e32 v4, s25
	s_and_b32 s52, s70, 0xff
	s_waitcnt vmcnt(0)
	v_add_co_u32_e32 v2, vcc, s24, v3
	s_cmp_lt_i32 s52, 11
	v_addc_co_u32_e32 v3, vcc, 0, v4, vcc
	s_cbranch_scc1 .LBB119_419
; %bb.412:
	s_and_b32 s53, 0xffff, s52
	s_cmp_gt_i32 s53, 25
	s_cbranch_scc0 .LBB119_421
; %bb.413:
	s_cmp_gt_i32 s53, 28
	s_cbranch_scc0 .LBB119_423
; %bb.414:
	;; [unrolled: 3-line block ×4, first 2 shown]
	s_cmp_eq_u32 s53, 46
	s_mov_b64 s[48:49], 0
	s_cbranch_scc0 .LBB119_543
; %bb.417:
	global_load_dword v4, v[2:3], off
	s_mov_b64 s[0:1], -1
	s_mov_b64 s[46:47], 0
	s_waitcnt vmcnt(0)
	v_lshlrev_b32_e32 v4, 16, v4
	v_cvt_i32_f32_e32 v4, v4
	s_branch .LBB119_544
.LBB119_418:
	s_mov_b64 s[46:47], -1
	s_mov_b64 s[0:1], 0
	s_mov_b64 s[44:45], s[40:41]
                                        ; implicit-def: $vgpr1
	s_branch .LBB119_457
.LBB119_419:
	s_mov_b64 s[48:49], -1
	s_mov_b64 s[0:1], 0
                                        ; implicit-def: $vgpr4
	s_mov_b64 s[46:47], s[38:39]
	s_branch .LBB119_605
.LBB119_420:
	s_mov_b64 s[46:47], -1
	s_mov_b64 s[0:1], 0
	s_mov_b64 s[44:45], s[40:41]
                                        ; implicit-def: $vgpr1
	s_branch .LBB119_440
.LBB119_421:
	s_mov_b64 s[48:49], -1
	s_mov_b64 s[0:1], 0
	s_mov_b64 s[46:47], s[38:39]
                                        ; implicit-def: $vgpr4
	s_branch .LBB119_571
.LBB119_422:
	s_mov_b64 s[46:47], -1
	s_mov_b64 s[0:1], 0
	s_mov_b64 s[44:45], s[40:41]
                                        ; implicit-def: $vgpr1
	s_branch .LBB119_435
.LBB119_423:
	s_mov_b64 s[48:49], -1
	s_mov_b64 s[0:1], 0
	s_mov_b64 s[46:47], s[38:39]
                                        ; implicit-def: $vgpr4
	s_branch .LBB119_554
.LBB119_424:
	s_mov_b64 s[46:47], -1
	s_mov_b64 s[0:1], 0
	s_mov_b64 s[44:45], s[40:41]
                                        ; implicit-def: $vgpr1
	s_branch .LBB119_429
.LBB119_425:
	s_mov_b64 s[48:49], -1
	s_mov_b64 s[0:1], 0
	s_mov_b64 s[46:47], s[38:39]
                                        ; implicit-def: $vgpr4
	s_branch .LBB119_549
.LBB119_426:
	s_andn2_saveexec_b64 s[48:49], s[48:49]
	s_cbranch_execz .LBB119_187
.LBB119_427:
	s_mov_b32 s52, 0x46000000
	v_add_f32_e64 v3, |v2|, s52
	v_and_b32_e32 v3, 0xff, v3
	v_cmp_ne_u32_e32 vcc, 0, v3
	s_andn2_b64 s[44:45], s[44:45], exec
	s_and_b64 s[52:53], vcc, exec
	s_or_b64 s[44:45], s[44:45], s[52:53]
	s_or_b64 exec, exec, s[48:49]
	v_mov_b32_e32 v5, 0
	s_and_saveexec_b64 s[48:49], s[44:45]
	s_cbranch_execnz .LBB119_188
	s_branch .LBB119_189
.LBB119_428:
	s_mov_b64 s[44:45], -1
                                        ; implicit-def: $vgpr1
	s_mov_b64 s[0:1], 0
.LBB119_429:
	s_and_b64 vcc, exec, s[46:47]
	s_cbranch_vccz .LBB119_434
; %bb.430:
	s_cmp_eq_u32 s49, 44
	s_cbranch_scc0 .LBB119_433
; %bb.431:
	global_load_ubyte v1, v[4:5], off
	s_mov_b64 s[0:1], -1
	s_mov_b64 s[44:45], 0
	s_waitcnt vmcnt(0)
	v_lshlrev_b32_e32 v2, 23, v1
	v_cvt_i32_f32_e32 v2, v2
	v_cmp_ne_u32_e32 vcc, 0, v1
	v_cndmask_b32_e32 v1, 0, v2, vcc
	s_branch .LBB119_434
.LBB119_432:
	s_mov_b64 s[48:49], -1
	s_mov_b64 s[0:1], 0
	s_mov_b64 s[46:47], s[38:39]
                                        ; implicit-def: $vgpr4
	s_branch .LBB119_544
.LBB119_433:
	s_mov_b64 s[44:45], -1
                                        ; implicit-def: $vgpr1
.LBB119_434:
	s_mov_b64 s[46:47], 0
.LBB119_435:
	s_and_b64 vcc, exec, s[46:47]
	s_cbranch_vccz .LBB119_439
; %bb.436:
	s_cmp_eq_u32 s49, 29
	s_cbranch_scc0 .LBB119_438
; %bb.437:
	global_load_dwordx2 v[1:2], v[4:5], off
	s_mov_b64 s[0:1], -1
	s_mov_b64 s[44:45], 0
	s_branch .LBB119_439
.LBB119_438:
	s_mov_b64 s[44:45], -1
                                        ; implicit-def: $vgpr1
.LBB119_439:
	s_mov_b64 s[46:47], 0
.LBB119_440:
	s_and_b64 vcc, exec, s[46:47]
	s_cbranch_vccz .LBB119_456
; %bb.441:
	s_cmp_lt_i32 s49, 27
	s_cbranch_scc1 .LBB119_444
; %bb.442:
	s_cmp_gt_i32 s49, 27
	s_cbranch_scc0 .LBB119_445
; %bb.443:
	global_load_dword v1, v[4:5], off
	s_mov_b64 s[0:1], 0
	s_branch .LBB119_446
.LBB119_444:
	s_mov_b64 s[0:1], -1
                                        ; implicit-def: $vgpr1
	s_branch .LBB119_449
.LBB119_445:
	s_mov_b64 s[0:1], -1
                                        ; implicit-def: $vgpr1
.LBB119_446:
	s_andn2_b64 vcc, exec, s[0:1]
	s_cbranch_vccnz .LBB119_448
; %bb.447:
	global_load_ushort v1, v[4:5], off
.LBB119_448:
	s_mov_b64 s[0:1], 0
.LBB119_449:
	s_andn2_b64 vcc, exec, s[0:1]
	s_cbranch_vccnz .LBB119_455
; %bb.450:
	global_load_ubyte v2, v[4:5], off
	s_movk_i32 s0, 0x7f
	s_mov_b64 s[46:47], 0
	s_waitcnt vmcnt(0)
	v_cmp_lt_i16_e32 vcc, s0, v2
	s_and_saveexec_b64 s[0:1], vcc
	s_xor_b64 s[0:1], exec, s[0:1]
	s_cbranch_execz .LBB119_467
; %bb.451:
	s_movk_i32 s46, 0x80
	v_cmp_ne_u16_e32 vcc, s46, v2
	s_and_b64 s[46:47], vcc, exec
	s_andn2_saveexec_b64 s[0:1], s[0:1]
	s_cbranch_execnz .LBB119_468
.LBB119_452:
	s_or_b64 exec, exec, s[0:1]
	v_mov_b32_e32 v1, 0
	s_and_saveexec_b64 s[0:1], s[46:47]
	s_cbranch_execz .LBB119_454
.LBB119_453:
	v_lshlrev_b32_e32 v1, 24, v2
	v_and_b32_e32 v2, 0xffff, v2
	v_and_b32_e32 v6, 7, v2
	v_ffbh_u32_e32 v8, v6
	v_min_u32_e32 v8, 32, v8
	v_subrev_u32_e32 v9, 28, v8
	v_bfe_u32 v7, v2, 3, 4
	v_lshlrev_b32_e32 v2, v9, v2
	v_sub_u32_e32 v8, 29, v8
	v_and_b32_e32 v2, 7, v2
	v_cmp_eq_u32_e32 vcc, 0, v7
	v_cndmask_b32_e32 v7, v7, v8, vcc
	v_cndmask_b32_e32 v2, v6, v2, vcc
	v_mov_b32_e32 v6, 0x3b800000
	v_lshlrev_b32_e32 v2, 20, v2
	v_and_b32_e32 v1, 0x80000000, v1
	v_lshl_add_u32 v6, v7, 23, v6
	v_or3_b32 v1, v1, v6, v2
	v_cvt_i32_f32_e32 v1, v1
.LBB119_454:
	s_or_b64 exec, exec, s[0:1]
.LBB119_455:
	s_mov_b64 s[0:1], -1
.LBB119_456:
	s_mov_b64 s[46:47], 0
.LBB119_457:
	s_and_b64 vcc, exec, s[46:47]
	s_cbranch_vccz .LBB119_490
; %bb.458:
	s_cmp_gt_i32 s49, 22
	s_cbranch_scc0 .LBB119_466
; %bb.459:
	s_cmp_lt_i32 s49, 24
	s_cbranch_scc1 .LBB119_469
; %bb.460:
	s_cmp_gt_i32 s49, 24
	s_cbranch_scc0 .LBB119_470
; %bb.461:
	global_load_ubyte v2, v[4:5], off
	s_movk_i32 s0, 0x7f
	s_mov_b64 s[46:47], 0
	s_waitcnt vmcnt(0)
	v_cmp_lt_i16_e32 vcc, s0, v2
	s_and_saveexec_b64 s[0:1], vcc
	s_xor_b64 s[0:1], exec, s[0:1]
	s_cbranch_execz .LBB119_482
; %bb.462:
	s_movk_i32 s46, 0x80
	v_cmp_ne_u16_e32 vcc, s46, v2
	s_and_b64 s[46:47], vcc, exec
	s_andn2_saveexec_b64 s[0:1], s[0:1]
	s_cbranch_execnz .LBB119_483
.LBB119_463:
	s_or_b64 exec, exec, s[0:1]
	v_mov_b32_e32 v1, 0
	s_and_saveexec_b64 s[0:1], s[46:47]
	s_cbranch_execz .LBB119_465
.LBB119_464:
	v_lshlrev_b32_e32 v1, 24, v2
	v_and_b32_e32 v2, 0xffff, v2
	v_and_b32_e32 v6, 3, v2
	v_ffbh_u32_e32 v8, v6
	v_min_u32_e32 v8, 32, v8
	v_subrev_u32_e32 v9, 29, v8
	v_bfe_u32 v7, v2, 2, 5
	v_lshlrev_b32_e32 v2, v9, v2
	v_sub_u32_e32 v8, 30, v8
	v_and_b32_e32 v2, 3, v2
	v_cmp_eq_u32_e32 vcc, 0, v7
	v_cndmask_b32_e32 v7, v7, v8, vcc
	v_cndmask_b32_e32 v2, v6, v2, vcc
	v_mov_b32_e32 v6, 0x37800000
	v_lshlrev_b32_e32 v2, 21, v2
	v_and_b32_e32 v1, 0x80000000, v1
	v_lshl_add_u32 v6, v7, 23, v6
	v_or3_b32 v1, v1, v6, v2
	v_cvt_i32_f32_e32 v1, v1
.LBB119_465:
	s_or_b64 exec, exec, s[0:1]
	s_mov_b64 s[0:1], 0
	s_branch .LBB119_471
.LBB119_466:
	s_mov_b64 s[46:47], -1
                                        ; implicit-def: $vgpr1
	s_branch .LBB119_477
.LBB119_467:
	s_andn2_saveexec_b64 s[0:1], s[0:1]
	s_cbranch_execz .LBB119_452
.LBB119_468:
	v_cmp_ne_u16_e32 vcc, 0, v2
	s_andn2_b64 s[46:47], s[46:47], exec
	s_and_b64 s[52:53], vcc, exec
	s_or_b64 s[46:47], s[46:47], s[52:53]
	s_or_b64 exec, exec, s[0:1]
	v_mov_b32_e32 v1, 0
	s_and_saveexec_b64 s[0:1], s[46:47]
	s_cbranch_execnz .LBB119_453
	s_branch .LBB119_454
.LBB119_469:
	s_mov_b64 s[0:1], -1
                                        ; implicit-def: $vgpr1
	s_branch .LBB119_474
.LBB119_470:
	s_mov_b64 s[0:1], -1
                                        ; implicit-def: $vgpr1
.LBB119_471:
	s_and_b64 vcc, exec, s[0:1]
	s_cbranch_vccz .LBB119_473
; %bb.472:
	global_load_ubyte v1, v[4:5], off
	s_mov_b32 s0, 0x7f800000
	s_waitcnt vmcnt(0)
	v_lshlrev_b32_e32 v1, 24, v1
	v_and_b32_e32 v2, 0x7f000000, v1
	v_ffbh_u32_e32 v6, v2
	v_min_u32_e32 v6, 32, v6
	v_sub_u32_e64 v6, v6, 4 clamp
	v_lshlrev_b32_e32 v8, v6, v2
	v_lshlrev_b32_e32 v6, 23, v6
	v_lshrrev_b32_e32 v8, 4, v8
	v_add_u32_e32 v7, 0x1000000, v2
	v_sub_u32_e32 v6, v8, v6
	v_ashrrev_i32_e32 v7, 8, v7
	v_add_u32_e32 v6, 0x3c000000, v6
	v_and_or_b32 v6, v7, s0, v6
	v_cmp_ne_u32_e32 vcc, 0, v2
	v_cndmask_b32_e32 v2, 0, v6, vcc
	s_brev_b32 s0, 1
	v_and_or_b32 v1, v1, s0, v2
	v_cvt_i32_f32_e32 v1, v1
.LBB119_473:
	s_mov_b64 s[0:1], 0
.LBB119_474:
	s_andn2_b64 vcc, exec, s[0:1]
	s_cbranch_vccnz .LBB119_476
; %bb.475:
	global_load_ubyte v1, v[4:5], off
	s_movk_i32 s0, 0x7f00
	s_brev_b32 s1, 16
	s_waitcnt vmcnt(0)
	v_lshlrev_b16_e32 v2, 8, v1
	v_lshlrev_b32_e32 v1, 25, v1
	v_lshrrev_b32_e32 v6, 4, v1
	v_and_or_b32 v7, v2, s0, 0.5
	v_or_b32_e32 v6, 0x70000000, v6
	v_add_f32_e32 v7, -0.5, v7
	v_mul_f32_e32 v6, 0x7800000, v6
	v_cmp_gt_u32_e32 vcc, s1, v1
	v_bfe_i32 v2, v2, 0, 16
	v_cndmask_b32_e32 v1, v6, v7, vcc
	s_brev_b32 s0, 1
	v_and_or_b32 v1, v2, s0, v1
	v_cvt_i32_f32_e32 v1, v1
.LBB119_476:
	s_mov_b64 s[46:47], 0
	s_mov_b64 s[0:1], -1
.LBB119_477:
	s_andn2_b64 vcc, exec, s[46:47]
	s_cbranch_vccnz .LBB119_490
; %bb.478:
	s_cmp_gt_i32 s49, 14
	s_cbranch_scc0 .LBB119_481
; %bb.479:
	s_cmp_eq_u32 s49, 15
	s_cbranch_scc0 .LBB119_484
; %bb.480:
	global_load_ushort v1, v[4:5], off
	s_mov_b64 s[0:1], -1
	s_mov_b64 s[44:45], 0
	s_waitcnt vmcnt(0)
	v_lshlrev_b32_e32 v1, 16, v1
	v_cvt_i32_f32_e32 v1, v1
	s_branch .LBB119_485
.LBB119_481:
	s_mov_b64 s[46:47], -1
                                        ; implicit-def: $vgpr1
	s_branch .LBB119_486
.LBB119_482:
	s_andn2_saveexec_b64 s[0:1], s[0:1]
	s_cbranch_execz .LBB119_463
.LBB119_483:
	v_cmp_ne_u16_e32 vcc, 0, v2
	s_andn2_b64 s[46:47], s[46:47], exec
	s_and_b64 s[52:53], vcc, exec
	s_or_b64 s[46:47], s[46:47], s[52:53]
	s_or_b64 exec, exec, s[0:1]
	v_mov_b32_e32 v1, 0
	s_and_saveexec_b64 s[0:1], s[46:47]
	s_cbranch_execnz .LBB119_464
	s_branch .LBB119_465
.LBB119_484:
	s_mov_b64 s[44:45], -1
                                        ; implicit-def: $vgpr1
.LBB119_485:
	s_mov_b64 s[46:47], 0
.LBB119_486:
	s_and_b64 vcc, exec, s[46:47]
	s_cbranch_vccz .LBB119_490
; %bb.487:
	s_cmp_eq_u32 s49, 11
	s_cbranch_scc0 .LBB119_489
; %bb.488:
	global_load_ubyte v1, v[4:5], off
	s_mov_b64 s[0:1], -1
	s_mov_b64 s[44:45], 0
	s_waitcnt vmcnt(0)
	v_cmp_ne_u16_e32 vcc, 0, v1
	v_cndmask_b32_e64 v1, 0, 1, vcc
	s_branch .LBB119_490
.LBB119_489:
	s_mov_b64 s[44:45], -1
                                        ; implicit-def: $vgpr1
.LBB119_490:
	s_branch .LBB119_410
.LBB119_491:
	s_and_b32 s46, 0xffff, s48
	s_cmp_lt_i32 s46, 5
	s_cbranch_scc1 .LBB119_496
; %bb.492:
	s_cmp_lt_i32 s46, 8
	s_cbranch_scc1 .LBB119_497
; %bb.493:
	;; [unrolled: 3-line block ×3, first 2 shown]
	s_cmp_gt_i32 s46, 9
	s_cbranch_scc0 .LBB119_499
; %bb.495:
	global_load_dwordx2 v[1:2], v[4:5], off
	s_mov_b64 s[0:1], 0
	s_waitcnt vmcnt(0)
	v_cvt_i32_f64_e32 v1, v[1:2]
	s_branch .LBB119_500
.LBB119_496:
	s_mov_b64 s[0:1], -1
                                        ; implicit-def: $vgpr1
	s_branch .LBB119_518
.LBB119_497:
	s_mov_b64 s[0:1], -1
                                        ; implicit-def: $vgpr1
	s_branch .LBB119_506
.LBB119_498:
	s_mov_b64 s[0:1], -1
                                        ; implicit-def: $vgpr1
	s_branch .LBB119_503
.LBB119_499:
	s_mov_b64 s[0:1], -1
                                        ; implicit-def: $vgpr1
.LBB119_500:
	s_andn2_b64 vcc, exec, s[0:1]
	s_cbranch_vccnz .LBB119_502
; %bb.501:
	global_load_dword v1, v[4:5], off
	s_waitcnt vmcnt(0)
	v_cvt_i32_f32_e32 v1, v1
.LBB119_502:
	s_mov_b64 s[0:1], 0
.LBB119_503:
	s_andn2_b64 vcc, exec, s[0:1]
	s_cbranch_vccnz .LBB119_505
; %bb.504:
	global_load_dword v1, v[4:5], off
	s_waitcnt vmcnt(0)
	v_cvt_i16_f16_e32 v1, v1
.LBB119_505:
	s_mov_b64 s[0:1], 0
.LBB119_506:
	s_andn2_b64 vcc, exec, s[0:1]
	s_cbranch_vccnz .LBB119_517
; %bb.507:
	s_cmp_lt_i32 s46, 6
	s_cbranch_scc1 .LBB119_510
; %bb.508:
	s_cmp_gt_i32 s46, 6
	s_cbranch_scc0 .LBB119_511
; %bb.509:
	global_load_dwordx2 v[1:2], v[4:5], off
	s_mov_b64 s[0:1], 0
	s_waitcnt vmcnt(0)
	v_cvt_i32_f64_e32 v1, v[1:2]
	s_branch .LBB119_512
.LBB119_510:
	s_mov_b64 s[0:1], -1
                                        ; implicit-def: $vgpr1
	s_branch .LBB119_515
.LBB119_511:
	s_mov_b64 s[0:1], -1
                                        ; implicit-def: $vgpr1
.LBB119_512:
	s_andn2_b64 vcc, exec, s[0:1]
	s_cbranch_vccnz .LBB119_514
; %bb.513:
	global_load_dword v1, v[4:5], off
	s_waitcnt vmcnt(0)
	v_cvt_i32_f32_e32 v1, v1
.LBB119_514:
	s_mov_b64 s[0:1], 0
.LBB119_515:
	s_andn2_b64 vcc, exec, s[0:1]
	s_cbranch_vccnz .LBB119_517
; %bb.516:
	global_load_ushort v1, v[4:5], off
	s_waitcnt vmcnt(0)
	v_cvt_i16_f16_e32 v1, v1
.LBB119_517:
	s_mov_b64 s[0:1], 0
.LBB119_518:
	s_andn2_b64 vcc, exec, s[0:1]
	s_cbranch_vccnz .LBB119_538
; %bb.519:
	s_cmp_lt_i32 s46, 2
	s_cbranch_scc1 .LBB119_523
; %bb.520:
	s_cmp_lt_i32 s46, 3
	s_cbranch_scc1 .LBB119_524
; %bb.521:
	s_cmp_gt_i32 s46, 3
	s_cbranch_scc0 .LBB119_525
; %bb.522:
	global_load_dwordx2 v[1:2], v[4:5], off
	s_mov_b64 s[0:1], 0
	s_branch .LBB119_526
.LBB119_523:
	s_mov_b64 s[0:1], -1
                                        ; implicit-def: $vgpr1
	s_branch .LBB119_532
.LBB119_524:
	s_mov_b64 s[0:1], -1
                                        ; implicit-def: $vgpr1
	s_branch .LBB119_529
.LBB119_525:
	s_mov_b64 s[0:1], -1
                                        ; implicit-def: $vgpr1
.LBB119_526:
	s_andn2_b64 vcc, exec, s[0:1]
	s_cbranch_vccnz .LBB119_528
; %bb.527:
	global_load_dword v1, v[4:5], off
.LBB119_528:
	s_mov_b64 s[0:1], 0
.LBB119_529:
	s_andn2_b64 vcc, exec, s[0:1]
	s_cbranch_vccnz .LBB119_531
; %bb.530:
	global_load_ushort v1, v[4:5], off
.LBB119_531:
	s_mov_b64 s[0:1], 0
.LBB119_532:
	s_andn2_b64 vcc, exec, s[0:1]
	s_cbranch_vccnz .LBB119_538
; %bb.533:
	s_cmp_gt_i32 s46, 0
	s_cbranch_scc0 .LBB119_535
; %bb.534:
	global_load_sbyte v1, v[4:5], off
	s_mov_b64 s[0:1], 0
	s_branch .LBB119_536
.LBB119_535:
	s_mov_b64 s[0:1], -1
                                        ; implicit-def: $vgpr1
.LBB119_536:
	s_andn2_b64 vcc, exec, s[0:1]
	s_cbranch_vccnz .LBB119_538
; %bb.537:
	global_load_ubyte v1, v[4:5], off
.LBB119_538:
	s_branch .LBB119_411
.LBB119_539:
	s_mov_b64 s[52:53], 0
	s_mov_b64 s[0:1], s[36:37]
	;; [unrolled: 1-line block ×3, first 2 shown]
.LBB119_540:
                                        ; implicit-def: $vgpr10
	s_branch .LBB119_778
.LBB119_541:
	s_andn2_saveexec_b64 s[48:49], s[48:49]
	s_cbranch_execz .LBB119_200
.LBB119_542:
	s_mov_b32 s52, 0x42800000
	v_add_f32_e64 v3, |v2|, s52
	v_and_b32_e32 v3, 0xff, v3
	v_cmp_ne_u32_e32 vcc, 0, v3
	s_andn2_b64 s[44:45], s[44:45], exec
	s_and_b64 s[52:53], vcc, exec
	s_or_b64 s[44:45], s[44:45], s[52:53]
	s_or_b64 exec, exec, s[48:49]
	v_mov_b32_e32 v5, 0
	s_and_saveexec_b64 s[48:49], s[44:45]
	s_cbranch_execnz .LBB119_201
	s_branch .LBB119_202
.LBB119_543:
	s_mov_b64 s[46:47], -1
                                        ; implicit-def: $vgpr4
	s_mov_b64 s[0:1], 0
.LBB119_544:
	s_and_b64 vcc, exec, s[48:49]
	s_cbranch_vccz .LBB119_548
; %bb.545:
	s_cmp_eq_u32 s53, 44
	s_cbranch_scc0 .LBB119_547
; %bb.546:
	global_load_ubyte v4, v[2:3], off
	s_mov_b64 s[0:1], -1
	s_mov_b64 s[46:47], 0
	s_waitcnt vmcnt(0)
	v_lshlrev_b32_e32 v5, 23, v4
	v_cvt_i32_f32_e32 v5, v5
	v_cmp_ne_u32_e32 vcc, 0, v4
	v_cndmask_b32_e32 v4, 0, v5, vcc
	s_branch .LBB119_548
.LBB119_547:
	s_mov_b64 s[46:47], -1
                                        ; implicit-def: $vgpr4
.LBB119_548:
	s_mov_b64 s[48:49], 0
.LBB119_549:
	s_and_b64 vcc, exec, s[48:49]
	s_cbranch_vccz .LBB119_553
; %bb.550:
	s_cmp_eq_u32 s53, 29
	s_cbranch_scc0 .LBB119_552
; %bb.551:
	global_load_dwordx2 v[4:5], v[2:3], off
	s_mov_b64 s[0:1], -1
	s_mov_b64 s[46:47], 0
	s_branch .LBB119_553
.LBB119_552:
	s_mov_b64 s[46:47], -1
                                        ; implicit-def: $vgpr4
.LBB119_553:
	s_mov_b64 s[48:49], 0
.LBB119_554:
	s_and_b64 vcc, exec, s[48:49]
	s_cbranch_vccz .LBB119_570
; %bb.555:
	s_cmp_lt_i32 s53, 27
	s_cbranch_scc1 .LBB119_558
; %bb.556:
	s_cmp_gt_i32 s53, 27
	s_cbranch_scc0 .LBB119_559
; %bb.557:
	global_load_dword v4, v[2:3], off
	s_mov_b64 s[0:1], 0
	s_branch .LBB119_560
.LBB119_558:
	s_mov_b64 s[0:1], -1
                                        ; implicit-def: $vgpr4
	s_branch .LBB119_563
.LBB119_559:
	s_mov_b64 s[0:1], -1
                                        ; implicit-def: $vgpr4
.LBB119_560:
	s_andn2_b64 vcc, exec, s[0:1]
	s_cbranch_vccnz .LBB119_562
; %bb.561:
	global_load_ushort v4, v[2:3], off
.LBB119_562:
	s_mov_b64 s[0:1], 0
.LBB119_563:
	s_andn2_b64 vcc, exec, s[0:1]
	s_cbranch_vccnz .LBB119_569
; %bb.564:
	global_load_ubyte v5, v[2:3], off
	s_movk_i32 s0, 0x7f
	s_mov_b64 s[48:49], 0
	s_waitcnt vmcnt(0)
	v_cmp_lt_i16_e32 vcc, s0, v5
	s_and_saveexec_b64 s[0:1], vcc
	s_xor_b64 s[0:1], exec, s[0:1]
	s_cbranch_execz .LBB119_581
; %bb.565:
	s_movk_i32 s48, 0x80
	v_cmp_ne_u16_e32 vcc, s48, v5
	s_and_b64 s[48:49], vcc, exec
	s_andn2_saveexec_b64 s[0:1], s[0:1]
	s_cbranch_execnz .LBB119_582
.LBB119_566:
	s_or_b64 exec, exec, s[0:1]
	v_mov_b32_e32 v4, 0
	s_and_saveexec_b64 s[0:1], s[48:49]
	s_cbranch_execz .LBB119_568
.LBB119_567:
	v_lshlrev_b32_e32 v4, 24, v5
	v_and_b32_e32 v5, 0xffff, v5
	v_and_b32_e32 v6, 7, v5
	v_ffbh_u32_e32 v8, v6
	v_min_u32_e32 v8, 32, v8
	v_subrev_u32_e32 v9, 28, v8
	v_bfe_u32 v7, v5, 3, 4
	v_lshlrev_b32_e32 v5, v9, v5
	v_sub_u32_e32 v8, 29, v8
	v_and_b32_e32 v5, 7, v5
	v_cmp_eq_u32_e32 vcc, 0, v7
	v_cndmask_b32_e32 v7, v7, v8, vcc
	v_cndmask_b32_e32 v5, v6, v5, vcc
	v_mov_b32_e32 v6, 0x3b800000
	v_lshlrev_b32_e32 v5, 20, v5
	v_and_b32_e32 v4, 0x80000000, v4
	v_lshl_add_u32 v6, v7, 23, v6
	v_or3_b32 v4, v4, v6, v5
	v_cvt_i32_f32_e32 v4, v4
.LBB119_568:
	s_or_b64 exec, exec, s[0:1]
.LBB119_569:
	s_mov_b64 s[0:1], -1
.LBB119_570:
	s_mov_b64 s[48:49], 0
.LBB119_571:
	s_and_b64 vcc, exec, s[48:49]
	s_cbranch_vccz .LBB119_604
; %bb.572:
	s_cmp_gt_i32 s53, 22
	s_cbranch_scc0 .LBB119_580
; %bb.573:
	s_cmp_lt_i32 s53, 24
	s_cbranch_scc1 .LBB119_583
; %bb.574:
	s_cmp_gt_i32 s53, 24
	s_cbranch_scc0 .LBB119_584
; %bb.575:
	global_load_ubyte v5, v[2:3], off
	s_movk_i32 s0, 0x7f
	s_mov_b64 s[48:49], 0
	s_waitcnt vmcnt(0)
	v_cmp_lt_i16_e32 vcc, s0, v5
	s_and_saveexec_b64 s[0:1], vcc
	s_xor_b64 s[0:1], exec, s[0:1]
	s_cbranch_execz .LBB119_596
; %bb.576:
	s_movk_i32 s48, 0x80
	v_cmp_ne_u16_e32 vcc, s48, v5
	s_and_b64 s[48:49], vcc, exec
	s_andn2_saveexec_b64 s[0:1], s[0:1]
	s_cbranch_execnz .LBB119_597
.LBB119_577:
	s_or_b64 exec, exec, s[0:1]
	v_mov_b32_e32 v4, 0
	s_and_saveexec_b64 s[0:1], s[48:49]
	s_cbranch_execz .LBB119_579
.LBB119_578:
	v_lshlrev_b32_e32 v4, 24, v5
	v_and_b32_e32 v5, 0xffff, v5
	v_and_b32_e32 v6, 3, v5
	v_ffbh_u32_e32 v8, v6
	v_min_u32_e32 v8, 32, v8
	v_subrev_u32_e32 v9, 29, v8
	v_bfe_u32 v7, v5, 2, 5
	v_lshlrev_b32_e32 v5, v9, v5
	v_sub_u32_e32 v8, 30, v8
	v_and_b32_e32 v5, 3, v5
	v_cmp_eq_u32_e32 vcc, 0, v7
	v_cndmask_b32_e32 v7, v7, v8, vcc
	v_cndmask_b32_e32 v5, v6, v5, vcc
	v_mov_b32_e32 v6, 0x37800000
	v_lshlrev_b32_e32 v5, 21, v5
	v_and_b32_e32 v4, 0x80000000, v4
	v_lshl_add_u32 v6, v7, 23, v6
	v_or3_b32 v4, v4, v6, v5
	v_cvt_i32_f32_e32 v4, v4
.LBB119_579:
	s_or_b64 exec, exec, s[0:1]
	s_mov_b64 s[0:1], 0
	s_branch .LBB119_585
.LBB119_580:
	s_mov_b64 s[48:49], -1
                                        ; implicit-def: $vgpr4
	s_branch .LBB119_591
.LBB119_581:
	s_andn2_saveexec_b64 s[0:1], s[0:1]
	s_cbranch_execz .LBB119_566
.LBB119_582:
	v_cmp_ne_u16_e32 vcc, 0, v5
	s_andn2_b64 s[48:49], s[48:49], exec
	s_and_b64 s[54:55], vcc, exec
	s_or_b64 s[48:49], s[48:49], s[54:55]
	s_or_b64 exec, exec, s[0:1]
	v_mov_b32_e32 v4, 0
	s_and_saveexec_b64 s[0:1], s[48:49]
	s_cbranch_execnz .LBB119_567
	s_branch .LBB119_568
.LBB119_583:
	s_mov_b64 s[0:1], -1
                                        ; implicit-def: $vgpr4
	s_branch .LBB119_588
.LBB119_584:
	s_mov_b64 s[0:1], -1
                                        ; implicit-def: $vgpr4
.LBB119_585:
	s_and_b64 vcc, exec, s[0:1]
	s_cbranch_vccz .LBB119_587
; %bb.586:
	global_load_ubyte v4, v[2:3], off
	s_mov_b32 s0, 0x7f800000
	s_waitcnt vmcnt(0)
	v_lshlrev_b32_e32 v4, 24, v4
	v_and_b32_e32 v5, 0x7f000000, v4
	v_ffbh_u32_e32 v6, v5
	v_min_u32_e32 v6, 32, v6
	v_sub_u32_e64 v6, v6, 4 clamp
	v_lshlrev_b32_e32 v8, v6, v5
	v_lshlrev_b32_e32 v6, 23, v6
	v_lshrrev_b32_e32 v8, 4, v8
	v_add_u32_e32 v7, 0x1000000, v5
	v_sub_u32_e32 v6, v8, v6
	v_ashrrev_i32_e32 v7, 8, v7
	v_add_u32_e32 v6, 0x3c000000, v6
	v_and_or_b32 v6, v7, s0, v6
	v_cmp_ne_u32_e32 vcc, 0, v5
	v_cndmask_b32_e32 v5, 0, v6, vcc
	s_brev_b32 s0, 1
	v_and_or_b32 v4, v4, s0, v5
	v_cvt_i32_f32_e32 v4, v4
.LBB119_587:
	s_mov_b64 s[0:1], 0
.LBB119_588:
	s_andn2_b64 vcc, exec, s[0:1]
	s_cbranch_vccnz .LBB119_590
; %bb.589:
	global_load_ubyte v4, v[2:3], off
	s_movk_i32 s0, 0x7f00
	s_brev_b32 s1, 16
	s_waitcnt vmcnt(0)
	v_lshlrev_b16_e32 v5, 8, v4
	v_lshlrev_b32_e32 v4, 25, v4
	v_lshrrev_b32_e32 v6, 4, v4
	v_and_or_b32 v7, v5, s0, 0.5
	v_or_b32_e32 v6, 0x70000000, v6
	v_add_f32_e32 v7, -0.5, v7
	v_mul_f32_e32 v6, 0x7800000, v6
	v_cmp_gt_u32_e32 vcc, s1, v4
	v_bfe_i32 v5, v5, 0, 16
	v_cndmask_b32_e32 v4, v6, v7, vcc
	s_brev_b32 s0, 1
	v_and_or_b32 v4, v5, s0, v4
	v_cvt_i32_f32_e32 v4, v4
.LBB119_590:
	s_mov_b64 s[48:49], 0
	s_mov_b64 s[0:1], -1
.LBB119_591:
	s_andn2_b64 vcc, exec, s[48:49]
	s_cbranch_vccnz .LBB119_604
; %bb.592:
	s_cmp_gt_i32 s53, 14
	s_cbranch_scc0 .LBB119_595
; %bb.593:
	s_cmp_eq_u32 s53, 15
	s_cbranch_scc0 .LBB119_598
; %bb.594:
	global_load_ushort v4, v[2:3], off
	s_mov_b64 s[0:1], -1
	s_mov_b64 s[46:47], 0
	s_waitcnt vmcnt(0)
	v_lshlrev_b32_e32 v4, 16, v4
	v_cvt_i32_f32_e32 v4, v4
	s_branch .LBB119_599
.LBB119_595:
	s_mov_b64 s[48:49], -1
                                        ; implicit-def: $vgpr4
	s_branch .LBB119_600
.LBB119_596:
	s_andn2_saveexec_b64 s[0:1], s[0:1]
	s_cbranch_execz .LBB119_577
.LBB119_597:
	v_cmp_ne_u16_e32 vcc, 0, v5
	s_andn2_b64 s[48:49], s[48:49], exec
	s_and_b64 s[54:55], vcc, exec
	s_or_b64 s[48:49], s[48:49], s[54:55]
	s_or_b64 exec, exec, s[0:1]
	v_mov_b32_e32 v4, 0
	s_and_saveexec_b64 s[0:1], s[48:49]
	s_cbranch_execnz .LBB119_578
	s_branch .LBB119_579
.LBB119_598:
	s_mov_b64 s[46:47], -1
                                        ; implicit-def: $vgpr4
.LBB119_599:
	s_mov_b64 s[48:49], 0
.LBB119_600:
	s_and_b64 vcc, exec, s[48:49]
	s_cbranch_vccz .LBB119_604
; %bb.601:
	s_cmp_eq_u32 s53, 11
	s_cbranch_scc0 .LBB119_603
; %bb.602:
	global_load_ubyte v4, v[2:3], off
	s_mov_b64 s[0:1], -1
	s_mov_b64 s[46:47], 0
	s_waitcnt vmcnt(0)
	v_cmp_ne_u16_e32 vcc, 0, v4
	v_cndmask_b32_e64 v4, 0, 1, vcc
	s_branch .LBB119_604
.LBB119_603:
	s_mov_b64 s[46:47], -1
                                        ; implicit-def: $vgpr4
.LBB119_604:
	s_mov_b64 s[48:49], 0
.LBB119_605:
	s_and_b64 vcc, exec, s[48:49]
	s_cbranch_vccz .LBB119_654
; %bb.606:
	s_and_b32 s48, 0xffff, s52
	s_cmp_lt_i32 s48, 5
	s_cbranch_scc1 .LBB119_611
; %bb.607:
	s_cmp_lt_i32 s48, 8
	s_cbranch_scc1 .LBB119_612
; %bb.608:
	s_cmp_lt_i32 s48, 9
	s_cbranch_scc1 .LBB119_613
; %bb.609:
	s_cmp_gt_i32 s48, 9
	s_cbranch_scc0 .LBB119_614
; %bb.610:
	global_load_dwordx2 v[4:5], v[2:3], off
	s_mov_b64 s[0:1], 0
	s_waitcnt vmcnt(0)
	v_cvt_i32_f64_e32 v4, v[4:5]
	s_branch .LBB119_615
.LBB119_611:
	s_mov_b64 s[0:1], -1
                                        ; implicit-def: $vgpr4
	s_branch .LBB119_633
.LBB119_612:
	s_mov_b64 s[0:1], -1
                                        ; implicit-def: $vgpr4
	s_branch .LBB119_621
.LBB119_613:
	s_mov_b64 s[0:1], -1
                                        ; implicit-def: $vgpr4
	s_branch .LBB119_618
.LBB119_614:
	s_mov_b64 s[0:1], -1
                                        ; implicit-def: $vgpr4
.LBB119_615:
	s_andn2_b64 vcc, exec, s[0:1]
	s_cbranch_vccnz .LBB119_617
; %bb.616:
	global_load_dword v4, v[2:3], off
	s_waitcnt vmcnt(0)
	v_cvt_i32_f32_e32 v4, v4
.LBB119_617:
	s_mov_b64 s[0:1], 0
.LBB119_618:
	s_andn2_b64 vcc, exec, s[0:1]
	s_cbranch_vccnz .LBB119_620
; %bb.619:
	global_load_dword v4, v[2:3], off
	s_waitcnt vmcnt(0)
	v_cvt_i16_f16_e32 v4, v4
.LBB119_620:
	s_mov_b64 s[0:1], 0
.LBB119_621:
	s_andn2_b64 vcc, exec, s[0:1]
	s_cbranch_vccnz .LBB119_632
; %bb.622:
	s_cmp_lt_i32 s48, 6
	s_cbranch_scc1 .LBB119_625
; %bb.623:
	s_cmp_gt_i32 s48, 6
	s_cbranch_scc0 .LBB119_626
; %bb.624:
	global_load_dwordx2 v[4:5], v[2:3], off
	s_mov_b64 s[0:1], 0
	s_waitcnt vmcnt(0)
	v_cvt_i32_f64_e32 v4, v[4:5]
	s_branch .LBB119_627
.LBB119_625:
	s_mov_b64 s[0:1], -1
                                        ; implicit-def: $vgpr4
	s_branch .LBB119_630
.LBB119_626:
	s_mov_b64 s[0:1], -1
                                        ; implicit-def: $vgpr4
.LBB119_627:
	s_andn2_b64 vcc, exec, s[0:1]
	s_cbranch_vccnz .LBB119_629
; %bb.628:
	global_load_dword v4, v[2:3], off
	s_waitcnt vmcnt(0)
	v_cvt_i32_f32_e32 v4, v4
.LBB119_629:
	s_mov_b64 s[0:1], 0
.LBB119_630:
	s_andn2_b64 vcc, exec, s[0:1]
	s_cbranch_vccnz .LBB119_632
; %bb.631:
	global_load_ushort v4, v[2:3], off
	s_waitcnt vmcnt(0)
	v_cvt_i16_f16_e32 v4, v4
.LBB119_632:
	s_mov_b64 s[0:1], 0
.LBB119_633:
	s_andn2_b64 vcc, exec, s[0:1]
	s_cbranch_vccnz .LBB119_653
; %bb.634:
	s_cmp_lt_i32 s48, 2
	s_cbranch_scc1 .LBB119_638
; %bb.635:
	s_cmp_lt_i32 s48, 3
	s_cbranch_scc1 .LBB119_639
; %bb.636:
	s_cmp_gt_i32 s48, 3
	s_cbranch_scc0 .LBB119_640
; %bb.637:
	global_load_dwordx2 v[4:5], v[2:3], off
	s_mov_b64 s[0:1], 0
	s_branch .LBB119_641
.LBB119_638:
	s_mov_b64 s[0:1], -1
                                        ; implicit-def: $vgpr4
	s_branch .LBB119_647
.LBB119_639:
	s_mov_b64 s[0:1], -1
                                        ; implicit-def: $vgpr4
	s_branch .LBB119_644
.LBB119_640:
	s_mov_b64 s[0:1], -1
                                        ; implicit-def: $vgpr4
.LBB119_641:
	s_andn2_b64 vcc, exec, s[0:1]
	s_cbranch_vccnz .LBB119_643
; %bb.642:
	global_load_dword v4, v[2:3], off
.LBB119_643:
	s_mov_b64 s[0:1], 0
.LBB119_644:
	s_andn2_b64 vcc, exec, s[0:1]
	s_cbranch_vccnz .LBB119_646
; %bb.645:
	global_load_ushort v4, v[2:3], off
.LBB119_646:
	s_mov_b64 s[0:1], 0
.LBB119_647:
	s_andn2_b64 vcc, exec, s[0:1]
	s_cbranch_vccnz .LBB119_653
; %bb.648:
	s_cmp_gt_i32 s48, 0
	s_cbranch_scc0 .LBB119_650
; %bb.649:
	global_load_sbyte v4, v[2:3], off
	s_mov_b64 s[0:1], 0
	s_branch .LBB119_651
.LBB119_650:
	s_mov_b64 s[0:1], -1
                                        ; implicit-def: $vgpr4
.LBB119_651:
	s_andn2_b64 vcc, exec, s[0:1]
	s_cbranch_vccnz .LBB119_653
; %bb.652:
	global_load_ubyte v4, v[2:3], off
.LBB119_653:
	s_mov_b64 s[0:1], -1
.LBB119_654:
	s_andn2_b64 vcc, exec, s[0:1]
	s_cbranch_vccnz .LBB119_662
; %bb.655:
	s_waitcnt vmcnt(0)
	v_lshlrev_b32_sdwa v1, v4, v1 dst_sel:DWORD dst_unused:UNUSED_PAD src0_sel:WORD_0 src1_sel:DWORD
	v_cmp_gt_u16_e32 vcc, 16, v4
	v_cndmask_b32_e32 v4, 0, v1, vcc
	v_mov_b32_e32 v1, s9
	s_and_b32 s56, s69, 0xff
	v_add_co_u32_e32 v0, vcc, s8, v0
	s_cmp_lt_i32 s56, 11
	v_addc_co_u32_e32 v1, vcc, 0, v1, vcc
	s_cbranch_scc1 .LBB119_663
; %bb.656:
	s_and_b32 s57, 0xffff, s56
	s_cmp_gt_i32 s57, 25
	s_cbranch_scc0 .LBB119_664
; %bb.657:
	s_cmp_gt_i32 s57, 28
	s_cbranch_scc0 .LBB119_665
; %bb.658:
	;; [unrolled: 3-line block ×4, first 2 shown]
	s_mov_b64 s[52:53], 0
	s_mov_b64 s[0:1], -1
	s_cmp_eq_u32 s57, 46
	s_mov_b64 s[48:49], 0
	s_cbranch_scc0 .LBB119_668
; %bb.661:
	v_cvt_f32_i32_sdwa v2, sext(v4) dst_sel:DWORD dst_unused:UNUSED_PAD src0_sel:WORD_0
	s_movk_i32 s0, 0x7fff
	s_mov_b64 s[48:49], -1
	v_bfe_u32 v3, v2, 16, 1
	v_add3_u32 v2, v2, v3, s0
	v_lshrrev_b32_e32 v2, 16, v2
	global_store_dword v[0:1], v2, off
	s_mov_b64 s[0:1], 0
	s_branch .LBB119_668
.LBB119_662:
	s_mov_b64 s[52:53], 0
                                        ; implicit-def: $vgpr10
	s_mov_b64 s[0:1], s[36:37]
	s_branch .LBB119_778
.LBB119_663:
	s_mov_b64 s[52:53], -1
	s_mov_b64 s[48:49], 0
	s_mov_b64 s[0:1], s[36:37]
	s_branch .LBB119_737
.LBB119_664:
	s_mov_b64 s[52:53], -1
	s_mov_b64 s[48:49], 0
	s_mov_b64 s[0:1], s[36:37]
	s_branch .LBB119_695
.LBB119_665:
	s_mov_b64 s[52:53], -1
	s_mov_b64 s[48:49], 0
	s_mov_b64 s[0:1], s[36:37]
	s_branch .LBB119_678
.LBB119_666:
	s_mov_b64 s[52:53], -1
	s_mov_b64 s[48:49], 0
	s_mov_b64 s[0:1], s[36:37]
	s_branch .LBB119_674
.LBB119_667:
	s_mov_b64 s[52:53], -1
	s_mov_b64 s[48:49], 0
	s_mov_b64 s[0:1], s[36:37]
.LBB119_668:
	s_and_b64 vcc, exec, s[52:53]
	s_cbranch_vccz .LBB119_673
; %bb.669:
	s_cmp_eq_u32 s57, 44
	s_mov_b64 s[0:1], -1
	s_cbranch_scc0 .LBB119_673
; %bb.670:
	v_cvt_f32_i32_sdwa v2, sext(v4) dst_sel:DWORD dst_unused:UNUSED_PAD src0_sel:WORD_0
	s_movk_i32 s0, 0xff
	v_mov_b32_e32 v5, 0xff
	v_bfe_u32 v3, v2, 23, 8
	v_cmp_ne_u32_e32 vcc, s0, v3
	s_and_saveexec_b64 s[48:49], vcc
; %bb.671:
	s_mov_b32 s0, 0x3fffff
	v_lshrrev_b32_e32 v5, 23, v2
	v_and_b32_e32 v6, 0x400000, v2
	v_and_or_b32 v2, v2, s0, v3
	v_cmp_ne_u32_e32 vcc, 0, v6
	v_cmp_ne_u32_e64 s[0:1], 0, v2
	s_and_b64 s[0:1], vcc, s[0:1]
	v_cndmask_b32_e64 v2, 0, 1, s[0:1]
	v_add_u32_e32 v5, v5, v2
; %bb.672:
	s_or_b64 exec, exec, s[48:49]
	s_mov_b64 s[48:49], -1
	s_mov_b64 s[0:1], 0
	global_store_byte v[0:1], v5, off
.LBB119_673:
	s_mov_b64 s[52:53], 0
.LBB119_674:
	s_and_b64 vcc, exec, s[52:53]
	s_cbranch_vccz .LBB119_677
; %bb.675:
	s_cmp_eq_u32 s57, 29
	s_mov_b64 s[0:1], -1
	s_cbranch_scc0 .LBB119_677
; %bb.676:
	v_bfe_i32 v2, v4, 0, 16
	v_ashrrev_i32_e32 v3, 31, v2
	global_store_dwordx2 v[0:1], v[2:3], off
	s_mov_b64 s[48:49], -1
	s_mov_b64 s[0:1], 0
.LBB119_677:
	s_mov_b64 s[52:53], 0
.LBB119_678:
	s_and_b64 vcc, exec, s[52:53]
	s_cbranch_vccz .LBB119_694
; %bb.679:
	s_cmp_lt_i32 s57, 27
	s_mov_b64 s[48:49], -1
	s_cbranch_scc1 .LBB119_685
; %bb.680:
	s_cmp_gt_i32 s57, 27
	s_cbranch_scc0 .LBB119_682
; %bb.681:
	v_bfe_i32 v2, v4, 0, 16
	s_mov_b64 s[48:49], 0
	global_store_dword v[0:1], v2, off
.LBB119_682:
	s_andn2_b64 vcc, exec, s[48:49]
	s_cbranch_vccnz .LBB119_684
; %bb.683:
	global_store_short v[0:1], v4, off
.LBB119_684:
	s_mov_b64 s[48:49], 0
.LBB119_685:
	s_andn2_b64 vcc, exec, s[48:49]
	s_cbranch_vccnz .LBB119_693
; %bb.686:
	v_cvt_f32_i32_sdwa v2, sext(v4) dst_sel:DWORD dst_unused:UNUSED_PAD src0_sel:WORD_0
	s_mov_b32 s48, 0x43800000
	v_mov_b32_e32 v5, 0x80
	v_and_b32_e32 v3, 0x7fffffff, v2
	v_cmp_gt_u32_e32 vcc, s48, v3
	s_and_saveexec_b64 s[48:49], vcc
	s_cbranch_execz .LBB119_692
; %bb.687:
	s_mov_b32 s52, 0x3bffffff
	v_cmp_lt_u32_e32 vcc, s52, v3
	s_mov_b64 s[52:53], 0
                                        ; implicit-def: $vgpr3
	s_and_saveexec_b64 s[54:55], vcc
	s_xor_b64 s[54:55], exec, s[54:55]
	s_cbranch_execz .LBB119_806
; %bb.688:
	v_bfe_u32 v3, v2, 20, 1
	s_mov_b32 s58, 0x487ffff
	v_add3_u32 v3, v2, v3, s58
	s_mov_b64 s[52:53], exec
	v_lshrrev_b32_e32 v3, 20, v3
	s_andn2_saveexec_b64 s[54:55], s[54:55]
	s_cbranch_execnz .LBB119_807
.LBB119_689:
	s_or_b64 exec, exec, s[54:55]
	v_mov_b32_e32 v5, 0
	s_and_saveexec_b64 s[54:55], s[52:53]
.LBB119_690:
	v_lshrrev_b32_e32 v2, 24, v2
	s_movk_i32 s52, 0x80
	v_and_or_b32 v5, v2, s52, v3
.LBB119_691:
	s_or_b64 exec, exec, s[54:55]
.LBB119_692:
	s_or_b64 exec, exec, s[48:49]
	global_store_byte v[0:1], v5, off
.LBB119_693:
	s_mov_b64 s[48:49], -1
.LBB119_694:
	s_mov_b64 s[52:53], 0
.LBB119_695:
	s_and_b64 vcc, exec, s[52:53]
	s_cbranch_vccz .LBB119_736
; %bb.696:
	s_cmp_gt_i32 s57, 22
	s_mov_b64 s[52:53], -1
	s_cbranch_scc0 .LBB119_728
; %bb.697:
	s_cmp_lt_i32 s57, 24
	s_mov_b64 s[48:49], -1
	s_cbranch_scc1 .LBB119_717
; %bb.698:
	s_cmp_gt_i32 s57, 24
	s_cbranch_scc0 .LBB119_706
; %bb.699:
	v_cvt_f32_i32_sdwa v2, sext(v4) dst_sel:DWORD dst_unused:UNUSED_PAD src0_sel:WORD_0
	s_mov_b32 s48, 0x47800000
	v_mov_b32_e32 v5, 0x80
	v_and_b32_e32 v3, 0x7fffffff, v2
	v_cmp_gt_u32_e32 vcc, s48, v3
	s_and_saveexec_b64 s[48:49], vcc
	s_cbranch_execz .LBB119_705
; %bb.700:
	s_mov_b32 s52, 0x37ffffff
	v_cmp_lt_u32_e32 vcc, s52, v3
	s_mov_b64 s[52:53], 0
                                        ; implicit-def: $vgpr3
	s_and_saveexec_b64 s[54:55], vcc
	s_xor_b64 s[54:55], exec, s[54:55]
	s_cbranch_execz .LBB119_934
; %bb.701:
	v_bfe_u32 v3, v2, 21, 1
	s_mov_b32 s58, 0x88fffff
	v_add3_u32 v3, v2, v3, s58
	s_mov_b64 s[52:53], exec
	v_lshrrev_b32_e32 v3, 21, v3
	s_andn2_saveexec_b64 s[54:55], s[54:55]
	s_cbranch_execnz .LBB119_935
.LBB119_702:
	s_or_b64 exec, exec, s[54:55]
	v_mov_b32_e32 v5, 0
	s_and_saveexec_b64 s[54:55], s[52:53]
.LBB119_703:
	v_lshrrev_b32_e32 v2, 24, v2
	s_movk_i32 s52, 0x80
	v_and_or_b32 v5, v2, s52, v3
.LBB119_704:
	s_or_b64 exec, exec, s[54:55]
.LBB119_705:
	s_or_b64 exec, exec, s[48:49]
	s_mov_b64 s[48:49], 0
	global_store_byte v[0:1], v5, off
.LBB119_706:
	s_and_b64 vcc, exec, s[48:49]
	s_cbranch_vccz .LBB119_716
; %bb.707:
	v_cvt_f32_i32_sdwa v2, sext(v4) dst_sel:DWORD dst_unused:UNUSED_PAD src0_sel:WORD_0
	s_mov_b32 s48, 0x43f00000
                                        ; implicit-def: $vgpr3
	v_and_b32_e32 v5, 0x7fffffff, v2
	v_cmp_gt_u32_e32 vcc, s48, v5
	s_and_saveexec_b64 s[48:49], vcc
	s_xor_b64 s[48:49], exec, s[48:49]
	s_cbranch_execz .LBB119_713
; %bb.708:
	s_mov_b32 s52, 0x3c7fffff
	v_cmp_lt_u32_e32 vcc, s52, v5
                                        ; implicit-def: $vgpr3
	s_and_saveexec_b64 s[52:53], vcc
	s_xor_b64 s[52:53], exec, s[52:53]
; %bb.709:
	v_bfe_u32 v3, v2, 20, 1
	s_mov_b32 s54, 0x407ffff
	v_add3_u32 v3, v2, v3, s54
	v_lshrrev_b32_e32 v5, 20, v3
	v_and_b32_e32 v3, 0xff00000, v3
	s_mov_b32 s54, 0x7f00000
	v_mov_b32_e32 v6, 0x7e
	v_cmp_ne_u32_e32 vcc, s54, v3
	v_cndmask_b32_e32 v3, v6, v5, vcc
; %bb.710:
	s_andn2_saveexec_b64 s[52:53], s[52:53]
; %bb.711:
	s_mov_b32 s54, 0x46800000
	v_add_f32_e64 v3, |v2|, s54
; %bb.712:
	s_or_b64 exec, exec, s[52:53]
                                        ; implicit-def: $vgpr5
.LBB119_713:
	s_andn2_saveexec_b64 s[48:49], s[48:49]
; %bb.714:
	s_mov_b32 s52, 0x7f800000
	v_mov_b32_e32 v3, 0x7e
	v_mov_b32_e32 v6, 0x7f
	v_cmp_lt_u32_e32 vcc, s52, v5
	v_cndmask_b32_e32 v3, v3, v6, vcc
; %bb.715:
	s_or_b64 exec, exec, s[48:49]
	v_lshrrev_b32_e32 v2, 24, v2
	s_movk_i32 s48, 0x80
	v_and_or_b32 v2, v2, s48, v3
	global_store_byte v[0:1], v2, off
.LBB119_716:
	s_mov_b64 s[48:49], 0
.LBB119_717:
	s_andn2_b64 vcc, exec, s[48:49]
	s_cbranch_vccnz .LBB119_727
; %bb.718:
	v_cvt_f32_i32_sdwa v2, sext(v4) dst_sel:DWORD dst_unused:UNUSED_PAD src0_sel:WORD_0
	s_mov_b32 s48, 0x47800000
                                        ; implicit-def: $vgpr3
	v_and_b32_e32 v5, 0x7fffffff, v2
	v_cmp_gt_u32_e32 vcc, s48, v5
	s_and_saveexec_b64 s[48:49], vcc
	s_xor_b64 s[48:49], exec, s[48:49]
	s_cbranch_execz .LBB119_724
; %bb.719:
	s_mov_b32 s52, 0x387fffff
	v_cmp_lt_u32_e32 vcc, s52, v5
                                        ; implicit-def: $vgpr3
	s_and_saveexec_b64 s[52:53], vcc
	s_xor_b64 s[52:53], exec, s[52:53]
; %bb.720:
	v_bfe_u32 v3, v2, 21, 1
	s_mov_b32 s54, 0x80fffff
	v_add3_u32 v3, v2, v3, s54
	v_lshrrev_b32_e32 v3, 21, v3
; %bb.721:
	s_andn2_saveexec_b64 s[52:53], s[52:53]
; %bb.722:
	s_mov_b32 s54, 0x43000000
	v_add_f32_e64 v3, |v2|, s54
; %bb.723:
	s_or_b64 exec, exec, s[52:53]
                                        ; implicit-def: $vgpr5
.LBB119_724:
	s_andn2_saveexec_b64 s[48:49], s[48:49]
; %bb.725:
	s_mov_b32 s52, 0x7f800000
	v_mov_b32_e32 v3, 0x7c
	v_mov_b32_e32 v6, 0x7f
	v_cmp_lt_u32_e32 vcc, s52, v5
	v_cndmask_b32_e32 v3, v3, v6, vcc
; %bb.726:
	s_or_b64 exec, exec, s[48:49]
	v_lshrrev_b32_e32 v2, 24, v2
	s_movk_i32 s48, 0x80
	v_and_or_b32 v2, v2, s48, v3
	global_store_byte v[0:1], v2, off
.LBB119_727:
	s_mov_b64 s[52:53], 0
	s_mov_b64 s[48:49], -1
.LBB119_728:
	s_andn2_b64 vcc, exec, s[52:53]
	s_cbranch_vccnz .LBB119_736
; %bb.729:
	s_cmp_gt_i32 s57, 14
	s_mov_b64 s[52:53], -1
	s_cbranch_scc0 .LBB119_733
; %bb.730:
	s_cmp_eq_u32 s57, 15
	s_mov_b64 s[0:1], -1
	s_cbranch_scc0 .LBB119_732
; %bb.731:
	v_cvt_f32_i32_sdwa v2, sext(v4) dst_sel:DWORD dst_unused:UNUSED_PAD src0_sel:WORD_0
	s_movk_i32 s0, 0x7fff
	s_mov_b64 s[48:49], -1
	v_bfe_u32 v3, v2, 16, 1
	v_add3_u32 v2, v2, v3, s0
	global_store_short_d16_hi v[0:1], v2, off
	s_mov_b64 s[0:1], 0
.LBB119_732:
	s_mov_b64 s[52:53], 0
.LBB119_733:
	s_and_b64 vcc, exec, s[52:53]
	s_cbranch_vccz .LBB119_736
; %bb.734:
	s_cmp_eq_u32 s57, 11
	s_mov_b64 s[0:1], -1
	s_cbranch_scc0 .LBB119_736
; %bb.735:
	v_cmp_ne_u16_e32 vcc, 0, v4
	v_cndmask_b32_e64 v2, 0, 1, vcc
	s_mov_b64 s[48:49], -1
	s_mov_b64 s[0:1], 0
	global_store_byte v[0:1], v2, off
.LBB119_736:
	s_mov_b64 s[52:53], 0
.LBB119_737:
	s_and_b64 vcc, exec, s[52:53]
	s_cbranch_vccz .LBB119_776
; %bb.738:
	s_and_b32 s52, 0xffff, s56
	s_cmp_lt_i32 s52, 5
	s_mov_b64 s[48:49], -1
	s_cbranch_scc1 .LBB119_759
; %bb.739:
	s_cmp_lt_i32 s52, 8
	s_cbranch_scc1 .LBB119_749
; %bb.740:
	s_cmp_lt_i32 s52, 9
	s_cbranch_scc1 .LBB119_746
; %bb.741:
	s_cmp_gt_i32 s52, 9
	s_cbranch_scc0 .LBB119_743
; %bb.742:
	v_bfe_i32 v2, v4, 0, 16
	v_cvt_f64_i32_e32 v[5:6], v2
	v_mov_b32_e32 v7, 0
	v_mov_b32_e32 v8, v7
	s_mov_b64 s[48:49], 0
	global_store_dwordx4 v[0:1], v[5:8], off
.LBB119_743:
	s_andn2_b64 vcc, exec, s[48:49]
	s_cbranch_vccnz .LBB119_745
; %bb.744:
	v_cvt_f32_i32_sdwa v2, sext(v4) dst_sel:DWORD dst_unused:UNUSED_PAD src0_sel:WORD_0
	v_mov_b32_e32 v3, 0
	global_store_dwordx2 v[0:1], v[2:3], off
.LBB119_745:
	s_mov_b64 s[48:49], 0
.LBB119_746:
	s_andn2_b64 vcc, exec, s[48:49]
	s_cbranch_vccnz .LBB119_748
; %bb.747:
	v_cvt_f16_i16_e32 v2, v4
	global_store_dword v[0:1], v2, off
.LBB119_748:
	s_mov_b64 s[48:49], 0
.LBB119_749:
	s_andn2_b64 vcc, exec, s[48:49]
	s_cbranch_vccnz .LBB119_758
; %bb.750:
	s_cmp_lt_i32 s52, 6
	s_mov_b64 s[48:49], -1
	s_cbranch_scc1 .LBB119_756
; %bb.751:
	s_cmp_gt_i32 s52, 6
	s_cbranch_scc0 .LBB119_753
; %bb.752:
	v_bfe_i32 v2, v4, 0, 16
	v_cvt_f64_i32_e32 v[2:3], v2
	s_mov_b64 s[48:49], 0
	global_store_dwordx2 v[0:1], v[2:3], off
.LBB119_753:
	s_andn2_b64 vcc, exec, s[48:49]
	s_cbranch_vccnz .LBB119_755
; %bb.754:
	v_cvt_f32_i32_sdwa v2, sext(v4) dst_sel:DWORD dst_unused:UNUSED_PAD src0_sel:WORD_0
	global_store_dword v[0:1], v2, off
.LBB119_755:
	s_mov_b64 s[48:49], 0
.LBB119_756:
	s_andn2_b64 vcc, exec, s[48:49]
	s_cbranch_vccnz .LBB119_758
; %bb.757:
	v_cvt_f16_i16_e32 v2, v4
	global_store_short v[0:1], v2, off
.LBB119_758:
	s_mov_b64 s[48:49], 0
.LBB119_759:
	s_andn2_b64 vcc, exec, s[48:49]
	s_cbranch_vccnz .LBB119_775
; %bb.760:
	s_cmp_lt_i32 s52, 2
	s_mov_b64 s[48:49], -1
	s_cbranch_scc1 .LBB119_770
; %bb.761:
	s_cmp_lt_i32 s52, 3
	s_cbranch_scc1 .LBB119_767
; %bb.762:
	s_cmp_gt_i32 s52, 3
	v_bfe_i32 v2, v4, 0, 16
	s_cbranch_scc0 .LBB119_764
; %bb.763:
	v_ashrrev_i32_e32 v3, 31, v2
	s_mov_b64 s[48:49], 0
	global_store_dwordx2 v[0:1], v[2:3], off
.LBB119_764:
	s_andn2_b64 vcc, exec, s[48:49]
	s_cbranch_vccnz .LBB119_766
; %bb.765:
	global_store_dword v[0:1], v2, off
.LBB119_766:
	s_mov_b64 s[48:49], 0
.LBB119_767:
	s_andn2_b64 vcc, exec, s[48:49]
	s_cbranch_vccnz .LBB119_769
; %bb.768:
	global_store_short v[0:1], v4, off
.LBB119_769:
	s_mov_b64 s[48:49], 0
.LBB119_770:
	s_andn2_b64 vcc, exec, s[48:49]
	s_cbranch_vccnz .LBB119_775
; %bb.771:
	s_cmp_gt_i32 s52, 0
	s_mov_b64 s[48:49], -1
	s_cbranch_scc0 .LBB119_773
; %bb.772:
	s_mov_b64 s[48:49], 0
	global_store_byte v[0:1], v4, off
.LBB119_773:
	s_andn2_b64 vcc, exec, s[48:49]
	s_cbranch_vccnz .LBB119_775
; %bb.774:
	global_store_byte v[0:1], v4, off
.LBB119_775:
	s_mov_b64 s[48:49], -1
.LBB119_776:
	s_andn2_b64 vcc, exec, s[48:49]
	s_cbranch_vccnz .LBB119_788
; %bb.777:
	v_add_u32_e32 v10, 0x80, v10
	s_mov_b64 s[52:53], -1
.LBB119_778:
	s_andn2_b64 s[48:49], s[36:37], exec
	s_and_b64 s[0:1], s[0:1], exec
	s_or_b64 s[48:49], s[48:49], s[0:1]
	s_andn2_b64 s[0:1], s[38:39], exec
	s_and_b64 s[46:47], s[46:47], exec
	s_or_b64 s[46:47], s[0:1], s[46:47]
	;; [unrolled: 3-line block ×3, first 2 shown]
	s_orn2_b64 s[0:1], s[52:53], exec
.LBB119_779:
	s_or_b64 exec, exec, s[50:51]
	s_mov_b64 s[52:53], 0
	s_mov_b64 s[54:55], 0
	;; [unrolled: 1-line block ×3, first 2 shown]
                                        ; implicit-def: $sgpr73
                                        ; implicit-def: $vgpr4_vgpr5
                                        ; implicit-def: $vgpr0
                                        ; implicit-def: $vgpr3
                                        ; implicit-def: $vgpr1
	s_and_saveexec_b64 s[50:51], s[0:1]
	s_cbranch_execz .LBB119_1264
; %bb.780:
	v_cmp_gt_i32_e32 vcc, s66, v10
	s_mov_b64 s[64:65], -1
	s_mov_b64 s[0:1], s[44:45]
	s_mov_b64 s[56:57], s[46:47]
	;; [unrolled: 1-line block ×3, first 2 shown]
	s_and_saveexec_b64 s[52:53], vcc
	s_cbranch_execz .LBB119_1172
; %bb.781:
	s_andn2_b64 vcc, exec, s[20:21]
	s_cbranch_vccnz .LBB119_787
; %bb.782:
	s_andn2_b64 vcc, exec, s[34:35]
	s_cbranch_vccnz .LBB119_789
; %bb.783:
	s_add_i32 s0, s72, 1
	s_and_b32 s54, s0, 30
	s_add_u32 s0, s2, 0xffffffe8
	s_addc_u32 s1, s3, -1
	v_mov_b32_e32 v3, 0
	s_waitcnt vmcnt(0)
	v_mov_b32_e32 v5, 0
	v_mov_b32_e32 v0, 0
	;; [unrolled: 1-line block ×3, first 2 shown]
.LBB119_784:                            ; =>This Inner Loop Header: Depth=1
	s_load_dwordx4 s[56:59], s[0:1], 0x1c
	s_load_dwordx2 s[64:65], s[0:1], 0x2c
	s_load_dwordx2 s[74:75], s[0:1], 0xec
	s_load_dwordx4 s[60:63], s[0:1], 0xdc
	s_add_u32 s0, s0, 24
	s_waitcnt lgkmcnt(0)
	v_mul_hi_u32 v2, s57, v1
	s_addc_u32 s1, s1, 0
	s_add_i32 s54, s54, -2
	s_cmp_eq_u32 s54, 0
	v_add_u32_e32 v2, v1, v2
	v_lshrrev_b32_e32 v2, s58, v2
	v_mul_lo_u32 v4, v2, s56
	v_mul_hi_u32 v6, s64, v2
	v_sub_u32_e32 v4, v1, v4
	v_add_u32_e32 v1, v2, v6
	v_lshrrev_b32_e32 v1, s65, v1
	v_mul_lo_u32 v8, v1, s59
	v_mul_lo_u32 v6, v4, s60
	;; [unrolled: 1-line block ×4, first 2 shown]
	v_sub_u32_e32 v2, v2, v8
	v_mul_lo_u32 v8, v2, s63
	v_mul_lo_u32 v9, v2, s74
	;; [unrolled: 1-line block ×3, first 2 shown]
	v_add3_u32 v0, v6, v0, v8
	v_add3_u32 v5, v7, v5, v9
	;; [unrolled: 1-line block ×3, first 2 shown]
	s_cbranch_scc0 .LBB119_784
; %bb.785:
	s_bitcmp1_b32 s72, 0
	s_cselect_b64 s[54:55], -1, 0
	s_and_b64 vcc, exec, s[54:55]
	s_cbranch_vccnz .LBB119_790
; %bb.786:
	s_load_dwordx2 s[54:55], s[0:1], 0x1c
	s_load_dword s58, s[0:1], 0x24
	s_load_dwordx2 s[56:57], s[0:1], 0xdc
	s_waitcnt lgkmcnt(0)
	v_mul_hi_u32 v2, s55, v1
	v_add_u32_e32 v2, v1, v2
	v_lshrrev_b32_e32 v2, s58, v2
	v_mul_lo_u32 v2, v2, s54
	s_load_dword s54, s[0:1], 0xe4
	v_sub_u32_e32 v2, v1, v2
	v_mad_u64_u32 v[0:1], s[0:1], v2, s56, v[0:1]
	v_mad_u64_u32 v[5:6], s[0:1], v2, s57, v[5:6]
	s_waitcnt lgkmcnt(0)
	v_mad_u64_u32 v[3:4], s[0:1], v2, s54, v[3:4]
	s_branch .LBB119_790
.LBB119_787:
	s_mov_b64 s[0:1], -1
                                        ; implicit-def: $vgpr0
                                        ; implicit-def: $vgpr5
                                        ; implicit-def: $vgpr3
	s_branch .LBB119_791
.LBB119_788:
	s_mov_b64 s[52:53], 0
	s_branch .LBB119_540
.LBB119_789:
	v_mov_b32_e32 v0, 0
	s_waitcnt vmcnt(0)
	v_mov_b32_e32 v5, 0
	v_mov_b32_e32 v3, 0
.LBB119_790:
	s_mov_b64 s[0:1], 0
.LBB119_791:
	s_andn2_b64 vcc, exec, s[0:1]
	s_cbranch_vccnz .LBB119_794
; %bb.792:
	s_waitcnt lgkmcnt(0)
	v_mul_hi_u32 v0, s17, v10
	s_andn2_b64 vcc, exec, s[30:31]
	v_add_u32_e32 v0, v10, v0
	s_waitcnt vmcnt(0)
	v_lshrrev_b32_e32 v1, s18, v0
	v_mul_lo_u32 v0, v1, s16
	v_sub_u32_e32 v2, v10, v0
	v_mul_lo_u32 v0, v2, s12
	v_mul_lo_u32 v5, v2, s13
	;; [unrolled: 1-line block ×3, first 2 shown]
	s_cbranch_vccnz .LBB119_794
; %bb.793:
	v_mul_hi_u32 v2, s28, v1
	v_add_u32_e32 v2, v1, v2
	v_lshrrev_b32_e32 v2, s29, v2
	v_mul_lo_u32 v2, v2, s19
	v_sub_u32_e32 v2, v1, v2
	v_mad_u64_u32 v[0:1], s[0:1], v2, s15, v[0:1]
	v_mad_u64_u32 v[5:6], s[0:1], v2, s26, v[5:6]
	;; [unrolled: 1-line block ×3, first 2 shown]
.LBB119_794:
	s_waitcnt vmcnt(0) lgkmcnt(0)
	v_mov_b32_e32 v1, s11
	s_and_b32 s58, s71, 0xff
	v_add_co_u32_e32 v4, vcc, s10, v5
	s_cmp_lt_i32 s58, 11
	v_addc_co_u32_e32 v5, vcc, 0, v1, vcc
	s_cbranch_scc1 .LBB119_801
; %bb.795:
	s_and_b32 s59, 0xffff, s58
	s_cmp_gt_i32 s59, 25
	s_cbranch_scc0 .LBB119_802
; %bb.796:
	s_cmp_gt_i32 s59, 28
	s_cbranch_scc0 .LBB119_803
; %bb.797:
	;; [unrolled: 3-line block ×4, first 2 shown]
	s_cmp_eq_u32 s59, 46
	s_mov_b64 s[56:57], 0
	s_cbranch_scc0 .LBB119_808
; %bb.800:
	global_load_dword v1, v[4:5], off
	s_mov_b64 s[0:1], -1
	s_mov_b64 s[54:55], 0
	s_waitcnt vmcnt(0)
	v_lshlrev_b32_e32 v1, 16, v1
	v_cvt_i32_f32_e32 v1, v1
	s_branch .LBB119_809
.LBB119_801:
	s_mov_b64 s[56:57], -1
	s_mov_b64 s[0:1], 0
                                        ; implicit-def: $vgpr1
	s_mov_b64 s[54:55], s[44:45]
	s_branch .LBB119_870
.LBB119_802:
	s_mov_b64 s[56:57], -1
	s_mov_b64 s[0:1], 0
	s_mov_b64 s[54:55], s[44:45]
                                        ; implicit-def: $vgpr1
	s_branch .LBB119_836
.LBB119_803:
	s_mov_b64 s[56:57], -1
	s_mov_b64 s[0:1], 0
	s_mov_b64 s[54:55], s[44:45]
                                        ; implicit-def: $vgpr1
	s_branch .LBB119_819
.LBB119_804:
	s_mov_b64 s[56:57], -1
	s_mov_b64 s[0:1], 0
	s_mov_b64 s[54:55], s[44:45]
                                        ; implicit-def: $vgpr1
	s_branch .LBB119_814
.LBB119_805:
	s_mov_b64 s[56:57], -1
	s_mov_b64 s[0:1], 0
	s_mov_b64 s[54:55], s[44:45]
                                        ; implicit-def: $vgpr1
	s_branch .LBB119_809
.LBB119_806:
	s_andn2_saveexec_b64 s[54:55], s[54:55]
	s_cbranch_execz .LBB119_689
.LBB119_807:
	s_mov_b32 s58, 0x46000000
	v_add_f32_e64 v3, |v2|, s58
	v_and_b32_e32 v3, 0xff, v3
	v_cmp_ne_u32_e32 vcc, 0, v3
	s_andn2_b64 s[52:53], s[52:53], exec
	s_and_b64 s[58:59], vcc, exec
	s_or_b64 s[52:53], s[52:53], s[58:59]
	s_or_b64 exec, exec, s[54:55]
	v_mov_b32_e32 v5, 0
	s_and_saveexec_b64 s[54:55], s[52:53]
	s_cbranch_execnz .LBB119_690
	s_branch .LBB119_691
.LBB119_808:
	s_mov_b64 s[54:55], -1
                                        ; implicit-def: $vgpr1
	s_mov_b64 s[0:1], 0
.LBB119_809:
	s_and_b64 vcc, exec, s[56:57]
	s_cbranch_vccz .LBB119_813
; %bb.810:
	s_cmp_eq_u32 s59, 44
	s_cbranch_scc0 .LBB119_812
; %bb.811:
	global_load_ubyte v1, v[4:5], off
	s_mov_b64 s[0:1], -1
	s_mov_b64 s[54:55], 0
	s_waitcnt vmcnt(0)
	v_lshlrev_b32_e32 v2, 23, v1
	v_cvt_i32_f32_e32 v2, v2
	v_cmp_ne_u32_e32 vcc, 0, v1
	v_cndmask_b32_e32 v1, 0, v2, vcc
	s_branch .LBB119_813
.LBB119_812:
	s_mov_b64 s[54:55], -1
                                        ; implicit-def: $vgpr1
.LBB119_813:
	s_mov_b64 s[56:57], 0
.LBB119_814:
	s_and_b64 vcc, exec, s[56:57]
	s_cbranch_vccz .LBB119_818
; %bb.815:
	s_cmp_eq_u32 s59, 29
	s_cbranch_scc0 .LBB119_817
; %bb.816:
	global_load_dwordx2 v[1:2], v[4:5], off
	s_mov_b64 s[0:1], -1
	s_mov_b64 s[54:55], 0
	s_branch .LBB119_818
.LBB119_817:
	s_mov_b64 s[54:55], -1
                                        ; implicit-def: $vgpr1
.LBB119_818:
	s_mov_b64 s[56:57], 0
.LBB119_819:
	s_and_b64 vcc, exec, s[56:57]
	s_cbranch_vccz .LBB119_835
; %bb.820:
	s_cmp_lt_i32 s59, 27
	s_cbranch_scc1 .LBB119_823
; %bb.821:
	s_cmp_gt_i32 s59, 27
	s_cbranch_scc0 .LBB119_824
; %bb.822:
	global_load_dword v1, v[4:5], off
	s_mov_b64 s[0:1], 0
	s_branch .LBB119_825
.LBB119_823:
	s_mov_b64 s[0:1], -1
                                        ; implicit-def: $vgpr1
	s_branch .LBB119_828
.LBB119_824:
	s_mov_b64 s[0:1], -1
                                        ; implicit-def: $vgpr1
.LBB119_825:
	s_andn2_b64 vcc, exec, s[0:1]
	s_cbranch_vccnz .LBB119_827
; %bb.826:
	global_load_ushort v1, v[4:5], off
.LBB119_827:
	s_mov_b64 s[0:1], 0
.LBB119_828:
	s_andn2_b64 vcc, exec, s[0:1]
	s_cbranch_vccnz .LBB119_834
; %bb.829:
	global_load_ubyte v2, v[4:5], off
	s_movk_i32 s0, 0x7f
	s_mov_b64 s[56:57], 0
	s_waitcnt vmcnt(0)
	v_cmp_lt_i16_e32 vcc, s0, v2
	s_and_saveexec_b64 s[0:1], vcc
	s_xor_b64 s[0:1], exec, s[0:1]
	s_cbranch_execz .LBB119_846
; %bb.830:
	s_movk_i32 s56, 0x80
	v_cmp_ne_u16_e32 vcc, s56, v2
	s_and_b64 s[56:57], vcc, exec
	s_andn2_saveexec_b64 s[0:1], s[0:1]
	s_cbranch_execnz .LBB119_847
.LBB119_831:
	s_or_b64 exec, exec, s[0:1]
	v_mov_b32_e32 v1, 0
	s_and_saveexec_b64 s[0:1], s[56:57]
	s_cbranch_execz .LBB119_833
.LBB119_832:
	v_lshlrev_b32_e32 v1, 24, v2
	v_and_b32_e32 v2, 0xffff, v2
	v_and_b32_e32 v6, 7, v2
	v_ffbh_u32_e32 v8, v6
	v_min_u32_e32 v8, 32, v8
	v_subrev_u32_e32 v9, 28, v8
	v_bfe_u32 v7, v2, 3, 4
	v_lshlrev_b32_e32 v2, v9, v2
	v_sub_u32_e32 v8, 29, v8
	v_and_b32_e32 v2, 7, v2
	v_cmp_eq_u32_e32 vcc, 0, v7
	v_cndmask_b32_e32 v7, v7, v8, vcc
	v_cndmask_b32_e32 v2, v6, v2, vcc
	v_mov_b32_e32 v6, 0x3b800000
	v_lshlrev_b32_e32 v2, 20, v2
	v_and_b32_e32 v1, 0x80000000, v1
	v_lshl_add_u32 v6, v7, 23, v6
	v_or3_b32 v1, v1, v6, v2
	v_cvt_i32_f32_e32 v1, v1
.LBB119_833:
	s_or_b64 exec, exec, s[0:1]
.LBB119_834:
	s_mov_b64 s[0:1], -1
.LBB119_835:
	s_mov_b64 s[56:57], 0
.LBB119_836:
	s_and_b64 vcc, exec, s[56:57]
	s_cbranch_vccz .LBB119_869
; %bb.837:
	s_cmp_gt_i32 s59, 22
	s_cbranch_scc0 .LBB119_845
; %bb.838:
	s_cmp_lt_i32 s59, 24
	s_cbranch_scc1 .LBB119_848
; %bb.839:
	s_cmp_gt_i32 s59, 24
	s_cbranch_scc0 .LBB119_849
; %bb.840:
	global_load_ubyte v2, v[4:5], off
	s_movk_i32 s0, 0x7f
	s_mov_b64 s[56:57], 0
	s_waitcnt vmcnt(0)
	v_cmp_lt_i16_e32 vcc, s0, v2
	s_and_saveexec_b64 s[0:1], vcc
	s_xor_b64 s[0:1], exec, s[0:1]
	s_cbranch_execz .LBB119_861
; %bb.841:
	s_movk_i32 s56, 0x80
	v_cmp_ne_u16_e32 vcc, s56, v2
	s_and_b64 s[56:57], vcc, exec
	s_andn2_saveexec_b64 s[0:1], s[0:1]
	s_cbranch_execnz .LBB119_862
.LBB119_842:
	s_or_b64 exec, exec, s[0:1]
	v_mov_b32_e32 v1, 0
	s_and_saveexec_b64 s[0:1], s[56:57]
	s_cbranch_execz .LBB119_844
.LBB119_843:
	v_lshlrev_b32_e32 v1, 24, v2
	v_and_b32_e32 v2, 0xffff, v2
	v_and_b32_e32 v6, 3, v2
	v_ffbh_u32_e32 v8, v6
	v_min_u32_e32 v8, 32, v8
	v_subrev_u32_e32 v9, 29, v8
	v_bfe_u32 v7, v2, 2, 5
	v_lshlrev_b32_e32 v2, v9, v2
	v_sub_u32_e32 v8, 30, v8
	v_and_b32_e32 v2, 3, v2
	v_cmp_eq_u32_e32 vcc, 0, v7
	v_cndmask_b32_e32 v7, v7, v8, vcc
	v_cndmask_b32_e32 v2, v6, v2, vcc
	v_mov_b32_e32 v6, 0x37800000
	v_lshlrev_b32_e32 v2, 21, v2
	v_and_b32_e32 v1, 0x80000000, v1
	v_lshl_add_u32 v6, v7, 23, v6
	v_or3_b32 v1, v1, v6, v2
	v_cvt_i32_f32_e32 v1, v1
.LBB119_844:
	s_or_b64 exec, exec, s[0:1]
	s_mov_b64 s[0:1], 0
	s_branch .LBB119_850
.LBB119_845:
	s_mov_b64 s[56:57], -1
                                        ; implicit-def: $vgpr1
	s_branch .LBB119_856
.LBB119_846:
	s_andn2_saveexec_b64 s[0:1], s[0:1]
	s_cbranch_execz .LBB119_831
.LBB119_847:
	v_cmp_ne_u16_e32 vcc, 0, v2
	s_andn2_b64 s[56:57], s[56:57], exec
	s_and_b64 s[60:61], vcc, exec
	s_or_b64 s[56:57], s[56:57], s[60:61]
	s_or_b64 exec, exec, s[0:1]
	v_mov_b32_e32 v1, 0
	s_and_saveexec_b64 s[0:1], s[56:57]
	s_cbranch_execnz .LBB119_832
	s_branch .LBB119_833
.LBB119_848:
	s_mov_b64 s[0:1], -1
                                        ; implicit-def: $vgpr1
	s_branch .LBB119_853
.LBB119_849:
	s_mov_b64 s[0:1], -1
                                        ; implicit-def: $vgpr1
.LBB119_850:
	s_and_b64 vcc, exec, s[0:1]
	s_cbranch_vccz .LBB119_852
; %bb.851:
	global_load_ubyte v1, v[4:5], off
	s_mov_b32 s0, 0x7f800000
	s_waitcnt vmcnt(0)
	v_lshlrev_b32_e32 v1, 24, v1
	v_and_b32_e32 v2, 0x7f000000, v1
	v_ffbh_u32_e32 v6, v2
	v_min_u32_e32 v6, 32, v6
	v_sub_u32_e64 v6, v6, 4 clamp
	v_lshlrev_b32_e32 v8, v6, v2
	v_lshlrev_b32_e32 v6, 23, v6
	v_lshrrev_b32_e32 v8, 4, v8
	v_add_u32_e32 v7, 0x1000000, v2
	v_sub_u32_e32 v6, v8, v6
	v_ashrrev_i32_e32 v7, 8, v7
	v_add_u32_e32 v6, 0x3c000000, v6
	v_and_or_b32 v6, v7, s0, v6
	v_cmp_ne_u32_e32 vcc, 0, v2
	v_cndmask_b32_e32 v2, 0, v6, vcc
	s_brev_b32 s0, 1
	v_and_or_b32 v1, v1, s0, v2
	v_cvt_i32_f32_e32 v1, v1
.LBB119_852:
	s_mov_b64 s[0:1], 0
.LBB119_853:
	s_andn2_b64 vcc, exec, s[0:1]
	s_cbranch_vccnz .LBB119_855
; %bb.854:
	global_load_ubyte v1, v[4:5], off
	s_movk_i32 s0, 0x7f00
	s_brev_b32 s1, 16
	s_waitcnt vmcnt(0)
	v_lshlrev_b16_e32 v2, 8, v1
	v_lshlrev_b32_e32 v1, 25, v1
	v_lshrrev_b32_e32 v6, 4, v1
	v_and_or_b32 v7, v2, s0, 0.5
	v_or_b32_e32 v6, 0x70000000, v6
	v_add_f32_e32 v7, -0.5, v7
	v_mul_f32_e32 v6, 0x7800000, v6
	v_cmp_gt_u32_e32 vcc, s1, v1
	v_bfe_i32 v2, v2, 0, 16
	v_cndmask_b32_e32 v1, v6, v7, vcc
	s_brev_b32 s0, 1
	v_and_or_b32 v1, v2, s0, v1
	v_cvt_i32_f32_e32 v1, v1
.LBB119_855:
	s_mov_b64 s[56:57], 0
	s_mov_b64 s[0:1], -1
.LBB119_856:
	s_andn2_b64 vcc, exec, s[56:57]
	s_cbranch_vccnz .LBB119_869
; %bb.857:
	s_cmp_gt_i32 s59, 14
	s_cbranch_scc0 .LBB119_860
; %bb.858:
	s_cmp_eq_u32 s59, 15
	s_cbranch_scc0 .LBB119_863
; %bb.859:
	global_load_ushort v1, v[4:5], off
	s_mov_b64 s[0:1], -1
	s_mov_b64 s[54:55], 0
	s_waitcnt vmcnt(0)
	v_lshlrev_b32_e32 v1, 16, v1
	v_cvt_i32_f32_e32 v1, v1
	s_branch .LBB119_864
.LBB119_860:
	s_mov_b64 s[56:57], -1
                                        ; implicit-def: $vgpr1
	s_branch .LBB119_865
.LBB119_861:
	s_andn2_saveexec_b64 s[0:1], s[0:1]
	s_cbranch_execz .LBB119_842
.LBB119_862:
	v_cmp_ne_u16_e32 vcc, 0, v2
	s_andn2_b64 s[56:57], s[56:57], exec
	s_and_b64 s[60:61], vcc, exec
	s_or_b64 s[56:57], s[56:57], s[60:61]
	s_or_b64 exec, exec, s[0:1]
	v_mov_b32_e32 v1, 0
	s_and_saveexec_b64 s[0:1], s[56:57]
	s_cbranch_execnz .LBB119_843
	s_branch .LBB119_844
.LBB119_863:
	s_mov_b64 s[54:55], -1
                                        ; implicit-def: $vgpr1
.LBB119_864:
	s_mov_b64 s[56:57], 0
.LBB119_865:
	s_and_b64 vcc, exec, s[56:57]
	s_cbranch_vccz .LBB119_869
; %bb.866:
	s_cmp_eq_u32 s59, 11
	s_cbranch_scc0 .LBB119_868
; %bb.867:
	global_load_ubyte v1, v[4:5], off
	s_mov_b64 s[0:1], -1
	s_mov_b64 s[54:55], 0
	s_waitcnt vmcnt(0)
	v_cmp_ne_u16_e32 vcc, 0, v1
	v_cndmask_b32_e64 v1, 0, 1, vcc
	s_branch .LBB119_869
.LBB119_868:
	s_mov_b64 s[54:55], -1
                                        ; implicit-def: $vgpr1
.LBB119_869:
	s_mov_b64 s[56:57], 0
.LBB119_870:
	s_and_b64 vcc, exec, s[56:57]
	s_cbranch_vccz .LBB119_919
; %bb.871:
	s_and_b32 s56, 0xffff, s58
	s_cmp_lt_i32 s56, 5
	s_cbranch_scc1 .LBB119_876
; %bb.872:
	s_cmp_lt_i32 s56, 8
	s_cbranch_scc1 .LBB119_877
; %bb.873:
	;; [unrolled: 3-line block ×3, first 2 shown]
	s_cmp_gt_i32 s56, 9
	s_cbranch_scc0 .LBB119_879
; %bb.875:
	global_load_dwordx2 v[1:2], v[4:5], off
	s_mov_b64 s[0:1], 0
	s_waitcnt vmcnt(0)
	v_cvt_i32_f64_e32 v1, v[1:2]
	s_branch .LBB119_880
.LBB119_876:
	s_mov_b64 s[0:1], -1
                                        ; implicit-def: $vgpr1
	s_branch .LBB119_898
.LBB119_877:
	s_mov_b64 s[0:1], -1
                                        ; implicit-def: $vgpr1
	s_branch .LBB119_886
.LBB119_878:
	s_mov_b64 s[0:1], -1
                                        ; implicit-def: $vgpr1
	s_branch .LBB119_883
.LBB119_879:
	s_mov_b64 s[0:1], -1
                                        ; implicit-def: $vgpr1
.LBB119_880:
	s_andn2_b64 vcc, exec, s[0:1]
	s_cbranch_vccnz .LBB119_882
; %bb.881:
	global_load_dword v1, v[4:5], off
	s_waitcnt vmcnt(0)
	v_cvt_i32_f32_e32 v1, v1
.LBB119_882:
	s_mov_b64 s[0:1], 0
.LBB119_883:
	s_andn2_b64 vcc, exec, s[0:1]
	s_cbranch_vccnz .LBB119_885
; %bb.884:
	global_load_dword v1, v[4:5], off
	s_waitcnt vmcnt(0)
	v_cvt_i16_f16_e32 v1, v1
.LBB119_885:
	s_mov_b64 s[0:1], 0
.LBB119_886:
	s_andn2_b64 vcc, exec, s[0:1]
	s_cbranch_vccnz .LBB119_897
; %bb.887:
	s_cmp_lt_i32 s56, 6
	s_cbranch_scc1 .LBB119_890
; %bb.888:
	s_cmp_gt_i32 s56, 6
	s_cbranch_scc0 .LBB119_891
; %bb.889:
	global_load_dwordx2 v[1:2], v[4:5], off
	s_mov_b64 s[0:1], 0
	s_waitcnt vmcnt(0)
	v_cvt_i32_f64_e32 v1, v[1:2]
	s_branch .LBB119_892
.LBB119_890:
	s_mov_b64 s[0:1], -1
                                        ; implicit-def: $vgpr1
	s_branch .LBB119_895
.LBB119_891:
	s_mov_b64 s[0:1], -1
                                        ; implicit-def: $vgpr1
.LBB119_892:
	s_andn2_b64 vcc, exec, s[0:1]
	s_cbranch_vccnz .LBB119_894
; %bb.893:
	global_load_dword v1, v[4:5], off
	s_waitcnt vmcnt(0)
	v_cvt_i32_f32_e32 v1, v1
.LBB119_894:
	s_mov_b64 s[0:1], 0
.LBB119_895:
	s_andn2_b64 vcc, exec, s[0:1]
	s_cbranch_vccnz .LBB119_897
; %bb.896:
	global_load_ushort v1, v[4:5], off
	s_waitcnt vmcnt(0)
	v_cvt_i16_f16_e32 v1, v1
.LBB119_897:
	s_mov_b64 s[0:1], 0
.LBB119_898:
	s_andn2_b64 vcc, exec, s[0:1]
	s_cbranch_vccnz .LBB119_918
; %bb.899:
	s_cmp_lt_i32 s56, 2
	s_cbranch_scc1 .LBB119_903
; %bb.900:
	s_cmp_lt_i32 s56, 3
	s_cbranch_scc1 .LBB119_904
; %bb.901:
	s_cmp_gt_i32 s56, 3
	s_cbranch_scc0 .LBB119_905
; %bb.902:
	global_load_dwordx2 v[1:2], v[4:5], off
	s_mov_b64 s[0:1], 0
	s_branch .LBB119_906
.LBB119_903:
	s_mov_b64 s[0:1], -1
                                        ; implicit-def: $vgpr1
	s_branch .LBB119_912
.LBB119_904:
	s_mov_b64 s[0:1], -1
                                        ; implicit-def: $vgpr1
	s_branch .LBB119_909
.LBB119_905:
	s_mov_b64 s[0:1], -1
                                        ; implicit-def: $vgpr1
.LBB119_906:
	s_andn2_b64 vcc, exec, s[0:1]
	s_cbranch_vccnz .LBB119_908
; %bb.907:
	global_load_dword v1, v[4:5], off
.LBB119_908:
	s_mov_b64 s[0:1], 0
.LBB119_909:
	s_andn2_b64 vcc, exec, s[0:1]
	s_cbranch_vccnz .LBB119_911
; %bb.910:
	global_load_ushort v1, v[4:5], off
.LBB119_911:
	s_mov_b64 s[0:1], 0
.LBB119_912:
	s_andn2_b64 vcc, exec, s[0:1]
	s_cbranch_vccnz .LBB119_918
; %bb.913:
	s_cmp_gt_i32 s56, 0
	s_cbranch_scc0 .LBB119_915
; %bb.914:
	global_load_sbyte v1, v[4:5], off
	s_mov_b64 s[0:1], 0
	s_branch .LBB119_916
.LBB119_915:
	s_mov_b64 s[0:1], -1
                                        ; implicit-def: $vgpr1
.LBB119_916:
	s_andn2_b64 vcc, exec, s[0:1]
	s_cbranch_vccnz .LBB119_918
; %bb.917:
	global_load_ubyte v1, v[4:5], off
.LBB119_918:
	s_mov_b64 s[0:1], -1
.LBB119_919:
	s_andn2_b64 vcc, exec, s[0:1]
	s_cbranch_vccnz .LBB119_927
; %bb.920:
	v_mov_b32_e32 v4, s25
	s_and_b32 s60, s70, 0xff
	s_waitcnt vmcnt(0)
	v_add_co_u32_e32 v2, vcc, s24, v3
	s_cmp_lt_i32 s60, 11
	v_addc_co_u32_e32 v3, vcc, 0, v4, vcc
	s_cbranch_scc1 .LBB119_929
; %bb.921:
	s_and_b32 s61, 0xffff, s60
	s_cmp_gt_i32 s61, 25
	s_cbranch_scc0 .LBB119_930
; %bb.922:
	s_cmp_gt_i32 s61, 28
	s_cbranch_scc0 .LBB119_931
; %bb.923:
	;; [unrolled: 3-line block ×4, first 2 shown]
	s_cmp_eq_u32 s61, 46
	s_mov_b64 s[58:59], 0
	s_cbranch_scc0 .LBB119_936
; %bb.926:
	global_load_dword v4, v[2:3], off
	s_mov_b64 s[0:1], -1
	s_mov_b64 s[56:57], 0
	s_waitcnt vmcnt(0)
	v_lshlrev_b32_e32 v4, 16, v4
	v_cvt_i32_f32_e32 v4, v4
	s_branch .LBB119_937
.LBB119_927:
	s_mov_b64 s[60:61], 0
	s_mov_b64 s[0:1], s[48:49]
	;; [unrolled: 1-line block ×3, first 2 shown]
.LBB119_928:
                                        ; implicit-def: $vgpr10
	s_branch .LBB119_1171
.LBB119_929:
	s_mov_b64 s[58:59], -1
	s_mov_b64 s[0:1], 0
                                        ; implicit-def: $vgpr4
	s_mov_b64 s[56:57], s[46:47]
	s_branch .LBB119_998
.LBB119_930:
	s_mov_b64 s[58:59], -1
	s_mov_b64 s[0:1], 0
	s_mov_b64 s[56:57], s[46:47]
                                        ; implicit-def: $vgpr4
	s_branch .LBB119_964
.LBB119_931:
	s_mov_b64 s[58:59], -1
	s_mov_b64 s[0:1], 0
	s_mov_b64 s[56:57], s[46:47]
                                        ; implicit-def: $vgpr4
	s_branch .LBB119_947
.LBB119_932:
	s_mov_b64 s[58:59], -1
	s_mov_b64 s[0:1], 0
	s_mov_b64 s[56:57], s[46:47]
                                        ; implicit-def: $vgpr4
	s_branch .LBB119_942
.LBB119_933:
	s_mov_b64 s[58:59], -1
	s_mov_b64 s[0:1], 0
	s_mov_b64 s[56:57], s[46:47]
                                        ; implicit-def: $vgpr4
	s_branch .LBB119_937
.LBB119_934:
	s_andn2_saveexec_b64 s[54:55], s[54:55]
	s_cbranch_execz .LBB119_702
.LBB119_935:
	s_mov_b32 s58, 0x42800000
	v_add_f32_e64 v3, |v2|, s58
	v_and_b32_e32 v3, 0xff, v3
	v_cmp_ne_u32_e32 vcc, 0, v3
	s_andn2_b64 s[52:53], s[52:53], exec
	s_and_b64 s[58:59], vcc, exec
	s_or_b64 s[52:53], s[52:53], s[58:59]
	s_or_b64 exec, exec, s[54:55]
	v_mov_b32_e32 v5, 0
	s_and_saveexec_b64 s[54:55], s[52:53]
	s_cbranch_execnz .LBB119_703
	s_branch .LBB119_704
.LBB119_936:
	s_mov_b64 s[56:57], -1
                                        ; implicit-def: $vgpr4
	s_mov_b64 s[0:1], 0
.LBB119_937:
	s_and_b64 vcc, exec, s[58:59]
	s_cbranch_vccz .LBB119_941
; %bb.938:
	s_cmp_eq_u32 s61, 44
	s_cbranch_scc0 .LBB119_940
; %bb.939:
	global_load_ubyte v4, v[2:3], off
	s_mov_b64 s[0:1], -1
	s_mov_b64 s[56:57], 0
	s_waitcnt vmcnt(0)
	v_lshlrev_b32_e32 v5, 23, v4
	v_cvt_i32_f32_e32 v5, v5
	v_cmp_ne_u32_e32 vcc, 0, v4
	v_cndmask_b32_e32 v4, 0, v5, vcc
	s_branch .LBB119_941
.LBB119_940:
	s_mov_b64 s[56:57], -1
                                        ; implicit-def: $vgpr4
.LBB119_941:
	s_mov_b64 s[58:59], 0
.LBB119_942:
	s_and_b64 vcc, exec, s[58:59]
	s_cbranch_vccz .LBB119_946
; %bb.943:
	s_cmp_eq_u32 s61, 29
	s_cbranch_scc0 .LBB119_945
; %bb.944:
	global_load_dwordx2 v[4:5], v[2:3], off
	s_mov_b64 s[0:1], -1
	s_mov_b64 s[56:57], 0
	s_branch .LBB119_946
.LBB119_945:
	s_mov_b64 s[56:57], -1
                                        ; implicit-def: $vgpr4
.LBB119_946:
	s_mov_b64 s[58:59], 0
.LBB119_947:
	s_and_b64 vcc, exec, s[58:59]
	s_cbranch_vccz .LBB119_963
; %bb.948:
	s_cmp_lt_i32 s61, 27
	s_cbranch_scc1 .LBB119_951
; %bb.949:
	s_cmp_gt_i32 s61, 27
	s_cbranch_scc0 .LBB119_952
; %bb.950:
	global_load_dword v4, v[2:3], off
	s_mov_b64 s[0:1], 0
	s_branch .LBB119_953
.LBB119_951:
	s_mov_b64 s[0:1], -1
                                        ; implicit-def: $vgpr4
	s_branch .LBB119_956
.LBB119_952:
	s_mov_b64 s[0:1], -1
                                        ; implicit-def: $vgpr4
.LBB119_953:
	s_andn2_b64 vcc, exec, s[0:1]
	s_cbranch_vccnz .LBB119_955
; %bb.954:
	global_load_ushort v4, v[2:3], off
.LBB119_955:
	s_mov_b64 s[0:1], 0
.LBB119_956:
	s_andn2_b64 vcc, exec, s[0:1]
	s_cbranch_vccnz .LBB119_962
; %bb.957:
	global_load_ubyte v5, v[2:3], off
	s_movk_i32 s0, 0x7f
	s_mov_b64 s[58:59], 0
	s_waitcnt vmcnt(0)
	v_cmp_lt_i16_e32 vcc, s0, v5
	s_and_saveexec_b64 s[0:1], vcc
	s_xor_b64 s[0:1], exec, s[0:1]
	s_cbranch_execz .LBB119_974
; %bb.958:
	s_movk_i32 s58, 0x80
	v_cmp_ne_u16_e32 vcc, s58, v5
	s_and_b64 s[58:59], vcc, exec
	s_andn2_saveexec_b64 s[0:1], s[0:1]
	s_cbranch_execnz .LBB119_975
.LBB119_959:
	s_or_b64 exec, exec, s[0:1]
	v_mov_b32_e32 v4, 0
	s_and_saveexec_b64 s[0:1], s[58:59]
	s_cbranch_execz .LBB119_961
.LBB119_960:
	v_lshlrev_b32_e32 v4, 24, v5
	v_and_b32_e32 v5, 0xffff, v5
	v_and_b32_e32 v6, 7, v5
	v_ffbh_u32_e32 v8, v6
	v_min_u32_e32 v8, 32, v8
	v_subrev_u32_e32 v9, 28, v8
	v_bfe_u32 v7, v5, 3, 4
	v_lshlrev_b32_e32 v5, v9, v5
	v_sub_u32_e32 v8, 29, v8
	v_and_b32_e32 v5, 7, v5
	v_cmp_eq_u32_e32 vcc, 0, v7
	v_cndmask_b32_e32 v7, v7, v8, vcc
	v_cndmask_b32_e32 v5, v6, v5, vcc
	v_mov_b32_e32 v6, 0x3b800000
	v_lshlrev_b32_e32 v5, 20, v5
	v_and_b32_e32 v4, 0x80000000, v4
	v_lshl_add_u32 v6, v7, 23, v6
	v_or3_b32 v4, v4, v6, v5
	v_cvt_i32_f32_e32 v4, v4
.LBB119_961:
	s_or_b64 exec, exec, s[0:1]
.LBB119_962:
	s_mov_b64 s[0:1], -1
.LBB119_963:
	s_mov_b64 s[58:59], 0
.LBB119_964:
	s_and_b64 vcc, exec, s[58:59]
	s_cbranch_vccz .LBB119_997
; %bb.965:
	s_cmp_gt_i32 s61, 22
	s_cbranch_scc0 .LBB119_973
; %bb.966:
	s_cmp_lt_i32 s61, 24
	s_cbranch_scc1 .LBB119_976
; %bb.967:
	s_cmp_gt_i32 s61, 24
	s_cbranch_scc0 .LBB119_977
; %bb.968:
	global_load_ubyte v5, v[2:3], off
	s_movk_i32 s0, 0x7f
	s_mov_b64 s[58:59], 0
	s_waitcnt vmcnt(0)
	v_cmp_lt_i16_e32 vcc, s0, v5
	s_and_saveexec_b64 s[0:1], vcc
	s_xor_b64 s[0:1], exec, s[0:1]
	s_cbranch_execz .LBB119_989
; %bb.969:
	s_movk_i32 s58, 0x80
	v_cmp_ne_u16_e32 vcc, s58, v5
	s_and_b64 s[58:59], vcc, exec
	s_andn2_saveexec_b64 s[0:1], s[0:1]
	s_cbranch_execnz .LBB119_990
.LBB119_970:
	s_or_b64 exec, exec, s[0:1]
	v_mov_b32_e32 v4, 0
	s_and_saveexec_b64 s[0:1], s[58:59]
	s_cbranch_execz .LBB119_972
.LBB119_971:
	v_lshlrev_b32_e32 v4, 24, v5
	v_and_b32_e32 v5, 0xffff, v5
	v_and_b32_e32 v6, 3, v5
	v_ffbh_u32_e32 v8, v6
	v_min_u32_e32 v8, 32, v8
	v_subrev_u32_e32 v9, 29, v8
	v_bfe_u32 v7, v5, 2, 5
	v_lshlrev_b32_e32 v5, v9, v5
	v_sub_u32_e32 v8, 30, v8
	v_and_b32_e32 v5, 3, v5
	v_cmp_eq_u32_e32 vcc, 0, v7
	v_cndmask_b32_e32 v7, v7, v8, vcc
	v_cndmask_b32_e32 v5, v6, v5, vcc
	v_mov_b32_e32 v6, 0x37800000
	v_lshlrev_b32_e32 v5, 21, v5
	v_and_b32_e32 v4, 0x80000000, v4
	v_lshl_add_u32 v6, v7, 23, v6
	v_or3_b32 v4, v4, v6, v5
	v_cvt_i32_f32_e32 v4, v4
.LBB119_972:
	s_or_b64 exec, exec, s[0:1]
	s_mov_b64 s[0:1], 0
	s_branch .LBB119_978
.LBB119_973:
	s_mov_b64 s[58:59], -1
                                        ; implicit-def: $vgpr4
	s_branch .LBB119_984
.LBB119_974:
	s_andn2_saveexec_b64 s[0:1], s[0:1]
	s_cbranch_execz .LBB119_959
.LBB119_975:
	v_cmp_ne_u16_e32 vcc, 0, v5
	s_andn2_b64 s[58:59], s[58:59], exec
	s_and_b64 s[62:63], vcc, exec
	s_or_b64 s[58:59], s[58:59], s[62:63]
	s_or_b64 exec, exec, s[0:1]
	v_mov_b32_e32 v4, 0
	s_and_saveexec_b64 s[0:1], s[58:59]
	s_cbranch_execnz .LBB119_960
	s_branch .LBB119_961
.LBB119_976:
	s_mov_b64 s[0:1], -1
                                        ; implicit-def: $vgpr4
	s_branch .LBB119_981
.LBB119_977:
	s_mov_b64 s[0:1], -1
                                        ; implicit-def: $vgpr4
.LBB119_978:
	s_and_b64 vcc, exec, s[0:1]
	s_cbranch_vccz .LBB119_980
; %bb.979:
	global_load_ubyte v4, v[2:3], off
	s_mov_b32 s0, 0x7f800000
	s_waitcnt vmcnt(0)
	v_lshlrev_b32_e32 v4, 24, v4
	v_and_b32_e32 v5, 0x7f000000, v4
	v_ffbh_u32_e32 v6, v5
	v_min_u32_e32 v6, 32, v6
	v_sub_u32_e64 v6, v6, 4 clamp
	v_lshlrev_b32_e32 v8, v6, v5
	v_lshlrev_b32_e32 v6, 23, v6
	v_lshrrev_b32_e32 v8, 4, v8
	v_add_u32_e32 v7, 0x1000000, v5
	v_sub_u32_e32 v6, v8, v6
	v_ashrrev_i32_e32 v7, 8, v7
	v_add_u32_e32 v6, 0x3c000000, v6
	v_and_or_b32 v6, v7, s0, v6
	v_cmp_ne_u32_e32 vcc, 0, v5
	v_cndmask_b32_e32 v5, 0, v6, vcc
	s_brev_b32 s0, 1
	v_and_or_b32 v4, v4, s0, v5
	v_cvt_i32_f32_e32 v4, v4
.LBB119_980:
	s_mov_b64 s[0:1], 0
.LBB119_981:
	s_andn2_b64 vcc, exec, s[0:1]
	s_cbranch_vccnz .LBB119_983
; %bb.982:
	global_load_ubyte v4, v[2:3], off
	s_movk_i32 s0, 0x7f00
	s_brev_b32 s1, 16
	s_waitcnt vmcnt(0)
	v_lshlrev_b16_e32 v5, 8, v4
	v_lshlrev_b32_e32 v4, 25, v4
	v_lshrrev_b32_e32 v6, 4, v4
	v_and_or_b32 v7, v5, s0, 0.5
	v_or_b32_e32 v6, 0x70000000, v6
	v_add_f32_e32 v7, -0.5, v7
	v_mul_f32_e32 v6, 0x7800000, v6
	v_cmp_gt_u32_e32 vcc, s1, v4
	v_bfe_i32 v5, v5, 0, 16
	v_cndmask_b32_e32 v4, v6, v7, vcc
	s_brev_b32 s0, 1
	v_and_or_b32 v4, v5, s0, v4
	v_cvt_i32_f32_e32 v4, v4
.LBB119_983:
	s_mov_b64 s[58:59], 0
	s_mov_b64 s[0:1], -1
.LBB119_984:
	s_andn2_b64 vcc, exec, s[58:59]
	s_cbranch_vccnz .LBB119_997
; %bb.985:
	s_cmp_gt_i32 s61, 14
	s_cbranch_scc0 .LBB119_988
; %bb.986:
	s_cmp_eq_u32 s61, 15
	s_cbranch_scc0 .LBB119_991
; %bb.987:
	global_load_ushort v4, v[2:3], off
	s_mov_b64 s[0:1], -1
	s_mov_b64 s[56:57], 0
	s_waitcnt vmcnt(0)
	v_lshlrev_b32_e32 v4, 16, v4
	v_cvt_i32_f32_e32 v4, v4
	s_branch .LBB119_992
.LBB119_988:
	s_mov_b64 s[58:59], -1
                                        ; implicit-def: $vgpr4
	s_branch .LBB119_993
.LBB119_989:
	s_andn2_saveexec_b64 s[0:1], s[0:1]
	s_cbranch_execz .LBB119_970
.LBB119_990:
	v_cmp_ne_u16_e32 vcc, 0, v5
	s_andn2_b64 s[58:59], s[58:59], exec
	s_and_b64 s[62:63], vcc, exec
	s_or_b64 s[58:59], s[58:59], s[62:63]
	s_or_b64 exec, exec, s[0:1]
	v_mov_b32_e32 v4, 0
	s_and_saveexec_b64 s[0:1], s[58:59]
	s_cbranch_execnz .LBB119_971
	s_branch .LBB119_972
.LBB119_991:
	s_mov_b64 s[56:57], -1
                                        ; implicit-def: $vgpr4
.LBB119_992:
	s_mov_b64 s[58:59], 0
.LBB119_993:
	s_and_b64 vcc, exec, s[58:59]
	s_cbranch_vccz .LBB119_997
; %bb.994:
	s_cmp_eq_u32 s61, 11
	s_cbranch_scc0 .LBB119_996
; %bb.995:
	global_load_ubyte v4, v[2:3], off
	s_mov_b64 s[0:1], -1
	s_mov_b64 s[56:57], 0
	s_waitcnt vmcnt(0)
	v_cmp_ne_u16_e32 vcc, 0, v4
	v_cndmask_b32_e64 v4, 0, 1, vcc
	s_branch .LBB119_997
.LBB119_996:
	s_mov_b64 s[56:57], -1
                                        ; implicit-def: $vgpr4
.LBB119_997:
	s_mov_b64 s[58:59], 0
.LBB119_998:
	s_and_b64 vcc, exec, s[58:59]
	s_cbranch_vccz .LBB119_1047
; %bb.999:
	s_and_b32 s58, 0xffff, s60
	s_cmp_lt_i32 s58, 5
	s_cbranch_scc1 .LBB119_1004
; %bb.1000:
	s_cmp_lt_i32 s58, 8
	s_cbranch_scc1 .LBB119_1005
; %bb.1001:
	;; [unrolled: 3-line block ×3, first 2 shown]
	s_cmp_gt_i32 s58, 9
	s_cbranch_scc0 .LBB119_1007
; %bb.1003:
	global_load_dwordx2 v[4:5], v[2:3], off
	s_mov_b64 s[0:1], 0
	s_waitcnt vmcnt(0)
	v_cvt_i32_f64_e32 v4, v[4:5]
	s_branch .LBB119_1008
.LBB119_1004:
	s_mov_b64 s[0:1], -1
                                        ; implicit-def: $vgpr4
	s_branch .LBB119_1026
.LBB119_1005:
	s_mov_b64 s[0:1], -1
                                        ; implicit-def: $vgpr4
	s_branch .LBB119_1014
.LBB119_1006:
	s_mov_b64 s[0:1], -1
                                        ; implicit-def: $vgpr4
	s_branch .LBB119_1011
.LBB119_1007:
	s_mov_b64 s[0:1], -1
                                        ; implicit-def: $vgpr4
.LBB119_1008:
	s_andn2_b64 vcc, exec, s[0:1]
	s_cbranch_vccnz .LBB119_1010
; %bb.1009:
	global_load_dword v4, v[2:3], off
	s_waitcnt vmcnt(0)
	v_cvt_i32_f32_e32 v4, v4
.LBB119_1010:
	s_mov_b64 s[0:1], 0
.LBB119_1011:
	s_andn2_b64 vcc, exec, s[0:1]
	s_cbranch_vccnz .LBB119_1013
; %bb.1012:
	global_load_dword v4, v[2:3], off
	s_waitcnt vmcnt(0)
	v_cvt_i16_f16_e32 v4, v4
.LBB119_1013:
	s_mov_b64 s[0:1], 0
.LBB119_1014:
	s_andn2_b64 vcc, exec, s[0:1]
	s_cbranch_vccnz .LBB119_1025
; %bb.1015:
	s_cmp_lt_i32 s58, 6
	s_cbranch_scc1 .LBB119_1018
; %bb.1016:
	s_cmp_gt_i32 s58, 6
	s_cbranch_scc0 .LBB119_1019
; %bb.1017:
	global_load_dwordx2 v[4:5], v[2:3], off
	s_mov_b64 s[0:1], 0
	s_waitcnt vmcnt(0)
	v_cvt_i32_f64_e32 v4, v[4:5]
	s_branch .LBB119_1020
.LBB119_1018:
	s_mov_b64 s[0:1], -1
                                        ; implicit-def: $vgpr4
	s_branch .LBB119_1023
.LBB119_1019:
	s_mov_b64 s[0:1], -1
                                        ; implicit-def: $vgpr4
.LBB119_1020:
	s_andn2_b64 vcc, exec, s[0:1]
	s_cbranch_vccnz .LBB119_1022
; %bb.1021:
	global_load_dword v4, v[2:3], off
	s_waitcnt vmcnt(0)
	v_cvt_i32_f32_e32 v4, v4
.LBB119_1022:
	s_mov_b64 s[0:1], 0
.LBB119_1023:
	s_andn2_b64 vcc, exec, s[0:1]
	s_cbranch_vccnz .LBB119_1025
; %bb.1024:
	global_load_ushort v4, v[2:3], off
	s_waitcnt vmcnt(0)
	v_cvt_i16_f16_e32 v4, v4
.LBB119_1025:
	s_mov_b64 s[0:1], 0
.LBB119_1026:
	s_andn2_b64 vcc, exec, s[0:1]
	s_cbranch_vccnz .LBB119_1046
; %bb.1027:
	s_cmp_lt_i32 s58, 2
	s_cbranch_scc1 .LBB119_1031
; %bb.1028:
	s_cmp_lt_i32 s58, 3
	s_cbranch_scc1 .LBB119_1032
; %bb.1029:
	s_cmp_gt_i32 s58, 3
	s_cbranch_scc0 .LBB119_1033
; %bb.1030:
	global_load_dwordx2 v[4:5], v[2:3], off
	s_mov_b64 s[0:1], 0
	s_branch .LBB119_1034
.LBB119_1031:
	s_mov_b64 s[0:1], -1
                                        ; implicit-def: $vgpr4
	s_branch .LBB119_1040
.LBB119_1032:
	s_mov_b64 s[0:1], -1
                                        ; implicit-def: $vgpr4
	s_branch .LBB119_1037
.LBB119_1033:
	s_mov_b64 s[0:1], -1
                                        ; implicit-def: $vgpr4
.LBB119_1034:
	s_andn2_b64 vcc, exec, s[0:1]
	s_cbranch_vccnz .LBB119_1036
; %bb.1035:
	global_load_dword v4, v[2:3], off
.LBB119_1036:
	s_mov_b64 s[0:1], 0
.LBB119_1037:
	s_andn2_b64 vcc, exec, s[0:1]
	s_cbranch_vccnz .LBB119_1039
; %bb.1038:
	global_load_ushort v4, v[2:3], off
.LBB119_1039:
	s_mov_b64 s[0:1], 0
.LBB119_1040:
	s_andn2_b64 vcc, exec, s[0:1]
	s_cbranch_vccnz .LBB119_1046
; %bb.1041:
	s_cmp_gt_i32 s58, 0
	s_cbranch_scc0 .LBB119_1043
; %bb.1042:
	global_load_sbyte v4, v[2:3], off
	s_mov_b64 s[0:1], 0
	s_branch .LBB119_1044
.LBB119_1043:
	s_mov_b64 s[0:1], -1
                                        ; implicit-def: $vgpr4
.LBB119_1044:
	s_andn2_b64 vcc, exec, s[0:1]
	s_cbranch_vccnz .LBB119_1046
; %bb.1045:
	global_load_ubyte v4, v[2:3], off
.LBB119_1046:
	s_mov_b64 s[0:1], -1
.LBB119_1047:
	s_andn2_b64 vcc, exec, s[0:1]
	s_cbranch_vccnz .LBB119_1055
; %bb.1048:
	s_waitcnt vmcnt(0)
	v_lshlrev_b32_sdwa v1, v4, v1 dst_sel:DWORD dst_unused:UNUSED_PAD src0_sel:WORD_0 src1_sel:DWORD
	v_cmp_gt_u16_e32 vcc, 16, v4
	v_cndmask_b32_e32 v2, 0, v1, vcc
	v_mov_b32_e32 v1, s9
	s_and_b32 s64, s69, 0xff
	v_add_co_u32_e32 v0, vcc, s8, v0
	s_cmp_lt_i32 s64, 11
	v_addc_co_u32_e32 v1, vcc, 0, v1, vcc
	s_cbranch_scc1 .LBB119_1056
; %bb.1049:
	s_and_b32 s65, 0xffff, s64
	s_cmp_gt_i32 s65, 25
	s_cbranch_scc0 .LBB119_1057
; %bb.1050:
	s_cmp_gt_i32 s65, 28
	s_cbranch_scc0 .LBB119_1058
; %bb.1051:
	;; [unrolled: 3-line block ×4, first 2 shown]
	s_mov_b64 s[60:61], 0
	s_mov_b64 s[0:1], -1
	s_cmp_eq_u32 s65, 46
	s_mov_b64 s[58:59], 0
	s_cbranch_scc0 .LBB119_1061
; %bb.1054:
	v_cvt_f32_i32_sdwa v3, sext(v2) dst_sel:DWORD dst_unused:UNUSED_PAD src0_sel:WORD_0
	s_movk_i32 s0, 0x7fff
	s_mov_b64 s[58:59], -1
	v_bfe_u32 v4, v3, 16, 1
	v_add3_u32 v3, v3, v4, s0
	v_lshrrev_b32_e32 v3, 16, v3
	global_store_dword v[0:1], v3, off
	s_mov_b64 s[0:1], 0
	s_branch .LBB119_1061
.LBB119_1055:
	s_mov_b64 s[60:61], 0
                                        ; implicit-def: $vgpr10
	s_mov_b64 s[0:1], s[48:49]
	s_branch .LBB119_1171
.LBB119_1056:
	s_mov_b64 s[60:61], -1
	s_mov_b64 s[58:59], 0
	s_mov_b64 s[0:1], s[48:49]
	s_branch .LBB119_1130
.LBB119_1057:
	s_mov_b64 s[60:61], -1
	s_mov_b64 s[58:59], 0
	s_mov_b64 s[0:1], s[48:49]
	s_branch .LBB119_1088
.LBB119_1058:
	s_mov_b64 s[60:61], -1
	s_mov_b64 s[58:59], 0
	s_mov_b64 s[0:1], s[48:49]
	s_branch .LBB119_1071
.LBB119_1059:
	s_mov_b64 s[60:61], -1
	s_mov_b64 s[58:59], 0
	s_mov_b64 s[0:1], s[48:49]
	s_branch .LBB119_1067
.LBB119_1060:
	s_mov_b64 s[60:61], -1
	s_mov_b64 s[58:59], 0
	s_mov_b64 s[0:1], s[48:49]
.LBB119_1061:
	s_and_b64 vcc, exec, s[60:61]
	s_cbranch_vccz .LBB119_1066
; %bb.1062:
	s_cmp_eq_u32 s65, 44
	s_mov_b64 s[0:1], -1
	s_cbranch_scc0 .LBB119_1066
; %bb.1063:
	v_cvt_f32_i32_sdwa v3, sext(v2) dst_sel:DWORD dst_unused:UNUSED_PAD src0_sel:WORD_0
	s_movk_i32 s0, 0xff
	v_mov_b32_e32 v5, 0xff
	v_bfe_u32 v4, v3, 23, 8
	v_cmp_ne_u32_e32 vcc, s0, v4
	s_and_saveexec_b64 s[58:59], vcc
; %bb.1064:
	s_mov_b32 s0, 0x3fffff
	v_lshrrev_b32_e32 v5, 23, v3
	v_and_b32_e32 v6, 0x400000, v3
	v_and_or_b32 v3, v3, s0, v4
	v_cmp_ne_u32_e32 vcc, 0, v6
	v_cmp_ne_u32_e64 s[0:1], 0, v3
	s_and_b64 s[0:1], vcc, s[0:1]
	v_cndmask_b32_e64 v3, 0, 1, s[0:1]
	v_add_u32_e32 v5, v5, v3
; %bb.1065:
	s_or_b64 exec, exec, s[58:59]
	s_mov_b64 s[58:59], -1
	s_mov_b64 s[0:1], 0
	global_store_byte v[0:1], v5, off
.LBB119_1066:
	s_mov_b64 s[60:61], 0
.LBB119_1067:
	s_and_b64 vcc, exec, s[60:61]
	s_cbranch_vccz .LBB119_1070
; %bb.1068:
	s_cmp_eq_u32 s65, 29
	s_mov_b64 s[0:1], -1
	s_cbranch_scc0 .LBB119_1070
; %bb.1069:
	v_bfe_i32 v3, v2, 0, 16
	v_ashrrev_i32_e32 v4, 31, v3
	global_store_dwordx2 v[0:1], v[3:4], off
	s_mov_b64 s[58:59], -1
	s_mov_b64 s[0:1], 0
.LBB119_1070:
	s_mov_b64 s[60:61], 0
.LBB119_1071:
	s_and_b64 vcc, exec, s[60:61]
	s_cbranch_vccz .LBB119_1087
; %bb.1072:
	s_cmp_lt_i32 s65, 27
	s_mov_b64 s[58:59], -1
	s_cbranch_scc1 .LBB119_1078
; %bb.1073:
	s_cmp_gt_i32 s65, 27
	s_cbranch_scc0 .LBB119_1075
; %bb.1074:
	v_bfe_i32 v3, v2, 0, 16
	s_mov_b64 s[58:59], 0
	global_store_dword v[0:1], v3, off
.LBB119_1075:
	s_andn2_b64 vcc, exec, s[58:59]
	s_cbranch_vccnz .LBB119_1077
; %bb.1076:
	global_store_short v[0:1], v2, off
.LBB119_1077:
	s_mov_b64 s[58:59], 0
.LBB119_1078:
	s_andn2_b64 vcc, exec, s[58:59]
	s_cbranch_vccnz .LBB119_1086
; %bb.1079:
	v_cvt_f32_i32_sdwa v3, sext(v2) dst_sel:DWORD dst_unused:UNUSED_PAD src0_sel:WORD_0
	s_mov_b32 s58, 0x43800000
	v_mov_b32_e32 v5, 0x80
	v_and_b32_e32 v4, 0x7fffffff, v3
	v_cmp_gt_u32_e32 vcc, s58, v4
	s_and_saveexec_b64 s[58:59], vcc
	s_cbranch_execz .LBB119_1085
; %bb.1080:
	s_mov_b32 s60, 0x3bffffff
	v_cmp_lt_u32_e32 vcc, s60, v4
	s_mov_b64 s[60:61], 0
                                        ; implicit-def: $vgpr4
	s_and_saveexec_b64 s[62:63], vcc
	s_xor_b64 s[62:63], exec, s[62:63]
	s_cbranch_execz .LBB119_1199
; %bb.1081:
	v_bfe_u32 v4, v3, 20, 1
	s_mov_b32 s67, 0x487ffff
	v_add3_u32 v4, v3, v4, s67
	s_mov_b64 s[60:61], exec
	v_lshrrev_b32_e32 v4, 20, v4
	s_andn2_saveexec_b64 s[62:63], s[62:63]
	s_cbranch_execnz .LBB119_1200
.LBB119_1082:
	s_or_b64 exec, exec, s[62:63]
	v_mov_b32_e32 v5, 0
	s_and_saveexec_b64 s[62:63], s[60:61]
.LBB119_1083:
	v_lshrrev_b32_e32 v3, 24, v3
	s_movk_i32 s60, 0x80
	v_and_or_b32 v5, v3, s60, v4
.LBB119_1084:
	s_or_b64 exec, exec, s[62:63]
.LBB119_1085:
	s_or_b64 exec, exec, s[58:59]
	global_store_byte v[0:1], v5, off
.LBB119_1086:
	s_mov_b64 s[58:59], -1
.LBB119_1087:
	s_mov_b64 s[60:61], 0
.LBB119_1088:
	s_and_b64 vcc, exec, s[60:61]
	s_cbranch_vccz .LBB119_1129
; %bb.1089:
	s_cmp_gt_i32 s65, 22
	s_mov_b64 s[60:61], -1
	s_cbranch_scc0 .LBB119_1121
; %bb.1090:
	s_cmp_lt_i32 s65, 24
	s_mov_b64 s[58:59], -1
	s_cbranch_scc1 .LBB119_1110
; %bb.1091:
	s_cmp_gt_i32 s65, 24
	s_cbranch_scc0 .LBB119_1099
; %bb.1092:
	v_cvt_f32_i32_sdwa v3, sext(v2) dst_sel:DWORD dst_unused:UNUSED_PAD src0_sel:WORD_0
	s_mov_b32 s58, 0x47800000
	v_mov_b32_e32 v5, 0x80
	v_and_b32_e32 v4, 0x7fffffff, v3
	v_cmp_gt_u32_e32 vcc, s58, v4
	s_and_saveexec_b64 s[58:59], vcc
	s_cbranch_execz .LBB119_1098
; %bb.1093:
	s_mov_b32 s60, 0x37ffffff
	v_cmp_lt_u32_e32 vcc, s60, v4
	s_mov_b64 s[60:61], 0
                                        ; implicit-def: $vgpr4
	s_and_saveexec_b64 s[62:63], vcc
	s_xor_b64 s[62:63], exec, s[62:63]
	s_cbranch_execz .LBB119_2236
; %bb.1094:
	v_bfe_u32 v4, v3, 21, 1
	s_mov_b32 s67, 0x88fffff
	v_add3_u32 v4, v3, v4, s67
	s_mov_b64 s[60:61], exec
	v_lshrrev_b32_e32 v4, 21, v4
	s_andn2_saveexec_b64 s[62:63], s[62:63]
	s_cbranch_execnz .LBB119_2237
.LBB119_1095:
	s_or_b64 exec, exec, s[62:63]
	v_mov_b32_e32 v5, 0
	s_and_saveexec_b64 s[62:63], s[60:61]
.LBB119_1096:
	v_lshrrev_b32_e32 v3, 24, v3
	s_movk_i32 s60, 0x80
	v_and_or_b32 v5, v3, s60, v4
.LBB119_1097:
	s_or_b64 exec, exec, s[62:63]
.LBB119_1098:
	s_or_b64 exec, exec, s[58:59]
	s_mov_b64 s[58:59], 0
	global_store_byte v[0:1], v5, off
.LBB119_1099:
	s_and_b64 vcc, exec, s[58:59]
	s_cbranch_vccz .LBB119_1109
; %bb.1100:
	v_cvt_f32_i32_sdwa v3, sext(v2) dst_sel:DWORD dst_unused:UNUSED_PAD src0_sel:WORD_0
	s_mov_b32 s58, 0x43f00000
                                        ; implicit-def: $vgpr4
	v_and_b32_e32 v5, 0x7fffffff, v3
	v_cmp_gt_u32_e32 vcc, s58, v5
	s_and_saveexec_b64 s[58:59], vcc
	s_xor_b64 s[58:59], exec, s[58:59]
	s_cbranch_execz .LBB119_1106
; %bb.1101:
	s_mov_b32 s60, 0x3c7fffff
	v_cmp_lt_u32_e32 vcc, s60, v5
                                        ; implicit-def: $vgpr4
	s_and_saveexec_b64 s[60:61], vcc
	s_xor_b64 s[60:61], exec, s[60:61]
; %bb.1102:
	v_bfe_u32 v4, v3, 20, 1
	s_mov_b32 s62, 0x407ffff
	v_add3_u32 v4, v3, v4, s62
	v_lshrrev_b32_e32 v5, 20, v4
	v_and_b32_e32 v4, 0xff00000, v4
	s_mov_b32 s62, 0x7f00000
	v_mov_b32_e32 v6, 0x7e
	v_cmp_ne_u32_e32 vcc, s62, v4
	v_cndmask_b32_e32 v4, v6, v5, vcc
; %bb.1103:
	s_andn2_saveexec_b64 s[60:61], s[60:61]
; %bb.1104:
	s_mov_b32 s62, 0x46800000
	v_add_f32_e64 v4, |v3|, s62
; %bb.1105:
	s_or_b64 exec, exec, s[60:61]
                                        ; implicit-def: $vgpr5
.LBB119_1106:
	s_andn2_saveexec_b64 s[58:59], s[58:59]
; %bb.1107:
	s_mov_b32 s60, 0x7f800000
	v_mov_b32_e32 v4, 0x7e
	v_mov_b32_e32 v6, 0x7f
	v_cmp_lt_u32_e32 vcc, s60, v5
	v_cndmask_b32_e32 v4, v4, v6, vcc
; %bb.1108:
	s_or_b64 exec, exec, s[58:59]
	v_lshrrev_b32_e32 v3, 24, v3
	s_movk_i32 s58, 0x80
	v_and_or_b32 v3, v3, s58, v4
	global_store_byte v[0:1], v3, off
.LBB119_1109:
	s_mov_b64 s[58:59], 0
.LBB119_1110:
	s_andn2_b64 vcc, exec, s[58:59]
	s_cbranch_vccnz .LBB119_1120
; %bb.1111:
	v_cvt_f32_i32_sdwa v3, sext(v2) dst_sel:DWORD dst_unused:UNUSED_PAD src0_sel:WORD_0
	s_mov_b32 s58, 0x47800000
                                        ; implicit-def: $vgpr4
	v_and_b32_e32 v5, 0x7fffffff, v3
	v_cmp_gt_u32_e32 vcc, s58, v5
	s_and_saveexec_b64 s[58:59], vcc
	s_xor_b64 s[58:59], exec, s[58:59]
	s_cbranch_execz .LBB119_1117
; %bb.1112:
	s_mov_b32 s60, 0x387fffff
	v_cmp_lt_u32_e32 vcc, s60, v5
                                        ; implicit-def: $vgpr4
	s_and_saveexec_b64 s[60:61], vcc
	s_xor_b64 s[60:61], exec, s[60:61]
; %bb.1113:
	v_bfe_u32 v4, v3, 21, 1
	s_mov_b32 s62, 0x80fffff
	v_add3_u32 v4, v3, v4, s62
	v_lshrrev_b32_e32 v4, 21, v4
; %bb.1114:
	s_andn2_saveexec_b64 s[60:61], s[60:61]
; %bb.1115:
	s_mov_b32 s62, 0x43000000
	v_add_f32_e64 v4, |v3|, s62
; %bb.1116:
	s_or_b64 exec, exec, s[60:61]
                                        ; implicit-def: $vgpr5
.LBB119_1117:
	s_andn2_saveexec_b64 s[58:59], s[58:59]
; %bb.1118:
	s_mov_b32 s60, 0x7f800000
	v_mov_b32_e32 v4, 0x7c
	v_mov_b32_e32 v6, 0x7f
	v_cmp_lt_u32_e32 vcc, s60, v5
	v_cndmask_b32_e32 v4, v4, v6, vcc
; %bb.1119:
	s_or_b64 exec, exec, s[58:59]
	v_lshrrev_b32_e32 v3, 24, v3
	s_movk_i32 s58, 0x80
	v_and_or_b32 v3, v3, s58, v4
	global_store_byte v[0:1], v3, off
.LBB119_1120:
	s_mov_b64 s[60:61], 0
	s_mov_b64 s[58:59], -1
.LBB119_1121:
	s_andn2_b64 vcc, exec, s[60:61]
	s_cbranch_vccnz .LBB119_1129
; %bb.1122:
	s_cmp_gt_i32 s65, 14
	s_mov_b64 s[60:61], -1
	s_cbranch_scc0 .LBB119_1126
; %bb.1123:
	s_cmp_eq_u32 s65, 15
	s_mov_b64 s[0:1], -1
	s_cbranch_scc0 .LBB119_1125
; %bb.1124:
	v_cvt_f32_i32_sdwa v3, sext(v2) dst_sel:DWORD dst_unused:UNUSED_PAD src0_sel:WORD_0
	s_movk_i32 s0, 0x7fff
	s_mov_b64 s[58:59], -1
	v_bfe_u32 v4, v3, 16, 1
	v_add3_u32 v3, v3, v4, s0
	global_store_short_d16_hi v[0:1], v3, off
	s_mov_b64 s[0:1], 0
.LBB119_1125:
	s_mov_b64 s[60:61], 0
.LBB119_1126:
	s_and_b64 vcc, exec, s[60:61]
	s_cbranch_vccz .LBB119_1129
; %bb.1127:
	s_cmp_eq_u32 s65, 11
	s_mov_b64 s[0:1], -1
	s_cbranch_scc0 .LBB119_1129
; %bb.1128:
	v_cmp_ne_u16_e32 vcc, 0, v2
	v_cndmask_b32_e64 v3, 0, 1, vcc
	s_mov_b64 s[58:59], -1
	s_mov_b64 s[0:1], 0
	global_store_byte v[0:1], v3, off
.LBB119_1129:
	s_mov_b64 s[60:61], 0
.LBB119_1130:
	s_and_b64 vcc, exec, s[60:61]
	s_cbranch_vccz .LBB119_1169
; %bb.1131:
	s_and_b32 s60, 0xffff, s64
	s_cmp_lt_i32 s60, 5
	s_mov_b64 s[58:59], -1
	s_cbranch_scc1 .LBB119_1152
; %bb.1132:
	s_cmp_lt_i32 s60, 8
	s_cbranch_scc1 .LBB119_1142
; %bb.1133:
	s_cmp_lt_i32 s60, 9
	s_cbranch_scc1 .LBB119_1139
; %bb.1134:
	s_cmp_gt_i32 s60, 9
	s_cbranch_scc0 .LBB119_1136
; %bb.1135:
	v_bfe_i32 v3, v2, 0, 16
	v_cvt_f64_i32_e32 v[3:4], v3
	v_mov_b32_e32 v5, 0
	v_mov_b32_e32 v6, v5
	s_mov_b64 s[58:59], 0
	global_store_dwordx4 v[0:1], v[3:6], off
.LBB119_1136:
	s_andn2_b64 vcc, exec, s[58:59]
	s_cbranch_vccnz .LBB119_1138
; %bb.1137:
	v_cvt_f32_i32_sdwa v3, sext(v2) dst_sel:DWORD dst_unused:UNUSED_PAD src0_sel:WORD_0
	v_mov_b32_e32 v4, 0
	global_store_dwordx2 v[0:1], v[3:4], off
.LBB119_1138:
	s_mov_b64 s[58:59], 0
.LBB119_1139:
	s_andn2_b64 vcc, exec, s[58:59]
	s_cbranch_vccnz .LBB119_1141
; %bb.1140:
	v_cvt_f16_i16_e32 v3, v2
	global_store_dword v[0:1], v3, off
.LBB119_1141:
	s_mov_b64 s[58:59], 0
.LBB119_1142:
	s_andn2_b64 vcc, exec, s[58:59]
	s_cbranch_vccnz .LBB119_1151
; %bb.1143:
	s_cmp_lt_i32 s60, 6
	s_mov_b64 s[58:59], -1
	s_cbranch_scc1 .LBB119_1149
; %bb.1144:
	s_cmp_gt_i32 s60, 6
	s_cbranch_scc0 .LBB119_1146
; %bb.1145:
	v_bfe_i32 v3, v2, 0, 16
	v_cvt_f64_i32_e32 v[3:4], v3
	s_mov_b64 s[58:59], 0
	global_store_dwordx2 v[0:1], v[3:4], off
.LBB119_1146:
	s_andn2_b64 vcc, exec, s[58:59]
	s_cbranch_vccnz .LBB119_1148
; %bb.1147:
	v_cvt_f32_i32_sdwa v3, sext(v2) dst_sel:DWORD dst_unused:UNUSED_PAD src0_sel:WORD_0
	global_store_dword v[0:1], v3, off
.LBB119_1148:
	s_mov_b64 s[58:59], 0
.LBB119_1149:
	s_andn2_b64 vcc, exec, s[58:59]
	s_cbranch_vccnz .LBB119_1151
; %bb.1150:
	v_cvt_f16_i16_e32 v3, v2
	global_store_short v[0:1], v3, off
.LBB119_1151:
	s_mov_b64 s[58:59], 0
.LBB119_1152:
	s_andn2_b64 vcc, exec, s[58:59]
	s_cbranch_vccnz .LBB119_1168
; %bb.1153:
	s_cmp_lt_i32 s60, 2
	s_mov_b64 s[58:59], -1
	s_cbranch_scc1 .LBB119_1163
; %bb.1154:
	s_cmp_lt_i32 s60, 3
	s_cbranch_scc1 .LBB119_1160
; %bb.1155:
	s_cmp_gt_i32 s60, 3
	s_cbranch_scc0 .LBB119_1157
; %bb.1156:
	v_bfe_i32 v3, v2, 0, 16
	v_ashrrev_i32_e32 v4, 31, v3
	s_mov_b64 s[58:59], 0
	global_store_dwordx2 v[0:1], v[3:4], off
.LBB119_1157:
	s_andn2_b64 vcc, exec, s[58:59]
	s_cbranch_vccnz .LBB119_1159
; %bb.1158:
	v_bfe_i32 v3, v2, 0, 16
	global_store_dword v[0:1], v3, off
.LBB119_1159:
	s_mov_b64 s[58:59], 0
.LBB119_1160:
	s_andn2_b64 vcc, exec, s[58:59]
	s_cbranch_vccnz .LBB119_1162
; %bb.1161:
	global_store_short v[0:1], v2, off
.LBB119_1162:
	s_mov_b64 s[58:59], 0
.LBB119_1163:
	s_andn2_b64 vcc, exec, s[58:59]
	s_cbranch_vccnz .LBB119_1168
; %bb.1164:
	s_cmp_gt_i32 s60, 0
	s_mov_b64 s[58:59], -1
	s_cbranch_scc0 .LBB119_1166
; %bb.1165:
	s_mov_b64 s[58:59], 0
	global_store_byte v[0:1], v2, off
.LBB119_1166:
	s_andn2_b64 vcc, exec, s[58:59]
	s_cbranch_vccnz .LBB119_1168
; %bb.1167:
	global_store_byte v[0:1], v2, off
.LBB119_1168:
	s_mov_b64 s[58:59], -1
.LBB119_1169:
	s_andn2_b64 vcc, exec, s[58:59]
	s_cbranch_vccnz .LBB119_1181
; %bb.1170:
	v_add_u32_e32 v10, 0x80, v10
	s_mov_b64 s[60:61], -1
.LBB119_1171:
	s_andn2_b64 s[58:59], s[48:49], exec
	s_and_b64 s[0:1], s[0:1], exec
	s_or_b64 s[58:59], s[58:59], s[0:1]
	s_andn2_b64 s[0:1], s[46:47], exec
	s_and_b64 s[56:57], s[56:57], exec
	s_or_b64 s[56:57], s[0:1], s[56:57]
	;; [unrolled: 3-line block ×3, first 2 shown]
	s_orn2_b64 s[64:65], s[60:61], exec
.LBB119_1172:
	s_or_b64 exec, exec, s[52:53]
	s_mov_b64 s[60:61], 0
	s_mov_b64 s[54:55], 0
	;; [unrolled: 1-line block ×3, first 2 shown]
                                        ; implicit-def: $sgpr73
                                        ; implicit-def: $vgpr4_vgpr5
                                        ; implicit-def: $vgpr0
                                        ; implicit-def: $vgpr3
                                        ; implicit-def: $vgpr1
	s_and_saveexec_b64 s[52:53], s[64:65]
	s_cbranch_execz .LBB119_1263
; %bb.1173:
	v_cmp_gt_i32_e32 vcc, s66, v10
	s_mov_b64 s[64:65], s[0:1]
	s_mov_b64 s[66:67], 0
                                        ; implicit-def: $sgpr73
                                        ; implicit-def: $vgpr4_vgpr5
                                        ; implicit-def: $vgpr0
                                        ; implicit-def: $vgpr3
                                        ; implicit-def: $vgpr1
	s_and_saveexec_b64 s[54:55], vcc
	s_cbranch_execz .LBB119_1262
; %bb.1174:
	s_andn2_b64 vcc, exec, s[20:21]
	s_cbranch_vccnz .LBB119_1180
; %bb.1175:
	s_andn2_b64 vcc, exec, s[34:35]
	s_cbranch_vccnz .LBB119_1182
; %bb.1176:
	s_add_i32 s34, s72, 1
	s_and_b32 s60, s34, 30
	s_add_u32 s34, s2, 0xffffffe8
	s_addc_u32 s35, s3, -1
	v_mov_b32_e32 v3, 0
	s_waitcnt vmcnt(0)
	v_mov_b32_e32 v5, 0
	v_mov_b32_e32 v0, 0
	;; [unrolled: 1-line block ×3, first 2 shown]
.LBB119_1177:                           ; =>This Inner Loop Header: Depth=1
	s_load_dwordx4 s[64:67], s[34:35], 0x1c
	s_load_dwordx2 s[62:63], s[34:35], 0x2c
	s_load_dwordx2 s[74:75], s[34:35], 0xec
	s_load_dwordx4 s[76:79], s[34:35], 0xdc
	s_add_u32 s34, s34, 24
	s_waitcnt lgkmcnt(0)
	v_mul_hi_u32 v2, s65, v1
	s_addc_u32 s35, s35, 0
	s_add_i32 s60, s60, -2
	s_cmp_eq_u32 s60, 0
	v_add_u32_e32 v2, v1, v2
	v_lshrrev_b32_e32 v2, s66, v2
	v_mul_lo_u32 v4, v2, s64
	v_mul_hi_u32 v6, s62, v2
	v_sub_u32_e32 v4, v1, v4
	v_add_u32_e32 v1, v2, v6
	v_lshrrev_b32_e32 v1, s63, v1
	v_mul_lo_u32 v8, v1, s67
	v_mul_lo_u32 v6, v4, s76
	;; [unrolled: 1-line block ×4, first 2 shown]
	v_sub_u32_e32 v2, v2, v8
	v_mul_lo_u32 v8, v2, s79
	v_mul_lo_u32 v9, v2, s74
	;; [unrolled: 1-line block ×3, first 2 shown]
	v_add3_u32 v0, v6, v0, v8
	v_add3_u32 v5, v7, v5, v9
	;; [unrolled: 1-line block ×3, first 2 shown]
	s_cbranch_scc0 .LBB119_1177
; %bb.1178:
	s_bitcmp1_b32 s72, 0
	s_cselect_b64 s[60:61], -1, 0
	s_and_b64 vcc, exec, s[60:61]
	s_cbranch_vccnz .LBB119_1183
; %bb.1179:
	s_load_dwordx2 s[60:61], s[34:35], 0x1c
	s_load_dword s64, s[34:35], 0x24
	s_load_dwordx2 s[62:63], s[34:35], 0xdc
	s_waitcnt lgkmcnt(0)
	v_mul_hi_u32 v2, s61, v1
	v_add_u32_e32 v2, v1, v2
	v_lshrrev_b32_e32 v2, s64, v2
	v_mul_lo_u32 v2, v2, s60
	s_load_dword s60, s[34:35], 0xe4
	v_sub_u32_e32 v2, v1, v2
	v_mad_u64_u32 v[0:1], s[34:35], v2, s62, v[0:1]
	v_mad_u64_u32 v[5:6], s[34:35], v2, s63, v[5:6]
	s_waitcnt lgkmcnt(0)
	v_mad_u64_u32 v[3:4], s[34:35], v2, s60, v[3:4]
	s_branch .LBB119_1183
.LBB119_1180:
	s_mov_b64 s[34:35], -1
                                        ; implicit-def: $vgpr0
                                        ; implicit-def: $vgpr5
                                        ; implicit-def: $vgpr3
	s_branch .LBB119_1184
.LBB119_1181:
	s_mov_b64 s[60:61], 0
	s_branch .LBB119_928
.LBB119_1182:
	v_mov_b32_e32 v0, 0
	s_waitcnt vmcnt(0)
	v_mov_b32_e32 v5, 0
	v_mov_b32_e32 v3, 0
.LBB119_1183:
	s_mov_b64 s[34:35], 0
.LBB119_1184:
	s_andn2_b64 vcc, exec, s[34:35]
	s_cbranch_vccnz .LBB119_1187
; %bb.1185:
	s_waitcnt lgkmcnt(0)
	v_mul_hi_u32 v0, s17, v10
	s_andn2_b64 vcc, exec, s[30:31]
	v_add_u32_e32 v0, v10, v0
	s_waitcnt vmcnt(0)
	v_lshrrev_b32_e32 v1, s18, v0
	v_mul_lo_u32 v0, v1, s16
	v_sub_u32_e32 v2, v10, v0
	v_mul_lo_u32 v0, v2, s12
	v_mul_lo_u32 v5, v2, s13
	v_mul_lo_u32 v3, v2, s14
	s_cbranch_vccnz .LBB119_1187
; %bb.1186:
	v_mul_hi_u32 v2, s28, v1
	v_add_u32_e32 v2, v1, v2
	v_lshrrev_b32_e32 v2, s29, v2
	v_mul_lo_u32 v2, v2, s19
	v_sub_u32_e32 v2, v1, v2
	v_mad_u64_u32 v[0:1], s[12:13], v2, s15, v[0:1]
	v_mad_u64_u32 v[5:6], s[12:13], v2, s26, v[5:6]
	;; [unrolled: 1-line block ×3, first 2 shown]
.LBB119_1187:
	s_waitcnt vmcnt(0) lgkmcnt(0)
	v_mov_b32_e32 v1, s11
	s_and_b32 s73, s71, 0xff
	v_add_co_u32_e32 v4, vcc, s10, v5
	s_cmp_lt_i32 s73, 11
	v_addc_co_u32_e32 v5, vcc, 0, v1, vcc
	s_cbranch_scc1 .LBB119_1194
; %bb.1188:
	s_and_b32 s18, 0xffff, s73
	s_cmp_gt_i32 s18, 25
	s_mov_b64 s[12:13], 0
	s_cbranch_scc0 .LBB119_1195
; %bb.1189:
	s_cmp_gt_i32 s18, 28
	s_cbranch_scc0 .LBB119_1196
; %bb.1190:
	s_cmp_gt_i32 s18, 43
	;; [unrolled: 3-line block ×3, first 2 shown]
	s_cbranch_scc0 .LBB119_1198
; %bb.1192:
	s_cmp_eq_u32 s18, 46
	s_mov_b64 s[16:17], 0
	s_cbranch_scc0 .LBB119_1201
; %bb.1193:
	global_load_dword v1, v[4:5], off
	s_mov_b64 s[10:11], 0
	s_mov_b64 s[14:15], -1
	s_waitcnt vmcnt(0)
	v_lshlrev_b32_e32 v1, 16, v1
	v_cvt_i32_f32_e32 v1, v1
	s_branch .LBB119_1202
.LBB119_1194:
	s_mov_b64 s[16:17], -1
	s_mov_b64 s[14:15], 0
	s_mov_b64 s[12:13], 0
	;; [unrolled: 1-line block ×3, first 2 shown]
                                        ; implicit-def: $vgpr1
	s_branch .LBB119_1261
.LBB119_1195:
	s_mov_b64 s[16:17], -1
	s_mov_b64 s[14:15], 0
	s_mov_b64 s[10:11], s[0:1]
                                        ; implicit-def: $vgpr1
	s_branch .LBB119_1229
.LBB119_1196:
	s_mov_b64 s[16:17], -1
	s_mov_b64 s[14:15], 0
	s_mov_b64 s[10:11], s[0:1]
                                        ; implicit-def: $vgpr1
	s_branch .LBB119_1212
.LBB119_1197:
	s_mov_b64 s[16:17], -1
	s_mov_b64 s[14:15], 0
	s_mov_b64 s[10:11], s[0:1]
                                        ; implicit-def: $vgpr1
	s_branch .LBB119_1207
.LBB119_1198:
	s_mov_b64 s[16:17], -1
	s_mov_b64 s[14:15], 0
	s_mov_b64 s[10:11], s[0:1]
                                        ; implicit-def: $vgpr1
	s_branch .LBB119_1202
.LBB119_1199:
	s_andn2_saveexec_b64 s[62:63], s[62:63]
	s_cbranch_execz .LBB119_1082
.LBB119_1200:
	s_mov_b32 s67, 0x46000000
	v_add_f32_e64 v4, |v3|, s67
	v_and_b32_e32 v4, 0xff, v4
	v_cmp_ne_u32_e32 vcc, 0, v4
	s_andn2_b64 s[60:61], s[60:61], exec
	s_and_b64 s[74:75], vcc, exec
	s_or_b64 s[60:61], s[60:61], s[74:75]
	s_or_b64 exec, exec, s[62:63]
	v_mov_b32_e32 v5, 0
	s_and_saveexec_b64 s[62:63], s[60:61]
	s_cbranch_execnz .LBB119_1083
	s_branch .LBB119_1084
.LBB119_1201:
	s_mov_b64 s[10:11], -1
                                        ; implicit-def: $vgpr1
	s_mov_b64 s[14:15], 0
.LBB119_1202:
	s_and_b64 vcc, exec, s[16:17]
	s_cbranch_vccz .LBB119_1206
; %bb.1203:
	s_cmp_eq_u32 s18, 44
	s_cbranch_scc0 .LBB119_1205
; %bb.1204:
	global_load_ubyte v1, v[4:5], off
	s_mov_b64 s[10:11], 0
	s_mov_b64 s[14:15], -1
	s_waitcnt vmcnt(0)
	v_lshlrev_b32_e32 v2, 23, v1
	v_cvt_i32_f32_e32 v2, v2
	v_cmp_ne_u32_e32 vcc, 0, v1
	v_cndmask_b32_e32 v1, 0, v2, vcc
	s_branch .LBB119_1206
.LBB119_1205:
	s_mov_b64 s[10:11], -1
                                        ; implicit-def: $vgpr1
.LBB119_1206:
	s_mov_b64 s[16:17], 0
.LBB119_1207:
	s_and_b64 vcc, exec, s[16:17]
	s_cbranch_vccz .LBB119_1211
; %bb.1208:
	s_cmp_eq_u32 s18, 29
	s_cbranch_scc0 .LBB119_1210
; %bb.1209:
	global_load_dwordx2 v[1:2], v[4:5], off
	s_mov_b64 s[10:11], 0
	s_mov_b64 s[14:15], -1
	s_branch .LBB119_1211
.LBB119_1210:
	s_mov_b64 s[10:11], -1
                                        ; implicit-def: $vgpr1
.LBB119_1211:
	s_mov_b64 s[16:17], 0
.LBB119_1212:
	s_and_b64 vcc, exec, s[16:17]
	s_cbranch_vccz .LBB119_1228
; %bb.1213:
	s_cmp_lt_i32 s18, 27
	s_cbranch_scc1 .LBB119_1216
; %bb.1214:
	s_cmp_gt_i32 s18, 27
	s_cbranch_scc0 .LBB119_1217
; %bb.1215:
	global_load_dword v1, v[4:5], off
	s_mov_b64 s[14:15], 0
	s_branch .LBB119_1218
.LBB119_1216:
	s_mov_b64 s[14:15], -1
                                        ; implicit-def: $vgpr1
	s_branch .LBB119_1221
.LBB119_1217:
	s_mov_b64 s[14:15], -1
                                        ; implicit-def: $vgpr1
.LBB119_1218:
	s_andn2_b64 vcc, exec, s[14:15]
	s_cbranch_vccnz .LBB119_1220
; %bb.1219:
	global_load_ushort v1, v[4:5], off
.LBB119_1220:
	s_mov_b64 s[14:15], 0
.LBB119_1221:
	s_andn2_b64 vcc, exec, s[14:15]
	s_cbranch_vccnz .LBB119_1227
; %bb.1222:
	global_load_ubyte v2, v[4:5], off
	s_movk_i32 s14, 0x7f
	s_mov_b64 s[16:17], 0
	s_waitcnt vmcnt(0)
	v_cmp_lt_i16_e32 vcc, s14, v2
	s_and_saveexec_b64 s[14:15], vcc
	s_xor_b64 s[14:15], exec, s[14:15]
	s_cbranch_execz .LBB119_1239
; %bb.1223:
	s_movk_i32 s16, 0x80
	v_cmp_ne_u16_e32 vcc, s16, v2
	s_and_b64 s[16:17], vcc, exec
	s_andn2_saveexec_b64 s[14:15], s[14:15]
	s_cbranch_execnz .LBB119_1240
.LBB119_1224:
	s_or_b64 exec, exec, s[14:15]
	v_mov_b32_e32 v1, 0
	s_and_saveexec_b64 s[14:15], s[16:17]
	s_cbranch_execz .LBB119_1226
.LBB119_1225:
	v_lshlrev_b32_e32 v1, 24, v2
	v_and_b32_e32 v2, 0xffff, v2
	v_and_b32_e32 v6, 7, v2
	v_ffbh_u32_e32 v8, v6
	v_min_u32_e32 v8, 32, v8
	v_subrev_u32_e32 v9, 28, v8
	v_bfe_u32 v7, v2, 3, 4
	v_lshlrev_b32_e32 v2, v9, v2
	v_sub_u32_e32 v8, 29, v8
	v_and_b32_e32 v2, 7, v2
	v_cmp_eq_u32_e32 vcc, 0, v7
	v_cndmask_b32_e32 v7, v7, v8, vcc
	v_cndmask_b32_e32 v2, v6, v2, vcc
	v_mov_b32_e32 v6, 0x3b800000
	v_lshlrev_b32_e32 v2, 20, v2
	v_and_b32_e32 v1, 0x80000000, v1
	v_lshl_add_u32 v6, v7, 23, v6
	v_or3_b32 v1, v1, v6, v2
	v_cvt_i32_f32_e32 v1, v1
.LBB119_1226:
	s_or_b64 exec, exec, s[14:15]
.LBB119_1227:
	s_mov_b64 s[14:15], -1
.LBB119_1228:
	s_mov_b64 s[16:17], 0
.LBB119_1229:
	s_and_b64 vcc, exec, s[16:17]
	s_cbranch_vccz .LBB119_1260
; %bb.1230:
	s_cmp_gt_i32 s18, 22
	s_cbranch_scc0 .LBB119_1238
; %bb.1231:
	s_cmp_lt_i32 s18, 24
	s_cbranch_scc1 .LBB119_1241
; %bb.1232:
	s_cmp_gt_i32 s18, 24
	s_cbranch_scc0 .LBB119_1242
; %bb.1233:
	global_load_ubyte v2, v[4:5], off
	s_movk_i32 s12, 0x7f
	s_mov_b64 s[14:15], 0
	s_waitcnt vmcnt(0)
	v_cmp_lt_i16_e32 vcc, s12, v2
	s_and_saveexec_b64 s[12:13], vcc
	s_xor_b64 s[12:13], exec, s[12:13]
	s_cbranch_execz .LBB119_1254
; %bb.1234:
	s_movk_i32 s14, 0x80
	v_cmp_ne_u16_e32 vcc, s14, v2
	s_and_b64 s[14:15], vcc, exec
	s_andn2_saveexec_b64 s[12:13], s[12:13]
	s_cbranch_execnz .LBB119_1255
.LBB119_1235:
	s_or_b64 exec, exec, s[12:13]
	v_mov_b32_e32 v1, 0
	s_and_saveexec_b64 s[12:13], s[14:15]
	s_cbranch_execz .LBB119_1237
.LBB119_1236:
	v_lshlrev_b32_e32 v1, 24, v2
	v_and_b32_e32 v2, 0xffff, v2
	v_and_b32_e32 v6, 3, v2
	v_ffbh_u32_e32 v8, v6
	v_min_u32_e32 v8, 32, v8
	v_subrev_u32_e32 v9, 29, v8
	v_bfe_u32 v7, v2, 2, 5
	v_lshlrev_b32_e32 v2, v9, v2
	v_sub_u32_e32 v8, 30, v8
	v_and_b32_e32 v2, 3, v2
	v_cmp_eq_u32_e32 vcc, 0, v7
	v_cndmask_b32_e32 v7, v7, v8, vcc
	v_cndmask_b32_e32 v2, v6, v2, vcc
	v_mov_b32_e32 v6, 0x37800000
	v_lshlrev_b32_e32 v2, 21, v2
	v_and_b32_e32 v1, 0x80000000, v1
	v_lshl_add_u32 v6, v7, 23, v6
	v_or3_b32 v1, v1, v6, v2
	v_cvt_i32_f32_e32 v1, v1
.LBB119_1237:
	s_or_b64 exec, exec, s[12:13]
	s_mov_b64 s[12:13], 0
	s_branch .LBB119_1243
.LBB119_1238:
	s_mov_b64 s[12:13], -1
                                        ; implicit-def: $vgpr1
	s_branch .LBB119_1249
.LBB119_1239:
	s_andn2_saveexec_b64 s[14:15], s[14:15]
	s_cbranch_execz .LBB119_1224
.LBB119_1240:
	v_cmp_ne_u16_e32 vcc, 0, v2
	s_andn2_b64 s[16:17], s[16:17], exec
	s_and_b64 s[26:27], vcc, exec
	s_or_b64 s[16:17], s[16:17], s[26:27]
	s_or_b64 exec, exec, s[14:15]
	v_mov_b32_e32 v1, 0
	s_and_saveexec_b64 s[14:15], s[16:17]
	s_cbranch_execnz .LBB119_1225
	s_branch .LBB119_1226
.LBB119_1241:
	s_mov_b64 s[12:13], -1
                                        ; implicit-def: $vgpr1
	s_branch .LBB119_1246
.LBB119_1242:
	s_mov_b64 s[12:13], -1
                                        ; implicit-def: $vgpr1
.LBB119_1243:
	s_and_b64 vcc, exec, s[12:13]
	s_cbranch_vccz .LBB119_1245
; %bb.1244:
	global_load_ubyte v1, v[4:5], off
	s_mov_b32 s12, 0x7f800000
	s_waitcnt vmcnt(0)
	v_lshlrev_b32_e32 v1, 24, v1
	v_and_b32_e32 v2, 0x7f000000, v1
	v_ffbh_u32_e32 v6, v2
	v_min_u32_e32 v6, 32, v6
	v_sub_u32_e64 v6, v6, 4 clamp
	v_lshlrev_b32_e32 v8, v6, v2
	v_lshlrev_b32_e32 v6, 23, v6
	v_lshrrev_b32_e32 v8, 4, v8
	v_add_u32_e32 v7, 0x1000000, v2
	v_sub_u32_e32 v6, v8, v6
	v_ashrrev_i32_e32 v7, 8, v7
	v_add_u32_e32 v6, 0x3c000000, v6
	v_and_or_b32 v6, v7, s12, v6
	v_cmp_ne_u32_e32 vcc, 0, v2
	v_cndmask_b32_e32 v2, 0, v6, vcc
	s_brev_b32 s12, 1
	v_and_or_b32 v1, v1, s12, v2
	v_cvt_i32_f32_e32 v1, v1
.LBB119_1245:
	s_mov_b64 s[12:13], 0
.LBB119_1246:
	s_andn2_b64 vcc, exec, s[12:13]
	s_cbranch_vccnz .LBB119_1248
; %bb.1247:
	global_load_ubyte v1, v[4:5], off
	s_movk_i32 s12, 0x7f00
	s_brev_b32 s13, 16
	s_waitcnt vmcnt(0)
	v_lshlrev_b16_e32 v2, 8, v1
	v_lshlrev_b32_e32 v1, 25, v1
	v_lshrrev_b32_e32 v6, 4, v1
	v_and_or_b32 v7, v2, s12, 0.5
	v_or_b32_e32 v6, 0x70000000, v6
	v_add_f32_e32 v7, -0.5, v7
	v_mul_f32_e32 v6, 0x7800000, v6
	v_cmp_gt_u32_e32 vcc, s13, v1
	v_bfe_i32 v2, v2, 0, 16
	v_cndmask_b32_e32 v1, v6, v7, vcc
	s_brev_b32 s12, 1
	v_and_or_b32 v1, v2, s12, v1
	v_cvt_i32_f32_e32 v1, v1
.LBB119_1248:
	s_mov_b64 s[12:13], 0
	s_mov_b64 s[14:15], -1
.LBB119_1249:
	s_andn2_b64 vcc, exec, s[12:13]
	s_mov_b64 s[12:13], 0
	s_cbranch_vccnz .LBB119_1260
; %bb.1250:
	s_cmp_gt_i32 s18, 14
	s_cbranch_scc0 .LBB119_1253
; %bb.1251:
	s_cmp_eq_u32 s18, 15
	s_cbranch_scc0 .LBB119_1256
; %bb.1252:
	global_load_ushort v1, v[4:5], off
	s_mov_b64 s[10:11], 0
	s_mov_b64 s[14:15], -1
	s_waitcnt vmcnt(0)
	v_lshlrev_b32_e32 v1, 16, v1
	v_cvt_i32_f32_e32 v1, v1
	s_branch .LBB119_1257
.LBB119_1253:
	s_mov_b64 s[16:17], -1
                                        ; implicit-def: $vgpr1
	s_branch .LBB119_1258
.LBB119_1254:
	s_andn2_saveexec_b64 s[12:13], s[12:13]
	s_cbranch_execz .LBB119_1235
.LBB119_1255:
	v_cmp_ne_u16_e32 vcc, 0, v2
	s_andn2_b64 s[14:15], s[14:15], exec
	s_and_b64 s[16:17], vcc, exec
	s_or_b64 s[14:15], s[14:15], s[16:17]
	s_or_b64 exec, exec, s[12:13]
	v_mov_b32_e32 v1, 0
	s_and_saveexec_b64 s[12:13], s[14:15]
	s_cbranch_execnz .LBB119_1236
	s_branch .LBB119_1237
.LBB119_1256:
	s_mov_b64 s[10:11], -1
                                        ; implicit-def: $vgpr1
.LBB119_1257:
	s_mov_b64 s[16:17], 0
.LBB119_1258:
	s_and_b64 vcc, exec, s[16:17]
	s_cbranch_vccz .LBB119_1260
; %bb.1259:
	s_cmp_lg_u32 s18, 11
	s_cselect_b64 s[16:17], -1, 0
	s_andn2_b64 s[10:11], s[10:11], exec
	s_and_b64 s[16:17], s[16:17], exec
	s_mov_b64 s[12:13], -1
	s_or_b64 s[10:11], s[10:11], s[16:17]
.LBB119_1260:
	s_mov_b64 s[16:17], 0
.LBB119_1261:
	s_and_b64 s[60:61], s[12:13], exec
	s_andn2_b64 s[12:13], s[0:1], exec
	s_and_b64 s[10:11], s[10:11], exec
	s_and_b64 s[62:63], s[14:15], exec
	;; [unrolled: 1-line block ×3, first 2 shown]
	s_or_b64 s[64:65], s[12:13], s[10:11]
.LBB119_1262:
	s_or_b64 exec, exec, s[54:55]
	s_andn2_b64 s[0:1], s[0:1], exec
	s_waitcnt lgkmcnt(0)
	s_and_b64 s[10:11], s[64:65], exec
	s_and_b64 s[62:63], s[62:63], exec
	;; [unrolled: 1-line block ×4, first 2 shown]
	s_or_b64 s[0:1], s[0:1], s[10:11]
.LBB119_1263:
	s_or_b64 exec, exec, s[52:53]
	s_waitcnt lgkmcnt(0)
	s_andn2_b64 s[10:11], s[48:49], exec
	s_and_b64 s[12:13], s[58:59], exec
	s_or_b64 s[48:49], s[10:11], s[12:13]
	s_andn2_b64 s[10:11], s[46:47], exec
	s_and_b64 s[12:13], s[56:57], exec
	s_or_b64 s[46:47], s[10:11], s[12:13]
	s_andn2_b64 s[10:11], s[44:45], exec
	s_and_b64 s[0:1], s[0:1], exec
	s_and_b64 s[56:57], s[62:63], exec
	;; [unrolled: 1-line block ×4, first 2 shown]
	s_or_b64 s[44:45], s[10:11], s[0:1]
.LBB119_1264:
	s_or_b64 exec, exec, s[50:51]
	s_andn2_b64 s[0:1], s[36:37], exec
	s_waitcnt lgkmcnt(0)
	s_and_b64 s[10:11], s[48:49], exec
	s_or_b64 s[36:37], s[0:1], s[10:11]
	s_andn2_b64 s[0:1], s[38:39], exec
	s_and_b64 s[10:11], s[46:47], exec
	s_or_b64 s[38:39], s[0:1], s[10:11]
	s_andn2_b64 s[0:1], s[40:41], exec
	s_and_b64 s[10:11], s[44:45], exec
	s_and_b64 s[48:49], s[56:57], exec
	s_and_b64 s[50:51], s[54:55], exec
	s_and_b64 s[46:47], s[52:53], exec
	s_or_b64 s[40:41], s[0:1], s[10:11]
	s_or_b64 exec, exec, s[42:43]
	s_mov_b64 s[10:11], 0
	s_and_saveexec_b64 s[0:1], s[40:41]
	s_cbranch_execz .LBB119_395
.LBB119_1265:
	s_mov_b64 s[10:11], exec
	s_andn2_b64 s[46:47], s[46:47], exec
	s_trap 2
	s_or_b64 exec, exec, s[0:1]
	s_and_saveexec_b64 s[0:1], s[46:47]
	s_xor_b64 s[0:1], exec, s[0:1]
	s_cbranch_execnz .LBB119_396
.LBB119_1266:
	s_or_b64 exec, exec, s[0:1]
	s_and_saveexec_b64 s[0:1], s[50:51]
	s_cbranch_execz .LBB119_1312
.LBB119_1267:
	s_sext_i32_i16 s12, s73
	s_cmp_lt_i32 s12, 5
	s_cbranch_scc1 .LBB119_1272
; %bb.1268:
	s_cmp_lt_i32 s12, 8
	s_cbranch_scc1 .LBB119_1273
; %bb.1269:
	;; [unrolled: 3-line block ×3, first 2 shown]
	s_cmp_gt_i32 s12, 9
	s_cbranch_scc0 .LBB119_1275
; %bb.1271:
	s_waitcnt vmcnt(0)
	global_load_dwordx2 v[1:2], v[4:5], off
	s_mov_b64 s[12:13], 0
	s_waitcnt vmcnt(0)
	v_cvt_i32_f64_e32 v1, v[1:2]
	s_branch .LBB119_1276
.LBB119_1272:
                                        ; implicit-def: $vgpr1
	s_branch .LBB119_1293
.LBB119_1273:
                                        ; implicit-def: $vgpr1
	s_branch .LBB119_1282
.LBB119_1274:
	s_mov_b64 s[12:13], -1
                                        ; implicit-def: $vgpr1
	s_branch .LBB119_1279
.LBB119_1275:
	s_mov_b64 s[12:13], -1
                                        ; implicit-def: $vgpr1
.LBB119_1276:
	s_andn2_b64 vcc, exec, s[12:13]
	s_cbranch_vccnz .LBB119_1278
; %bb.1277:
	s_waitcnt vmcnt(0)
	global_load_dword v1, v[4:5], off
	s_waitcnt vmcnt(0)
	v_cvt_i32_f32_e32 v1, v1
.LBB119_1278:
	s_mov_b64 s[12:13], 0
.LBB119_1279:
	s_andn2_b64 vcc, exec, s[12:13]
	s_cbranch_vccnz .LBB119_1281
; %bb.1280:
	s_waitcnt vmcnt(0)
	global_load_dword v1, v[4:5], off
	s_waitcnt vmcnt(0)
	v_cvt_i16_f16_e32 v1, v1
.LBB119_1281:
	s_cbranch_execnz .LBB119_1292
.LBB119_1282:
	s_sext_i32_i16 s12, s73
	s_cmp_lt_i32 s12, 6
	s_cbranch_scc1 .LBB119_1285
; %bb.1283:
	s_cmp_gt_i32 s12, 6
	s_cbranch_scc0 .LBB119_1286
; %bb.1284:
	s_waitcnt vmcnt(0)
	global_load_dwordx2 v[1:2], v[4:5], off
	s_mov_b64 s[12:13], 0
	s_waitcnt vmcnt(0)
	v_cvt_i32_f64_e32 v1, v[1:2]
	s_branch .LBB119_1287
.LBB119_1285:
	s_mov_b64 s[12:13], -1
                                        ; implicit-def: $vgpr1
	s_branch .LBB119_1290
.LBB119_1286:
	s_mov_b64 s[12:13], -1
                                        ; implicit-def: $vgpr1
.LBB119_1287:
	s_andn2_b64 vcc, exec, s[12:13]
	s_cbranch_vccnz .LBB119_1289
; %bb.1288:
	s_waitcnt vmcnt(0)
	global_load_dword v1, v[4:5], off
	s_waitcnt vmcnt(0)
	v_cvt_i32_f32_e32 v1, v1
.LBB119_1289:
	s_mov_b64 s[12:13], 0
.LBB119_1290:
	s_andn2_b64 vcc, exec, s[12:13]
	s_cbranch_vccnz .LBB119_1292
; %bb.1291:
	s_waitcnt vmcnt(0)
	global_load_ushort v1, v[4:5], off
	s_waitcnt vmcnt(0)
	v_cvt_i16_f16_e32 v1, v1
.LBB119_1292:
	s_cbranch_execnz .LBB119_1311
.LBB119_1293:
	s_sext_i32_i16 s12, s73
	s_cmp_lt_i32 s12, 2
	s_cbranch_scc1 .LBB119_1297
; %bb.1294:
	s_cmp_lt_i32 s12, 3
	s_cbranch_scc1 .LBB119_1298
; %bb.1295:
	s_cmp_gt_i32 s12, 3
	s_cbranch_scc0 .LBB119_1299
; %bb.1296:
	s_waitcnt vmcnt(0)
	global_load_dwordx2 v[1:2], v[4:5], off
	s_mov_b64 s[12:13], 0
	s_branch .LBB119_1300
.LBB119_1297:
                                        ; implicit-def: $vgpr1
	s_branch .LBB119_1306
.LBB119_1298:
	s_mov_b64 s[12:13], -1
                                        ; implicit-def: $vgpr1
	s_branch .LBB119_1303
.LBB119_1299:
	s_mov_b64 s[12:13], -1
                                        ; implicit-def: $vgpr1
.LBB119_1300:
	s_andn2_b64 vcc, exec, s[12:13]
	s_cbranch_vccnz .LBB119_1302
; %bb.1301:
	s_waitcnt vmcnt(0)
	global_load_dword v1, v[4:5], off
.LBB119_1302:
	s_mov_b64 s[12:13], 0
.LBB119_1303:
	s_andn2_b64 vcc, exec, s[12:13]
	s_cbranch_vccnz .LBB119_1305
; %bb.1304:
	s_waitcnt vmcnt(0)
	global_load_ushort v1, v[4:5], off
.LBB119_1305:
	s_cbranch_execnz .LBB119_1311
.LBB119_1306:
	s_sext_i32_i16 s12, s73
	s_cmp_gt_i32 s12, 0
	s_cbranch_scc0 .LBB119_1308
; %bb.1307:
	s_waitcnt vmcnt(0)
	global_load_sbyte v1, v[4:5], off
	s_mov_b64 s[12:13], 0
	s_branch .LBB119_1309
.LBB119_1308:
	s_mov_b64 s[12:13], -1
                                        ; implicit-def: $vgpr1
.LBB119_1309:
	s_andn2_b64 vcc, exec, s[12:13]
	s_cbranch_vccnz .LBB119_1311
; %bb.1310:
	s_waitcnt vmcnt(0)
	global_load_ubyte v1, v[4:5], off
.LBB119_1311:
	s_or_b64 s[48:49], s[48:49], exec
.LBB119_1312:
	s_or_b64 exec, exec, s[0:1]
	s_mov_b64 s[16:17], 0
	s_mov_b64 s[18:19], 0
	;; [unrolled: 1-line block ×3, first 2 shown]
                                        ; implicit-def: $sgpr26
                                        ; implicit-def: $vgpr4_vgpr5
                                        ; implicit-def: $vgpr6
	s_and_saveexec_b64 s[0:1], s[48:49]
	s_cbranch_execz .LBB119_1320
; %bb.1313:
	s_waitcnt vmcnt(0)
	v_mov_b32_e32 v2, s25
	s_and_b32 s26, s70, 0xff
	v_add_co_u32_e32 v4, vcc, s24, v3
	s_cmp_lt_i32 s26, 11
	v_addc_co_u32_e32 v5, vcc, 0, v2, vcc
	s_cbranch_scc1 .LBB119_1323
; %bb.1314:
	s_and_b32 s24, 0xffff, s26
	s_cmp_gt_i32 s24, 25
	s_cbranch_scc0 .LBB119_1324
; %bb.1315:
	s_cmp_gt_i32 s24, 28
	s_cbranch_scc0 .LBB119_1325
; %bb.1316:
	;; [unrolled: 3-line block ×4, first 2 shown]
	s_cmp_eq_u32 s24, 46
	s_cbranch_scc0 .LBB119_1328
; %bb.1319:
	global_load_dword v2, v[4:5], off
	s_mov_b64 s[12:13], 0
	s_mov_b64 s[14:15], -1
	s_waitcnt vmcnt(0)
	v_lshlrev_b32_e32 v2, 16, v2
	v_cvt_i32_f32_e32 v6, v2
	s_branch .LBB119_1330
.LBB119_1320:
	s_or_b64 exec, exec, s[0:1]
	s_and_saveexec_b64 s[0:1], s[38:39]
	s_cbranch_execnz .LBB119_1389
.LBB119_1321:
	s_or_b64 exec, exec, s[0:1]
	s_and_saveexec_b64 s[0:1], s[16:17]
	s_xor_b64 s[0:1], exec, s[0:1]
	s_cbranch_execz .LBB119_1390
.LBB119_1322:
	s_waitcnt vmcnt(0)
	global_load_ubyte v2, v[4:5], off
	s_or_b64 s[14:15], s[14:15], exec
	s_waitcnt vmcnt(0)
	v_cmp_ne_u16_e32 vcc, 0, v2
	v_cndmask_b32_e64 v6, 0, 1, vcc
	s_or_b64 exec, exec, s[0:1]
	s_and_saveexec_b64 s[0:1], s[18:19]
	s_cbranch_execz .LBB119_1436
	s_branch .LBB119_1391
.LBB119_1323:
	s_mov_b64 s[18:19], -1
                                        ; implicit-def: $vgpr6
	s_mov_b64 s[12:13], s[38:39]
	s_branch .LBB119_1388
.LBB119_1324:
	s_mov_b64 s[12:13], s[38:39]
                                        ; implicit-def: $vgpr6
	s_cbranch_execnz .LBB119_1357
	s_branch .LBB119_1387
.LBB119_1325:
	s_mov_b64 s[18:19], -1
	s_mov_b64 s[12:13], s[38:39]
                                        ; implicit-def: $vgpr6
	s_branch .LBB119_1340
.LBB119_1326:
	s_mov_b64 s[18:19], -1
	s_mov_b64 s[12:13], s[38:39]
                                        ; implicit-def: $vgpr6
	s_branch .LBB119_1335
.LBB119_1327:
	s_mov_b64 s[18:19], -1
	s_mov_b64 s[12:13], s[38:39]
	s_branch .LBB119_1329
.LBB119_1328:
	s_mov_b64 s[12:13], -1
.LBB119_1329:
                                        ; implicit-def: $vgpr6
.LBB119_1330:
	s_and_b64 vcc, exec, s[18:19]
	s_cbranch_vccz .LBB119_1334
; %bb.1331:
	s_cmp_eq_u32 s24, 44
	s_cbranch_scc0 .LBB119_1333
; %bb.1332:
	global_load_ubyte v2, v[4:5], off
	s_mov_b64 s[12:13], 0
	s_mov_b64 s[14:15], -1
	s_waitcnt vmcnt(0)
	v_lshlrev_b32_e32 v3, 23, v2
	v_cvt_i32_f32_e32 v3, v3
	v_cmp_ne_u32_e32 vcc, 0, v2
	v_cndmask_b32_e32 v6, 0, v3, vcc
	s_branch .LBB119_1334
.LBB119_1333:
	s_mov_b64 s[12:13], -1
                                        ; implicit-def: $vgpr6
.LBB119_1334:
	s_mov_b64 s[18:19], 0
.LBB119_1335:
	s_and_b64 vcc, exec, s[18:19]
	s_cbranch_vccz .LBB119_1339
; %bb.1336:
	s_cmp_eq_u32 s24, 29
	s_cbranch_scc0 .LBB119_1338
; %bb.1337:
	global_load_dwordx2 v[6:7], v[4:5], off
	s_mov_b64 s[12:13], 0
	s_mov_b64 s[14:15], -1
	s_branch .LBB119_1339
.LBB119_1338:
	s_mov_b64 s[12:13], -1
                                        ; implicit-def: $vgpr6
.LBB119_1339:
	s_mov_b64 s[18:19], 0
.LBB119_1340:
	s_and_b64 vcc, exec, s[18:19]
	s_cbranch_vccz .LBB119_1356
; %bb.1341:
	s_cmp_lt_i32 s24, 27
	s_cbranch_scc1 .LBB119_1344
; %bb.1342:
	s_cmp_gt_i32 s24, 27
	s_cbranch_scc0 .LBB119_1345
; %bb.1343:
	global_load_dword v6, v[4:5], off
	s_mov_b64 s[14:15], 0
	s_branch .LBB119_1346
.LBB119_1344:
	s_mov_b64 s[14:15], -1
                                        ; implicit-def: $vgpr6
	s_branch .LBB119_1349
.LBB119_1345:
	s_mov_b64 s[14:15], -1
                                        ; implicit-def: $vgpr6
.LBB119_1346:
	s_andn2_b64 vcc, exec, s[14:15]
	s_cbranch_vccnz .LBB119_1348
; %bb.1347:
	global_load_ushort v6, v[4:5], off
.LBB119_1348:
	s_mov_b64 s[14:15], 0
.LBB119_1349:
	s_andn2_b64 vcc, exec, s[14:15]
	s_cbranch_vccnz .LBB119_1355
; %bb.1350:
	global_load_ubyte v2, v[4:5], off
	s_movk_i32 s14, 0x7f
	s_mov_b64 s[18:19], 0
	s_waitcnt vmcnt(0)
	v_cmp_lt_i16_e32 vcc, s14, v2
	s_and_saveexec_b64 s[14:15], vcc
	s_xor_b64 s[14:15], exec, s[14:15]
	s_cbranch_execz .LBB119_1366
; %bb.1351:
	s_movk_i32 s18, 0x80
	v_cmp_ne_u16_e32 vcc, s18, v2
	s_and_b64 s[18:19], vcc, exec
	s_andn2_saveexec_b64 s[14:15], s[14:15]
	s_cbranch_execnz .LBB119_1367
.LBB119_1352:
	s_or_b64 exec, exec, s[14:15]
	v_mov_b32_e32 v6, 0
	s_and_saveexec_b64 s[14:15], s[18:19]
	s_cbranch_execz .LBB119_1354
.LBB119_1353:
	v_lshlrev_b32_e32 v3, 24, v2
	v_and_b32_e32 v2, 0xffff, v2
	v_and_b32_e32 v6, 7, v2
	v_ffbh_u32_e32 v8, v6
	v_min_u32_e32 v8, 32, v8
	v_subrev_u32_e32 v9, 28, v8
	v_bfe_u32 v7, v2, 3, 4
	v_lshlrev_b32_e32 v2, v9, v2
	v_sub_u32_e32 v8, 29, v8
	v_and_b32_e32 v2, 7, v2
	v_cmp_eq_u32_e32 vcc, 0, v7
	v_cndmask_b32_e32 v7, v7, v8, vcc
	v_cndmask_b32_e32 v2, v6, v2, vcc
	v_mov_b32_e32 v6, 0x3b800000
	v_lshlrev_b32_e32 v2, 20, v2
	v_and_b32_e32 v3, 0x80000000, v3
	v_lshl_add_u32 v6, v7, 23, v6
	v_or3_b32 v2, v3, v6, v2
	v_cvt_i32_f32_e32 v6, v2
.LBB119_1354:
	s_or_b64 exec, exec, s[14:15]
.LBB119_1355:
	s_mov_b64 s[14:15], -1
.LBB119_1356:
	s_branch .LBB119_1387
.LBB119_1357:
	s_cmp_gt_i32 s24, 22
	s_cbranch_scc0 .LBB119_1365
; %bb.1358:
	s_cmp_lt_i32 s24, 24
	s_cbranch_scc1 .LBB119_1368
; %bb.1359:
	s_cmp_gt_i32 s24, 24
	s_cbranch_scc0 .LBB119_1369
; %bb.1360:
	global_load_ubyte v2, v[4:5], off
	s_movk_i32 s14, 0x7f
	s_waitcnt vmcnt(0)
	v_cmp_lt_i16_e32 vcc, s14, v2
	s_and_saveexec_b64 s[14:15], vcc
	s_xor_b64 s[14:15], exec, s[14:15]
	s_cbranch_execz .LBB119_1381
; %bb.1361:
	s_movk_i32 s16, 0x80
	v_cmp_ne_u16_e32 vcc, s16, v2
	s_and_b64 s[16:17], vcc, exec
	s_andn2_saveexec_b64 s[14:15], s[14:15]
	s_cbranch_execnz .LBB119_1382
.LBB119_1362:
	s_or_b64 exec, exec, s[14:15]
	v_mov_b32_e32 v6, 0
	s_and_saveexec_b64 s[14:15], s[16:17]
	s_cbranch_execz .LBB119_1364
.LBB119_1363:
	v_lshlrev_b32_e32 v3, 24, v2
	v_and_b32_e32 v2, 0xffff, v2
	v_and_b32_e32 v6, 3, v2
	v_ffbh_u32_e32 v8, v6
	v_min_u32_e32 v8, 32, v8
	v_subrev_u32_e32 v9, 29, v8
	v_bfe_u32 v7, v2, 2, 5
	v_lshlrev_b32_e32 v2, v9, v2
	v_sub_u32_e32 v8, 30, v8
	v_and_b32_e32 v2, 3, v2
	v_cmp_eq_u32_e32 vcc, 0, v7
	v_cndmask_b32_e32 v7, v7, v8, vcc
	v_cndmask_b32_e32 v2, v6, v2, vcc
	v_mov_b32_e32 v6, 0x37800000
	v_lshlrev_b32_e32 v2, 21, v2
	v_and_b32_e32 v3, 0x80000000, v3
	v_lshl_add_u32 v6, v7, 23, v6
	v_or3_b32 v2, v3, v6, v2
	v_cvt_i32_f32_e32 v6, v2
.LBB119_1364:
	s_or_b64 exec, exec, s[14:15]
	s_mov_b64 s[14:15], 0
	s_branch .LBB119_1370
.LBB119_1365:
	s_mov_b64 s[16:17], -1
                                        ; implicit-def: $vgpr6
	s_branch .LBB119_1376
.LBB119_1366:
	s_andn2_saveexec_b64 s[14:15], s[14:15]
	s_cbranch_execz .LBB119_1352
.LBB119_1367:
	v_cmp_ne_u16_e32 vcc, 0, v2
	s_andn2_b64 s[18:19], s[18:19], exec
	s_and_b64 s[28:29], vcc, exec
	s_or_b64 s[18:19], s[18:19], s[28:29]
	s_or_b64 exec, exec, s[14:15]
	v_mov_b32_e32 v6, 0
	s_and_saveexec_b64 s[14:15], s[18:19]
	s_cbranch_execnz .LBB119_1353
	s_branch .LBB119_1354
.LBB119_1368:
	s_mov_b64 s[14:15], -1
                                        ; implicit-def: $vgpr6
	s_branch .LBB119_1373
.LBB119_1369:
	s_mov_b64 s[14:15], -1
                                        ; implicit-def: $vgpr6
.LBB119_1370:
	s_and_b64 vcc, exec, s[14:15]
	s_cbranch_vccz .LBB119_1372
; %bb.1371:
	global_load_ubyte v2, v[4:5], off
	s_mov_b32 s14, 0x7f800000
	s_waitcnt vmcnt(0)
	v_lshlrev_b32_e32 v2, 24, v2
	v_and_b32_e32 v3, 0x7f000000, v2
	v_ffbh_u32_e32 v6, v3
	v_min_u32_e32 v6, 32, v6
	v_sub_u32_e64 v6, v6, 4 clamp
	v_lshlrev_b32_e32 v8, v6, v3
	v_lshlrev_b32_e32 v6, 23, v6
	v_lshrrev_b32_e32 v8, 4, v8
	v_add_u32_e32 v7, 0x1000000, v3
	v_sub_u32_e32 v6, v8, v6
	v_ashrrev_i32_e32 v7, 8, v7
	v_add_u32_e32 v6, 0x3c000000, v6
	v_and_or_b32 v6, v7, s14, v6
	v_cmp_ne_u32_e32 vcc, 0, v3
	v_cndmask_b32_e32 v3, 0, v6, vcc
	s_brev_b32 s14, 1
	v_and_or_b32 v2, v2, s14, v3
	v_cvt_i32_f32_e32 v6, v2
.LBB119_1372:
	s_mov_b64 s[14:15], 0
.LBB119_1373:
	s_andn2_b64 vcc, exec, s[14:15]
	s_cbranch_vccnz .LBB119_1375
; %bb.1374:
	global_load_ubyte v2, v[4:5], off
	s_movk_i32 s14, 0x7f00
	s_brev_b32 s15, 16
	s_waitcnt vmcnt(0)
	v_lshlrev_b16_e32 v3, 8, v2
	v_lshlrev_b32_e32 v2, 25, v2
	v_lshrrev_b32_e32 v6, 4, v2
	v_and_or_b32 v7, v3, s14, 0.5
	v_or_b32_e32 v6, 0x70000000, v6
	v_add_f32_e32 v7, -0.5, v7
	v_mul_f32_e32 v6, 0x7800000, v6
	v_cmp_gt_u32_e32 vcc, s15, v2
	v_bfe_i32 v3, v3, 0, 16
	v_cndmask_b32_e32 v2, v6, v7, vcc
	s_brev_b32 s14, 1
	v_and_or_b32 v2, v3, s14, v2
	v_cvt_i32_f32_e32 v6, v2
.LBB119_1375:
	s_mov_b64 s[16:17], 0
	s_mov_b64 s[14:15], -1
.LBB119_1376:
	s_andn2_b64 vcc, exec, s[16:17]
	s_mov_b64 s[16:17], 0
	s_cbranch_vccnz .LBB119_1387
; %bb.1377:
	s_cmp_gt_i32 s24, 14
	s_cbranch_scc0 .LBB119_1380
; %bb.1378:
	s_cmp_eq_u32 s24, 15
	s_cbranch_scc0 .LBB119_1383
; %bb.1379:
	global_load_ushort v2, v[4:5], off
	s_mov_b64 s[12:13], 0
	s_mov_b64 s[14:15], -1
	s_waitcnt vmcnt(0)
	v_lshlrev_b32_e32 v2, 16, v2
	v_cvt_i32_f32_e32 v6, v2
	s_branch .LBB119_1384
.LBB119_1380:
	s_mov_b64 s[18:19], -1
                                        ; implicit-def: $vgpr6
	s_branch .LBB119_1385
.LBB119_1381:
	s_andn2_saveexec_b64 s[14:15], s[14:15]
	s_cbranch_execz .LBB119_1362
.LBB119_1382:
	v_cmp_ne_u16_e32 vcc, 0, v2
	s_andn2_b64 s[16:17], s[16:17], exec
	s_and_b64 s[18:19], vcc, exec
	s_or_b64 s[16:17], s[16:17], s[18:19]
	s_or_b64 exec, exec, s[14:15]
	v_mov_b32_e32 v6, 0
	s_and_saveexec_b64 s[14:15], s[16:17]
	s_cbranch_execnz .LBB119_1363
	s_branch .LBB119_1364
.LBB119_1383:
	s_mov_b64 s[12:13], -1
                                        ; implicit-def: $vgpr6
.LBB119_1384:
	s_mov_b64 s[18:19], 0
.LBB119_1385:
	s_and_b64 vcc, exec, s[18:19]
	s_cbranch_vccz .LBB119_1387
; %bb.1386:
	s_cmp_lg_u32 s24, 11
	s_cselect_b64 s[18:19], -1, 0
	s_andn2_b64 s[12:13], s[12:13], exec
	s_and_b64 s[18:19], s[18:19], exec
	s_mov_b64 s[16:17], -1
	s_or_b64 s[12:13], s[12:13], s[18:19]
.LBB119_1387:
	s_mov_b64 s[18:19], 0
.LBB119_1388:
	s_andn2_b64 s[24:25], s[38:39], exec
	s_and_b64 s[12:13], s[12:13], exec
	s_and_b64 s[14:15], s[14:15], exec
	;; [unrolled: 1-line block ×4, first 2 shown]
	s_or_b64 s[38:39], s[24:25], s[12:13]
	s_or_b64 exec, exec, s[0:1]
	s_and_saveexec_b64 s[0:1], s[38:39]
	s_cbranch_execz .LBB119_1321
.LBB119_1389:
	s_or_b64 s[10:11], s[10:11], exec
	s_andn2_b64 s[16:17], s[16:17], exec
	s_trap 2
	s_or_b64 exec, exec, s[0:1]
	s_and_saveexec_b64 s[0:1], s[16:17]
	s_xor_b64 s[0:1], exec, s[0:1]
	s_cbranch_execnz .LBB119_1322
.LBB119_1390:
	s_or_b64 exec, exec, s[0:1]
	s_and_saveexec_b64 s[0:1], s[18:19]
	s_cbranch_execz .LBB119_1436
.LBB119_1391:
	s_sext_i32_i16 s12, s26
	s_cmp_lt_i32 s12, 5
	s_cbranch_scc1 .LBB119_1396
; %bb.1392:
	s_cmp_lt_i32 s12, 8
	s_cbranch_scc1 .LBB119_1397
; %bb.1393:
	s_cmp_lt_i32 s12, 9
	s_cbranch_scc1 .LBB119_1398
; %bb.1394:
	s_cmp_gt_i32 s12, 9
	s_cbranch_scc0 .LBB119_1399
; %bb.1395:
	s_waitcnt vmcnt(0)
	global_load_dwordx2 v[2:3], v[4:5], off
	s_mov_b64 s[12:13], 0
	s_waitcnt vmcnt(0)
	v_cvt_i32_f64_e32 v6, v[2:3]
	s_branch .LBB119_1400
.LBB119_1396:
                                        ; implicit-def: $vgpr6
	s_branch .LBB119_1417
.LBB119_1397:
                                        ; implicit-def: $vgpr6
	s_branch .LBB119_1406
.LBB119_1398:
	s_mov_b64 s[12:13], -1
                                        ; implicit-def: $vgpr6
	s_branch .LBB119_1403
.LBB119_1399:
	s_mov_b64 s[12:13], -1
                                        ; implicit-def: $vgpr6
.LBB119_1400:
	s_andn2_b64 vcc, exec, s[12:13]
	s_cbranch_vccnz .LBB119_1402
; %bb.1401:
	s_waitcnt vmcnt(0)
	global_load_dword v2, v[4:5], off
	s_waitcnt vmcnt(0)
	v_cvt_i32_f32_e32 v6, v2
.LBB119_1402:
	s_mov_b64 s[12:13], 0
.LBB119_1403:
	s_andn2_b64 vcc, exec, s[12:13]
	s_cbranch_vccnz .LBB119_1405
; %bb.1404:
	s_waitcnt vmcnt(0)
	global_load_dword v2, v[4:5], off
	s_waitcnt vmcnt(0)
	v_cvt_i16_f16_e32 v6, v2
.LBB119_1405:
	s_cbranch_execnz .LBB119_1416
.LBB119_1406:
	s_sext_i32_i16 s12, s26
	s_cmp_lt_i32 s12, 6
	s_cbranch_scc1 .LBB119_1409
; %bb.1407:
	s_cmp_gt_i32 s12, 6
	s_cbranch_scc0 .LBB119_1410
; %bb.1408:
	s_waitcnt vmcnt(0)
	global_load_dwordx2 v[2:3], v[4:5], off
	s_mov_b64 s[12:13], 0
	s_waitcnt vmcnt(0)
	v_cvt_i32_f64_e32 v6, v[2:3]
	s_branch .LBB119_1411
.LBB119_1409:
	s_mov_b64 s[12:13], -1
                                        ; implicit-def: $vgpr6
	s_branch .LBB119_1414
.LBB119_1410:
	s_mov_b64 s[12:13], -1
                                        ; implicit-def: $vgpr6
.LBB119_1411:
	s_andn2_b64 vcc, exec, s[12:13]
	s_cbranch_vccnz .LBB119_1413
; %bb.1412:
	s_waitcnt vmcnt(0)
	global_load_dword v2, v[4:5], off
	s_waitcnt vmcnt(0)
	v_cvt_i32_f32_e32 v6, v2
.LBB119_1413:
	s_mov_b64 s[12:13], 0
.LBB119_1414:
	s_andn2_b64 vcc, exec, s[12:13]
	s_cbranch_vccnz .LBB119_1416
; %bb.1415:
	s_waitcnt vmcnt(0)
	global_load_ushort v2, v[4:5], off
	s_waitcnt vmcnt(0)
	v_cvt_i16_f16_e32 v6, v2
.LBB119_1416:
	s_cbranch_execnz .LBB119_1435
.LBB119_1417:
	s_sext_i32_i16 s12, s26
	s_cmp_lt_i32 s12, 2
	s_cbranch_scc1 .LBB119_1421
; %bb.1418:
	s_cmp_lt_i32 s12, 3
	s_cbranch_scc1 .LBB119_1422
; %bb.1419:
	s_cmp_gt_i32 s12, 3
	s_cbranch_scc0 .LBB119_1423
; %bb.1420:
	s_waitcnt vmcnt(0)
	global_load_dwordx2 v[6:7], v[4:5], off
	s_mov_b64 s[12:13], 0
	s_branch .LBB119_1424
.LBB119_1421:
                                        ; implicit-def: $vgpr6
	s_branch .LBB119_1430
.LBB119_1422:
	s_mov_b64 s[12:13], -1
                                        ; implicit-def: $vgpr6
	s_branch .LBB119_1427
.LBB119_1423:
	s_mov_b64 s[12:13], -1
                                        ; implicit-def: $vgpr6
.LBB119_1424:
	s_andn2_b64 vcc, exec, s[12:13]
	s_cbranch_vccnz .LBB119_1426
; %bb.1425:
	s_waitcnt vmcnt(0)
	global_load_dword v6, v[4:5], off
.LBB119_1426:
	s_mov_b64 s[12:13], 0
.LBB119_1427:
	s_andn2_b64 vcc, exec, s[12:13]
	s_cbranch_vccnz .LBB119_1429
; %bb.1428:
	s_waitcnt vmcnt(0)
	global_load_ushort v6, v[4:5], off
.LBB119_1429:
	s_cbranch_execnz .LBB119_1435
.LBB119_1430:
	s_sext_i32_i16 s12, s26
	s_cmp_gt_i32 s12, 0
	s_cbranch_scc0 .LBB119_1432
; %bb.1431:
	s_waitcnt vmcnt(0)
	global_load_sbyte v6, v[4:5], off
	s_mov_b64 s[12:13], 0
	s_branch .LBB119_1433
.LBB119_1432:
	s_mov_b64 s[12:13], -1
                                        ; implicit-def: $vgpr6
.LBB119_1433:
	s_andn2_b64 vcc, exec, s[12:13]
	s_cbranch_vccnz .LBB119_1435
; %bb.1434:
	s_waitcnt vmcnt(0)
	global_load_ubyte v6, v[4:5], off
.LBB119_1435:
	s_or_b64 s[14:15], s[14:15], exec
.LBB119_1436:
	s_or_b64 exec, exec, s[0:1]
	s_mov_b64 s[18:19], 0
	s_mov_b64 s[16:17], 0
                                        ; implicit-def: $sgpr24
                                        ; implicit-def: $vgpr2_vgpr3
                                        ; implicit-def: $vgpr4
	s_and_saveexec_b64 s[12:13], s[14:15]
	s_cbranch_execz .LBB119_1444
; %bb.1437:
	s_waitcnt vmcnt(0)
	v_lshlrev_b32_sdwa v1, v6, v1 dst_sel:DWORD dst_unused:UNUSED_PAD src0_sel:WORD_0 src1_sel:DWORD
	v_cmp_gt_u16_e32 vcc, 16, v6
	v_cndmask_b32_e32 v4, 0, v1, vcc
	v_mov_b32_e32 v1, s9
	s_and_b32 s24, s69, 0xff
	v_add_co_u32_e32 v2, vcc, s8, v0
	s_cmp_lt_i32 s24, 11
	v_addc_co_u32_e32 v3, vcc, 0, v1, vcc
	s_cbranch_scc1 .LBB119_1447
; %bb.1438:
	s_and_b32 s25, 0xffff, s24
	s_mov_b64 s[14:15], -1
	s_cmp_gt_i32 s25, 25
	s_mov_b64 s[0:1], s[36:37]
	s_cbranch_scc0 .LBB119_1475
; %bb.1439:
	s_mov_b64 s[8:9], -1
	s_cmp_gt_i32 s25, 28
	s_mov_b64 s[0:1], s[36:37]
	s_cbranch_scc0 .LBB119_1459
; %bb.1440:
	s_cmp_gt_i32 s25, 43
	s_mov_b64 s[0:1], s[36:37]
	s_cbranch_scc0 .LBB119_1455
; %bb.1441:
	;; [unrolled: 4-line block ×3, first 2 shown]
	s_cmp_eq_u32 s25, 46
	s_mov_b64 s[0:1], -1
	s_cbranch_scc0 .LBB119_1448
; %bb.1443:
	v_cvt_f32_i32_sdwa v0, sext(v4) dst_sel:DWORD dst_unused:UNUSED_PAD src0_sel:WORD_0
	s_movk_i32 s0, 0x7fff
	s_mov_b64 s[8:9], 0
	v_bfe_u32 v1, v0, 16, 1
	v_add3_u32 v0, v0, v1, s0
	v_lshrrev_b32_e32 v0, 16, v0
	global_store_dword v[2:3], v0, off
	s_mov_b64 s[0:1], 0
	s_branch .LBB119_1449
.LBB119_1444:
	s_or_b64 exec, exec, s[12:13]
	s_and_saveexec_b64 s[0:1], s[36:37]
	s_cbranch_execnz .LBB119_1517
.LBB119_1445:
	s_or_b64 exec, exec, s[0:1]
	s_and_saveexec_b64 s[0:1], s[18:19]
	s_xor_b64 s[0:1], exec, s[0:1]
	s_cbranch_execz .LBB119_1518
.LBB119_1446:
	s_waitcnt vmcnt(0)
	v_cmp_ne_u16_e32 vcc, 0, v4
	v_cndmask_b32_e64 v0, 0, 1, vcc
	global_store_byte v[2:3], v0, off
	s_or_b64 exec, exec, s[0:1]
	s_and_saveexec_b64 s[0:1], s[16:17]
	s_xor_b64 s[0:1], exec, s[0:1]
	s_cbranch_execz .LBB119_1556
	s_branch .LBB119_1519
.LBB119_1447:
	s_mov_b64 s[14:15], 0
	s_mov_b64 s[8:9], -1
	s_mov_b64 s[0:1], s[36:37]
	s_branch .LBB119_1516
.LBB119_1448:
	s_mov_b64 s[8:9], 0
.LBB119_1449:
	s_and_b64 vcc, exec, s[8:9]
	s_cbranch_vccz .LBB119_1454
; %bb.1450:
	s_cmp_eq_u32 s25, 44
	s_mov_b64 s[0:1], -1
	s_cbranch_scc0 .LBB119_1454
; %bb.1451:
	v_cvt_f32_i32_sdwa v0, sext(v4) dst_sel:DWORD dst_unused:UNUSED_PAD src0_sel:WORD_0
	s_movk_i32 s0, 0xff
	v_mov_b32_e32 v5, 0xff
	v_bfe_u32 v1, v0, 23, 8
	v_cmp_ne_u32_e32 vcc, s0, v1
	s_and_saveexec_b64 s[8:9], vcc
; %bb.1452:
	s_mov_b32 s0, 0x3fffff
	v_lshrrev_b32_e32 v5, 23, v0
	v_and_b32_e32 v6, 0x400000, v0
	v_and_or_b32 v0, v0, s0, v1
	v_cmp_ne_u32_e32 vcc, 0, v6
	v_cmp_ne_u32_e64 s[0:1], 0, v0
	s_and_b64 s[0:1], vcc, s[0:1]
	v_cndmask_b32_e64 v0, 0, 1, s[0:1]
	v_add_u32_e32 v5, v5, v0
; %bb.1453:
	s_or_b64 exec, exec, s[8:9]
	s_mov_b64 s[0:1], 0
	global_store_byte v[2:3], v5, off
.LBB119_1454:
	s_mov_b64 s[8:9], 0
.LBB119_1455:
	s_and_b64 vcc, exec, s[8:9]
	s_cbranch_vccz .LBB119_1458
; %bb.1456:
	s_cmp_eq_u32 s25, 29
	s_mov_b64 s[0:1], -1
	s_cbranch_scc0 .LBB119_1458
; %bb.1457:
	v_bfe_i32 v0, v4, 0, 16
	v_ashrrev_i32_e32 v1, 31, v0
	global_store_dwordx2 v[2:3], v[0:1], off
	s_mov_b64 s[0:1], 0
.LBB119_1458:
	s_mov_b64 s[8:9], 0
.LBB119_1459:
	s_and_b64 vcc, exec, s[8:9]
	s_cbranch_vccz .LBB119_1474
; %bb.1460:
	s_cmp_lt_i32 s25, 27
	s_mov_b64 s[8:9], -1
	s_cbranch_scc1 .LBB119_1466
; %bb.1461:
	s_cmp_gt_i32 s25, 27
	s_cbranch_scc0 .LBB119_1463
; %bb.1462:
	v_bfe_i32 v0, v4, 0, 16
	s_mov_b64 s[8:9], 0
	global_store_dword v[2:3], v0, off
.LBB119_1463:
	s_andn2_b64 vcc, exec, s[8:9]
	s_cbranch_vccnz .LBB119_1465
; %bb.1464:
	global_store_short v[2:3], v4, off
.LBB119_1465:
	s_mov_b64 s[8:9], 0
.LBB119_1466:
	s_andn2_b64 vcc, exec, s[8:9]
	s_cbranch_vccnz .LBB119_1474
; %bb.1467:
	v_cvt_f32_i32_sdwa v0, sext(v4) dst_sel:DWORD dst_unused:UNUSED_PAD src0_sel:WORD_0
	s_mov_b32 s8, 0x43800000
	v_mov_b32_e32 v5, 0x80
	v_and_b32_e32 v1, 0x7fffffff, v0
	v_cmp_gt_u32_e32 vcc, s8, v1
	s_and_saveexec_b64 s[8:9], vcc
	s_cbranch_execz .LBB119_1473
; %bb.1468:
	s_mov_b32 s14, 0x3bffffff
	v_cmp_lt_u32_e32 vcc, s14, v1
	s_mov_b64 s[14:15], 0
                                        ; implicit-def: $vgpr1
	s_and_saveexec_b64 s[16:17], vcc
	s_xor_b64 s[16:17], exec, s[16:17]
	s_cbranch_execz .LBB119_1615
; %bb.1469:
	v_bfe_u32 v1, v0, 20, 1
	s_mov_b32 s18, 0x487ffff
	v_add3_u32 v1, v0, v1, s18
	s_mov_b64 s[14:15], exec
	v_lshrrev_b32_e32 v1, 20, v1
	s_andn2_saveexec_b64 s[16:17], s[16:17]
	s_cbranch_execnz .LBB119_1616
.LBB119_1470:
	s_or_b64 exec, exec, s[16:17]
	v_mov_b32_e32 v5, 0
	s_and_saveexec_b64 s[16:17], s[14:15]
.LBB119_1471:
	v_lshrrev_b32_e32 v0, 24, v0
	s_movk_i32 s14, 0x80
	v_and_or_b32 v5, v0, s14, v1
.LBB119_1472:
	s_or_b64 exec, exec, s[16:17]
.LBB119_1473:
	s_or_b64 exec, exec, s[8:9]
	global_store_byte v[2:3], v5, off
.LBB119_1474:
	s_mov_b64 s[14:15], 0
.LBB119_1475:
	s_mov_b64 s[8:9], 0
	s_and_b64 vcc, exec, s[14:15]
	s_cbranch_vccz .LBB119_1515
; %bb.1476:
	s_cmp_gt_i32 s25, 22
	s_mov_b64 s[14:15], -1
	s_cbranch_scc0 .LBB119_1508
; %bb.1477:
	s_cmp_lt_i32 s25, 24
	s_cbranch_scc1 .LBB119_1497
; %bb.1478:
	s_cmp_gt_i32 s25, 24
	s_cbranch_scc0 .LBB119_1486
; %bb.1479:
	v_cvt_f32_i32_sdwa v0, sext(v4) dst_sel:DWORD dst_unused:UNUSED_PAD src0_sel:WORD_0
	s_mov_b32 s14, 0x47800000
	v_mov_b32_e32 v5, 0x80
	v_and_b32_e32 v1, 0x7fffffff, v0
	v_cmp_gt_u32_e32 vcc, s14, v1
	s_and_saveexec_b64 s[14:15], vcc
	s_cbranch_execz .LBB119_1485
; %bb.1480:
	s_mov_b32 s16, 0x37ffffff
	v_cmp_lt_u32_e32 vcc, s16, v1
	s_mov_b64 s[16:17], 0
                                        ; implicit-def: $vgpr1
	s_and_saveexec_b64 s[18:19], vcc
	s_xor_b64 s[18:19], exec, s[18:19]
	s_cbranch_execz .LBB119_1735
; %bb.1481:
	v_bfe_u32 v1, v0, 21, 1
	s_mov_b32 s26, 0x88fffff
	v_add3_u32 v1, v0, v1, s26
	s_mov_b64 s[16:17], exec
	v_lshrrev_b32_e32 v1, 21, v1
	s_andn2_saveexec_b64 s[18:19], s[18:19]
	s_cbranch_execnz .LBB119_1736
.LBB119_1482:
	s_or_b64 exec, exec, s[18:19]
	v_mov_b32_e32 v5, 0
	s_and_saveexec_b64 s[18:19], s[16:17]
.LBB119_1483:
	v_lshrrev_b32_e32 v0, 24, v0
	s_movk_i32 s16, 0x80
	v_and_or_b32 v5, v0, s16, v1
.LBB119_1484:
	s_or_b64 exec, exec, s[18:19]
.LBB119_1485:
	s_or_b64 exec, exec, s[14:15]
	s_mov_b64 s[14:15], 0
	global_store_byte v[2:3], v5, off
.LBB119_1486:
	s_and_b64 vcc, exec, s[14:15]
	s_cbranch_vccz .LBB119_1496
; %bb.1487:
	v_cvt_f32_i32_sdwa v0, sext(v4) dst_sel:DWORD dst_unused:UNUSED_PAD src0_sel:WORD_0
	s_mov_b32 s14, 0x43f00000
                                        ; implicit-def: $vgpr1
	v_and_b32_e32 v5, 0x7fffffff, v0
	v_cmp_gt_u32_e32 vcc, s14, v5
	s_and_saveexec_b64 s[14:15], vcc
	s_xor_b64 s[14:15], exec, s[14:15]
	s_cbranch_execz .LBB119_1493
; %bb.1488:
	s_mov_b32 s16, 0x3c7fffff
	v_cmp_lt_u32_e32 vcc, s16, v5
                                        ; implicit-def: $vgpr1
	s_and_saveexec_b64 s[16:17], vcc
	s_xor_b64 s[16:17], exec, s[16:17]
; %bb.1489:
	v_bfe_u32 v1, v0, 20, 1
	s_mov_b32 s18, 0x407ffff
	v_add3_u32 v1, v0, v1, s18
	v_lshrrev_b32_e32 v5, 20, v1
	v_and_b32_e32 v1, 0xff00000, v1
	s_mov_b32 s18, 0x7f00000
	v_mov_b32_e32 v6, 0x7e
	v_cmp_ne_u32_e32 vcc, s18, v1
	v_cndmask_b32_e32 v1, v6, v5, vcc
; %bb.1490:
	s_andn2_saveexec_b64 s[16:17], s[16:17]
; %bb.1491:
	s_mov_b32 s18, 0x46800000
	v_add_f32_e64 v1, |v0|, s18
; %bb.1492:
	s_or_b64 exec, exec, s[16:17]
                                        ; implicit-def: $vgpr5
.LBB119_1493:
	s_andn2_saveexec_b64 s[14:15], s[14:15]
; %bb.1494:
	s_mov_b32 s16, 0x7f800000
	v_mov_b32_e32 v1, 0x7e
	v_mov_b32_e32 v6, 0x7f
	v_cmp_lt_u32_e32 vcc, s16, v5
	v_cndmask_b32_e32 v1, v1, v6, vcc
; %bb.1495:
	s_or_b64 exec, exec, s[14:15]
	v_lshrrev_b32_e32 v0, 24, v0
	s_movk_i32 s14, 0x80
	v_and_or_b32 v0, v0, s14, v1
	global_store_byte v[2:3], v0, off
.LBB119_1496:
	s_mov_b64 s[14:15], 0
.LBB119_1497:
	s_andn2_b64 vcc, exec, s[14:15]
	s_cbranch_vccnz .LBB119_1507
; %bb.1498:
	v_cvt_f32_i32_sdwa v0, sext(v4) dst_sel:DWORD dst_unused:UNUSED_PAD src0_sel:WORD_0
	s_mov_b32 s14, 0x47800000
                                        ; implicit-def: $vgpr1
	v_and_b32_e32 v5, 0x7fffffff, v0
	v_cmp_gt_u32_e32 vcc, s14, v5
	s_and_saveexec_b64 s[14:15], vcc
	s_xor_b64 s[14:15], exec, s[14:15]
	s_cbranch_execz .LBB119_1504
; %bb.1499:
	s_mov_b32 s16, 0x387fffff
	v_cmp_lt_u32_e32 vcc, s16, v5
                                        ; implicit-def: $vgpr1
	s_and_saveexec_b64 s[16:17], vcc
	s_xor_b64 s[16:17], exec, s[16:17]
; %bb.1500:
	v_bfe_u32 v1, v0, 21, 1
	s_mov_b32 s18, 0x80fffff
	v_add3_u32 v1, v0, v1, s18
	v_lshrrev_b32_e32 v1, 21, v1
; %bb.1501:
	s_andn2_saveexec_b64 s[16:17], s[16:17]
; %bb.1502:
	s_mov_b32 s18, 0x43000000
	v_add_f32_e64 v1, |v0|, s18
; %bb.1503:
	s_or_b64 exec, exec, s[16:17]
                                        ; implicit-def: $vgpr5
.LBB119_1504:
	s_andn2_saveexec_b64 s[14:15], s[14:15]
; %bb.1505:
	s_mov_b32 s16, 0x7f800000
	v_mov_b32_e32 v1, 0x7c
	v_mov_b32_e32 v6, 0x7f
	v_cmp_lt_u32_e32 vcc, s16, v5
	v_cndmask_b32_e32 v1, v1, v6, vcc
; %bb.1506:
	s_or_b64 exec, exec, s[14:15]
	v_lshrrev_b32_e32 v0, 24, v0
	s_movk_i32 s14, 0x80
	v_and_or_b32 v0, v0, s14, v1
	global_store_byte v[2:3], v0, off
.LBB119_1507:
	s_mov_b64 s[14:15], 0
.LBB119_1508:
	s_andn2_b64 vcc, exec, s[14:15]
	s_mov_b64 s[14:15], 0
	s_cbranch_vccnz .LBB119_1516
; %bb.1509:
	s_cmp_gt_i32 s25, 14
	s_mov_b64 s[16:17], -1
	s_cbranch_scc0 .LBB119_1513
; %bb.1510:
	s_cmp_eq_u32 s25, 15
	s_mov_b64 s[0:1], -1
	s_cbranch_scc0 .LBB119_1512
; %bb.1511:
	v_cvt_f32_i32_sdwa v0, sext(v4) dst_sel:DWORD dst_unused:UNUSED_PAD src0_sel:WORD_0
	s_movk_i32 s0, 0x7fff
	v_bfe_u32 v1, v0, 16, 1
	v_add3_u32 v0, v0, v1, s0
	global_store_short_d16_hi v[2:3], v0, off
	s_mov_b64 s[0:1], 0
.LBB119_1512:
	s_mov_b64 s[16:17], 0
.LBB119_1513:
	s_and_b64 vcc, exec, s[16:17]
	s_cbranch_vccz .LBB119_1516
; %bb.1514:
	s_cmp_lg_u32 s25, 11
	s_cselect_b64 s[16:17], -1, 0
	s_andn2_b64 s[0:1], s[0:1], exec
	s_and_b64 s[16:17], s[16:17], exec
	s_mov_b64 s[14:15], -1
	s_or_b64 s[0:1], s[0:1], s[16:17]
	s_branch .LBB119_1516
.LBB119_1515:
	s_mov_b64 s[14:15], 0
.LBB119_1516:
	s_and_b64 s[16:17], s[8:9], exec
	s_andn2_b64 s[8:9], s[36:37], exec
	s_and_b64 s[0:1], s[0:1], exec
	s_and_b64 s[18:19], s[14:15], exec
	s_or_b64 s[36:37], s[8:9], s[0:1]
	s_or_b64 exec, exec, s[12:13]
	s_and_saveexec_b64 s[0:1], s[36:37]
	s_cbranch_execz .LBB119_1445
.LBB119_1517:
	s_or_b64 s[10:11], s[10:11], exec
	s_andn2_b64 s[18:19], s[18:19], exec
	s_trap 2
	s_or_b64 exec, exec, s[0:1]
	s_and_saveexec_b64 s[0:1], s[18:19]
	s_xor_b64 s[0:1], exec, s[0:1]
	s_cbranch_execnz .LBB119_1446
.LBB119_1518:
	s_or_b64 exec, exec, s[0:1]
	s_and_saveexec_b64 s[0:1], s[16:17]
	s_xor_b64 s[0:1], exec, s[0:1]
	s_cbranch_execz .LBB119_1556
.LBB119_1519:
	s_sext_i32_i16 s12, s24
	s_cmp_lt_i32 s12, 5
	s_mov_b64 s[8:9], -1
	s_cbranch_scc1 .LBB119_1540
; %bb.1520:
	s_cmp_lt_i32 s12, 8
	s_cbranch_scc1 .LBB119_1530
; %bb.1521:
	s_cmp_lt_i32 s12, 9
	s_cbranch_scc1 .LBB119_1527
; %bb.1522:
	s_cmp_gt_i32 s12, 9
	s_cbranch_scc0 .LBB119_1524
; %bb.1523:
	s_waitcnt vmcnt(0)
	v_bfe_i32 v0, v4, 0, 16
	v_cvt_f64_i32_e32 v[5:6], v0
	v_mov_b32_e32 v7, 0
	v_mov_b32_e32 v8, v7
	s_mov_b64 s[8:9], 0
	global_store_dwordx4 v[2:3], v[5:8], off
.LBB119_1524:
	s_andn2_b64 vcc, exec, s[8:9]
	s_cbranch_vccnz .LBB119_1526
; %bb.1525:
	s_waitcnt vmcnt(0)
	v_cvt_f32_i32_sdwa v0, sext(v4) dst_sel:DWORD dst_unused:UNUSED_PAD src0_sel:WORD_0
	v_mov_b32_e32 v1, 0
	global_store_dwordx2 v[2:3], v[0:1], off
.LBB119_1526:
	s_mov_b64 s[8:9], 0
.LBB119_1527:
	s_andn2_b64 vcc, exec, s[8:9]
	s_cbranch_vccnz .LBB119_1529
; %bb.1528:
	s_waitcnt vmcnt(0)
	v_cvt_f16_i16_e32 v0, v4
	global_store_dword v[2:3], v0, off
.LBB119_1529:
	s_mov_b64 s[8:9], 0
.LBB119_1530:
	s_andn2_b64 vcc, exec, s[8:9]
	s_cbranch_vccnz .LBB119_1539
; %bb.1531:
	s_sext_i32_i16 s12, s24
	s_cmp_lt_i32 s12, 6
	s_mov_b64 s[8:9], -1
	s_cbranch_scc1 .LBB119_1537
; %bb.1532:
	s_cmp_gt_i32 s12, 6
	s_cbranch_scc0 .LBB119_1534
; %bb.1533:
	s_waitcnt vmcnt(0)
	v_bfe_i32 v0, v4, 0, 16
	v_cvt_f64_i32_e32 v[0:1], v0
	s_mov_b64 s[8:9], 0
	global_store_dwordx2 v[2:3], v[0:1], off
.LBB119_1534:
	s_andn2_b64 vcc, exec, s[8:9]
	s_cbranch_vccnz .LBB119_1536
; %bb.1535:
	s_waitcnt vmcnt(0)
	v_cvt_f32_i32_sdwa v0, sext(v4) dst_sel:DWORD dst_unused:UNUSED_PAD src0_sel:WORD_0
	global_store_dword v[2:3], v0, off
.LBB119_1536:
	s_mov_b64 s[8:9], 0
.LBB119_1537:
	s_andn2_b64 vcc, exec, s[8:9]
	s_cbranch_vccnz .LBB119_1539
; %bb.1538:
	s_waitcnt vmcnt(0)
	v_cvt_f16_i16_e32 v0, v4
	global_store_short v[2:3], v0, off
.LBB119_1539:
	s_mov_b64 s[8:9], 0
.LBB119_1540:
	s_andn2_b64 vcc, exec, s[8:9]
	s_cbranch_vccnz .LBB119_1556
; %bb.1541:
	s_sext_i32_i16 s12, s24
	s_cmp_lt_i32 s12, 2
	s_mov_b64 s[8:9], -1
	s_cbranch_scc1 .LBB119_1551
; %bb.1542:
	s_cmp_lt_i32 s12, 3
	s_cbranch_scc1 .LBB119_1548
; %bb.1543:
	s_cmp_gt_i32 s12, 3
	s_waitcnt vmcnt(0)
	v_bfe_i32 v0, v4, 0, 16
	s_cbranch_scc0 .LBB119_1545
; %bb.1544:
	v_ashrrev_i32_e32 v1, 31, v0
	s_mov_b64 s[8:9], 0
	global_store_dwordx2 v[2:3], v[0:1], off
.LBB119_1545:
	s_andn2_b64 vcc, exec, s[8:9]
	s_cbranch_vccnz .LBB119_1547
; %bb.1546:
	global_store_dword v[2:3], v0, off
.LBB119_1547:
	s_mov_b64 s[8:9], 0
.LBB119_1548:
	s_andn2_b64 vcc, exec, s[8:9]
	s_cbranch_vccnz .LBB119_1550
; %bb.1549:
	s_waitcnt vmcnt(0)
	global_store_short v[2:3], v4, off
.LBB119_1550:
	s_mov_b64 s[8:9], 0
.LBB119_1551:
	s_andn2_b64 vcc, exec, s[8:9]
	s_cbranch_vccnz .LBB119_1556
; %bb.1552:
	s_sext_i32_i16 s8, s24
	s_cmp_gt_i32 s8, 0
	s_mov_b64 s[8:9], -1
	s_cbranch_scc0 .LBB119_1554
; %bb.1553:
	s_mov_b64 s[8:9], 0
	s_waitcnt vmcnt(0)
	global_store_byte v[2:3], v4, off
.LBB119_1554:
	s_andn2_b64 vcc, exec, s[8:9]
	s_cbranch_vccnz .LBB119_1556
; %bb.1555:
	s_waitcnt vmcnt(0)
	global_store_byte v[2:3], v4, off
.LBB119_1556:
	s_or_b64 exec, exec, s[0:1]
	s_and_b64 s[12:13], s[10:11], exec
                                        ; implicit-def: $vgpr21
                                        ; implicit-def: $vgpr10
.LBB119_1557:
	s_or_saveexec_b64 s[14:15], s[22:23]
	s_mov_b64 s[0:1], 0
                                        ; implicit-def: $vgpr0_vgpr1
                                        ; implicit-def: $sgpr18
                                        ; implicit-def: $vgpr4
	s_xor_b64 exec, exec, s[14:15]
	s_cbranch_execz .LBB119_3038
; %bb.1558:
	v_cndmask_b32_e64 v0, 0, 1, s[20:21]
	v_cmp_ne_u32_e64 s[0:1], 1, v0
	s_andn2_b64 vcc, exec, s[20:21]
	s_cbranch_vccnz .LBB119_1564
; %bb.1559:
	s_cmp_lg_u32 s33, 0
	s_cbranch_scc0 .LBB119_1565
; %bb.1560:
	s_min_u32 s8, s68, 15
	s_add_i32 s6, s8, 1
	s_and_b32 s9, s6, 30
	s_add_u32 s6, s2, 0xffffffe8
	s_addc_u32 s7, s3, -1
	v_mov_b32_e32 v13, 0
	v_mov_b32_e32 v8, 0
	s_waitcnt vmcnt(0)
	v_mov_b32_e32 v6, 0
	v_mov_b32_e32 v0, v10
.LBB119_1561:                           ; =>This Inner Loop Header: Depth=1
	s_load_dwordx4 s[16:19], s[6:7], 0x1c
	s_load_dwordx2 s[10:11], s[6:7], 0x2c
	s_load_dwordx2 s[24:25], s[6:7], 0xec
	s_load_dwordx4 s[20:23], s[6:7], 0xdc
	s_add_u32 s6, s6, 24
	s_waitcnt lgkmcnt(0)
	v_mul_hi_u32 v1, s17, v0
	s_addc_u32 s7, s7, 0
	s_add_i32 s9, s9, -2
	s_cmp_lg_u32 s9, 0
	v_add_u32_e32 v1, v0, v1
	v_lshrrev_b32_e32 v1, s18, v1
	v_mul_lo_u32 v2, v1, s16
	v_mul_hi_u32 v3, s10, v1
	v_sub_u32_e32 v2, v0, v2
	v_add_u32_e32 v0, v1, v3
	v_lshrrev_b32_e32 v0, s11, v0
	v_mul_lo_u32 v5, v0, s19
	v_mul_lo_u32 v3, v2, s20
	;; [unrolled: 1-line block ×4, first 2 shown]
	v_sub_u32_e32 v1, v1, v5
	v_mul_lo_u32 v5, v1, s23
	v_mul_lo_u32 v7, v1, s24
	;; [unrolled: 1-line block ×3, first 2 shown]
	v_add3_u32 v6, v3, v6, v5
	v_add3_u32 v8, v4, v8, v7
	;; [unrolled: 1-line block ×3, first 2 shown]
	s_cbranch_scc1 .LBB119_1561
; %bb.1562:
	s_bitcmp1_b32 s8, 0
	s_cselect_b64 s[8:9], -1, 0
	s_and_b64 vcc, exec, s[8:9]
	s_cbranch_vccnz .LBB119_1566
; %bb.1563:
	s_load_dwordx2 s[8:9], s[6:7], 0x1c
	s_load_dword s16, s[6:7], 0x24
	s_load_dwordx2 s[10:11], s[6:7], 0xdc
	s_waitcnt lgkmcnt(0)
	v_mul_hi_u32 v1, s9, v0
	v_add_u32_e32 v1, v0, v1
	v_lshrrev_b32_e32 v1, s16, v1
	v_mul_lo_u32 v1, v1, s8
	s_load_dword s8, s[6:7], 0xe4
	v_sub_u32_e32 v0, v0, v1
	v_mad_u64_u32 v[6:7], s[6:7], v0, s10, v[6:7]
	v_mad_u64_u32 v[8:9], s[6:7], v0, s11, v[8:9]
	s_waitcnt lgkmcnt(0)
	v_mad_u64_u32 v[13:14], s[6:7], v0, s8, v[13:14]
	s_cbranch_execz .LBB119_1567
	s_branch .LBB119_1569
.LBB119_1564:
                                        ; implicit-def: $vgpr6
                                        ; implicit-def: $vgpr8
                                        ; implicit-def: $vgpr13
	s_branch .LBB119_1567
.LBB119_1565:
	s_waitcnt vmcnt(0)
	v_mov_b32_e32 v6, 0
	v_mov_b32_e32 v8, 0
	;; [unrolled: 1-line block ×3, first 2 shown]
.LBB119_1566:
	s_cbranch_execnz .LBB119_1569
.LBB119_1567:
	s_load_dwordx4 s[8:11], s[2:3], 0x4
	s_load_dwordx4 s[16:19], s[2:3], 0xc4
	s_cmp_lt_u32 s33, 2
	s_waitcnt lgkmcnt(0)
	v_mul_hi_u32 v0, s9, v10
	v_add_u32_e32 v0, v10, v0
	v_lshrrev_b32_e32 v0, s10, v0
	s_waitcnt vmcnt(0)
	v_mul_lo_u32 v1, v0, s8
	v_sub_u32_e32 v1, v10, v1
	v_mul_lo_u32 v6, v1, s16
	v_mul_lo_u32 v8, v1, s17
	;; [unrolled: 1-line block ×3, first 2 shown]
	s_cbranch_scc1 .LBB119_1569
; %bb.1568:
	s_load_dwordx4 s[8:11], s[2:3], 0x10
	s_load_dwordx4 s[16:19], s[2:3], 0xd0
	s_waitcnt lgkmcnt(0)
	v_mul_hi_u32 v1, s9, v0
	v_add_u32_e32 v1, v0, v1
	v_lshrrev_b32_e32 v1, s10, v1
	v_mul_lo_u32 v1, v1, s8
	v_sub_u32_e32 v0, v0, v1
	v_mad_u64_u32 v[6:7], s[6:7], v0, s16, v[6:7]
	v_mad_u64_u32 v[8:9], s[6:7], v0, s17, v[8:9]
	v_mad_u64_u32 v[13:14], s[6:7], v0, s18, v[13:14]
.LBB119_1569:
	s_and_b64 vcc, exec, s[0:1]
	v_add_u32_e32 v0, 0x80, v10
	s_cbranch_vccnz .LBB119_1575
; %bb.1570:
	s_cmp_lg_u32 s33, 0
	s_cbranch_scc0 .LBB119_1576
; %bb.1571:
	s_min_u32 s8, s68, 15
	s_add_i32 s6, s8, 1
	s_and_b32 s9, s6, 30
	s_add_u32 s6, s2, 0xffffffe8
	s_addc_u32 s7, s3, -1
	v_mov_b32_e32 v18, 0
	v_mov_b32_e32 v11, 0
	s_waitcnt vmcnt(0)
	v_mov_b32_e32 v4, 0
	v_mov_b32_e32 v1, v0
.LBB119_1572:                           ; =>This Inner Loop Header: Depth=1
	s_load_dwordx4 s[16:19], s[6:7], 0x1c
	s_load_dwordx2 s[10:11], s[6:7], 0x2c
	s_load_dwordx2 s[24:25], s[6:7], 0xec
	s_load_dwordx4 s[20:23], s[6:7], 0xdc
	s_add_u32 s6, s6, 24
	s_waitcnt lgkmcnt(0)
	v_mul_hi_u32 v2, s17, v1
	s_addc_u32 s7, s7, 0
	s_add_i32 s9, s9, -2
	s_cmp_lg_u32 s9, 0
	v_add_u32_e32 v2, v1, v2
	v_lshrrev_b32_e32 v2, s18, v2
	v_mul_lo_u32 v3, v2, s16
	v_mul_hi_u32 v5, s10, v2
	v_sub_u32_e32 v3, v1, v3
	v_add_u32_e32 v1, v2, v5
	v_lshrrev_b32_e32 v1, s11, v1
	v_mul_lo_u32 v9, v1, s19
	v_mul_lo_u32 v5, v3, s20
	;; [unrolled: 1-line block ×4, first 2 shown]
	v_sub_u32_e32 v2, v2, v9
	v_mul_lo_u32 v9, v2, s23
	v_mul_lo_u32 v12, v2, s24
	;; [unrolled: 1-line block ×3, first 2 shown]
	v_add3_u32 v4, v5, v4, v9
	v_add3_u32 v11, v7, v11, v12
	;; [unrolled: 1-line block ×3, first 2 shown]
	s_cbranch_scc1 .LBB119_1572
; %bb.1573:
	s_bitcmp1_b32 s8, 0
	s_cselect_b64 s[8:9], -1, 0
	s_and_b64 vcc, exec, s[8:9]
	s_cbranch_vccnz .LBB119_1577
; %bb.1574:
	s_load_dwordx2 s[8:9], s[6:7], 0x1c
	s_load_dword s16, s[6:7], 0x24
	s_load_dwordx2 s[10:11], s[6:7], 0xdc
	s_waitcnt lgkmcnt(0)
	v_mul_hi_u32 v2, s9, v1
	v_add_u32_e32 v2, v1, v2
	v_lshrrev_b32_e32 v2, s16, v2
	v_mul_lo_u32 v2, v2, s8
	s_load_dword s8, s[6:7], 0xe4
	v_sub_u32_e32 v1, v1, v2
	v_mad_u64_u32 v[4:5], s[6:7], v1, s10, v[4:5]
	v_mad_u64_u32 v[11:12], s[6:7], v1, s11, v[11:12]
	s_waitcnt lgkmcnt(0)
	v_mad_u64_u32 v[18:19], s[6:7], v1, s8, v[18:19]
	s_cbranch_execz .LBB119_1578
	s_branch .LBB119_1580
.LBB119_1575:
                                        ; implicit-def: $vgpr4
                                        ; implicit-def: $vgpr11
                                        ; implicit-def: $vgpr18
	s_branch .LBB119_1578
.LBB119_1576:
	s_waitcnt vmcnt(0)
	v_mov_b32_e32 v4, 0
	v_mov_b32_e32 v11, 0
	;; [unrolled: 1-line block ×3, first 2 shown]
.LBB119_1577:
	s_cbranch_execnz .LBB119_1580
.LBB119_1578:
	s_load_dwordx4 s[8:11], s[2:3], 0x4
	s_load_dwordx4 s[16:19], s[2:3], 0xc4
	s_cmp_lt_u32 s33, 2
	s_waitcnt vmcnt(0) lgkmcnt(0)
	v_mul_hi_u32 v1, s9, v0
	v_add_u32_e32 v1, v0, v1
	v_lshrrev_b32_e32 v1, s10, v1
	v_mul_lo_u32 v2, v1, s8
	v_sub_u32_e32 v0, v0, v2
	v_mul_lo_u32 v4, v0, s16
	v_mul_lo_u32 v11, v0, s17
	;; [unrolled: 1-line block ×3, first 2 shown]
	s_cbranch_scc1 .LBB119_1580
; %bb.1579:
	s_load_dwordx4 s[8:11], s[2:3], 0x10
	s_load_dwordx4 s[16:19], s[2:3], 0xd0
	s_waitcnt lgkmcnt(0)
	v_mul_hi_u32 v0, s9, v1
	v_add_u32_e32 v0, v1, v0
	v_lshrrev_b32_e32 v0, s10, v0
	v_mul_lo_u32 v0, v0, s8
	v_sub_u32_e32 v0, v1, v0
	v_mad_u64_u32 v[4:5], s[6:7], v0, s16, v[4:5]
	v_mad_u64_u32 v[11:12], s[6:7], v0, s17, v[11:12]
	;; [unrolled: 1-line block ×3, first 2 shown]
.LBB119_1580:
	s_and_b64 vcc, exec, s[0:1]
	v_add_u32_e32 v0, 0x100, v10
	s_cbranch_vccnz .LBB119_1586
; %bb.1581:
	s_cmp_lg_u32 s33, 0
	s_cbranch_scc0 .LBB119_1587
; %bb.1582:
	s_min_u32 s8, s68, 15
	s_add_i32 s6, s8, 1
	s_and_b32 s9, s6, 30
	s_add_u32 s6, s2, 0xffffffe8
	s_addc_u32 s7, s3, -1
	v_mov_b32_e32 v19, 0
	v_mov_b32_e32 v16, 0
	s_waitcnt vmcnt(0)
	v_mov_b32_e32 v2, 0
	v_mov_b32_e32 v1, v0
.LBB119_1583:                           ; =>This Inner Loop Header: Depth=1
	s_load_dwordx4 s[16:19], s[6:7], 0x1c
	s_load_dwordx2 s[10:11], s[6:7], 0x2c
	s_load_dwordx2 s[24:25], s[6:7], 0xec
	s_load_dwordx4 s[20:23], s[6:7], 0xdc
	s_add_u32 s6, s6, 24
	s_waitcnt lgkmcnt(0)
	v_mul_hi_u32 v3, s17, v1
	s_addc_u32 s7, s7, 0
	s_add_i32 s9, s9, -2
	s_cmp_lg_u32 s9, 0
	v_add_u32_e32 v3, v1, v3
	v_lshrrev_b32_e32 v3, s18, v3
	v_mul_lo_u32 v5, v3, s16
	v_mul_hi_u32 v7, s10, v3
	v_sub_u32_e32 v5, v1, v5
	v_add_u32_e32 v1, v3, v7
	v_lshrrev_b32_e32 v1, s11, v1
	v_mul_lo_u32 v10, v1, s19
	v_mul_lo_u32 v7, v5, s20
	v_mul_lo_u32 v9, v5, s21
	v_mul_lo_u32 v5, v5, s22
	v_sub_u32_e32 v3, v3, v10
	v_mul_lo_u32 v10, v3, s23
	v_mul_lo_u32 v12, v3, s24
	;; [unrolled: 1-line block ×3, first 2 shown]
	v_add3_u32 v2, v7, v2, v10
	v_add3_u32 v16, v9, v16, v12
	;; [unrolled: 1-line block ×3, first 2 shown]
	s_cbranch_scc1 .LBB119_1583
; %bb.1584:
	s_bitcmp1_b32 s8, 0
	s_cselect_b64 s[8:9], -1, 0
	s_and_b64 vcc, exec, s[8:9]
	s_cbranch_vccnz .LBB119_1588
; %bb.1585:
	s_load_dwordx2 s[8:9], s[6:7], 0x1c
	s_load_dword s16, s[6:7], 0x24
	s_load_dwordx2 s[10:11], s[6:7], 0xdc
	s_waitcnt lgkmcnt(0)
	v_mul_hi_u32 v3, s9, v1
	v_add_u32_e32 v3, v1, v3
	v_lshrrev_b32_e32 v3, s16, v3
	v_mul_lo_u32 v3, v3, s8
	s_load_dword s8, s[6:7], 0xe4
	v_sub_u32_e32 v1, v1, v3
	v_mad_u64_u32 v[2:3], s[6:7], v1, s10, v[2:3]
	v_mad_u64_u32 v[16:17], s[6:7], v1, s11, v[16:17]
	s_waitcnt lgkmcnt(0)
	v_mad_u64_u32 v[19:20], s[6:7], v1, s8, v[19:20]
	s_cbranch_execz .LBB119_1589
	s_branch .LBB119_1591
.LBB119_1586:
                                        ; implicit-def: $vgpr2
                                        ; implicit-def: $vgpr16
                                        ; implicit-def: $vgpr19
	s_branch .LBB119_1589
.LBB119_1587:
	s_waitcnt vmcnt(0)
	v_mov_b32_e32 v2, 0
	v_mov_b32_e32 v16, 0
	;; [unrolled: 1-line block ×3, first 2 shown]
.LBB119_1588:
	s_cbranch_execnz .LBB119_1591
.LBB119_1589:
	s_load_dwordx4 s[8:11], s[2:3], 0x4
	s_load_dwordx4 s[16:19], s[2:3], 0xc4
	s_cmp_lt_u32 s33, 2
	s_waitcnt vmcnt(0) lgkmcnt(0)
	v_mul_hi_u32 v1, s9, v0
	v_add_u32_e32 v1, v0, v1
	v_lshrrev_b32_e32 v1, s10, v1
	v_mul_lo_u32 v2, v1, s8
	v_sub_u32_e32 v0, v0, v2
	v_mul_lo_u32 v2, v0, s16
	v_mul_lo_u32 v16, v0, s17
	;; [unrolled: 1-line block ×3, first 2 shown]
	s_cbranch_scc1 .LBB119_1591
; %bb.1590:
	s_load_dwordx4 s[8:11], s[2:3], 0x10
	s_load_dwordx4 s[16:19], s[2:3], 0xd0
	s_waitcnt lgkmcnt(0)
	v_mul_hi_u32 v0, s9, v1
	v_add_u32_e32 v0, v1, v0
	v_lshrrev_b32_e32 v0, s10, v0
	v_mul_lo_u32 v0, v0, s8
	v_sub_u32_e32 v0, v1, v0
	v_mad_u64_u32 v[2:3], s[6:7], v0, s16, v[2:3]
	v_mad_u64_u32 v[16:17], s[6:7], v0, s17, v[16:17]
	;; [unrolled: 1-line block ×3, first 2 shown]
.LBB119_1591:
	s_and_b64 vcc, exec, s[0:1]
	s_cbranch_vccnz .LBB119_1597
; %bb.1592:
	s_cmp_lg_u32 s33, 0
	s_cbranch_scc0 .LBB119_1598
; %bb.1593:
	s_min_u32 s6, s68, 15
	s_add_i32 s0, s6, 1
	s_and_b32 s7, s0, 30
	s_add_u32 s0, s2, 0xffffffe8
	s_addc_u32 s1, s3, -1
	v_mov_b32_e32 v9, 0
	v_mov_b32_e32 v14, 0
	v_mov_b32_e32 v0, 0
	s_waitcnt vmcnt(0)
	v_mov_b32_e32 v1, v21
.LBB119_1594:                           ; =>This Inner Loop Header: Depth=1
	s_load_dwordx4 s[8:11], s[0:1], 0x1c
	s_load_dwordx2 s[20:21], s[0:1], 0x2c
	s_load_dwordx2 s[22:23], s[0:1], 0xec
	s_load_dwordx4 s[16:19], s[0:1], 0xdc
	s_add_u32 s0, s0, 24
	s_waitcnt lgkmcnt(0)
	v_mul_hi_u32 v3, s9, v1
	s_addc_u32 s1, s1, 0
	s_add_i32 s7, s7, -2
	s_cmp_lg_u32 s7, 0
	v_add_u32_e32 v3, v1, v3
	v_lshrrev_b32_e32 v3, s10, v3
	v_mul_lo_u32 v5, v3, s8
	v_mul_hi_u32 v7, s20, v3
	v_sub_u32_e32 v5, v1, v5
	v_add_u32_e32 v1, v3, v7
	v_lshrrev_b32_e32 v1, s21, v1
	v_mul_lo_u32 v12, v1, s11
	v_mul_lo_u32 v7, v5, s16
	;; [unrolled: 1-line block ×4, first 2 shown]
	v_sub_u32_e32 v3, v3, v12
	v_mul_lo_u32 v12, v3, s19
	v_mul_lo_u32 v15, v3, s22
	v_mul_lo_u32 v3, v3, s23
	v_add3_u32 v0, v7, v0, v12
	v_add3_u32 v14, v10, v14, v15
	v_add3_u32 v9, v5, v9, v3
	s_cbranch_scc1 .LBB119_1594
; %bb.1595:
	s_bitcmp1_b32 s6, 0
	s_cselect_b64 s[6:7], -1, 0
	s_and_b64 vcc, exec, s[6:7]
	s_cbranch_vccnz .LBB119_1599
; %bb.1596:
	s_load_dwordx2 s[6:7], s[0:1], 0x1c
	s_load_dword s10, s[0:1], 0x24
	s_load_dwordx2 s[8:9], s[0:1], 0xdc
	s_waitcnt lgkmcnt(0)
	v_mul_hi_u32 v3, s7, v1
	v_add_u32_e32 v3, v1, v3
	v_lshrrev_b32_e32 v3, s10, v3
	v_mul_lo_u32 v3, v3, s6
	s_load_dword s6, s[0:1], 0xe4
	v_sub_u32_e32 v3, v1, v3
	v_mad_u64_u32 v[0:1], s[0:1], v3, s8, v[0:1]
	v_mad_u64_u32 v[14:15], s[0:1], v3, s9, v[14:15]
	s_waitcnt lgkmcnt(0)
	v_mad_u64_u32 v[9:10], s[0:1], v3, s6, v[9:10]
	s_cbranch_execz .LBB119_1600
	s_branch .LBB119_1602
.LBB119_1597:
                                        ; implicit-def: $vgpr0
                                        ; implicit-def: $vgpr14
                                        ; implicit-def: $vgpr9
	s_branch .LBB119_1600
.LBB119_1598:
	v_mov_b32_e32 v0, 0
	v_mov_b32_e32 v14, 0
	;; [unrolled: 1-line block ×3, first 2 shown]
.LBB119_1599:
	s_cbranch_execnz .LBB119_1602
.LBB119_1600:
	s_load_dwordx4 s[8:11], s[2:3], 0x4
	s_load_dwordx4 s[16:19], s[2:3], 0xc4
	s_cmp_lt_u32 s33, 2
	s_waitcnt lgkmcnt(0)
	v_mul_hi_u32 v0, s9, v21
	v_add_u32_e32 v0, v21, v0
	s_waitcnt vmcnt(0)
	v_lshrrev_b32_e32 v1, s10, v0
	v_mul_lo_u32 v0, v1, s8
	v_sub_u32_e32 v3, v21, v0
	v_mul_lo_u32 v0, v3, s16
	v_mul_lo_u32 v14, v3, s17
	v_mul_lo_u32 v9, v3, s18
	s_cbranch_scc1 .LBB119_1602
; %bb.1601:
	s_load_dwordx4 s[8:11], s[2:3], 0x10
	s_load_dwordx4 s[16:19], s[2:3], 0xd0
	s_waitcnt lgkmcnt(0)
	v_mul_hi_u32 v3, s9, v1
	v_add_u32_e32 v3, v1, v3
	v_lshrrev_b32_e32 v3, s10, v3
	v_mul_lo_u32 v3, v3, s8
	v_sub_u32_e32 v3, v1, v3
	v_mad_u64_u32 v[0:1], s[0:1], v3, s16, v[0:1]
	v_mad_u64_u32 v[14:15], s[0:1], v3, s17, v[14:15]
	v_mad_u64_u32 v[9:10], s[0:1], v3, s18, v[9:10]
.LBB119_1602:
	s_load_dwordx4 s[8:11], s[2:3], 0x188
	s_load_dword s20, s[4:5], 0x1a8
	s_waitcnt vmcnt(0) lgkmcnt(0)
	v_mov_b32_e32 v1, s11
	s_bfe_u32 s18, s20, 0x80010
	v_add_co_u32_e32 v20, vcc, s10, v8
	s_cmp_lt_i32 s18, 11
	v_addc_co_u32_e32 v21, vcc, 0, v1, vcc
	s_cbranch_scc1 .LBB119_1609
; %bb.1603:
	s_and_b32 s19, 0xffff, s18
	s_cmp_gt_i32 s19, 25
	s_mov_b64 s[6:7], 0
	s_cbranch_scc0 .LBB119_1611
; %bb.1604:
	s_cmp_gt_i32 s19, 28
	s_cbranch_scc0 .LBB119_1612
; %bb.1605:
	s_cmp_gt_i32 s19, 43
	;; [unrolled: 3-line block ×3, first 2 shown]
	s_cbranch_scc0 .LBB119_1614
; %bb.1607:
	s_cmp_eq_u32 s19, 46
	s_mov_b64 s[4:5], 0
	s_cbranch_scc0 .LBB119_1617
; %bb.1608:
	global_load_dword v1, v[20:21], off
	s_mov_b64 s[0:1], 0
	s_mov_b64 s[16:17], -1
	s_waitcnt vmcnt(0)
	v_lshlrev_b32_e32 v1, 16, v1
	v_cvt_i32_f32_e32 v7, v1
	s_branch .LBB119_1618
.LBB119_1609:
	s_mov_b64 s[16:17], 0
                                        ; implicit-def: $vgpr7
	s_mov_b64 s[4:5], s[12:13]
	s_cbranch_execnz .LBB119_1676
.LBB119_1610:
	s_andn2_b64 vcc, exec, s[16:17]
	s_cbranch_vccz .LBB119_1721
	s_branch .LBB119_3036
.LBB119_1611:
	s_mov_b64 s[16:17], 0
	s_mov_b64 s[0:1], 0
                                        ; implicit-def: $vgpr7
	s_cbranch_execnz .LBB119_1643
	s_branch .LBB119_1672
.LBB119_1612:
	s_mov_b64 s[16:17], 0
	s_mov_b64 s[0:1], 0
                                        ; implicit-def: $vgpr7
	s_cbranch_execz .LBB119_1642
	s_branch .LBB119_1627
.LBB119_1613:
	s_mov_b64 s[16:17], 0
	s_mov_b64 s[0:1], 0
                                        ; implicit-def: $vgpr7
	s_cbranch_execnz .LBB119_1623
	s_branch .LBB119_1626
.LBB119_1614:
	s_mov_b64 s[4:5], -1
	s_mov_b64 s[16:17], 0
	s_mov_b64 s[0:1], 0
                                        ; implicit-def: $vgpr7
	s_branch .LBB119_1618
.LBB119_1615:
	s_andn2_saveexec_b64 s[16:17], s[16:17]
	s_cbranch_execz .LBB119_1470
.LBB119_1616:
	s_mov_b32 s18, 0x46000000
	v_add_f32_e64 v1, |v0|, s18
	v_and_b32_e32 v1, 0xff, v1
	v_cmp_ne_u32_e32 vcc, 0, v1
	s_andn2_b64 s[14:15], s[14:15], exec
	s_and_b64 s[18:19], vcc, exec
	s_or_b64 s[14:15], s[14:15], s[18:19]
	s_or_b64 exec, exec, s[16:17]
	v_mov_b32_e32 v5, 0
	s_and_saveexec_b64 s[16:17], s[14:15]
	s_cbranch_execnz .LBB119_1471
	s_branch .LBB119_1472
.LBB119_1617:
	s_mov_b64 s[0:1], -1
                                        ; implicit-def: $vgpr7
	s_mov_b64 s[16:17], 0
.LBB119_1618:
	s_and_b64 vcc, exec, s[4:5]
	s_cbranch_vccz .LBB119_1621
; %bb.1619:
	s_cmp_eq_u32 s19, 44
	s_cbranch_scc0 .LBB119_1622
; %bb.1620:
	global_load_ubyte v1, v[20:21], off
	s_mov_b64 s[0:1], 0
	s_mov_b64 s[16:17], -1
	s_waitcnt vmcnt(0)
	v_lshlrev_b32_e32 v3, 23, v1
	v_cvt_i32_f32_e32 v3, v3
	v_cmp_ne_u32_e32 vcc, 0, v1
	v_cndmask_b32_e32 v7, 0, v3, vcc
.LBB119_1621:
	s_branch .LBB119_1626
.LBB119_1622:
	s_mov_b64 s[0:1], -1
                                        ; implicit-def: $vgpr7
	s_branch .LBB119_1626
.LBB119_1623:
	s_cmp_eq_u32 s19, 29
	s_cbranch_scc0 .LBB119_1625
; %bb.1624:
	global_load_dwordx2 v[7:8], v[20:21], off
	s_mov_b64 s[0:1], 0
	s_mov_b64 s[16:17], -1
	s_branch .LBB119_1626
.LBB119_1625:
	s_mov_b64 s[0:1], -1
                                        ; implicit-def: $vgpr7
.LBB119_1626:
	s_branch .LBB119_1642
.LBB119_1627:
	s_cmp_lt_i32 s19, 27
	s_cbranch_scc1 .LBB119_1630
; %bb.1628:
	s_cmp_gt_i32 s19, 27
	s_cbranch_scc0 .LBB119_1631
; %bb.1629:
	global_load_dword v7, v[20:21], off
	s_mov_b64 s[4:5], 0
	s_branch .LBB119_1632
.LBB119_1630:
	s_mov_b64 s[4:5], -1
                                        ; implicit-def: $vgpr7
	s_branch .LBB119_1635
.LBB119_1631:
	s_mov_b64 s[4:5], -1
                                        ; implicit-def: $vgpr7
.LBB119_1632:
	s_andn2_b64 vcc, exec, s[4:5]
	s_cbranch_vccnz .LBB119_1634
; %bb.1633:
	global_load_ushort v7, v[20:21], off
.LBB119_1634:
	s_mov_b64 s[4:5], 0
.LBB119_1635:
	s_andn2_b64 vcc, exec, s[4:5]
	s_cbranch_vccnz .LBB119_1641
; %bb.1636:
	global_load_ubyte v1, v[20:21], off
	s_movk_i32 s4, 0x7f
	s_mov_b64 s[16:17], 0
	s_waitcnt vmcnt(0)
	v_cmp_lt_i16_e32 vcc, s4, v1
	s_and_saveexec_b64 s[4:5], vcc
	s_xor_b64 s[4:5], exec, s[4:5]
	s_cbranch_execz .LBB119_1652
; %bb.1637:
	s_movk_i32 s16, 0x80
	v_cmp_ne_u16_e32 vcc, s16, v1
	s_and_b64 s[16:17], vcc, exec
	s_andn2_saveexec_b64 s[4:5], s[4:5]
	s_cbranch_execnz .LBB119_1653
.LBB119_1638:
	s_or_b64 exec, exec, s[4:5]
	v_mov_b32_e32 v7, 0
	s_and_saveexec_b64 s[4:5], s[16:17]
	s_cbranch_execz .LBB119_1640
.LBB119_1639:
	v_lshlrev_b32_e32 v3, 24, v1
	v_and_b32_e32 v1, 0xffff, v1
	v_and_b32_e32 v5, 7, v1
	v_ffbh_u32_e32 v8, v5
	v_min_u32_e32 v8, 32, v8
	v_subrev_u32_e32 v10, 28, v8
	v_bfe_u32 v7, v1, 3, 4
	v_lshlrev_b32_e32 v1, v10, v1
	v_sub_u32_e32 v8, 29, v8
	v_and_b32_e32 v1, 7, v1
	v_cmp_eq_u32_e32 vcc, 0, v7
	v_cndmask_b32_e32 v7, v7, v8, vcc
	v_cndmask_b32_e32 v1, v5, v1, vcc
	v_mov_b32_e32 v5, 0x3b800000
	v_lshlrev_b32_e32 v1, 20, v1
	v_and_b32_e32 v3, 0x80000000, v3
	v_lshl_add_u32 v5, v7, 23, v5
	v_or3_b32 v1, v3, v5, v1
	v_cvt_i32_f32_e32 v7, v1
.LBB119_1640:
	s_or_b64 exec, exec, s[4:5]
.LBB119_1641:
	s_mov_b64 s[16:17], -1
.LBB119_1642:
	s_branch .LBB119_1672
.LBB119_1643:
	s_cmp_gt_i32 s19, 22
	s_cbranch_scc0 .LBB119_1651
; %bb.1644:
	s_cmp_lt_i32 s19, 24
	s_cbranch_scc1 .LBB119_1654
; %bb.1645:
	s_cmp_gt_i32 s19, 24
	s_cbranch_scc0 .LBB119_1655
; %bb.1646:
	global_load_ubyte v1, v[20:21], off
	s_movk_i32 s4, 0x7f
	s_waitcnt vmcnt(0)
	v_cmp_lt_i16_e32 vcc, s4, v1
	s_and_saveexec_b64 s[4:5], vcc
	s_xor_b64 s[4:5], exec, s[4:5]
	s_cbranch_execz .LBB119_1666
; %bb.1647:
	s_movk_i32 s6, 0x80
	v_cmp_ne_u16_e32 vcc, s6, v1
	s_and_b64 s[6:7], vcc, exec
	s_andn2_saveexec_b64 s[4:5], s[4:5]
	s_cbranch_execnz .LBB119_1667
.LBB119_1648:
	s_or_b64 exec, exec, s[4:5]
	v_mov_b32_e32 v7, 0
	s_and_saveexec_b64 s[4:5], s[6:7]
	s_cbranch_execz .LBB119_1650
.LBB119_1649:
	v_lshlrev_b32_e32 v3, 24, v1
	v_and_b32_e32 v1, 0xffff, v1
	v_and_b32_e32 v5, 3, v1
	v_ffbh_u32_e32 v8, v5
	v_min_u32_e32 v8, 32, v8
	v_subrev_u32_e32 v10, 29, v8
	v_bfe_u32 v7, v1, 2, 5
	v_lshlrev_b32_e32 v1, v10, v1
	v_sub_u32_e32 v8, 30, v8
	v_and_b32_e32 v1, 3, v1
	v_cmp_eq_u32_e32 vcc, 0, v7
	v_cndmask_b32_e32 v7, v7, v8, vcc
	v_cndmask_b32_e32 v1, v5, v1, vcc
	v_mov_b32_e32 v5, 0x37800000
	v_lshlrev_b32_e32 v1, 21, v1
	v_and_b32_e32 v3, 0x80000000, v3
	v_lshl_add_u32 v5, v7, 23, v5
	v_or3_b32 v1, v3, v5, v1
	v_cvt_i32_f32_e32 v7, v1
.LBB119_1650:
	s_or_b64 exec, exec, s[4:5]
	s_mov_b64 s[4:5], 0
	s_branch .LBB119_1656
.LBB119_1651:
                                        ; implicit-def: $vgpr7
	s_mov_b64 s[6:7], 0
	s_branch .LBB119_1662
.LBB119_1652:
	s_andn2_saveexec_b64 s[4:5], s[4:5]
	s_cbranch_execz .LBB119_1638
.LBB119_1653:
	v_cmp_ne_u16_e32 vcc, 0, v1
	s_andn2_b64 s[16:17], s[16:17], exec
	s_and_b64 s[22:23], vcc, exec
	s_or_b64 s[16:17], s[16:17], s[22:23]
	s_or_b64 exec, exec, s[4:5]
	v_mov_b32_e32 v7, 0
	s_and_saveexec_b64 s[4:5], s[16:17]
	s_cbranch_execnz .LBB119_1639
	s_branch .LBB119_1640
.LBB119_1654:
	s_mov_b64 s[4:5], -1
                                        ; implicit-def: $vgpr7
	s_branch .LBB119_1659
.LBB119_1655:
	s_mov_b64 s[4:5], -1
                                        ; implicit-def: $vgpr7
.LBB119_1656:
	s_and_b64 vcc, exec, s[4:5]
	s_cbranch_vccz .LBB119_1658
; %bb.1657:
	global_load_ubyte v1, v[20:21], off
	s_mov_b32 s4, 0x7f800000
	s_waitcnt vmcnt(0)
	v_lshlrev_b32_e32 v1, 24, v1
	v_and_b32_e32 v3, 0x7f000000, v1
	v_ffbh_u32_e32 v5, v3
	v_min_u32_e32 v5, 32, v5
	v_sub_u32_e64 v5, v5, 4 clamp
	v_lshlrev_b32_e32 v8, v5, v3
	v_lshlrev_b32_e32 v5, 23, v5
	v_lshrrev_b32_e32 v8, 4, v8
	v_add_u32_e32 v7, 0x1000000, v3
	v_sub_u32_e32 v5, v8, v5
	v_ashrrev_i32_e32 v7, 8, v7
	v_add_u32_e32 v5, 0x3c000000, v5
	v_and_or_b32 v5, v7, s4, v5
	v_cmp_ne_u32_e32 vcc, 0, v3
	v_cndmask_b32_e32 v3, 0, v5, vcc
	s_brev_b32 s4, 1
	v_and_or_b32 v1, v1, s4, v3
	v_cvt_i32_f32_e32 v7, v1
.LBB119_1658:
	s_mov_b64 s[4:5], 0
.LBB119_1659:
	s_andn2_b64 vcc, exec, s[4:5]
	s_cbranch_vccnz .LBB119_1661
; %bb.1660:
	global_load_ubyte v1, v[20:21], off
	s_movk_i32 s4, 0x7f00
	s_brev_b32 s5, 16
	s_waitcnt vmcnt(0)
	v_lshlrev_b16_e32 v3, 8, v1
	v_lshlrev_b32_e32 v1, 25, v1
	v_lshrrev_b32_e32 v5, 4, v1
	v_and_or_b32 v7, v3, s4, 0.5
	v_or_b32_e32 v5, 0x70000000, v5
	v_add_f32_e32 v7, -0.5, v7
	v_mul_f32_e32 v5, 0x7800000, v5
	v_cmp_gt_u32_e32 vcc, s5, v1
	v_bfe_i32 v3, v3, 0, 16
	v_cndmask_b32_e32 v1, v5, v7, vcc
	s_brev_b32 s4, 1
	v_and_or_b32 v1, v3, s4, v1
	v_cvt_i32_f32_e32 v7, v1
.LBB119_1661:
	s_mov_b64 s[16:17], -1
	s_mov_b64 s[6:7], 0
	s_cbranch_execnz .LBB119_1672
.LBB119_1662:
	s_cmp_gt_i32 s19, 14
	s_cbranch_scc0 .LBB119_1665
; %bb.1663:
	s_cmp_eq_u32 s19, 15
	s_cbranch_scc0 .LBB119_1668
; %bb.1664:
	global_load_ushort v1, v[20:21], off
	s_mov_b64 s[0:1], 0
	s_mov_b64 s[16:17], -1
	s_waitcnt vmcnt(0)
	v_lshlrev_b32_e32 v1, 16, v1
	v_cvt_i32_f32_e32 v7, v1
	s_branch .LBB119_1669
.LBB119_1665:
	s_mov_b64 s[4:5], -1
                                        ; implicit-def: $vgpr7
	s_branch .LBB119_1670
.LBB119_1666:
	s_andn2_saveexec_b64 s[4:5], s[4:5]
	s_cbranch_execz .LBB119_1648
.LBB119_1667:
	v_cmp_ne_u16_e32 vcc, 0, v1
	s_andn2_b64 s[6:7], s[6:7], exec
	s_and_b64 s[16:17], vcc, exec
	s_or_b64 s[6:7], s[6:7], s[16:17]
	s_or_b64 exec, exec, s[4:5]
	v_mov_b32_e32 v7, 0
	s_and_saveexec_b64 s[4:5], s[6:7]
	s_cbranch_execnz .LBB119_1649
	s_branch .LBB119_1650
.LBB119_1668:
	s_mov_b64 s[0:1], -1
                                        ; implicit-def: $vgpr7
.LBB119_1669:
	s_mov_b64 s[4:5], 0
.LBB119_1670:
	s_and_b64 vcc, exec, s[4:5]
	s_cbranch_vccz .LBB119_1672
; %bb.1671:
	s_cmp_lg_u32 s19, 11
	s_mov_b64 s[6:7], -1
	s_cselect_b64 s[0:1], -1, 0
.LBB119_1672:
	s_and_b64 vcc, exec, s[0:1]
	s_mov_b64 s[4:5], s[12:13]
	s_cbranch_vccnz .LBB119_1733
; %bb.1673:
	s_andn2_b64 vcc, exec, s[6:7]
	s_cbranch_vccnz .LBB119_1675
.LBB119_1674:
	global_load_ubyte v1, v[20:21], off
	s_mov_b64 s[16:17], -1
	s_waitcnt vmcnt(0)
	v_cmp_ne_u16_e32 vcc, 0, v1
	v_cndmask_b32_e64 v7, 0, 1, vcc
.LBB119_1675:
	s_branch .LBB119_1610
.LBB119_1676:
	s_and_b32 s6, 0xffff, s18
	s_cmp_lt_i32 s6, 5
	s_cbranch_scc1 .LBB119_1681
; %bb.1677:
	s_cmp_lt_i32 s6, 8
	s_cbranch_scc1 .LBB119_1682
; %bb.1678:
	;; [unrolled: 3-line block ×3, first 2 shown]
	s_cmp_gt_i32 s6, 9
	s_cbranch_scc0 .LBB119_1684
; %bb.1680:
	global_load_dwordx2 v[7:8], v[20:21], off
	s_mov_b64 s[0:1], 0
	s_waitcnt vmcnt(0)
	v_cvt_i32_f64_e32 v7, v[7:8]
	s_branch .LBB119_1685
.LBB119_1681:
                                        ; implicit-def: $vgpr7
	s_branch .LBB119_1702
.LBB119_1682:
                                        ; implicit-def: $vgpr7
	s_branch .LBB119_1691
.LBB119_1683:
	s_mov_b64 s[0:1], -1
                                        ; implicit-def: $vgpr7
	s_branch .LBB119_1688
.LBB119_1684:
	s_mov_b64 s[0:1], -1
                                        ; implicit-def: $vgpr7
.LBB119_1685:
	s_andn2_b64 vcc, exec, s[0:1]
	s_cbranch_vccnz .LBB119_1687
; %bb.1686:
	global_load_dword v1, v[20:21], off
	s_waitcnt vmcnt(0)
	v_cvt_i32_f32_e32 v7, v1
.LBB119_1687:
	s_mov_b64 s[0:1], 0
.LBB119_1688:
	s_andn2_b64 vcc, exec, s[0:1]
	s_cbranch_vccnz .LBB119_1690
; %bb.1689:
	global_load_dword v1, v[20:21], off
	s_waitcnt vmcnt(0)
	v_cvt_i16_f16_e32 v7, v1
.LBB119_1690:
	s_cbranch_execnz .LBB119_1701
.LBB119_1691:
	s_cmp_lt_i32 s6, 6
	s_cbranch_scc1 .LBB119_1694
; %bb.1692:
	s_cmp_gt_i32 s6, 6
	s_cbranch_scc0 .LBB119_1695
; %bb.1693:
	global_load_dwordx2 v[7:8], v[20:21], off
	s_mov_b64 s[0:1], 0
	s_waitcnt vmcnt(0)
	v_cvt_i32_f64_e32 v7, v[7:8]
	s_branch .LBB119_1696
.LBB119_1694:
	s_mov_b64 s[0:1], -1
                                        ; implicit-def: $vgpr7
	s_branch .LBB119_1699
.LBB119_1695:
	s_mov_b64 s[0:1], -1
                                        ; implicit-def: $vgpr7
.LBB119_1696:
	s_andn2_b64 vcc, exec, s[0:1]
	s_cbranch_vccnz .LBB119_1698
; %bb.1697:
	global_load_dword v1, v[20:21], off
	s_waitcnt vmcnt(0)
	v_cvt_i32_f32_e32 v7, v1
.LBB119_1698:
	s_mov_b64 s[0:1], 0
.LBB119_1699:
	s_andn2_b64 vcc, exec, s[0:1]
	s_cbranch_vccnz .LBB119_1701
; %bb.1700:
	global_load_ushort v1, v[20:21], off
	s_waitcnt vmcnt(0)
	v_cvt_i16_f16_e32 v7, v1
.LBB119_1701:
	s_cbranch_execnz .LBB119_1720
.LBB119_1702:
	s_cmp_lt_i32 s6, 2
	s_cbranch_scc1 .LBB119_1706
; %bb.1703:
	s_cmp_lt_i32 s6, 3
	s_cbranch_scc1 .LBB119_1707
; %bb.1704:
	s_cmp_gt_i32 s6, 3
	s_cbranch_scc0 .LBB119_1708
; %bb.1705:
	global_load_dwordx2 v[7:8], v[20:21], off
	s_mov_b64 s[0:1], 0
	s_branch .LBB119_1709
.LBB119_1706:
                                        ; implicit-def: $vgpr7
	s_branch .LBB119_1715
.LBB119_1707:
	s_mov_b64 s[0:1], -1
                                        ; implicit-def: $vgpr7
	s_branch .LBB119_1712
.LBB119_1708:
	s_mov_b64 s[0:1], -1
                                        ; implicit-def: $vgpr7
.LBB119_1709:
	s_andn2_b64 vcc, exec, s[0:1]
	s_cbranch_vccnz .LBB119_1711
; %bb.1710:
	global_load_dword v7, v[20:21], off
.LBB119_1711:
	s_mov_b64 s[0:1], 0
.LBB119_1712:
	s_andn2_b64 vcc, exec, s[0:1]
	s_cbranch_vccnz .LBB119_1714
; %bb.1713:
	global_load_ushort v7, v[20:21], off
.LBB119_1714:
	s_cbranch_execnz .LBB119_1720
.LBB119_1715:
	s_cmp_gt_i32 s6, 0
	s_cbranch_scc0 .LBB119_1717
; %bb.1716:
	global_load_sbyte v7, v[20:21], off
	s_mov_b64 s[0:1], 0
	s_branch .LBB119_1718
.LBB119_1717:
	s_mov_b64 s[0:1], -1
                                        ; implicit-def: $vgpr7
.LBB119_1718:
	s_andn2_b64 vcc, exec, s[0:1]
	s_cbranch_vccnz .LBB119_1720
; %bb.1719:
	global_load_ubyte v7, v[20:21], off
.LBB119_1720:
.LBB119_1721:
	s_load_dwordx2 s[0:1], s[2:3], 0x198
	s_lshr_b32 s21, s20, 24
	s_cmp_lt_i32 s21, 11
	s_waitcnt lgkmcnt(0)
	v_mov_b32_e32 v1, s1
	v_add_co_u32_e32 v20, vcc, s0, v13
	v_addc_co_u32_e32 v21, vcc, 0, v1, vcc
	s_cbranch_scc1 .LBB119_1728
; %bb.1722:
	s_and_b32 s22, 0xffff, s21
	s_cmp_gt_i32 s22, 25
	s_mov_b64 s[6:7], 0
	s_cbranch_scc0 .LBB119_1730
; %bb.1723:
	s_cmp_gt_i32 s22, 28
	s_cbranch_scc0 .LBB119_1731
; %bb.1724:
	s_cmp_gt_i32 s22, 43
	;; [unrolled: 3-line block ×3, first 2 shown]
	s_cbranch_scc0 .LBB119_1734
; %bb.1726:
	s_cmp_eq_u32 s22, 46
	s_mov_b64 s[18:19], 0
	s_cbranch_scc0 .LBB119_1737
; %bb.1727:
	global_load_dword v1, v[20:21], off
	s_mov_b64 s[2:3], 0
	s_mov_b64 s[16:17], -1
	s_waitcnt vmcnt(0)
	v_lshlrev_b32_e32 v1, 16, v1
	v_cvt_i32_f32_e32 v12, v1
	s_branch .LBB119_1738
.LBB119_1728:
	s_mov_b64 s[16:17], 0
                                        ; implicit-def: $vgpr12
	s_cbranch_execnz .LBB119_1799
.LBB119_1729:
	s_andn2_b64 vcc, exec, s[16:17]
	s_cbranch_vccnz .LBB119_3036
	s_branch .LBB119_1846
.LBB119_1730:
	s_mov_b64 s[16:17], 0
	s_mov_b64 s[2:3], 0
                                        ; implicit-def: $vgpr12
	s_cbranch_execnz .LBB119_1765
	s_branch .LBB119_1795
.LBB119_1731:
	s_mov_b64 s[18:19], -1
	s_mov_b64 s[16:17], 0
	s_mov_b64 s[2:3], 0
                                        ; implicit-def: $vgpr12
	s_branch .LBB119_1748
.LBB119_1732:
	s_mov_b64 s[18:19], -1
	s_mov_b64 s[16:17], 0
	s_mov_b64 s[2:3], 0
                                        ; implicit-def: $vgpr12
	s_branch .LBB119_1743
.LBB119_1733:
	s_or_b64 s[4:5], s[12:13], exec
	s_trap 2
	s_cbranch_execz .LBB119_1674
	s_branch .LBB119_1675
.LBB119_1734:
	s_mov_b64 s[18:19], -1
	s_mov_b64 s[16:17], 0
	s_mov_b64 s[2:3], 0
                                        ; implicit-def: $vgpr12
	s_branch .LBB119_1738
.LBB119_1735:
	s_andn2_saveexec_b64 s[18:19], s[18:19]
	s_cbranch_execz .LBB119_1482
.LBB119_1736:
	s_mov_b32 s26, 0x42800000
	v_add_f32_e64 v1, |v0|, s26
	v_and_b32_e32 v1, 0xff, v1
	v_cmp_ne_u32_e32 vcc, 0, v1
	s_andn2_b64 s[16:17], s[16:17], exec
	s_and_b64 s[26:27], vcc, exec
	s_or_b64 s[16:17], s[16:17], s[26:27]
	s_or_b64 exec, exec, s[18:19]
	v_mov_b32_e32 v5, 0
	s_and_saveexec_b64 s[18:19], s[16:17]
	s_cbranch_execnz .LBB119_1483
	s_branch .LBB119_1484
.LBB119_1737:
	s_mov_b64 s[2:3], -1
                                        ; implicit-def: $vgpr12
	s_mov_b64 s[16:17], 0
.LBB119_1738:
	s_and_b64 vcc, exec, s[18:19]
	s_cbranch_vccz .LBB119_1742
; %bb.1739:
	s_cmp_eq_u32 s22, 44
	s_cbranch_scc0 .LBB119_1741
; %bb.1740:
	global_load_ubyte v1, v[20:21], off
	s_mov_b64 s[2:3], 0
	s_mov_b64 s[16:17], -1
	s_waitcnt vmcnt(0)
	v_lshlrev_b32_e32 v3, 23, v1
	v_cvt_i32_f32_e32 v3, v3
	v_cmp_ne_u32_e32 vcc, 0, v1
	v_cndmask_b32_e32 v12, 0, v3, vcc
	s_branch .LBB119_1742
.LBB119_1741:
	s_mov_b64 s[2:3], -1
                                        ; implicit-def: $vgpr12
.LBB119_1742:
	s_mov_b64 s[18:19], 0
.LBB119_1743:
	s_and_b64 vcc, exec, s[18:19]
	s_cbranch_vccz .LBB119_1747
; %bb.1744:
	s_cmp_eq_u32 s22, 29
	s_cbranch_scc0 .LBB119_1746
; %bb.1745:
	global_load_dwordx2 v[12:13], v[20:21], off
	s_mov_b64 s[2:3], 0
	s_mov_b64 s[16:17], -1
	s_branch .LBB119_1747
.LBB119_1746:
	s_mov_b64 s[2:3], -1
                                        ; implicit-def: $vgpr12
.LBB119_1747:
	s_mov_b64 s[18:19], 0
.LBB119_1748:
	s_and_b64 vcc, exec, s[18:19]
	s_cbranch_vccz .LBB119_1764
; %bb.1749:
	s_cmp_lt_i32 s22, 27
	s_cbranch_scc1 .LBB119_1752
; %bb.1750:
	s_cmp_gt_i32 s22, 27
	s_cbranch_scc0 .LBB119_1753
; %bb.1751:
	global_load_dword v12, v[20:21], off
	s_mov_b64 s[16:17], 0
	s_branch .LBB119_1754
.LBB119_1752:
	s_mov_b64 s[16:17], -1
                                        ; implicit-def: $vgpr12
	s_branch .LBB119_1757
.LBB119_1753:
	s_mov_b64 s[16:17], -1
                                        ; implicit-def: $vgpr12
.LBB119_1754:
	s_andn2_b64 vcc, exec, s[16:17]
	s_cbranch_vccnz .LBB119_1756
; %bb.1755:
	global_load_ushort v12, v[20:21], off
.LBB119_1756:
	s_mov_b64 s[16:17], 0
.LBB119_1757:
	s_andn2_b64 vcc, exec, s[16:17]
	s_cbranch_vccnz .LBB119_1763
; %bb.1758:
	global_load_ubyte v1, v[20:21], off
	s_movk_i32 s16, 0x7f
	s_mov_b64 s[18:19], 0
	s_waitcnt vmcnt(0)
	v_cmp_lt_i16_e32 vcc, s16, v1
	s_and_saveexec_b64 s[16:17], vcc
	s_xor_b64 s[16:17], exec, s[16:17]
	s_cbranch_execz .LBB119_1774
; %bb.1759:
	s_movk_i32 s18, 0x80
	v_cmp_ne_u16_e32 vcc, s18, v1
	s_and_b64 s[18:19], vcc, exec
	s_andn2_saveexec_b64 s[16:17], s[16:17]
	s_cbranch_execnz .LBB119_1775
.LBB119_1760:
	s_or_b64 exec, exec, s[16:17]
	v_mov_b32_e32 v12, 0
	s_and_saveexec_b64 s[16:17], s[18:19]
	s_cbranch_execz .LBB119_1762
.LBB119_1761:
	v_lshlrev_b32_e32 v3, 24, v1
	v_and_b32_e32 v1, 0xffff, v1
	v_and_b32_e32 v5, 7, v1
	v_ffbh_u32_e32 v10, v5
	v_min_u32_e32 v10, 32, v10
	v_subrev_u32_e32 v12, 28, v10
	v_bfe_u32 v8, v1, 3, 4
	v_lshlrev_b32_e32 v1, v12, v1
	v_sub_u32_e32 v10, 29, v10
	v_and_b32_e32 v1, 7, v1
	v_cmp_eq_u32_e32 vcc, 0, v8
	v_cndmask_b32_e32 v8, v8, v10, vcc
	v_cndmask_b32_e32 v1, v5, v1, vcc
	v_mov_b32_e32 v5, 0x3b800000
	v_lshlrev_b32_e32 v1, 20, v1
	v_and_b32_e32 v3, 0x80000000, v3
	v_lshl_add_u32 v5, v8, 23, v5
	v_or3_b32 v1, v3, v5, v1
	v_cvt_i32_f32_e32 v12, v1
.LBB119_1762:
	s_or_b64 exec, exec, s[16:17]
.LBB119_1763:
	s_mov_b64 s[16:17], -1
.LBB119_1764:
	s_branch .LBB119_1795
.LBB119_1765:
	s_cmp_gt_i32 s22, 22
	s_cbranch_scc0 .LBB119_1773
; %bb.1766:
	s_cmp_lt_i32 s22, 24
	s_cbranch_scc1 .LBB119_1776
; %bb.1767:
	s_cmp_gt_i32 s22, 24
	s_cbranch_scc0 .LBB119_1777
; %bb.1768:
	global_load_ubyte v1, v[20:21], off
	s_movk_i32 s6, 0x7f
	s_mov_b64 s[16:17], 0
	s_waitcnt vmcnt(0)
	v_cmp_lt_i16_e32 vcc, s6, v1
	s_and_saveexec_b64 s[6:7], vcc
	s_xor_b64 s[6:7], exec, s[6:7]
	s_cbranch_execz .LBB119_1789
; %bb.1769:
	s_movk_i32 s16, 0x80
	v_cmp_ne_u16_e32 vcc, s16, v1
	s_and_b64 s[16:17], vcc, exec
	s_andn2_saveexec_b64 s[6:7], s[6:7]
	s_cbranch_execnz .LBB119_1790
.LBB119_1770:
	s_or_b64 exec, exec, s[6:7]
	v_mov_b32_e32 v12, 0
	s_and_saveexec_b64 s[6:7], s[16:17]
	s_cbranch_execz .LBB119_1772
.LBB119_1771:
	v_lshlrev_b32_e32 v3, 24, v1
	v_and_b32_e32 v1, 0xffff, v1
	v_and_b32_e32 v5, 3, v1
	v_ffbh_u32_e32 v10, v5
	v_min_u32_e32 v10, 32, v10
	v_subrev_u32_e32 v12, 29, v10
	v_bfe_u32 v8, v1, 2, 5
	v_lshlrev_b32_e32 v1, v12, v1
	v_sub_u32_e32 v10, 30, v10
	v_and_b32_e32 v1, 3, v1
	v_cmp_eq_u32_e32 vcc, 0, v8
	v_cndmask_b32_e32 v8, v8, v10, vcc
	v_cndmask_b32_e32 v1, v5, v1, vcc
	v_mov_b32_e32 v5, 0x37800000
	v_lshlrev_b32_e32 v1, 21, v1
	v_and_b32_e32 v3, 0x80000000, v3
	v_lshl_add_u32 v5, v8, 23, v5
	v_or3_b32 v1, v3, v5, v1
	v_cvt_i32_f32_e32 v12, v1
.LBB119_1772:
	s_or_b64 exec, exec, s[6:7]
	s_mov_b64 s[6:7], 0
	s_branch .LBB119_1778
.LBB119_1773:
	s_mov_b64 s[6:7], -1
                                        ; implicit-def: $vgpr12
	s_branch .LBB119_1784
.LBB119_1774:
	s_andn2_saveexec_b64 s[16:17], s[16:17]
	s_cbranch_execz .LBB119_1760
.LBB119_1775:
	v_cmp_ne_u16_e32 vcc, 0, v1
	s_andn2_b64 s[18:19], s[18:19], exec
	s_and_b64 s[24:25], vcc, exec
	s_or_b64 s[18:19], s[18:19], s[24:25]
	s_or_b64 exec, exec, s[16:17]
	v_mov_b32_e32 v12, 0
	s_and_saveexec_b64 s[16:17], s[18:19]
	s_cbranch_execnz .LBB119_1761
	s_branch .LBB119_1762
.LBB119_1776:
	s_mov_b64 s[6:7], -1
                                        ; implicit-def: $vgpr12
	s_branch .LBB119_1781
.LBB119_1777:
	s_mov_b64 s[6:7], -1
                                        ; implicit-def: $vgpr12
.LBB119_1778:
	s_and_b64 vcc, exec, s[6:7]
	s_cbranch_vccz .LBB119_1780
; %bb.1779:
	global_load_ubyte v1, v[20:21], off
	s_mov_b32 s6, 0x7f800000
	s_waitcnt vmcnt(0)
	v_lshlrev_b32_e32 v1, 24, v1
	v_and_b32_e32 v3, 0x7f000000, v1
	v_ffbh_u32_e32 v5, v3
	v_min_u32_e32 v5, 32, v5
	v_sub_u32_e64 v5, v5, 4 clamp
	v_lshlrev_b32_e32 v10, v5, v3
	v_lshlrev_b32_e32 v5, 23, v5
	v_lshrrev_b32_e32 v10, 4, v10
	v_add_u32_e32 v8, 0x1000000, v3
	v_sub_u32_e32 v5, v10, v5
	v_ashrrev_i32_e32 v8, 8, v8
	v_add_u32_e32 v5, 0x3c000000, v5
	v_and_or_b32 v5, v8, s6, v5
	v_cmp_ne_u32_e32 vcc, 0, v3
	v_cndmask_b32_e32 v3, 0, v5, vcc
	s_brev_b32 s6, 1
	v_and_or_b32 v1, v1, s6, v3
	v_cvt_i32_f32_e32 v12, v1
.LBB119_1780:
	s_mov_b64 s[6:7], 0
.LBB119_1781:
	s_andn2_b64 vcc, exec, s[6:7]
	s_cbranch_vccnz .LBB119_1783
; %bb.1782:
	global_load_ubyte v1, v[20:21], off
	s_movk_i32 s6, 0x7f00
	s_brev_b32 s7, 16
	s_waitcnt vmcnt(0)
	v_lshlrev_b16_e32 v3, 8, v1
	v_lshlrev_b32_e32 v1, 25, v1
	v_lshrrev_b32_e32 v5, 4, v1
	v_and_or_b32 v8, v3, s6, 0.5
	v_or_b32_e32 v5, 0x70000000, v5
	v_add_f32_e32 v8, -0.5, v8
	v_mul_f32_e32 v5, 0x7800000, v5
	v_cmp_gt_u32_e32 vcc, s7, v1
	v_bfe_i32 v3, v3, 0, 16
	v_cndmask_b32_e32 v1, v5, v8, vcc
	s_brev_b32 s6, 1
	v_and_or_b32 v1, v3, s6, v1
	v_cvt_i32_f32_e32 v12, v1
.LBB119_1783:
	s_mov_b64 s[6:7], 0
	s_mov_b64 s[16:17], -1
.LBB119_1784:
	s_andn2_b64 vcc, exec, s[6:7]
	s_mov_b64 s[6:7], 0
	s_cbranch_vccnz .LBB119_1795
; %bb.1785:
	s_cmp_gt_i32 s22, 14
	s_cbranch_scc0 .LBB119_1788
; %bb.1786:
	s_cmp_eq_u32 s22, 15
	s_cbranch_scc0 .LBB119_1791
; %bb.1787:
	global_load_ushort v1, v[20:21], off
	s_mov_b64 s[2:3], 0
	s_mov_b64 s[16:17], -1
	s_waitcnt vmcnt(0)
	v_lshlrev_b32_e32 v1, 16, v1
	v_cvt_i32_f32_e32 v12, v1
	s_branch .LBB119_1792
.LBB119_1788:
	s_mov_b64 s[18:19], -1
                                        ; implicit-def: $vgpr12
	s_branch .LBB119_1793
.LBB119_1789:
	s_andn2_saveexec_b64 s[6:7], s[6:7]
	s_cbranch_execz .LBB119_1770
.LBB119_1790:
	v_cmp_ne_u16_e32 vcc, 0, v1
	s_andn2_b64 s[16:17], s[16:17], exec
	s_and_b64 s[18:19], vcc, exec
	s_or_b64 s[16:17], s[16:17], s[18:19]
	s_or_b64 exec, exec, s[6:7]
	v_mov_b32_e32 v12, 0
	s_and_saveexec_b64 s[6:7], s[16:17]
	s_cbranch_execnz .LBB119_1771
	s_branch .LBB119_1772
.LBB119_1791:
	s_mov_b64 s[2:3], -1
                                        ; implicit-def: $vgpr12
.LBB119_1792:
	s_mov_b64 s[18:19], 0
.LBB119_1793:
	s_and_b64 vcc, exec, s[18:19]
	s_cbranch_vccz .LBB119_1795
; %bb.1794:
	s_cmp_lg_u32 s22, 11
	s_mov_b64 s[6:7], -1
	s_cselect_b64 s[2:3], -1, 0
.LBB119_1795:
	s_and_b64 vcc, exec, s[2:3]
	s_cbranch_vccnz .LBB119_1858
; %bb.1796:
	s_andn2_b64 vcc, exec, s[6:7]
	s_cbranch_vccnz .LBB119_1798
.LBB119_1797:
	global_load_ubyte v1, v[20:21], off
	s_mov_b64 s[16:17], -1
	s_waitcnt vmcnt(0)
	v_cmp_ne_u16_e32 vcc, 0, v1
	v_cndmask_b32_e64 v12, 0, 1, vcc
.LBB119_1798:
	s_branch .LBB119_1729
.LBB119_1799:
	s_and_b32 s6, 0xffff, s21
	s_cmp_lt_i32 s6, 5
	s_cbranch_scc1 .LBB119_1804
; %bb.1800:
	s_cmp_lt_i32 s6, 8
	s_cbranch_scc1 .LBB119_1805
; %bb.1801:
	;; [unrolled: 3-line block ×3, first 2 shown]
	s_cmp_gt_i32 s6, 9
	s_cbranch_scc0 .LBB119_1807
; %bb.1803:
	global_load_dwordx2 v[12:13], v[20:21], off
	s_mov_b64 s[2:3], 0
	s_waitcnt vmcnt(0)
	v_cvt_i32_f64_e32 v12, v[12:13]
	s_branch .LBB119_1808
.LBB119_1804:
                                        ; implicit-def: $vgpr12
	s_branch .LBB119_1826
.LBB119_1805:
	s_mov_b64 s[2:3], -1
                                        ; implicit-def: $vgpr12
	s_branch .LBB119_1814
.LBB119_1806:
	s_mov_b64 s[2:3], -1
                                        ; implicit-def: $vgpr12
	s_branch .LBB119_1811
.LBB119_1807:
	s_mov_b64 s[2:3], -1
                                        ; implicit-def: $vgpr12
.LBB119_1808:
	s_andn2_b64 vcc, exec, s[2:3]
	s_cbranch_vccnz .LBB119_1810
; %bb.1809:
	global_load_dword v1, v[20:21], off
	s_waitcnt vmcnt(0)
	v_cvt_i32_f32_e32 v12, v1
.LBB119_1810:
	s_mov_b64 s[2:3], 0
.LBB119_1811:
	s_andn2_b64 vcc, exec, s[2:3]
	s_cbranch_vccnz .LBB119_1813
; %bb.1812:
	global_load_dword v1, v[20:21], off
	s_waitcnt vmcnt(0)
	v_cvt_i16_f16_e32 v12, v1
.LBB119_1813:
	s_mov_b64 s[2:3], 0
.LBB119_1814:
	s_andn2_b64 vcc, exec, s[2:3]
	s_cbranch_vccnz .LBB119_1825
; %bb.1815:
	s_cmp_lt_i32 s6, 6
	s_cbranch_scc1 .LBB119_1818
; %bb.1816:
	s_cmp_gt_i32 s6, 6
	s_cbranch_scc0 .LBB119_1819
; %bb.1817:
	global_load_dwordx2 v[12:13], v[20:21], off
	s_mov_b64 s[2:3], 0
	s_waitcnt vmcnt(0)
	v_cvt_i32_f64_e32 v12, v[12:13]
	s_branch .LBB119_1820
.LBB119_1818:
	s_mov_b64 s[2:3], -1
                                        ; implicit-def: $vgpr12
	s_branch .LBB119_1823
.LBB119_1819:
	s_mov_b64 s[2:3], -1
                                        ; implicit-def: $vgpr12
.LBB119_1820:
	s_andn2_b64 vcc, exec, s[2:3]
	s_cbranch_vccnz .LBB119_1822
; %bb.1821:
	global_load_dword v1, v[20:21], off
	s_waitcnt vmcnt(0)
	v_cvt_i32_f32_e32 v12, v1
.LBB119_1822:
	s_mov_b64 s[2:3], 0
.LBB119_1823:
	s_andn2_b64 vcc, exec, s[2:3]
	s_cbranch_vccnz .LBB119_1825
; %bb.1824:
	global_load_ushort v1, v[20:21], off
	s_waitcnt vmcnt(0)
	v_cvt_i16_f16_e32 v12, v1
.LBB119_1825:
	s_cbranch_execnz .LBB119_1845
.LBB119_1826:
	s_cmp_lt_i32 s6, 2
	s_cbranch_scc1 .LBB119_1830
; %bb.1827:
	s_cmp_lt_i32 s6, 3
	s_cbranch_scc1 .LBB119_1831
; %bb.1828:
	s_cmp_gt_i32 s6, 3
	s_cbranch_scc0 .LBB119_1832
; %bb.1829:
	global_load_dwordx2 v[12:13], v[20:21], off
	s_mov_b64 s[2:3], 0
	s_branch .LBB119_1833
.LBB119_1830:
	s_mov_b64 s[2:3], -1
                                        ; implicit-def: $vgpr12
	s_branch .LBB119_1839
.LBB119_1831:
	s_mov_b64 s[2:3], -1
                                        ; implicit-def: $vgpr12
	s_branch .LBB119_1836
.LBB119_1832:
	s_mov_b64 s[2:3], -1
                                        ; implicit-def: $vgpr12
.LBB119_1833:
	s_andn2_b64 vcc, exec, s[2:3]
	s_cbranch_vccnz .LBB119_1835
; %bb.1834:
	global_load_dword v12, v[20:21], off
.LBB119_1835:
	s_mov_b64 s[2:3], 0
.LBB119_1836:
	s_andn2_b64 vcc, exec, s[2:3]
	s_cbranch_vccnz .LBB119_1838
; %bb.1837:
	global_load_ushort v12, v[20:21], off
.LBB119_1838:
	s_mov_b64 s[2:3], 0
.LBB119_1839:
	s_andn2_b64 vcc, exec, s[2:3]
	s_cbranch_vccnz .LBB119_1845
; %bb.1840:
	s_cmp_gt_i32 s6, 0
	s_cbranch_scc0 .LBB119_1842
; %bb.1841:
	global_load_sbyte v12, v[20:21], off
	s_mov_b64 s[2:3], 0
	s_branch .LBB119_1843
.LBB119_1842:
	s_mov_b64 s[2:3], -1
                                        ; implicit-def: $vgpr12
.LBB119_1843:
	s_andn2_b64 vcc, exec, s[2:3]
	s_cbranch_vccnz .LBB119_1845
; %bb.1844:
	global_load_ubyte v12, v[20:21], off
.LBB119_1845:
.LBB119_1846:
	s_lshr_b32 s2, s20, 16
	v_mov_b32_e32 v1, s11
	s_and_b32 s22, s2, 0xff
	v_add_co_u32_e32 v20, vcc, s10, v11
	s_cmp_lt_i32 s22, 11
	v_addc_co_u32_e32 v21, vcc, 0, v1, vcc
	s_cbranch_scc1 .LBB119_1853
; %bb.1847:
	s_and_b32 s23, 0xffff, s22
	s_cmp_gt_i32 s23, 25
	s_mov_b64 s[6:7], 0
	s_cbranch_scc0 .LBB119_1855
; %bb.1848:
	s_cmp_gt_i32 s23, 28
	s_cbranch_scc0 .LBB119_1856
; %bb.1849:
	s_cmp_gt_i32 s23, 43
	;; [unrolled: 3-line block ×3, first 2 shown]
	s_cbranch_scc0 .LBB119_1859
; %bb.1851:
	s_cmp_eq_u32 s23, 46
	s_mov_b64 s[18:19], 0
	s_cbranch_scc0 .LBB119_1860
; %bb.1852:
	global_load_dword v1, v[20:21], off
	s_mov_b64 s[2:3], 0
	s_mov_b64 s[16:17], -1
	s_waitcnt vmcnt(0)
	v_lshlrev_b32_e32 v1, 16, v1
	v_cvt_i32_f32_e32 v10, v1
	s_branch .LBB119_1861
.LBB119_1853:
	s_mov_b64 s[16:17], 0
                                        ; implicit-def: $vgpr10
	s_cbranch_execnz .LBB119_1923
.LBB119_1854:
	s_andn2_b64 vcc, exec, s[16:17]
	s_cbranch_vccnz .LBB119_3036
	s_branch .LBB119_1971
.LBB119_1855:
	s_mov_b64 s[18:19], -1
	s_mov_b64 s[16:17], 0
	s_mov_b64 s[2:3], 0
                                        ; implicit-def: $vgpr10
	s_branch .LBB119_1888
.LBB119_1856:
	s_mov_b64 s[18:19], -1
	s_mov_b64 s[16:17], 0
	s_mov_b64 s[2:3], 0
                                        ; implicit-def: $vgpr10
	s_branch .LBB119_1871
.LBB119_1857:
	s_mov_b64 s[18:19], -1
	s_mov_b64 s[16:17], 0
	s_mov_b64 s[2:3], 0
                                        ; implicit-def: $vgpr10
	s_branch .LBB119_1866
.LBB119_1858:
	s_trap 2
	s_or_b64 s[4:5], s[4:5], exec
	s_cbranch_execz .LBB119_1797
	s_branch .LBB119_1798
.LBB119_1859:
	s_mov_b64 s[18:19], -1
	s_mov_b64 s[16:17], 0
	s_mov_b64 s[2:3], 0
                                        ; implicit-def: $vgpr10
	s_branch .LBB119_1861
.LBB119_1860:
	s_mov_b64 s[2:3], -1
                                        ; implicit-def: $vgpr10
	s_mov_b64 s[16:17], 0
.LBB119_1861:
	s_and_b64 vcc, exec, s[18:19]
	s_cbranch_vccz .LBB119_1865
; %bb.1862:
	s_cmp_eq_u32 s23, 44
	s_cbranch_scc0 .LBB119_1864
; %bb.1863:
	global_load_ubyte v1, v[20:21], off
	s_mov_b64 s[2:3], 0
	s_mov_b64 s[16:17], -1
	s_waitcnt vmcnt(0)
	v_lshlrev_b32_e32 v3, 23, v1
	v_cvt_i32_f32_e32 v3, v3
	v_cmp_ne_u32_e32 vcc, 0, v1
	v_cndmask_b32_e32 v10, 0, v3, vcc
	s_branch .LBB119_1865
.LBB119_1864:
	s_mov_b64 s[2:3], -1
                                        ; implicit-def: $vgpr10
.LBB119_1865:
	s_mov_b64 s[18:19], 0
.LBB119_1866:
	s_and_b64 vcc, exec, s[18:19]
	s_cbranch_vccz .LBB119_1870
; %bb.1867:
	s_cmp_eq_u32 s23, 29
	s_cbranch_scc0 .LBB119_1869
; %bb.1868:
	global_load_dwordx2 v[10:11], v[20:21], off
	s_mov_b64 s[2:3], 0
	s_mov_b64 s[16:17], -1
	s_branch .LBB119_1870
.LBB119_1869:
	s_mov_b64 s[2:3], -1
                                        ; implicit-def: $vgpr10
.LBB119_1870:
	s_mov_b64 s[18:19], 0
.LBB119_1871:
	s_and_b64 vcc, exec, s[18:19]
	s_cbranch_vccz .LBB119_1887
; %bb.1872:
	s_cmp_lt_i32 s23, 27
	s_cbranch_scc1 .LBB119_1875
; %bb.1873:
	s_cmp_gt_i32 s23, 27
	s_cbranch_scc0 .LBB119_1876
; %bb.1874:
	global_load_dword v10, v[20:21], off
	s_mov_b64 s[16:17], 0
	s_branch .LBB119_1877
.LBB119_1875:
	s_mov_b64 s[16:17], -1
                                        ; implicit-def: $vgpr10
	s_branch .LBB119_1880
.LBB119_1876:
	s_mov_b64 s[16:17], -1
                                        ; implicit-def: $vgpr10
.LBB119_1877:
	s_andn2_b64 vcc, exec, s[16:17]
	s_cbranch_vccnz .LBB119_1879
; %bb.1878:
	global_load_ushort v10, v[20:21], off
.LBB119_1879:
	s_mov_b64 s[16:17], 0
.LBB119_1880:
	s_andn2_b64 vcc, exec, s[16:17]
	s_cbranch_vccnz .LBB119_1886
; %bb.1881:
	global_load_ubyte v1, v[20:21], off
	s_movk_i32 s16, 0x7f
	s_mov_b64 s[18:19], 0
	s_waitcnt vmcnt(0)
	v_cmp_lt_i16_e32 vcc, s16, v1
	s_and_saveexec_b64 s[16:17], vcc
	s_xor_b64 s[16:17], exec, s[16:17]
	s_cbranch_execz .LBB119_1898
; %bb.1882:
	s_movk_i32 s18, 0x80
	v_cmp_ne_u16_e32 vcc, s18, v1
	s_and_b64 s[18:19], vcc, exec
	s_andn2_saveexec_b64 s[16:17], s[16:17]
	s_cbranch_execnz .LBB119_1899
.LBB119_1883:
	s_or_b64 exec, exec, s[16:17]
	v_mov_b32_e32 v10, 0
	s_and_saveexec_b64 s[16:17], s[18:19]
	s_cbranch_execz .LBB119_1885
.LBB119_1884:
	v_lshlrev_b32_e32 v3, 24, v1
	v_and_b32_e32 v1, 0xffff, v1
	v_and_b32_e32 v5, 7, v1
	v_ffbh_u32_e32 v10, v5
	v_min_u32_e32 v10, 32, v10
	v_subrev_u32_e32 v11, 28, v10
	v_bfe_u32 v8, v1, 3, 4
	v_lshlrev_b32_e32 v1, v11, v1
	v_sub_u32_e32 v10, 29, v10
	v_and_b32_e32 v1, 7, v1
	v_cmp_eq_u32_e32 vcc, 0, v8
	v_cndmask_b32_e32 v8, v8, v10, vcc
	v_cndmask_b32_e32 v1, v5, v1, vcc
	v_mov_b32_e32 v5, 0x3b800000
	v_lshlrev_b32_e32 v1, 20, v1
	v_and_b32_e32 v3, 0x80000000, v3
	v_lshl_add_u32 v5, v8, 23, v5
	v_or3_b32 v1, v3, v5, v1
	v_cvt_i32_f32_e32 v10, v1
.LBB119_1885:
	s_or_b64 exec, exec, s[16:17]
.LBB119_1886:
	s_mov_b64 s[16:17], -1
.LBB119_1887:
	s_mov_b64 s[18:19], 0
.LBB119_1888:
	s_and_b64 vcc, exec, s[18:19]
	s_cbranch_vccz .LBB119_1919
; %bb.1889:
	s_cmp_gt_i32 s23, 22
	s_cbranch_scc0 .LBB119_1897
; %bb.1890:
	s_cmp_lt_i32 s23, 24
	s_cbranch_scc1 .LBB119_1900
; %bb.1891:
	s_cmp_gt_i32 s23, 24
	s_cbranch_scc0 .LBB119_1901
; %bb.1892:
	global_load_ubyte v1, v[20:21], off
	s_movk_i32 s6, 0x7f
	s_mov_b64 s[16:17], 0
	s_waitcnt vmcnt(0)
	v_cmp_lt_i16_e32 vcc, s6, v1
	s_and_saveexec_b64 s[6:7], vcc
	s_xor_b64 s[6:7], exec, s[6:7]
	s_cbranch_execz .LBB119_1913
; %bb.1893:
	s_movk_i32 s16, 0x80
	v_cmp_ne_u16_e32 vcc, s16, v1
	s_and_b64 s[16:17], vcc, exec
	s_andn2_saveexec_b64 s[6:7], s[6:7]
	s_cbranch_execnz .LBB119_1914
.LBB119_1894:
	s_or_b64 exec, exec, s[6:7]
	v_mov_b32_e32 v10, 0
	s_and_saveexec_b64 s[6:7], s[16:17]
	s_cbranch_execz .LBB119_1896
.LBB119_1895:
	v_lshlrev_b32_e32 v3, 24, v1
	v_and_b32_e32 v1, 0xffff, v1
	v_and_b32_e32 v5, 3, v1
	v_ffbh_u32_e32 v10, v5
	v_min_u32_e32 v10, 32, v10
	v_subrev_u32_e32 v11, 29, v10
	v_bfe_u32 v8, v1, 2, 5
	v_lshlrev_b32_e32 v1, v11, v1
	v_sub_u32_e32 v10, 30, v10
	v_and_b32_e32 v1, 3, v1
	v_cmp_eq_u32_e32 vcc, 0, v8
	v_cndmask_b32_e32 v8, v8, v10, vcc
	v_cndmask_b32_e32 v1, v5, v1, vcc
	v_mov_b32_e32 v5, 0x37800000
	v_lshlrev_b32_e32 v1, 21, v1
	v_and_b32_e32 v3, 0x80000000, v3
	v_lshl_add_u32 v5, v8, 23, v5
	v_or3_b32 v1, v3, v5, v1
	v_cvt_i32_f32_e32 v10, v1
.LBB119_1896:
	s_or_b64 exec, exec, s[6:7]
	s_mov_b64 s[6:7], 0
	s_branch .LBB119_1902
.LBB119_1897:
	s_mov_b64 s[6:7], -1
                                        ; implicit-def: $vgpr10
	s_branch .LBB119_1908
.LBB119_1898:
	s_andn2_saveexec_b64 s[16:17], s[16:17]
	s_cbranch_execz .LBB119_1883
.LBB119_1899:
	v_cmp_ne_u16_e32 vcc, 0, v1
	s_andn2_b64 s[18:19], s[18:19], exec
	s_and_b64 s[24:25], vcc, exec
	s_or_b64 s[18:19], s[18:19], s[24:25]
	s_or_b64 exec, exec, s[16:17]
	v_mov_b32_e32 v10, 0
	s_and_saveexec_b64 s[16:17], s[18:19]
	s_cbranch_execnz .LBB119_1884
	s_branch .LBB119_1885
.LBB119_1900:
	s_mov_b64 s[6:7], -1
                                        ; implicit-def: $vgpr10
	s_branch .LBB119_1905
.LBB119_1901:
	s_mov_b64 s[6:7], -1
                                        ; implicit-def: $vgpr10
.LBB119_1902:
	s_and_b64 vcc, exec, s[6:7]
	s_cbranch_vccz .LBB119_1904
; %bb.1903:
	global_load_ubyte v1, v[20:21], off
	s_mov_b32 s6, 0x7f800000
	s_waitcnt vmcnt(0)
	v_lshlrev_b32_e32 v1, 24, v1
	v_and_b32_e32 v3, 0x7f000000, v1
	v_ffbh_u32_e32 v5, v3
	v_min_u32_e32 v5, 32, v5
	v_sub_u32_e64 v5, v5, 4 clamp
	v_lshlrev_b32_e32 v10, v5, v3
	v_lshlrev_b32_e32 v5, 23, v5
	v_lshrrev_b32_e32 v10, 4, v10
	v_add_u32_e32 v8, 0x1000000, v3
	v_sub_u32_e32 v5, v10, v5
	v_ashrrev_i32_e32 v8, 8, v8
	v_add_u32_e32 v5, 0x3c000000, v5
	v_and_or_b32 v5, v8, s6, v5
	v_cmp_ne_u32_e32 vcc, 0, v3
	v_cndmask_b32_e32 v3, 0, v5, vcc
	s_brev_b32 s6, 1
	v_and_or_b32 v1, v1, s6, v3
	v_cvt_i32_f32_e32 v10, v1
.LBB119_1904:
	s_mov_b64 s[6:7], 0
.LBB119_1905:
	s_andn2_b64 vcc, exec, s[6:7]
	s_cbranch_vccnz .LBB119_1907
; %bb.1906:
	global_load_ubyte v1, v[20:21], off
	s_movk_i32 s6, 0x7f00
	s_brev_b32 s7, 16
	s_waitcnt vmcnt(0)
	v_lshlrev_b16_e32 v3, 8, v1
	v_lshlrev_b32_e32 v1, 25, v1
	v_lshrrev_b32_e32 v5, 4, v1
	v_and_or_b32 v8, v3, s6, 0.5
	v_or_b32_e32 v5, 0x70000000, v5
	v_add_f32_e32 v8, -0.5, v8
	v_mul_f32_e32 v5, 0x7800000, v5
	v_cmp_gt_u32_e32 vcc, s7, v1
	v_bfe_i32 v3, v3, 0, 16
	v_cndmask_b32_e32 v1, v5, v8, vcc
	s_brev_b32 s6, 1
	v_and_or_b32 v1, v3, s6, v1
	v_cvt_i32_f32_e32 v10, v1
.LBB119_1907:
	s_mov_b64 s[6:7], 0
	s_mov_b64 s[16:17], -1
.LBB119_1908:
	s_andn2_b64 vcc, exec, s[6:7]
	s_mov_b64 s[6:7], 0
	s_cbranch_vccnz .LBB119_1919
; %bb.1909:
	s_cmp_gt_i32 s23, 14
	s_cbranch_scc0 .LBB119_1912
; %bb.1910:
	s_cmp_eq_u32 s23, 15
	s_cbranch_scc0 .LBB119_1915
; %bb.1911:
	global_load_ushort v1, v[20:21], off
	s_mov_b64 s[2:3], 0
	s_mov_b64 s[16:17], -1
	s_waitcnt vmcnt(0)
	v_lshlrev_b32_e32 v1, 16, v1
	v_cvt_i32_f32_e32 v10, v1
	s_branch .LBB119_1916
.LBB119_1912:
	s_mov_b64 s[18:19], -1
                                        ; implicit-def: $vgpr10
	s_branch .LBB119_1917
.LBB119_1913:
	s_andn2_saveexec_b64 s[6:7], s[6:7]
	s_cbranch_execz .LBB119_1894
.LBB119_1914:
	v_cmp_ne_u16_e32 vcc, 0, v1
	s_andn2_b64 s[16:17], s[16:17], exec
	s_and_b64 s[18:19], vcc, exec
	s_or_b64 s[16:17], s[16:17], s[18:19]
	s_or_b64 exec, exec, s[6:7]
	v_mov_b32_e32 v10, 0
	s_and_saveexec_b64 s[6:7], s[16:17]
	s_cbranch_execnz .LBB119_1895
	s_branch .LBB119_1896
.LBB119_1915:
	s_mov_b64 s[2:3], -1
                                        ; implicit-def: $vgpr10
.LBB119_1916:
	s_mov_b64 s[18:19], 0
.LBB119_1917:
	s_and_b64 vcc, exec, s[18:19]
	s_cbranch_vccz .LBB119_1919
; %bb.1918:
	s_cmp_lg_u32 s23, 11
	s_mov_b64 s[6:7], -1
	s_cselect_b64 s[2:3], -1, 0
.LBB119_1919:
	s_and_b64 vcc, exec, s[2:3]
	s_cbranch_vccnz .LBB119_1982
; %bb.1920:
	s_andn2_b64 vcc, exec, s[6:7]
	s_cbranch_vccnz .LBB119_1922
.LBB119_1921:
	global_load_ubyte v1, v[20:21], off
	s_mov_b64 s[16:17], -1
	s_waitcnt vmcnt(0)
	v_cmp_ne_u16_e32 vcc, 0, v1
	v_cndmask_b32_e64 v10, 0, 1, vcc
.LBB119_1922:
	s_branch .LBB119_1854
.LBB119_1923:
	s_and_b32 s6, 0xffff, s22
	s_cmp_lt_i32 s6, 5
	s_cbranch_scc1 .LBB119_1928
; %bb.1924:
	s_cmp_lt_i32 s6, 8
	s_cbranch_scc1 .LBB119_1929
; %bb.1925:
	;; [unrolled: 3-line block ×3, first 2 shown]
	s_cmp_gt_i32 s6, 9
	s_cbranch_scc0 .LBB119_1931
; %bb.1927:
	global_load_dwordx2 v[10:11], v[20:21], off
	s_mov_b64 s[2:3], 0
	s_waitcnt vmcnt(0)
	v_cvt_i32_f64_e32 v10, v[10:11]
	s_branch .LBB119_1932
.LBB119_1928:
	s_mov_b64 s[2:3], -1
                                        ; implicit-def: $vgpr10
	s_branch .LBB119_1950
.LBB119_1929:
	s_mov_b64 s[2:3], -1
                                        ; implicit-def: $vgpr10
	s_branch .LBB119_1938
.LBB119_1930:
	s_mov_b64 s[2:3], -1
                                        ; implicit-def: $vgpr10
	s_branch .LBB119_1935
.LBB119_1931:
	s_mov_b64 s[2:3], -1
                                        ; implicit-def: $vgpr10
.LBB119_1932:
	s_andn2_b64 vcc, exec, s[2:3]
	s_cbranch_vccnz .LBB119_1934
; %bb.1933:
	global_load_dword v1, v[20:21], off
	s_waitcnt vmcnt(0)
	v_cvt_i32_f32_e32 v10, v1
.LBB119_1934:
	s_mov_b64 s[2:3], 0
.LBB119_1935:
	s_andn2_b64 vcc, exec, s[2:3]
	s_cbranch_vccnz .LBB119_1937
; %bb.1936:
	global_load_dword v1, v[20:21], off
	s_waitcnt vmcnt(0)
	v_cvt_i16_f16_e32 v10, v1
.LBB119_1937:
	s_mov_b64 s[2:3], 0
.LBB119_1938:
	s_andn2_b64 vcc, exec, s[2:3]
	s_cbranch_vccnz .LBB119_1949
; %bb.1939:
	s_cmp_lt_i32 s6, 6
	s_cbranch_scc1 .LBB119_1942
; %bb.1940:
	s_cmp_gt_i32 s6, 6
	s_cbranch_scc0 .LBB119_1943
; %bb.1941:
	global_load_dwordx2 v[10:11], v[20:21], off
	s_mov_b64 s[2:3], 0
	s_waitcnt vmcnt(0)
	v_cvt_i32_f64_e32 v10, v[10:11]
	s_branch .LBB119_1944
.LBB119_1942:
	s_mov_b64 s[2:3], -1
                                        ; implicit-def: $vgpr10
	s_branch .LBB119_1947
.LBB119_1943:
	s_mov_b64 s[2:3], -1
                                        ; implicit-def: $vgpr10
.LBB119_1944:
	s_andn2_b64 vcc, exec, s[2:3]
	s_cbranch_vccnz .LBB119_1946
; %bb.1945:
	global_load_dword v1, v[20:21], off
	s_waitcnt vmcnt(0)
	v_cvt_i32_f32_e32 v10, v1
.LBB119_1946:
	s_mov_b64 s[2:3], 0
.LBB119_1947:
	s_andn2_b64 vcc, exec, s[2:3]
	s_cbranch_vccnz .LBB119_1949
; %bb.1948:
	global_load_ushort v1, v[20:21], off
	s_waitcnt vmcnt(0)
	v_cvt_i16_f16_e32 v10, v1
.LBB119_1949:
	s_mov_b64 s[2:3], 0
.LBB119_1950:
	s_andn2_b64 vcc, exec, s[2:3]
	s_cbranch_vccnz .LBB119_1970
; %bb.1951:
	s_cmp_lt_i32 s6, 2
	s_cbranch_scc1 .LBB119_1955
; %bb.1952:
	s_cmp_lt_i32 s6, 3
	s_cbranch_scc1 .LBB119_1956
; %bb.1953:
	s_cmp_gt_i32 s6, 3
	s_cbranch_scc0 .LBB119_1957
; %bb.1954:
	global_load_dwordx2 v[10:11], v[20:21], off
	s_mov_b64 s[2:3], 0
	s_branch .LBB119_1958
.LBB119_1955:
	s_mov_b64 s[2:3], -1
                                        ; implicit-def: $vgpr10
	s_branch .LBB119_1964
.LBB119_1956:
	s_mov_b64 s[2:3], -1
                                        ; implicit-def: $vgpr10
	s_branch .LBB119_1961
.LBB119_1957:
	s_mov_b64 s[2:3], -1
                                        ; implicit-def: $vgpr10
.LBB119_1958:
	s_andn2_b64 vcc, exec, s[2:3]
	s_cbranch_vccnz .LBB119_1960
; %bb.1959:
	global_load_dword v10, v[20:21], off
.LBB119_1960:
	s_mov_b64 s[2:3], 0
.LBB119_1961:
	s_andn2_b64 vcc, exec, s[2:3]
	s_cbranch_vccnz .LBB119_1963
; %bb.1962:
	global_load_ushort v10, v[20:21], off
.LBB119_1963:
	s_mov_b64 s[2:3], 0
.LBB119_1964:
	s_andn2_b64 vcc, exec, s[2:3]
	s_cbranch_vccnz .LBB119_1970
; %bb.1965:
	s_cmp_gt_i32 s6, 0
	s_cbranch_scc0 .LBB119_1967
; %bb.1966:
	global_load_sbyte v10, v[20:21], off
	s_mov_b64 s[2:3], 0
	s_branch .LBB119_1968
.LBB119_1967:
	s_mov_b64 s[2:3], -1
                                        ; implicit-def: $vgpr10
.LBB119_1968:
	s_andn2_b64 vcc, exec, s[2:3]
	s_cbranch_vccnz .LBB119_1970
; %bb.1969:
	global_load_ubyte v10, v[20:21], off
.LBB119_1970:
.LBB119_1971:
	v_mov_b32_e32 v1, s1
	s_and_b32 s21, 0xffff, s21
	v_add_co_u32_e32 v20, vcc, s0, v18
	s_cmp_lt_i32 s21, 11
	v_addc_co_u32_e32 v21, vcc, 0, v1, vcc
	s_cbranch_scc1 .LBB119_1978
; %bb.1972:
	s_cmp_gt_i32 s21, 25
	s_mov_b64 s[6:7], 0
	s_cbranch_scc0 .LBB119_1979
; %bb.1973:
	s_cmp_gt_i32 s21, 28
	s_cbranch_scc0 .LBB119_1980
; %bb.1974:
	s_cmp_gt_i32 s21, 43
	;; [unrolled: 3-line block ×3, first 2 shown]
	s_cbranch_scc0 .LBB119_1983
; %bb.1976:
	s_cmp_eq_u32 s21, 46
	s_mov_b64 s[18:19], 0
	s_cbranch_scc0 .LBB119_1984
; %bb.1977:
	global_load_dword v1, v[20:21], off
	s_mov_b64 s[2:3], 0
	s_mov_b64 s[16:17], -1
	s_waitcnt vmcnt(0)
	v_lshlrev_b32_e32 v1, 16, v1
	v_cvt_i32_f32_e32 v17, v1
	s_branch .LBB119_1985
.LBB119_1978:
	s_mov_b64 s[2:3], -1
	s_mov_b64 s[16:17], 0
                                        ; implicit-def: $vgpr17
	s_branch .LBB119_2047
.LBB119_1979:
	s_mov_b64 s[18:19], -1
	s_mov_b64 s[16:17], 0
	s_mov_b64 s[2:3], 0
                                        ; implicit-def: $vgpr17
	s_branch .LBB119_2012
.LBB119_1980:
	s_mov_b64 s[18:19], -1
	s_mov_b64 s[16:17], 0
	s_mov_b64 s[2:3], 0
                                        ; implicit-def: $vgpr17
	s_branch .LBB119_1995
.LBB119_1981:
	s_mov_b64 s[18:19], -1
	s_mov_b64 s[16:17], 0
	s_mov_b64 s[2:3], 0
                                        ; implicit-def: $vgpr17
	s_branch .LBB119_1990
.LBB119_1982:
	s_trap 2
	s_or_b64 s[4:5], s[4:5], exec
	s_cbranch_execz .LBB119_1921
	s_branch .LBB119_1922
.LBB119_1983:
	s_mov_b64 s[18:19], -1
	s_mov_b64 s[16:17], 0
	s_mov_b64 s[2:3], 0
                                        ; implicit-def: $vgpr17
	s_branch .LBB119_1985
.LBB119_1984:
	s_mov_b64 s[2:3], -1
                                        ; implicit-def: $vgpr17
	s_mov_b64 s[16:17], 0
.LBB119_1985:
	s_and_b64 vcc, exec, s[18:19]
	s_cbranch_vccz .LBB119_1989
; %bb.1986:
	s_cmp_eq_u32 s21, 44
	s_cbranch_scc0 .LBB119_1988
; %bb.1987:
	global_load_ubyte v1, v[20:21], off
	s_mov_b64 s[2:3], 0
	s_mov_b64 s[16:17], -1
	s_waitcnt vmcnt(0)
	v_lshlrev_b32_e32 v3, 23, v1
	v_cvt_i32_f32_e32 v3, v3
	v_cmp_ne_u32_e32 vcc, 0, v1
	v_cndmask_b32_e32 v17, 0, v3, vcc
	s_branch .LBB119_1989
.LBB119_1988:
	s_mov_b64 s[2:3], -1
                                        ; implicit-def: $vgpr17
.LBB119_1989:
	s_mov_b64 s[18:19], 0
.LBB119_1990:
	s_and_b64 vcc, exec, s[18:19]
	s_cbranch_vccz .LBB119_1994
; %bb.1991:
	s_cmp_eq_u32 s21, 29
	s_cbranch_scc0 .LBB119_1993
; %bb.1992:
	global_load_dwordx2 v[17:18], v[20:21], off
	s_mov_b64 s[2:3], 0
	s_mov_b64 s[16:17], -1
	s_branch .LBB119_1994
.LBB119_1993:
	s_mov_b64 s[2:3], -1
                                        ; implicit-def: $vgpr17
.LBB119_1994:
	s_mov_b64 s[18:19], 0
.LBB119_1995:
	s_and_b64 vcc, exec, s[18:19]
	s_cbranch_vccz .LBB119_2011
; %bb.1996:
	s_cmp_lt_i32 s21, 27
	s_cbranch_scc1 .LBB119_1999
; %bb.1997:
	s_cmp_gt_i32 s21, 27
	s_cbranch_scc0 .LBB119_2000
; %bb.1998:
	global_load_dword v17, v[20:21], off
	s_mov_b64 s[16:17], 0
	s_branch .LBB119_2001
.LBB119_1999:
	s_mov_b64 s[16:17], -1
                                        ; implicit-def: $vgpr17
	s_branch .LBB119_2004
.LBB119_2000:
	s_mov_b64 s[16:17], -1
                                        ; implicit-def: $vgpr17
.LBB119_2001:
	s_andn2_b64 vcc, exec, s[16:17]
	s_cbranch_vccnz .LBB119_2003
; %bb.2002:
	global_load_ushort v17, v[20:21], off
.LBB119_2003:
	s_mov_b64 s[16:17], 0
.LBB119_2004:
	s_andn2_b64 vcc, exec, s[16:17]
	s_cbranch_vccnz .LBB119_2010
; %bb.2005:
	global_load_ubyte v1, v[20:21], off
	s_movk_i32 s16, 0x7f
	s_mov_b64 s[18:19], 0
	s_waitcnt vmcnt(0)
	v_cmp_lt_i16_e32 vcc, s16, v1
	s_and_saveexec_b64 s[16:17], vcc
	s_xor_b64 s[16:17], exec, s[16:17]
	s_cbranch_execz .LBB119_2022
; %bb.2006:
	s_movk_i32 s18, 0x80
	v_cmp_ne_u16_e32 vcc, s18, v1
	s_and_b64 s[18:19], vcc, exec
	s_andn2_saveexec_b64 s[16:17], s[16:17]
	s_cbranch_execnz .LBB119_2023
.LBB119_2007:
	s_or_b64 exec, exec, s[16:17]
	v_mov_b32_e32 v17, 0
	s_and_saveexec_b64 s[16:17], s[18:19]
	s_cbranch_execz .LBB119_2009
.LBB119_2008:
	v_lshlrev_b32_e32 v3, 24, v1
	v_and_b32_e32 v1, 0xffff, v1
	v_and_b32_e32 v5, 7, v1
	v_ffbh_u32_e32 v11, v5
	v_min_u32_e32 v11, 32, v11
	v_subrev_u32_e32 v13, 28, v11
	v_bfe_u32 v8, v1, 3, 4
	v_lshlrev_b32_e32 v1, v13, v1
	v_sub_u32_e32 v11, 29, v11
	v_and_b32_e32 v1, 7, v1
	v_cmp_eq_u32_e32 vcc, 0, v8
	v_cndmask_b32_e32 v8, v8, v11, vcc
	v_cndmask_b32_e32 v1, v5, v1, vcc
	v_mov_b32_e32 v5, 0x3b800000
	v_lshlrev_b32_e32 v1, 20, v1
	v_and_b32_e32 v3, 0x80000000, v3
	v_lshl_add_u32 v5, v8, 23, v5
	v_or3_b32 v1, v3, v5, v1
	v_cvt_i32_f32_e32 v17, v1
.LBB119_2009:
	s_or_b64 exec, exec, s[16:17]
.LBB119_2010:
	s_mov_b64 s[16:17], -1
.LBB119_2011:
	s_mov_b64 s[18:19], 0
.LBB119_2012:
	s_and_b64 vcc, exec, s[18:19]
	s_cbranch_vccz .LBB119_2043
; %bb.2013:
	s_cmp_gt_i32 s21, 22
	s_cbranch_scc0 .LBB119_2021
; %bb.2014:
	s_cmp_lt_i32 s21, 24
	s_cbranch_scc1 .LBB119_2024
; %bb.2015:
	s_cmp_gt_i32 s21, 24
	s_cbranch_scc0 .LBB119_2025
; %bb.2016:
	global_load_ubyte v1, v[20:21], off
	s_movk_i32 s6, 0x7f
	s_mov_b64 s[16:17], 0
	s_waitcnt vmcnt(0)
	v_cmp_lt_i16_e32 vcc, s6, v1
	s_and_saveexec_b64 s[6:7], vcc
	s_xor_b64 s[6:7], exec, s[6:7]
	s_cbranch_execz .LBB119_2037
; %bb.2017:
	s_movk_i32 s16, 0x80
	v_cmp_ne_u16_e32 vcc, s16, v1
	s_and_b64 s[16:17], vcc, exec
	s_andn2_saveexec_b64 s[6:7], s[6:7]
	s_cbranch_execnz .LBB119_2038
.LBB119_2018:
	s_or_b64 exec, exec, s[6:7]
	v_mov_b32_e32 v17, 0
	s_and_saveexec_b64 s[6:7], s[16:17]
	s_cbranch_execz .LBB119_2020
.LBB119_2019:
	v_lshlrev_b32_e32 v3, 24, v1
	v_and_b32_e32 v1, 0xffff, v1
	v_and_b32_e32 v5, 3, v1
	v_ffbh_u32_e32 v11, v5
	v_min_u32_e32 v11, 32, v11
	v_subrev_u32_e32 v13, 29, v11
	v_bfe_u32 v8, v1, 2, 5
	v_lshlrev_b32_e32 v1, v13, v1
	v_sub_u32_e32 v11, 30, v11
	v_and_b32_e32 v1, 3, v1
	v_cmp_eq_u32_e32 vcc, 0, v8
	v_cndmask_b32_e32 v8, v8, v11, vcc
	v_cndmask_b32_e32 v1, v5, v1, vcc
	v_mov_b32_e32 v5, 0x37800000
	v_lshlrev_b32_e32 v1, 21, v1
	v_and_b32_e32 v3, 0x80000000, v3
	v_lshl_add_u32 v5, v8, 23, v5
	v_or3_b32 v1, v3, v5, v1
	v_cvt_i32_f32_e32 v17, v1
.LBB119_2020:
	s_or_b64 exec, exec, s[6:7]
	s_mov_b64 s[6:7], 0
	s_branch .LBB119_2026
.LBB119_2021:
	s_mov_b64 s[6:7], -1
                                        ; implicit-def: $vgpr17
	s_branch .LBB119_2032
.LBB119_2022:
	s_andn2_saveexec_b64 s[16:17], s[16:17]
	s_cbranch_execz .LBB119_2007
.LBB119_2023:
	v_cmp_ne_u16_e32 vcc, 0, v1
	s_andn2_b64 s[18:19], s[18:19], exec
	s_and_b64 s[24:25], vcc, exec
	s_or_b64 s[18:19], s[18:19], s[24:25]
	s_or_b64 exec, exec, s[16:17]
	v_mov_b32_e32 v17, 0
	s_and_saveexec_b64 s[16:17], s[18:19]
	s_cbranch_execnz .LBB119_2008
	s_branch .LBB119_2009
.LBB119_2024:
	s_mov_b64 s[6:7], -1
                                        ; implicit-def: $vgpr17
	s_branch .LBB119_2029
.LBB119_2025:
	s_mov_b64 s[6:7], -1
                                        ; implicit-def: $vgpr17
.LBB119_2026:
	s_and_b64 vcc, exec, s[6:7]
	s_cbranch_vccz .LBB119_2028
; %bb.2027:
	global_load_ubyte v1, v[20:21], off
	s_mov_b32 s6, 0x7f800000
	s_waitcnt vmcnt(0)
	v_lshlrev_b32_e32 v1, 24, v1
	v_and_b32_e32 v3, 0x7f000000, v1
	v_ffbh_u32_e32 v5, v3
	v_min_u32_e32 v5, 32, v5
	v_sub_u32_e64 v5, v5, 4 clamp
	v_lshlrev_b32_e32 v11, v5, v3
	v_lshlrev_b32_e32 v5, 23, v5
	v_lshrrev_b32_e32 v11, 4, v11
	v_add_u32_e32 v8, 0x1000000, v3
	v_sub_u32_e32 v5, v11, v5
	v_ashrrev_i32_e32 v8, 8, v8
	v_add_u32_e32 v5, 0x3c000000, v5
	v_and_or_b32 v5, v8, s6, v5
	v_cmp_ne_u32_e32 vcc, 0, v3
	v_cndmask_b32_e32 v3, 0, v5, vcc
	s_brev_b32 s6, 1
	v_and_or_b32 v1, v1, s6, v3
	v_cvt_i32_f32_e32 v17, v1
.LBB119_2028:
	s_mov_b64 s[6:7], 0
.LBB119_2029:
	s_andn2_b64 vcc, exec, s[6:7]
	s_cbranch_vccnz .LBB119_2031
; %bb.2030:
	global_load_ubyte v1, v[20:21], off
	s_movk_i32 s6, 0x7f00
	s_brev_b32 s7, 16
	s_waitcnt vmcnt(0)
	v_lshlrev_b16_e32 v3, 8, v1
	v_lshlrev_b32_e32 v1, 25, v1
	v_lshrrev_b32_e32 v5, 4, v1
	v_and_or_b32 v8, v3, s6, 0.5
	v_or_b32_e32 v5, 0x70000000, v5
	v_add_f32_e32 v8, -0.5, v8
	v_mul_f32_e32 v5, 0x7800000, v5
	v_cmp_gt_u32_e32 vcc, s7, v1
	v_bfe_i32 v3, v3, 0, 16
	v_cndmask_b32_e32 v1, v5, v8, vcc
	s_brev_b32 s6, 1
	v_and_or_b32 v1, v3, s6, v1
	v_cvt_i32_f32_e32 v17, v1
.LBB119_2031:
	s_mov_b64 s[6:7], 0
	s_mov_b64 s[16:17], -1
.LBB119_2032:
	s_andn2_b64 vcc, exec, s[6:7]
	s_mov_b64 s[6:7], 0
	s_cbranch_vccnz .LBB119_2043
; %bb.2033:
	s_cmp_gt_i32 s21, 14
	s_cbranch_scc0 .LBB119_2036
; %bb.2034:
	s_cmp_eq_u32 s21, 15
	s_cbranch_scc0 .LBB119_2039
; %bb.2035:
	global_load_ushort v1, v[20:21], off
	s_mov_b64 s[2:3], 0
	s_mov_b64 s[16:17], -1
	s_waitcnt vmcnt(0)
	v_lshlrev_b32_e32 v1, 16, v1
	v_cvt_i32_f32_e32 v17, v1
	s_branch .LBB119_2040
.LBB119_2036:
	s_mov_b64 s[18:19], -1
                                        ; implicit-def: $vgpr17
	s_branch .LBB119_2041
.LBB119_2037:
	s_andn2_saveexec_b64 s[6:7], s[6:7]
	s_cbranch_execz .LBB119_2018
.LBB119_2038:
	v_cmp_ne_u16_e32 vcc, 0, v1
	s_andn2_b64 s[16:17], s[16:17], exec
	s_and_b64 s[18:19], vcc, exec
	s_or_b64 s[16:17], s[16:17], s[18:19]
	s_or_b64 exec, exec, s[6:7]
	v_mov_b32_e32 v17, 0
	s_and_saveexec_b64 s[6:7], s[16:17]
	s_cbranch_execnz .LBB119_2019
	s_branch .LBB119_2020
.LBB119_2039:
	s_mov_b64 s[2:3], -1
                                        ; implicit-def: $vgpr17
.LBB119_2040:
	s_mov_b64 s[18:19], 0
.LBB119_2041:
	s_and_b64 vcc, exec, s[18:19]
	s_cbranch_vccz .LBB119_2043
; %bb.2042:
	s_cmp_lg_u32 s21, 11
	s_mov_b64 s[6:7], -1
	s_cselect_b64 s[2:3], -1, 0
.LBB119_2043:
	s_and_b64 vcc, exec, s[2:3]
	s_cbranch_vccnz .LBB119_2108
; %bb.2044:
	s_andn2_b64 vcc, exec, s[6:7]
	s_cbranch_vccnz .LBB119_2046
.LBB119_2045:
	global_load_ubyte v1, v[20:21], off
	s_mov_b64 s[16:17], -1
	s_waitcnt vmcnt(0)
	v_cmp_ne_u16_e32 vcc, 0, v1
	v_cndmask_b32_e64 v17, 0, 1, vcc
.LBB119_2046:
	s_mov_b64 s[2:3], 0
.LBB119_2047:
	s_and_b64 vcc, exec, s[2:3]
	s_cbranch_vccz .LBB119_2096
; %bb.2048:
	s_cmp_lt_i32 s21, 5
	s_cbranch_scc1 .LBB119_2053
; %bb.2049:
	s_cmp_lt_i32 s21, 8
	s_cbranch_scc1 .LBB119_2054
	;; [unrolled: 3-line block ×3, first 2 shown]
; %bb.2051:
	s_cmp_gt_i32 s21, 9
	s_cbranch_scc0 .LBB119_2056
; %bb.2052:
	global_load_dwordx2 v[17:18], v[20:21], off
	s_mov_b64 s[2:3], 0
	s_waitcnt vmcnt(0)
	v_cvt_i32_f64_e32 v17, v[17:18]
	s_branch .LBB119_2057
.LBB119_2053:
	s_mov_b64 s[2:3], -1
                                        ; implicit-def: $vgpr17
	s_branch .LBB119_2075
.LBB119_2054:
	s_mov_b64 s[2:3], -1
                                        ; implicit-def: $vgpr17
	s_branch .LBB119_2063
.LBB119_2055:
	s_mov_b64 s[2:3], -1
                                        ; implicit-def: $vgpr17
	s_branch .LBB119_2060
.LBB119_2056:
	s_mov_b64 s[2:3], -1
                                        ; implicit-def: $vgpr17
.LBB119_2057:
	s_andn2_b64 vcc, exec, s[2:3]
	s_cbranch_vccnz .LBB119_2059
; %bb.2058:
	global_load_dword v1, v[20:21], off
	s_waitcnt vmcnt(0)
	v_cvt_i32_f32_e32 v17, v1
.LBB119_2059:
	s_mov_b64 s[2:3], 0
.LBB119_2060:
	s_andn2_b64 vcc, exec, s[2:3]
	s_cbranch_vccnz .LBB119_2062
; %bb.2061:
	global_load_dword v1, v[20:21], off
	s_waitcnt vmcnt(0)
	v_cvt_i16_f16_e32 v17, v1
.LBB119_2062:
	s_mov_b64 s[2:3], 0
.LBB119_2063:
	s_andn2_b64 vcc, exec, s[2:3]
	s_cbranch_vccnz .LBB119_2074
; %bb.2064:
	s_cmp_lt_i32 s21, 6
	s_cbranch_scc1 .LBB119_2067
; %bb.2065:
	s_cmp_gt_i32 s21, 6
	s_cbranch_scc0 .LBB119_2068
; %bb.2066:
	global_load_dwordx2 v[17:18], v[20:21], off
	s_mov_b64 s[2:3], 0
	s_waitcnt vmcnt(0)
	v_cvt_i32_f64_e32 v17, v[17:18]
	s_branch .LBB119_2069
.LBB119_2067:
	s_mov_b64 s[2:3], -1
                                        ; implicit-def: $vgpr17
	s_branch .LBB119_2072
.LBB119_2068:
	s_mov_b64 s[2:3], -1
                                        ; implicit-def: $vgpr17
.LBB119_2069:
	s_andn2_b64 vcc, exec, s[2:3]
	s_cbranch_vccnz .LBB119_2071
; %bb.2070:
	global_load_dword v1, v[20:21], off
	s_waitcnt vmcnt(0)
	v_cvt_i32_f32_e32 v17, v1
.LBB119_2071:
	s_mov_b64 s[2:3], 0
.LBB119_2072:
	s_andn2_b64 vcc, exec, s[2:3]
	s_cbranch_vccnz .LBB119_2074
; %bb.2073:
	global_load_ushort v1, v[20:21], off
	s_waitcnt vmcnt(0)
	v_cvt_i16_f16_e32 v17, v1
.LBB119_2074:
	s_mov_b64 s[2:3], 0
.LBB119_2075:
	s_andn2_b64 vcc, exec, s[2:3]
	s_cbranch_vccnz .LBB119_2095
; %bb.2076:
	s_cmp_lt_i32 s21, 2
	s_cbranch_scc1 .LBB119_2080
; %bb.2077:
	s_cmp_lt_i32 s21, 3
	s_cbranch_scc1 .LBB119_2081
; %bb.2078:
	s_cmp_gt_i32 s21, 3
	s_cbranch_scc0 .LBB119_2082
; %bb.2079:
	global_load_dwordx2 v[17:18], v[20:21], off
	s_mov_b64 s[2:3], 0
	s_branch .LBB119_2083
.LBB119_2080:
	s_mov_b64 s[2:3], -1
                                        ; implicit-def: $vgpr17
	s_branch .LBB119_2089
.LBB119_2081:
	s_mov_b64 s[2:3], -1
                                        ; implicit-def: $vgpr17
	s_branch .LBB119_2086
.LBB119_2082:
	s_mov_b64 s[2:3], -1
                                        ; implicit-def: $vgpr17
.LBB119_2083:
	s_andn2_b64 vcc, exec, s[2:3]
	s_cbranch_vccnz .LBB119_2085
; %bb.2084:
	global_load_dword v17, v[20:21], off
.LBB119_2085:
	s_mov_b64 s[2:3], 0
.LBB119_2086:
	s_andn2_b64 vcc, exec, s[2:3]
	s_cbranch_vccnz .LBB119_2088
; %bb.2087:
	global_load_ushort v17, v[20:21], off
.LBB119_2088:
	s_mov_b64 s[2:3], 0
.LBB119_2089:
	s_andn2_b64 vcc, exec, s[2:3]
	s_cbranch_vccnz .LBB119_2095
; %bb.2090:
	s_cmp_gt_i32 s21, 0
	s_cbranch_scc0 .LBB119_2092
; %bb.2091:
	global_load_sbyte v17, v[20:21], off
	s_mov_b64 s[2:3], 0
	s_branch .LBB119_2093
.LBB119_2092:
	s_mov_b64 s[2:3], -1
                                        ; implicit-def: $vgpr17
.LBB119_2093:
	s_andn2_b64 vcc, exec, s[2:3]
	s_cbranch_vccnz .LBB119_2095
; %bb.2094:
	global_load_ubyte v17, v[20:21], off
.LBB119_2095:
	s_mov_b64 s[16:17], -1
.LBB119_2096:
	s_andn2_b64 vcc, exec, s[16:17]
	s_cbranch_vccnz .LBB119_3036
; %bb.2097:
	v_mov_b32_e32 v1, s11
	v_add_co_u32_e32 v20, vcc, s10, v16
	s_cmp_lt_i32 s22, 11
	v_addc_co_u32_e32 v21, vcc, 0, v1, vcc
	s_cbranch_scc1 .LBB119_2104
; %bb.2098:
	s_and_b32 s23, 0xffff, s22
	s_cmp_gt_i32 s23, 25
	s_mov_b64 s[6:7], 0
	s_cbranch_scc0 .LBB119_2105
; %bb.2099:
	s_cmp_gt_i32 s23, 28
	s_cbranch_scc0 .LBB119_2106
; %bb.2100:
	s_cmp_gt_i32 s23, 43
	;; [unrolled: 3-line block ×3, first 2 shown]
	s_cbranch_scc0 .LBB119_2109
; %bb.2102:
	s_cmp_eq_u32 s23, 46
	s_mov_b64 s[18:19], 0
	s_cbranch_scc0 .LBB119_2110
; %bb.2103:
	global_load_dword v1, v[20:21], off
	s_mov_b64 s[2:3], 0
	s_mov_b64 s[16:17], -1
	s_waitcnt vmcnt(0)
	v_lshlrev_b32_e32 v1, 16, v1
	v_cvt_i32_f32_e32 v15, v1
	s_branch .LBB119_2111
.LBB119_2104:
	s_mov_b64 s[2:3], -1
	s_mov_b64 s[16:17], 0
                                        ; implicit-def: $vgpr15
	s_branch .LBB119_2173
.LBB119_2105:
	s_mov_b64 s[18:19], -1
	s_mov_b64 s[16:17], 0
	s_mov_b64 s[2:3], 0
                                        ; implicit-def: $vgpr15
	s_branch .LBB119_2138
.LBB119_2106:
	s_mov_b64 s[18:19], -1
	s_mov_b64 s[16:17], 0
	s_mov_b64 s[2:3], 0
                                        ; implicit-def: $vgpr15
	s_branch .LBB119_2121
.LBB119_2107:
	s_mov_b64 s[18:19], -1
	s_mov_b64 s[16:17], 0
	s_mov_b64 s[2:3], 0
                                        ; implicit-def: $vgpr15
	s_branch .LBB119_2116
.LBB119_2108:
	s_trap 2
	s_or_b64 s[4:5], s[4:5], exec
	s_cbranch_execz .LBB119_2045
	s_branch .LBB119_2046
.LBB119_2109:
	s_mov_b64 s[18:19], -1
	s_mov_b64 s[16:17], 0
	s_mov_b64 s[2:3], 0
                                        ; implicit-def: $vgpr15
	s_branch .LBB119_2111
.LBB119_2110:
	s_mov_b64 s[2:3], -1
                                        ; implicit-def: $vgpr15
	s_mov_b64 s[16:17], 0
.LBB119_2111:
	s_and_b64 vcc, exec, s[18:19]
	s_cbranch_vccz .LBB119_2115
; %bb.2112:
	s_cmp_eq_u32 s23, 44
	s_cbranch_scc0 .LBB119_2114
; %bb.2113:
	global_load_ubyte v1, v[20:21], off
	s_mov_b64 s[2:3], 0
	s_mov_b64 s[16:17], -1
	s_waitcnt vmcnt(0)
	v_lshlrev_b32_e32 v3, 23, v1
	v_cvt_i32_f32_e32 v3, v3
	v_cmp_ne_u32_e32 vcc, 0, v1
	v_cndmask_b32_e32 v15, 0, v3, vcc
	s_branch .LBB119_2115
.LBB119_2114:
	s_mov_b64 s[2:3], -1
                                        ; implicit-def: $vgpr15
.LBB119_2115:
	s_mov_b64 s[18:19], 0
.LBB119_2116:
	s_and_b64 vcc, exec, s[18:19]
	s_cbranch_vccz .LBB119_2120
; %bb.2117:
	s_cmp_eq_u32 s23, 29
	s_cbranch_scc0 .LBB119_2119
; %bb.2118:
	global_load_dwordx2 v[15:16], v[20:21], off
	s_mov_b64 s[2:3], 0
	s_mov_b64 s[16:17], -1
	s_branch .LBB119_2120
.LBB119_2119:
	s_mov_b64 s[2:3], -1
                                        ; implicit-def: $vgpr15
.LBB119_2120:
	s_mov_b64 s[18:19], 0
.LBB119_2121:
	s_and_b64 vcc, exec, s[18:19]
	s_cbranch_vccz .LBB119_2137
; %bb.2122:
	s_cmp_lt_i32 s23, 27
	s_cbranch_scc1 .LBB119_2125
; %bb.2123:
	s_cmp_gt_i32 s23, 27
	s_cbranch_scc0 .LBB119_2126
; %bb.2124:
	global_load_dword v15, v[20:21], off
	s_mov_b64 s[16:17], 0
	s_branch .LBB119_2127
.LBB119_2125:
	s_mov_b64 s[16:17], -1
                                        ; implicit-def: $vgpr15
	s_branch .LBB119_2130
.LBB119_2126:
	s_mov_b64 s[16:17], -1
                                        ; implicit-def: $vgpr15
.LBB119_2127:
	s_andn2_b64 vcc, exec, s[16:17]
	s_cbranch_vccnz .LBB119_2129
; %bb.2128:
	global_load_ushort v15, v[20:21], off
.LBB119_2129:
	s_mov_b64 s[16:17], 0
.LBB119_2130:
	s_andn2_b64 vcc, exec, s[16:17]
	s_cbranch_vccnz .LBB119_2136
; %bb.2131:
	global_load_ubyte v1, v[20:21], off
	s_movk_i32 s16, 0x7f
	s_mov_b64 s[18:19], 0
	s_waitcnt vmcnt(0)
	v_cmp_lt_i16_e32 vcc, s16, v1
	s_and_saveexec_b64 s[16:17], vcc
	s_xor_b64 s[16:17], exec, s[16:17]
	s_cbranch_execz .LBB119_2148
; %bb.2132:
	s_movk_i32 s18, 0x80
	v_cmp_ne_u16_e32 vcc, s18, v1
	s_and_b64 s[18:19], vcc, exec
	s_andn2_saveexec_b64 s[16:17], s[16:17]
	s_cbranch_execnz .LBB119_2149
.LBB119_2133:
	s_or_b64 exec, exec, s[16:17]
	v_mov_b32_e32 v15, 0
	s_and_saveexec_b64 s[16:17], s[18:19]
	s_cbranch_execz .LBB119_2135
.LBB119_2134:
	v_lshlrev_b32_e32 v3, 24, v1
	v_and_b32_e32 v1, 0xffff, v1
	v_and_b32_e32 v5, 7, v1
	v_ffbh_u32_e32 v11, v5
	v_min_u32_e32 v11, 32, v11
	v_subrev_u32_e32 v13, 28, v11
	v_bfe_u32 v8, v1, 3, 4
	v_lshlrev_b32_e32 v1, v13, v1
	v_sub_u32_e32 v11, 29, v11
	v_and_b32_e32 v1, 7, v1
	v_cmp_eq_u32_e32 vcc, 0, v8
	v_cndmask_b32_e32 v8, v8, v11, vcc
	v_cndmask_b32_e32 v1, v5, v1, vcc
	v_mov_b32_e32 v5, 0x3b800000
	v_lshlrev_b32_e32 v1, 20, v1
	v_and_b32_e32 v3, 0x80000000, v3
	v_lshl_add_u32 v5, v8, 23, v5
	v_or3_b32 v1, v3, v5, v1
	v_cvt_i32_f32_e32 v15, v1
.LBB119_2135:
	s_or_b64 exec, exec, s[16:17]
.LBB119_2136:
	s_mov_b64 s[16:17], -1
.LBB119_2137:
	s_mov_b64 s[18:19], 0
.LBB119_2138:
	s_and_b64 vcc, exec, s[18:19]
	s_cbranch_vccz .LBB119_2169
; %bb.2139:
	s_cmp_gt_i32 s23, 22
	s_cbranch_scc0 .LBB119_2147
; %bb.2140:
	s_cmp_lt_i32 s23, 24
	s_cbranch_scc1 .LBB119_2150
; %bb.2141:
	s_cmp_gt_i32 s23, 24
	s_cbranch_scc0 .LBB119_2151
; %bb.2142:
	global_load_ubyte v1, v[20:21], off
	s_movk_i32 s6, 0x7f
	s_mov_b64 s[16:17], 0
	s_waitcnt vmcnt(0)
	v_cmp_lt_i16_e32 vcc, s6, v1
	s_and_saveexec_b64 s[6:7], vcc
	s_xor_b64 s[6:7], exec, s[6:7]
	s_cbranch_execz .LBB119_2163
; %bb.2143:
	s_movk_i32 s16, 0x80
	v_cmp_ne_u16_e32 vcc, s16, v1
	s_and_b64 s[16:17], vcc, exec
	s_andn2_saveexec_b64 s[6:7], s[6:7]
	s_cbranch_execnz .LBB119_2164
.LBB119_2144:
	s_or_b64 exec, exec, s[6:7]
	v_mov_b32_e32 v15, 0
	s_and_saveexec_b64 s[6:7], s[16:17]
	s_cbranch_execz .LBB119_2146
.LBB119_2145:
	v_lshlrev_b32_e32 v3, 24, v1
	v_and_b32_e32 v1, 0xffff, v1
	v_and_b32_e32 v5, 3, v1
	v_ffbh_u32_e32 v11, v5
	v_min_u32_e32 v11, 32, v11
	v_subrev_u32_e32 v13, 29, v11
	v_bfe_u32 v8, v1, 2, 5
	v_lshlrev_b32_e32 v1, v13, v1
	v_sub_u32_e32 v11, 30, v11
	v_and_b32_e32 v1, 3, v1
	v_cmp_eq_u32_e32 vcc, 0, v8
	v_cndmask_b32_e32 v8, v8, v11, vcc
	v_cndmask_b32_e32 v1, v5, v1, vcc
	v_mov_b32_e32 v5, 0x37800000
	v_lshlrev_b32_e32 v1, 21, v1
	v_and_b32_e32 v3, 0x80000000, v3
	v_lshl_add_u32 v5, v8, 23, v5
	v_or3_b32 v1, v3, v5, v1
	v_cvt_i32_f32_e32 v15, v1
.LBB119_2146:
	s_or_b64 exec, exec, s[6:7]
	s_mov_b64 s[6:7], 0
	s_branch .LBB119_2152
.LBB119_2147:
	s_mov_b64 s[6:7], -1
                                        ; implicit-def: $vgpr15
	s_branch .LBB119_2158
.LBB119_2148:
	s_andn2_saveexec_b64 s[16:17], s[16:17]
	s_cbranch_execz .LBB119_2133
.LBB119_2149:
	v_cmp_ne_u16_e32 vcc, 0, v1
	s_andn2_b64 s[18:19], s[18:19], exec
	s_and_b64 s[24:25], vcc, exec
	s_or_b64 s[18:19], s[18:19], s[24:25]
	s_or_b64 exec, exec, s[16:17]
	v_mov_b32_e32 v15, 0
	s_and_saveexec_b64 s[16:17], s[18:19]
	s_cbranch_execnz .LBB119_2134
	s_branch .LBB119_2135
.LBB119_2150:
	s_mov_b64 s[6:7], -1
                                        ; implicit-def: $vgpr15
	s_branch .LBB119_2155
.LBB119_2151:
	s_mov_b64 s[6:7], -1
                                        ; implicit-def: $vgpr15
.LBB119_2152:
	s_and_b64 vcc, exec, s[6:7]
	s_cbranch_vccz .LBB119_2154
; %bb.2153:
	global_load_ubyte v1, v[20:21], off
	s_mov_b32 s6, 0x7f800000
	s_waitcnt vmcnt(0)
	v_lshlrev_b32_e32 v1, 24, v1
	v_and_b32_e32 v3, 0x7f000000, v1
	v_ffbh_u32_e32 v5, v3
	v_min_u32_e32 v5, 32, v5
	v_sub_u32_e64 v5, v5, 4 clamp
	v_lshlrev_b32_e32 v11, v5, v3
	v_lshlrev_b32_e32 v5, 23, v5
	v_lshrrev_b32_e32 v11, 4, v11
	v_add_u32_e32 v8, 0x1000000, v3
	v_sub_u32_e32 v5, v11, v5
	v_ashrrev_i32_e32 v8, 8, v8
	v_add_u32_e32 v5, 0x3c000000, v5
	v_and_or_b32 v5, v8, s6, v5
	v_cmp_ne_u32_e32 vcc, 0, v3
	v_cndmask_b32_e32 v3, 0, v5, vcc
	s_brev_b32 s6, 1
	v_and_or_b32 v1, v1, s6, v3
	v_cvt_i32_f32_e32 v15, v1
.LBB119_2154:
	s_mov_b64 s[6:7], 0
.LBB119_2155:
	s_andn2_b64 vcc, exec, s[6:7]
	s_cbranch_vccnz .LBB119_2157
; %bb.2156:
	global_load_ubyte v1, v[20:21], off
	s_movk_i32 s6, 0x7f00
	s_brev_b32 s7, 16
	s_waitcnt vmcnt(0)
	v_lshlrev_b16_e32 v3, 8, v1
	v_lshlrev_b32_e32 v1, 25, v1
	v_lshrrev_b32_e32 v5, 4, v1
	v_and_or_b32 v8, v3, s6, 0.5
	v_or_b32_e32 v5, 0x70000000, v5
	v_add_f32_e32 v8, -0.5, v8
	v_mul_f32_e32 v5, 0x7800000, v5
	v_cmp_gt_u32_e32 vcc, s7, v1
	v_bfe_i32 v3, v3, 0, 16
	v_cndmask_b32_e32 v1, v5, v8, vcc
	s_brev_b32 s6, 1
	v_and_or_b32 v1, v3, s6, v1
	v_cvt_i32_f32_e32 v15, v1
.LBB119_2157:
	s_mov_b64 s[6:7], 0
	s_mov_b64 s[16:17], -1
.LBB119_2158:
	s_andn2_b64 vcc, exec, s[6:7]
	s_mov_b64 s[6:7], 0
	s_cbranch_vccnz .LBB119_2169
; %bb.2159:
	s_cmp_gt_i32 s23, 14
	s_cbranch_scc0 .LBB119_2162
; %bb.2160:
	s_cmp_eq_u32 s23, 15
	s_cbranch_scc0 .LBB119_2165
; %bb.2161:
	global_load_ushort v1, v[20:21], off
	s_mov_b64 s[2:3], 0
	s_mov_b64 s[16:17], -1
	s_waitcnt vmcnt(0)
	v_lshlrev_b32_e32 v1, 16, v1
	v_cvt_i32_f32_e32 v15, v1
	s_branch .LBB119_2166
.LBB119_2162:
	s_mov_b64 s[18:19], -1
                                        ; implicit-def: $vgpr15
	s_branch .LBB119_2167
.LBB119_2163:
	s_andn2_saveexec_b64 s[6:7], s[6:7]
	s_cbranch_execz .LBB119_2144
.LBB119_2164:
	v_cmp_ne_u16_e32 vcc, 0, v1
	s_andn2_b64 s[16:17], s[16:17], exec
	s_and_b64 s[18:19], vcc, exec
	s_or_b64 s[16:17], s[16:17], s[18:19]
	s_or_b64 exec, exec, s[6:7]
	v_mov_b32_e32 v15, 0
	s_and_saveexec_b64 s[6:7], s[16:17]
	s_cbranch_execnz .LBB119_2145
	s_branch .LBB119_2146
.LBB119_2165:
	s_mov_b64 s[2:3], -1
                                        ; implicit-def: $vgpr15
.LBB119_2166:
	s_mov_b64 s[18:19], 0
.LBB119_2167:
	s_and_b64 vcc, exec, s[18:19]
	s_cbranch_vccz .LBB119_2169
; %bb.2168:
	s_cmp_lg_u32 s23, 11
	s_mov_b64 s[6:7], -1
	s_cselect_b64 s[2:3], -1, 0
.LBB119_2169:
	s_and_b64 vcc, exec, s[2:3]
	s_cbranch_vccnz .LBB119_2234
; %bb.2170:
	s_andn2_b64 vcc, exec, s[6:7]
	s_cbranch_vccnz .LBB119_2172
.LBB119_2171:
	global_load_ubyte v1, v[20:21], off
	s_mov_b64 s[16:17], -1
	s_waitcnt vmcnt(0)
	v_cmp_ne_u16_e32 vcc, 0, v1
	v_cndmask_b32_e64 v15, 0, 1, vcc
.LBB119_2172:
	s_mov_b64 s[2:3], 0
.LBB119_2173:
	s_and_b64 vcc, exec, s[2:3]
	s_cbranch_vccz .LBB119_2222
; %bb.2174:
	s_and_b32 s6, 0xffff, s22
	s_cmp_lt_i32 s6, 5
	s_cbranch_scc1 .LBB119_2179
; %bb.2175:
	s_cmp_lt_i32 s6, 8
	s_cbranch_scc1 .LBB119_2180
; %bb.2176:
	;; [unrolled: 3-line block ×3, first 2 shown]
	s_cmp_gt_i32 s6, 9
	s_cbranch_scc0 .LBB119_2182
; %bb.2178:
	global_load_dwordx2 v[15:16], v[20:21], off
	s_mov_b64 s[2:3], 0
	s_waitcnt vmcnt(0)
	v_cvt_i32_f64_e32 v15, v[15:16]
	s_branch .LBB119_2183
.LBB119_2179:
	s_mov_b64 s[2:3], -1
                                        ; implicit-def: $vgpr15
	s_branch .LBB119_2201
.LBB119_2180:
	s_mov_b64 s[2:3], -1
                                        ; implicit-def: $vgpr15
	s_branch .LBB119_2189
.LBB119_2181:
	s_mov_b64 s[2:3], -1
                                        ; implicit-def: $vgpr15
	s_branch .LBB119_2186
.LBB119_2182:
	s_mov_b64 s[2:3], -1
                                        ; implicit-def: $vgpr15
.LBB119_2183:
	s_andn2_b64 vcc, exec, s[2:3]
	s_cbranch_vccnz .LBB119_2185
; %bb.2184:
	global_load_dword v1, v[20:21], off
	s_waitcnt vmcnt(0)
	v_cvt_i32_f32_e32 v15, v1
.LBB119_2185:
	s_mov_b64 s[2:3], 0
.LBB119_2186:
	s_andn2_b64 vcc, exec, s[2:3]
	s_cbranch_vccnz .LBB119_2188
; %bb.2187:
	global_load_dword v1, v[20:21], off
	s_waitcnt vmcnt(0)
	v_cvt_i16_f16_e32 v15, v1
.LBB119_2188:
	s_mov_b64 s[2:3], 0
.LBB119_2189:
	s_andn2_b64 vcc, exec, s[2:3]
	s_cbranch_vccnz .LBB119_2200
; %bb.2190:
	s_cmp_lt_i32 s6, 6
	s_cbranch_scc1 .LBB119_2193
; %bb.2191:
	s_cmp_gt_i32 s6, 6
	s_cbranch_scc0 .LBB119_2194
; %bb.2192:
	global_load_dwordx2 v[15:16], v[20:21], off
	s_mov_b64 s[2:3], 0
	s_waitcnt vmcnt(0)
	v_cvt_i32_f64_e32 v15, v[15:16]
	s_branch .LBB119_2195
.LBB119_2193:
	s_mov_b64 s[2:3], -1
                                        ; implicit-def: $vgpr15
	s_branch .LBB119_2198
.LBB119_2194:
	s_mov_b64 s[2:3], -1
                                        ; implicit-def: $vgpr15
.LBB119_2195:
	s_andn2_b64 vcc, exec, s[2:3]
	s_cbranch_vccnz .LBB119_2197
; %bb.2196:
	global_load_dword v1, v[20:21], off
	s_waitcnt vmcnt(0)
	v_cvt_i32_f32_e32 v15, v1
.LBB119_2197:
	s_mov_b64 s[2:3], 0
.LBB119_2198:
	s_andn2_b64 vcc, exec, s[2:3]
	s_cbranch_vccnz .LBB119_2200
; %bb.2199:
	global_load_ushort v1, v[20:21], off
	s_waitcnt vmcnt(0)
	v_cvt_i16_f16_e32 v15, v1
.LBB119_2200:
	s_mov_b64 s[2:3], 0
.LBB119_2201:
	s_andn2_b64 vcc, exec, s[2:3]
	s_cbranch_vccnz .LBB119_2221
; %bb.2202:
	s_cmp_lt_i32 s6, 2
	s_cbranch_scc1 .LBB119_2206
; %bb.2203:
	s_cmp_lt_i32 s6, 3
	s_cbranch_scc1 .LBB119_2207
; %bb.2204:
	s_cmp_gt_i32 s6, 3
	s_cbranch_scc0 .LBB119_2208
; %bb.2205:
	global_load_dwordx2 v[15:16], v[20:21], off
	s_mov_b64 s[2:3], 0
	s_branch .LBB119_2209
.LBB119_2206:
	s_mov_b64 s[2:3], -1
                                        ; implicit-def: $vgpr15
	s_branch .LBB119_2215
.LBB119_2207:
	s_mov_b64 s[2:3], -1
                                        ; implicit-def: $vgpr15
	s_branch .LBB119_2212
.LBB119_2208:
	s_mov_b64 s[2:3], -1
                                        ; implicit-def: $vgpr15
.LBB119_2209:
	s_andn2_b64 vcc, exec, s[2:3]
	s_cbranch_vccnz .LBB119_2211
; %bb.2210:
	global_load_dword v15, v[20:21], off
.LBB119_2211:
	s_mov_b64 s[2:3], 0
.LBB119_2212:
	s_andn2_b64 vcc, exec, s[2:3]
	s_cbranch_vccnz .LBB119_2214
; %bb.2213:
	global_load_ushort v15, v[20:21], off
.LBB119_2214:
	s_mov_b64 s[2:3], 0
.LBB119_2215:
	s_andn2_b64 vcc, exec, s[2:3]
	s_cbranch_vccnz .LBB119_2221
; %bb.2216:
	s_cmp_gt_i32 s6, 0
	s_cbranch_scc0 .LBB119_2218
; %bb.2217:
	global_load_sbyte v15, v[20:21], off
	s_mov_b64 s[2:3], 0
	s_branch .LBB119_2219
.LBB119_2218:
	s_mov_b64 s[2:3], -1
                                        ; implicit-def: $vgpr15
.LBB119_2219:
	s_andn2_b64 vcc, exec, s[2:3]
	s_cbranch_vccnz .LBB119_2221
; %bb.2220:
	global_load_ubyte v15, v[20:21], off
.LBB119_2221:
	s_mov_b64 s[16:17], -1
.LBB119_2222:
	s_andn2_b64 vcc, exec, s[16:17]
	s_cbranch_vccnz .LBB119_3036
; %bb.2223:
	v_mov_b32_e32 v1, s1
	v_add_co_u32_e32 v20, vcc, s0, v19
	s_cmp_lt_i32 s21, 11
	v_addc_co_u32_e32 v21, vcc, 0, v1, vcc
	s_cbranch_scc1 .LBB119_2230
; %bb.2224:
	s_cmp_gt_i32 s21, 25
	s_mov_b64 s[6:7], 0
	s_cbranch_scc0 .LBB119_2231
; %bb.2225:
	s_cmp_gt_i32 s21, 28
	s_cbranch_scc0 .LBB119_2232
; %bb.2226:
	s_cmp_gt_i32 s21, 43
	;; [unrolled: 3-line block ×3, first 2 shown]
	s_cbranch_scc0 .LBB119_2235
; %bb.2228:
	s_cmp_eq_u32 s21, 46
	s_mov_b64 s[18:19], 0
	s_cbranch_scc0 .LBB119_2238
; %bb.2229:
	global_load_dword v1, v[20:21], off
	s_mov_b64 s[2:3], 0
	s_mov_b64 s[16:17], -1
	s_waitcnt vmcnt(0)
	v_lshlrev_b32_e32 v1, 16, v1
	v_cvt_i32_f32_e32 v18, v1
	s_branch .LBB119_2239
.LBB119_2230:
	s_mov_b64 s[2:3], -1
	s_mov_b64 s[16:17], 0
                                        ; implicit-def: $vgpr18
	s_branch .LBB119_2301
.LBB119_2231:
	s_mov_b64 s[18:19], -1
	s_mov_b64 s[16:17], 0
	s_mov_b64 s[2:3], 0
                                        ; implicit-def: $vgpr18
	s_branch .LBB119_2266
.LBB119_2232:
	s_mov_b64 s[18:19], -1
	s_mov_b64 s[16:17], 0
	s_mov_b64 s[2:3], 0
                                        ; implicit-def: $vgpr18
	s_branch .LBB119_2249
.LBB119_2233:
	s_mov_b64 s[18:19], -1
	s_mov_b64 s[16:17], 0
	s_mov_b64 s[2:3], 0
                                        ; implicit-def: $vgpr18
	s_branch .LBB119_2244
.LBB119_2234:
	s_trap 2
	s_or_b64 s[4:5], s[4:5], exec
	s_cbranch_execz .LBB119_2171
	s_branch .LBB119_2172
.LBB119_2235:
	s_mov_b64 s[18:19], -1
	s_mov_b64 s[16:17], 0
	s_mov_b64 s[2:3], 0
                                        ; implicit-def: $vgpr18
	s_branch .LBB119_2239
.LBB119_2236:
	s_andn2_saveexec_b64 s[62:63], s[62:63]
	s_cbranch_execz .LBB119_1095
.LBB119_2237:
	s_mov_b32 s67, 0x42800000
	v_add_f32_e64 v4, |v3|, s67
	v_and_b32_e32 v4, 0xff, v4
	v_cmp_ne_u32_e32 vcc, 0, v4
	s_andn2_b64 s[60:61], s[60:61], exec
	s_and_b64 s[74:75], vcc, exec
	s_or_b64 s[60:61], s[60:61], s[74:75]
	s_or_b64 exec, exec, s[62:63]
	v_mov_b32_e32 v5, 0
	s_and_saveexec_b64 s[62:63], s[60:61]
	s_cbranch_execnz .LBB119_1096
	s_branch .LBB119_1097
.LBB119_2238:
	s_mov_b64 s[2:3], -1
                                        ; implicit-def: $vgpr18
	s_mov_b64 s[16:17], 0
.LBB119_2239:
	s_and_b64 vcc, exec, s[18:19]
	s_cbranch_vccz .LBB119_2243
; %bb.2240:
	s_cmp_eq_u32 s21, 44
	s_cbranch_scc0 .LBB119_2242
; %bb.2241:
	global_load_ubyte v1, v[20:21], off
	s_mov_b64 s[2:3], 0
	s_mov_b64 s[16:17], -1
	s_waitcnt vmcnt(0)
	v_lshlrev_b32_e32 v3, 23, v1
	v_cvt_i32_f32_e32 v3, v3
	v_cmp_ne_u32_e32 vcc, 0, v1
	v_cndmask_b32_e32 v18, 0, v3, vcc
	s_branch .LBB119_2243
.LBB119_2242:
	s_mov_b64 s[2:3], -1
                                        ; implicit-def: $vgpr18
.LBB119_2243:
	s_mov_b64 s[18:19], 0
.LBB119_2244:
	s_and_b64 vcc, exec, s[18:19]
	s_cbranch_vccz .LBB119_2248
; %bb.2245:
	s_cmp_eq_u32 s21, 29
	s_cbranch_scc0 .LBB119_2247
; %bb.2246:
	global_load_dwordx2 v[18:19], v[20:21], off
	s_mov_b64 s[2:3], 0
	s_mov_b64 s[16:17], -1
	s_branch .LBB119_2248
.LBB119_2247:
	s_mov_b64 s[2:3], -1
                                        ; implicit-def: $vgpr18
.LBB119_2248:
	s_mov_b64 s[18:19], 0
.LBB119_2249:
	s_and_b64 vcc, exec, s[18:19]
	s_cbranch_vccz .LBB119_2265
; %bb.2250:
	s_cmp_lt_i32 s21, 27
	s_cbranch_scc1 .LBB119_2253
; %bb.2251:
	s_cmp_gt_i32 s21, 27
	s_cbranch_scc0 .LBB119_2254
; %bb.2252:
	global_load_dword v18, v[20:21], off
	s_mov_b64 s[16:17], 0
	s_branch .LBB119_2255
.LBB119_2253:
	s_mov_b64 s[16:17], -1
                                        ; implicit-def: $vgpr18
	s_branch .LBB119_2258
.LBB119_2254:
	s_mov_b64 s[16:17], -1
                                        ; implicit-def: $vgpr18
.LBB119_2255:
	s_andn2_b64 vcc, exec, s[16:17]
	s_cbranch_vccnz .LBB119_2257
; %bb.2256:
	global_load_ushort v18, v[20:21], off
.LBB119_2257:
	s_mov_b64 s[16:17], 0
.LBB119_2258:
	s_andn2_b64 vcc, exec, s[16:17]
	s_cbranch_vccnz .LBB119_2264
; %bb.2259:
	global_load_ubyte v1, v[20:21], off
	s_movk_i32 s16, 0x7f
	s_mov_b64 s[18:19], 0
	s_waitcnt vmcnt(0)
	v_cmp_lt_i16_e32 vcc, s16, v1
	s_and_saveexec_b64 s[16:17], vcc
	s_xor_b64 s[16:17], exec, s[16:17]
	s_cbranch_execz .LBB119_2276
; %bb.2260:
	s_movk_i32 s18, 0x80
	v_cmp_ne_u16_e32 vcc, s18, v1
	s_and_b64 s[18:19], vcc, exec
	s_andn2_saveexec_b64 s[16:17], s[16:17]
	s_cbranch_execnz .LBB119_2277
.LBB119_2261:
	s_or_b64 exec, exec, s[16:17]
	v_mov_b32_e32 v18, 0
	s_and_saveexec_b64 s[16:17], s[18:19]
	s_cbranch_execz .LBB119_2263
.LBB119_2262:
	v_lshlrev_b32_e32 v3, 24, v1
	v_and_b32_e32 v1, 0xffff, v1
	v_and_b32_e32 v5, 7, v1
	v_ffbh_u32_e32 v11, v5
	v_min_u32_e32 v11, 32, v11
	v_subrev_u32_e32 v13, 28, v11
	v_bfe_u32 v8, v1, 3, 4
	v_lshlrev_b32_e32 v1, v13, v1
	v_sub_u32_e32 v11, 29, v11
	v_and_b32_e32 v1, 7, v1
	v_cmp_eq_u32_e32 vcc, 0, v8
	v_cndmask_b32_e32 v8, v8, v11, vcc
	v_cndmask_b32_e32 v1, v5, v1, vcc
	v_mov_b32_e32 v5, 0x3b800000
	v_lshlrev_b32_e32 v1, 20, v1
	v_and_b32_e32 v3, 0x80000000, v3
	v_lshl_add_u32 v5, v8, 23, v5
	v_or3_b32 v1, v3, v5, v1
	v_cvt_i32_f32_e32 v18, v1
.LBB119_2263:
	s_or_b64 exec, exec, s[16:17]
.LBB119_2264:
	s_mov_b64 s[16:17], -1
.LBB119_2265:
	s_mov_b64 s[18:19], 0
.LBB119_2266:
	s_and_b64 vcc, exec, s[18:19]
	s_cbranch_vccz .LBB119_2297
; %bb.2267:
	s_cmp_gt_i32 s21, 22
	s_cbranch_scc0 .LBB119_2275
; %bb.2268:
	s_cmp_lt_i32 s21, 24
	s_cbranch_scc1 .LBB119_2278
; %bb.2269:
	s_cmp_gt_i32 s21, 24
	s_cbranch_scc0 .LBB119_2279
; %bb.2270:
	global_load_ubyte v1, v[20:21], off
	s_movk_i32 s6, 0x7f
	s_mov_b64 s[16:17], 0
	s_waitcnt vmcnt(0)
	v_cmp_lt_i16_e32 vcc, s6, v1
	s_and_saveexec_b64 s[6:7], vcc
	s_xor_b64 s[6:7], exec, s[6:7]
	s_cbranch_execz .LBB119_2291
; %bb.2271:
	s_movk_i32 s16, 0x80
	v_cmp_ne_u16_e32 vcc, s16, v1
	s_and_b64 s[16:17], vcc, exec
	s_andn2_saveexec_b64 s[6:7], s[6:7]
	s_cbranch_execnz .LBB119_2292
.LBB119_2272:
	s_or_b64 exec, exec, s[6:7]
	v_mov_b32_e32 v18, 0
	s_and_saveexec_b64 s[6:7], s[16:17]
	s_cbranch_execz .LBB119_2274
.LBB119_2273:
	v_lshlrev_b32_e32 v3, 24, v1
	v_and_b32_e32 v1, 0xffff, v1
	v_and_b32_e32 v5, 3, v1
	v_ffbh_u32_e32 v11, v5
	v_min_u32_e32 v11, 32, v11
	v_subrev_u32_e32 v13, 29, v11
	v_bfe_u32 v8, v1, 2, 5
	v_lshlrev_b32_e32 v1, v13, v1
	v_sub_u32_e32 v11, 30, v11
	v_and_b32_e32 v1, 3, v1
	v_cmp_eq_u32_e32 vcc, 0, v8
	v_cndmask_b32_e32 v8, v8, v11, vcc
	v_cndmask_b32_e32 v1, v5, v1, vcc
	v_mov_b32_e32 v5, 0x37800000
	v_lshlrev_b32_e32 v1, 21, v1
	v_and_b32_e32 v3, 0x80000000, v3
	v_lshl_add_u32 v5, v8, 23, v5
	v_or3_b32 v1, v3, v5, v1
	v_cvt_i32_f32_e32 v18, v1
.LBB119_2274:
	s_or_b64 exec, exec, s[6:7]
	s_mov_b64 s[6:7], 0
	s_branch .LBB119_2280
.LBB119_2275:
	s_mov_b64 s[6:7], -1
                                        ; implicit-def: $vgpr18
	s_branch .LBB119_2286
.LBB119_2276:
	s_andn2_saveexec_b64 s[16:17], s[16:17]
	s_cbranch_execz .LBB119_2261
.LBB119_2277:
	v_cmp_ne_u16_e32 vcc, 0, v1
	s_andn2_b64 s[18:19], s[18:19], exec
	s_and_b64 s[24:25], vcc, exec
	s_or_b64 s[18:19], s[18:19], s[24:25]
	s_or_b64 exec, exec, s[16:17]
	v_mov_b32_e32 v18, 0
	s_and_saveexec_b64 s[16:17], s[18:19]
	s_cbranch_execnz .LBB119_2262
	s_branch .LBB119_2263
.LBB119_2278:
	s_mov_b64 s[6:7], -1
                                        ; implicit-def: $vgpr18
	s_branch .LBB119_2283
.LBB119_2279:
	s_mov_b64 s[6:7], -1
                                        ; implicit-def: $vgpr18
.LBB119_2280:
	s_and_b64 vcc, exec, s[6:7]
	s_cbranch_vccz .LBB119_2282
; %bb.2281:
	global_load_ubyte v1, v[20:21], off
	s_mov_b32 s6, 0x7f800000
	s_waitcnt vmcnt(0)
	v_lshlrev_b32_e32 v1, 24, v1
	v_and_b32_e32 v3, 0x7f000000, v1
	v_ffbh_u32_e32 v5, v3
	v_min_u32_e32 v5, 32, v5
	v_sub_u32_e64 v5, v5, 4 clamp
	v_lshlrev_b32_e32 v11, v5, v3
	v_lshlrev_b32_e32 v5, 23, v5
	v_lshrrev_b32_e32 v11, 4, v11
	v_add_u32_e32 v8, 0x1000000, v3
	v_sub_u32_e32 v5, v11, v5
	v_ashrrev_i32_e32 v8, 8, v8
	v_add_u32_e32 v5, 0x3c000000, v5
	v_and_or_b32 v5, v8, s6, v5
	v_cmp_ne_u32_e32 vcc, 0, v3
	v_cndmask_b32_e32 v3, 0, v5, vcc
	s_brev_b32 s6, 1
	v_and_or_b32 v1, v1, s6, v3
	v_cvt_i32_f32_e32 v18, v1
.LBB119_2282:
	s_mov_b64 s[6:7], 0
.LBB119_2283:
	s_andn2_b64 vcc, exec, s[6:7]
	s_cbranch_vccnz .LBB119_2285
; %bb.2284:
	global_load_ubyte v1, v[20:21], off
	s_movk_i32 s6, 0x7f00
	s_brev_b32 s7, 16
	s_waitcnt vmcnt(0)
	v_lshlrev_b16_e32 v3, 8, v1
	v_lshlrev_b32_e32 v1, 25, v1
	v_lshrrev_b32_e32 v5, 4, v1
	v_and_or_b32 v8, v3, s6, 0.5
	v_or_b32_e32 v5, 0x70000000, v5
	v_add_f32_e32 v8, -0.5, v8
	v_mul_f32_e32 v5, 0x7800000, v5
	v_cmp_gt_u32_e32 vcc, s7, v1
	v_bfe_i32 v3, v3, 0, 16
	v_cndmask_b32_e32 v1, v5, v8, vcc
	s_brev_b32 s6, 1
	v_and_or_b32 v1, v3, s6, v1
	v_cvt_i32_f32_e32 v18, v1
.LBB119_2285:
	s_mov_b64 s[6:7], 0
	s_mov_b64 s[16:17], -1
.LBB119_2286:
	s_andn2_b64 vcc, exec, s[6:7]
	s_mov_b64 s[6:7], 0
	s_cbranch_vccnz .LBB119_2297
; %bb.2287:
	s_cmp_gt_i32 s21, 14
	s_cbranch_scc0 .LBB119_2290
; %bb.2288:
	s_cmp_eq_u32 s21, 15
	s_cbranch_scc0 .LBB119_2293
; %bb.2289:
	global_load_ushort v1, v[20:21], off
	s_mov_b64 s[2:3], 0
	s_mov_b64 s[16:17], -1
	s_waitcnt vmcnt(0)
	v_lshlrev_b32_e32 v1, 16, v1
	v_cvt_i32_f32_e32 v18, v1
	s_branch .LBB119_2294
.LBB119_2290:
	s_mov_b64 s[18:19], -1
                                        ; implicit-def: $vgpr18
	s_branch .LBB119_2295
.LBB119_2291:
	s_andn2_saveexec_b64 s[6:7], s[6:7]
	s_cbranch_execz .LBB119_2272
.LBB119_2292:
	v_cmp_ne_u16_e32 vcc, 0, v1
	s_andn2_b64 s[16:17], s[16:17], exec
	s_and_b64 s[18:19], vcc, exec
	s_or_b64 s[16:17], s[16:17], s[18:19]
	s_or_b64 exec, exec, s[6:7]
	v_mov_b32_e32 v18, 0
	s_and_saveexec_b64 s[6:7], s[16:17]
	s_cbranch_execnz .LBB119_2273
	s_branch .LBB119_2274
.LBB119_2293:
	s_mov_b64 s[2:3], -1
                                        ; implicit-def: $vgpr18
.LBB119_2294:
	s_mov_b64 s[18:19], 0
.LBB119_2295:
	s_and_b64 vcc, exec, s[18:19]
	s_cbranch_vccz .LBB119_2297
; %bb.2296:
	s_cmp_lg_u32 s21, 11
	s_mov_b64 s[6:7], -1
	s_cselect_b64 s[2:3], -1, 0
.LBB119_2297:
	s_and_b64 vcc, exec, s[2:3]
	s_cbranch_vccnz .LBB119_2362
; %bb.2298:
	s_andn2_b64 vcc, exec, s[6:7]
	s_cbranch_vccnz .LBB119_2300
.LBB119_2299:
	global_load_ubyte v1, v[20:21], off
	s_mov_b64 s[16:17], -1
	s_waitcnt vmcnt(0)
	v_cmp_ne_u16_e32 vcc, 0, v1
	v_cndmask_b32_e64 v18, 0, 1, vcc
.LBB119_2300:
	s_mov_b64 s[2:3], 0
.LBB119_2301:
	s_and_b64 vcc, exec, s[2:3]
	s_cbranch_vccz .LBB119_2350
; %bb.2302:
	s_cmp_lt_i32 s21, 5
	s_cbranch_scc1 .LBB119_2307
; %bb.2303:
	s_cmp_lt_i32 s21, 8
	s_cbranch_scc1 .LBB119_2308
	;; [unrolled: 3-line block ×3, first 2 shown]
; %bb.2305:
	s_cmp_gt_i32 s21, 9
	s_cbranch_scc0 .LBB119_2310
; %bb.2306:
	global_load_dwordx2 v[18:19], v[20:21], off
	s_mov_b64 s[2:3], 0
	s_waitcnt vmcnt(0)
	v_cvt_i32_f64_e32 v18, v[18:19]
	s_branch .LBB119_2311
.LBB119_2307:
	s_mov_b64 s[2:3], -1
                                        ; implicit-def: $vgpr18
	s_branch .LBB119_2329
.LBB119_2308:
	s_mov_b64 s[2:3], -1
                                        ; implicit-def: $vgpr18
	s_branch .LBB119_2317
.LBB119_2309:
	s_mov_b64 s[2:3], -1
                                        ; implicit-def: $vgpr18
	s_branch .LBB119_2314
.LBB119_2310:
	s_mov_b64 s[2:3], -1
                                        ; implicit-def: $vgpr18
.LBB119_2311:
	s_andn2_b64 vcc, exec, s[2:3]
	s_cbranch_vccnz .LBB119_2313
; %bb.2312:
	global_load_dword v1, v[20:21], off
	s_waitcnt vmcnt(0)
	v_cvt_i32_f32_e32 v18, v1
.LBB119_2313:
	s_mov_b64 s[2:3], 0
.LBB119_2314:
	s_andn2_b64 vcc, exec, s[2:3]
	s_cbranch_vccnz .LBB119_2316
; %bb.2315:
	global_load_dword v1, v[20:21], off
	s_waitcnt vmcnt(0)
	v_cvt_i16_f16_e32 v18, v1
.LBB119_2316:
	s_mov_b64 s[2:3], 0
.LBB119_2317:
	s_andn2_b64 vcc, exec, s[2:3]
	s_cbranch_vccnz .LBB119_2328
; %bb.2318:
	s_cmp_lt_i32 s21, 6
	s_cbranch_scc1 .LBB119_2321
; %bb.2319:
	s_cmp_gt_i32 s21, 6
	s_cbranch_scc0 .LBB119_2322
; %bb.2320:
	global_load_dwordx2 v[18:19], v[20:21], off
	s_mov_b64 s[2:3], 0
	s_waitcnt vmcnt(0)
	v_cvt_i32_f64_e32 v18, v[18:19]
	s_branch .LBB119_2323
.LBB119_2321:
	s_mov_b64 s[2:3], -1
                                        ; implicit-def: $vgpr18
	s_branch .LBB119_2326
.LBB119_2322:
	s_mov_b64 s[2:3], -1
                                        ; implicit-def: $vgpr18
.LBB119_2323:
	s_andn2_b64 vcc, exec, s[2:3]
	s_cbranch_vccnz .LBB119_2325
; %bb.2324:
	global_load_dword v1, v[20:21], off
	s_waitcnt vmcnt(0)
	v_cvt_i32_f32_e32 v18, v1
.LBB119_2325:
	s_mov_b64 s[2:3], 0
.LBB119_2326:
	s_andn2_b64 vcc, exec, s[2:3]
	s_cbranch_vccnz .LBB119_2328
; %bb.2327:
	global_load_ushort v1, v[20:21], off
	s_waitcnt vmcnt(0)
	v_cvt_i16_f16_e32 v18, v1
.LBB119_2328:
	s_mov_b64 s[2:3], 0
.LBB119_2329:
	s_andn2_b64 vcc, exec, s[2:3]
	s_cbranch_vccnz .LBB119_2349
; %bb.2330:
	s_cmp_lt_i32 s21, 2
	s_cbranch_scc1 .LBB119_2334
; %bb.2331:
	s_cmp_lt_i32 s21, 3
	s_cbranch_scc1 .LBB119_2335
; %bb.2332:
	s_cmp_gt_i32 s21, 3
	s_cbranch_scc0 .LBB119_2336
; %bb.2333:
	global_load_dwordx2 v[18:19], v[20:21], off
	s_mov_b64 s[2:3], 0
	s_branch .LBB119_2337
.LBB119_2334:
	s_mov_b64 s[2:3], -1
                                        ; implicit-def: $vgpr18
	s_branch .LBB119_2343
.LBB119_2335:
	s_mov_b64 s[2:3], -1
                                        ; implicit-def: $vgpr18
	s_branch .LBB119_2340
.LBB119_2336:
	s_mov_b64 s[2:3], -1
                                        ; implicit-def: $vgpr18
.LBB119_2337:
	s_andn2_b64 vcc, exec, s[2:3]
	s_cbranch_vccnz .LBB119_2339
; %bb.2338:
	global_load_dword v18, v[20:21], off
.LBB119_2339:
	s_mov_b64 s[2:3], 0
.LBB119_2340:
	s_andn2_b64 vcc, exec, s[2:3]
	s_cbranch_vccnz .LBB119_2342
; %bb.2341:
	global_load_ushort v18, v[20:21], off
.LBB119_2342:
	s_mov_b64 s[2:3], 0
.LBB119_2343:
	s_andn2_b64 vcc, exec, s[2:3]
	s_cbranch_vccnz .LBB119_2349
; %bb.2344:
	s_cmp_gt_i32 s21, 0
	s_cbranch_scc0 .LBB119_2346
; %bb.2345:
	global_load_sbyte v18, v[20:21], off
	s_mov_b64 s[2:3], 0
	s_branch .LBB119_2347
.LBB119_2346:
	s_mov_b64 s[2:3], -1
                                        ; implicit-def: $vgpr18
.LBB119_2347:
	s_andn2_b64 vcc, exec, s[2:3]
	s_cbranch_vccnz .LBB119_2349
; %bb.2348:
	global_load_ubyte v18, v[20:21], off
.LBB119_2349:
	s_mov_b64 s[16:17], -1
.LBB119_2350:
	s_andn2_b64 vcc, exec, s[16:17]
	s_cbranch_vccnz .LBB119_3036
; %bb.2351:
	v_mov_b32_e32 v1, s11
	s_waitcnt vmcnt(0)
	v_add_co_u32_e32 v19, vcc, s10, v14
	s_cmp_lt_i32 s22, 11
	v_addc_co_u32_e32 v20, vcc, 0, v1, vcc
	s_cbranch_scc1 .LBB119_2358
; %bb.2352:
	s_and_b32 s18, 0xffff, s22
	s_cmp_gt_i32 s18, 25
	s_mov_b64 s[6:7], 0
	s_cbranch_scc0 .LBB119_2359
; %bb.2353:
	s_cmp_gt_i32 s18, 28
	s_cbranch_scc0 .LBB119_2360
; %bb.2354:
	s_cmp_gt_i32 s18, 43
	;; [unrolled: 3-line block ×3, first 2 shown]
	s_cbranch_scc0 .LBB119_2363
; %bb.2356:
	s_cmp_eq_u32 s18, 46
	s_mov_b64 s[16:17], 0
	s_cbranch_scc0 .LBB119_2364
; %bb.2357:
	global_load_dword v1, v[19:20], off
	s_mov_b64 s[2:3], 0
	s_mov_b64 s[10:11], -1
	s_waitcnt vmcnt(0)
	v_lshlrev_b32_e32 v1, 16, v1
	v_cvt_i32_f32_e32 v13, v1
	s_branch .LBB119_2365
.LBB119_2358:
	s_mov_b64 s[2:3], -1
	s_mov_b64 s[10:11], 0
                                        ; implicit-def: $vgpr13
	s_branch .LBB119_2427
.LBB119_2359:
	s_mov_b64 s[16:17], -1
	s_mov_b64 s[10:11], 0
	s_mov_b64 s[2:3], 0
                                        ; implicit-def: $vgpr13
	s_branch .LBB119_2392
.LBB119_2360:
	s_mov_b64 s[16:17], -1
	s_mov_b64 s[10:11], 0
	s_mov_b64 s[2:3], 0
                                        ; implicit-def: $vgpr13
	s_branch .LBB119_2375
.LBB119_2361:
	s_mov_b64 s[16:17], -1
	s_mov_b64 s[10:11], 0
	s_mov_b64 s[2:3], 0
                                        ; implicit-def: $vgpr13
	s_branch .LBB119_2370
.LBB119_2362:
	s_trap 2
	s_or_b64 s[4:5], s[4:5], exec
	s_cbranch_execz .LBB119_2299
	s_branch .LBB119_2300
.LBB119_2363:
	s_mov_b64 s[16:17], -1
	s_mov_b64 s[10:11], 0
	s_mov_b64 s[2:3], 0
                                        ; implicit-def: $vgpr13
	s_branch .LBB119_2365
.LBB119_2364:
	s_mov_b64 s[2:3], -1
                                        ; implicit-def: $vgpr13
	s_mov_b64 s[10:11], 0
.LBB119_2365:
	s_and_b64 vcc, exec, s[16:17]
	s_cbranch_vccz .LBB119_2369
; %bb.2366:
	s_cmp_eq_u32 s18, 44
	s_cbranch_scc0 .LBB119_2368
; %bb.2367:
	global_load_ubyte v1, v[19:20], off
	s_mov_b64 s[2:3], 0
	s_mov_b64 s[10:11], -1
	s_waitcnt vmcnt(0)
	v_lshlrev_b32_e32 v3, 23, v1
	v_cvt_i32_f32_e32 v3, v3
	v_cmp_ne_u32_e32 vcc, 0, v1
	v_cndmask_b32_e32 v13, 0, v3, vcc
	s_branch .LBB119_2369
.LBB119_2368:
	s_mov_b64 s[2:3], -1
                                        ; implicit-def: $vgpr13
.LBB119_2369:
	s_mov_b64 s[16:17], 0
.LBB119_2370:
	s_and_b64 vcc, exec, s[16:17]
	s_cbranch_vccz .LBB119_2374
; %bb.2371:
	s_cmp_eq_u32 s18, 29
	s_cbranch_scc0 .LBB119_2373
; %bb.2372:
	global_load_dwordx2 v[13:14], v[19:20], off
	s_mov_b64 s[2:3], 0
	s_mov_b64 s[10:11], -1
	s_branch .LBB119_2374
.LBB119_2373:
	s_mov_b64 s[2:3], -1
                                        ; implicit-def: $vgpr13
.LBB119_2374:
	s_mov_b64 s[16:17], 0
.LBB119_2375:
	s_and_b64 vcc, exec, s[16:17]
	s_cbranch_vccz .LBB119_2391
; %bb.2376:
	s_cmp_lt_i32 s18, 27
	s_cbranch_scc1 .LBB119_2379
; %bb.2377:
	s_cmp_gt_i32 s18, 27
	s_cbranch_scc0 .LBB119_2380
; %bb.2378:
	global_load_dword v13, v[19:20], off
	s_mov_b64 s[10:11], 0
	s_branch .LBB119_2381
.LBB119_2379:
	s_mov_b64 s[10:11], -1
                                        ; implicit-def: $vgpr13
	s_branch .LBB119_2384
.LBB119_2380:
	s_mov_b64 s[10:11], -1
                                        ; implicit-def: $vgpr13
.LBB119_2381:
	s_andn2_b64 vcc, exec, s[10:11]
	s_cbranch_vccnz .LBB119_2383
; %bb.2382:
	global_load_ushort v13, v[19:20], off
.LBB119_2383:
	s_mov_b64 s[10:11], 0
.LBB119_2384:
	s_andn2_b64 vcc, exec, s[10:11]
	s_cbranch_vccnz .LBB119_2390
; %bb.2385:
	global_load_ubyte v1, v[19:20], off
	s_movk_i32 s10, 0x7f
	s_mov_b64 s[16:17], 0
	s_waitcnt vmcnt(0)
	v_cmp_lt_i16_e32 vcc, s10, v1
	s_and_saveexec_b64 s[10:11], vcc
	s_xor_b64 s[10:11], exec, s[10:11]
	s_cbranch_execz .LBB119_2402
; %bb.2386:
	s_movk_i32 s16, 0x80
	v_cmp_ne_u16_e32 vcc, s16, v1
	s_and_b64 s[16:17], vcc, exec
	s_andn2_saveexec_b64 s[10:11], s[10:11]
	s_cbranch_execnz .LBB119_2403
.LBB119_2387:
	s_or_b64 exec, exec, s[10:11]
	v_mov_b32_e32 v13, 0
	s_and_saveexec_b64 s[10:11], s[16:17]
	s_cbranch_execz .LBB119_2389
.LBB119_2388:
	v_lshlrev_b32_e32 v3, 24, v1
	v_and_b32_e32 v1, 0xffff, v1
	v_and_b32_e32 v5, 7, v1
	v_ffbh_u32_e32 v11, v5
	v_min_u32_e32 v11, 32, v11
	v_subrev_u32_e32 v13, 28, v11
	v_bfe_u32 v8, v1, 3, 4
	v_lshlrev_b32_e32 v1, v13, v1
	v_sub_u32_e32 v11, 29, v11
	v_and_b32_e32 v1, 7, v1
	v_cmp_eq_u32_e32 vcc, 0, v8
	v_cndmask_b32_e32 v8, v8, v11, vcc
	v_cndmask_b32_e32 v1, v5, v1, vcc
	v_mov_b32_e32 v5, 0x3b800000
	v_lshlrev_b32_e32 v1, 20, v1
	v_and_b32_e32 v3, 0x80000000, v3
	v_lshl_add_u32 v5, v8, 23, v5
	v_or3_b32 v1, v3, v5, v1
	v_cvt_i32_f32_e32 v13, v1
.LBB119_2389:
	s_or_b64 exec, exec, s[10:11]
.LBB119_2390:
	s_mov_b64 s[10:11], -1
.LBB119_2391:
	s_mov_b64 s[16:17], 0
.LBB119_2392:
	s_and_b64 vcc, exec, s[16:17]
	s_cbranch_vccz .LBB119_2423
; %bb.2393:
	s_cmp_gt_i32 s18, 22
	s_cbranch_scc0 .LBB119_2401
; %bb.2394:
	s_cmp_lt_i32 s18, 24
	s_cbranch_scc1 .LBB119_2404
; %bb.2395:
	s_cmp_gt_i32 s18, 24
	s_cbranch_scc0 .LBB119_2405
; %bb.2396:
	global_load_ubyte v1, v[19:20], off
	s_movk_i32 s6, 0x7f
	s_mov_b64 s[10:11], 0
	s_waitcnt vmcnt(0)
	v_cmp_lt_i16_e32 vcc, s6, v1
	s_and_saveexec_b64 s[6:7], vcc
	s_xor_b64 s[6:7], exec, s[6:7]
	s_cbranch_execz .LBB119_2417
; %bb.2397:
	s_movk_i32 s10, 0x80
	v_cmp_ne_u16_e32 vcc, s10, v1
	s_and_b64 s[10:11], vcc, exec
	s_andn2_saveexec_b64 s[6:7], s[6:7]
	s_cbranch_execnz .LBB119_2418
.LBB119_2398:
	s_or_b64 exec, exec, s[6:7]
	v_mov_b32_e32 v13, 0
	s_and_saveexec_b64 s[6:7], s[10:11]
	s_cbranch_execz .LBB119_2400
.LBB119_2399:
	v_lshlrev_b32_e32 v3, 24, v1
	v_and_b32_e32 v1, 0xffff, v1
	v_and_b32_e32 v5, 3, v1
	v_ffbh_u32_e32 v11, v5
	v_min_u32_e32 v11, 32, v11
	v_subrev_u32_e32 v13, 29, v11
	v_bfe_u32 v8, v1, 2, 5
	v_lshlrev_b32_e32 v1, v13, v1
	v_sub_u32_e32 v11, 30, v11
	v_and_b32_e32 v1, 3, v1
	v_cmp_eq_u32_e32 vcc, 0, v8
	v_cndmask_b32_e32 v8, v8, v11, vcc
	v_cndmask_b32_e32 v1, v5, v1, vcc
	v_mov_b32_e32 v5, 0x37800000
	v_lshlrev_b32_e32 v1, 21, v1
	v_and_b32_e32 v3, 0x80000000, v3
	v_lshl_add_u32 v5, v8, 23, v5
	v_or3_b32 v1, v3, v5, v1
	v_cvt_i32_f32_e32 v13, v1
.LBB119_2400:
	s_or_b64 exec, exec, s[6:7]
	s_mov_b64 s[6:7], 0
	s_branch .LBB119_2406
.LBB119_2401:
	s_mov_b64 s[6:7], -1
                                        ; implicit-def: $vgpr13
	s_branch .LBB119_2412
.LBB119_2402:
	s_andn2_saveexec_b64 s[10:11], s[10:11]
	s_cbranch_execz .LBB119_2387
.LBB119_2403:
	v_cmp_ne_u16_e32 vcc, 0, v1
	s_andn2_b64 s[16:17], s[16:17], exec
	s_and_b64 s[24:25], vcc, exec
	s_or_b64 s[16:17], s[16:17], s[24:25]
	s_or_b64 exec, exec, s[10:11]
	v_mov_b32_e32 v13, 0
	s_and_saveexec_b64 s[10:11], s[16:17]
	s_cbranch_execnz .LBB119_2388
	s_branch .LBB119_2389
.LBB119_2404:
	s_mov_b64 s[6:7], -1
                                        ; implicit-def: $vgpr13
	s_branch .LBB119_2409
.LBB119_2405:
	s_mov_b64 s[6:7], -1
                                        ; implicit-def: $vgpr13
.LBB119_2406:
	s_and_b64 vcc, exec, s[6:7]
	s_cbranch_vccz .LBB119_2408
; %bb.2407:
	global_load_ubyte v1, v[19:20], off
	s_mov_b32 s6, 0x7f800000
	s_waitcnt vmcnt(0)
	v_lshlrev_b32_e32 v1, 24, v1
	v_and_b32_e32 v3, 0x7f000000, v1
	v_ffbh_u32_e32 v5, v3
	v_min_u32_e32 v5, 32, v5
	v_sub_u32_e64 v5, v5, 4 clamp
	v_lshlrev_b32_e32 v11, v5, v3
	v_lshlrev_b32_e32 v5, 23, v5
	v_lshrrev_b32_e32 v11, 4, v11
	v_add_u32_e32 v8, 0x1000000, v3
	v_sub_u32_e32 v5, v11, v5
	v_ashrrev_i32_e32 v8, 8, v8
	v_add_u32_e32 v5, 0x3c000000, v5
	v_and_or_b32 v5, v8, s6, v5
	v_cmp_ne_u32_e32 vcc, 0, v3
	v_cndmask_b32_e32 v3, 0, v5, vcc
	s_brev_b32 s6, 1
	v_and_or_b32 v1, v1, s6, v3
	v_cvt_i32_f32_e32 v13, v1
.LBB119_2408:
	s_mov_b64 s[6:7], 0
.LBB119_2409:
	s_andn2_b64 vcc, exec, s[6:7]
	s_cbranch_vccnz .LBB119_2411
; %bb.2410:
	global_load_ubyte v1, v[19:20], off
	s_movk_i32 s6, 0x7f00
	s_brev_b32 s7, 16
	s_waitcnt vmcnt(0)
	v_lshlrev_b16_e32 v3, 8, v1
	v_lshlrev_b32_e32 v1, 25, v1
	v_lshrrev_b32_e32 v5, 4, v1
	v_and_or_b32 v8, v3, s6, 0.5
	v_or_b32_e32 v5, 0x70000000, v5
	v_add_f32_e32 v8, -0.5, v8
	v_mul_f32_e32 v5, 0x7800000, v5
	v_cmp_gt_u32_e32 vcc, s7, v1
	v_bfe_i32 v3, v3, 0, 16
	v_cndmask_b32_e32 v1, v5, v8, vcc
	s_brev_b32 s6, 1
	v_and_or_b32 v1, v3, s6, v1
	v_cvt_i32_f32_e32 v13, v1
.LBB119_2411:
	s_mov_b64 s[6:7], 0
	s_mov_b64 s[10:11], -1
.LBB119_2412:
	s_andn2_b64 vcc, exec, s[6:7]
	s_mov_b64 s[6:7], 0
	s_cbranch_vccnz .LBB119_2423
; %bb.2413:
	s_cmp_gt_i32 s18, 14
	s_cbranch_scc0 .LBB119_2416
; %bb.2414:
	s_cmp_eq_u32 s18, 15
	s_cbranch_scc0 .LBB119_2419
; %bb.2415:
	global_load_ushort v1, v[19:20], off
	s_mov_b64 s[2:3], 0
	s_mov_b64 s[10:11], -1
	s_waitcnt vmcnt(0)
	v_lshlrev_b32_e32 v1, 16, v1
	v_cvt_i32_f32_e32 v13, v1
	s_branch .LBB119_2420
.LBB119_2416:
	s_mov_b64 s[16:17], -1
                                        ; implicit-def: $vgpr13
	s_branch .LBB119_2421
.LBB119_2417:
	s_andn2_saveexec_b64 s[6:7], s[6:7]
	s_cbranch_execz .LBB119_2398
.LBB119_2418:
	v_cmp_ne_u16_e32 vcc, 0, v1
	s_andn2_b64 s[10:11], s[10:11], exec
	s_and_b64 s[16:17], vcc, exec
	s_or_b64 s[10:11], s[10:11], s[16:17]
	s_or_b64 exec, exec, s[6:7]
	v_mov_b32_e32 v13, 0
	s_and_saveexec_b64 s[6:7], s[10:11]
	s_cbranch_execnz .LBB119_2399
	s_branch .LBB119_2400
.LBB119_2419:
	s_mov_b64 s[2:3], -1
                                        ; implicit-def: $vgpr13
.LBB119_2420:
	s_mov_b64 s[16:17], 0
.LBB119_2421:
	s_and_b64 vcc, exec, s[16:17]
	s_cbranch_vccz .LBB119_2423
; %bb.2422:
	s_cmp_lg_u32 s18, 11
	s_mov_b64 s[6:7], -1
	s_cselect_b64 s[2:3], -1, 0
.LBB119_2423:
	s_and_b64 vcc, exec, s[2:3]
	s_cbranch_vccnz .LBB119_2488
; %bb.2424:
	s_andn2_b64 vcc, exec, s[6:7]
	s_cbranch_vccnz .LBB119_2426
.LBB119_2425:
	global_load_ubyte v1, v[19:20], off
	s_mov_b64 s[10:11], -1
	s_waitcnt vmcnt(0)
	v_cmp_ne_u16_e32 vcc, 0, v1
	v_cndmask_b32_e64 v13, 0, 1, vcc
.LBB119_2426:
	s_mov_b64 s[2:3], 0
.LBB119_2427:
	s_and_b64 vcc, exec, s[2:3]
	s_cbranch_vccz .LBB119_2476
; %bb.2428:
	s_and_b32 s6, 0xffff, s22
	s_cmp_lt_i32 s6, 5
	s_cbranch_scc1 .LBB119_2433
; %bb.2429:
	s_cmp_lt_i32 s6, 8
	s_cbranch_scc1 .LBB119_2434
; %bb.2430:
	;; [unrolled: 3-line block ×3, first 2 shown]
	s_cmp_gt_i32 s6, 9
	s_cbranch_scc0 .LBB119_2436
; %bb.2432:
	global_load_dwordx2 v[13:14], v[19:20], off
	s_mov_b64 s[2:3], 0
	s_waitcnt vmcnt(0)
	v_cvt_i32_f64_e32 v13, v[13:14]
	s_branch .LBB119_2437
.LBB119_2433:
	s_mov_b64 s[2:3], -1
                                        ; implicit-def: $vgpr13
	s_branch .LBB119_2455
.LBB119_2434:
	s_mov_b64 s[2:3], -1
                                        ; implicit-def: $vgpr13
	s_branch .LBB119_2443
.LBB119_2435:
	s_mov_b64 s[2:3], -1
                                        ; implicit-def: $vgpr13
	s_branch .LBB119_2440
.LBB119_2436:
	s_mov_b64 s[2:3], -1
                                        ; implicit-def: $vgpr13
.LBB119_2437:
	s_andn2_b64 vcc, exec, s[2:3]
	s_cbranch_vccnz .LBB119_2439
; %bb.2438:
	global_load_dword v1, v[19:20], off
	s_waitcnt vmcnt(0)
	v_cvt_i32_f32_e32 v13, v1
.LBB119_2439:
	s_mov_b64 s[2:3], 0
.LBB119_2440:
	s_andn2_b64 vcc, exec, s[2:3]
	s_cbranch_vccnz .LBB119_2442
; %bb.2441:
	global_load_dword v1, v[19:20], off
	s_waitcnt vmcnt(0)
	v_cvt_i16_f16_e32 v13, v1
.LBB119_2442:
	s_mov_b64 s[2:3], 0
.LBB119_2443:
	s_andn2_b64 vcc, exec, s[2:3]
	s_cbranch_vccnz .LBB119_2454
; %bb.2444:
	s_cmp_lt_i32 s6, 6
	s_cbranch_scc1 .LBB119_2447
; %bb.2445:
	s_cmp_gt_i32 s6, 6
	s_cbranch_scc0 .LBB119_2448
; %bb.2446:
	global_load_dwordx2 v[13:14], v[19:20], off
	s_mov_b64 s[2:3], 0
	s_waitcnt vmcnt(0)
	v_cvt_i32_f64_e32 v13, v[13:14]
	s_branch .LBB119_2449
.LBB119_2447:
	s_mov_b64 s[2:3], -1
                                        ; implicit-def: $vgpr13
	s_branch .LBB119_2452
.LBB119_2448:
	s_mov_b64 s[2:3], -1
                                        ; implicit-def: $vgpr13
.LBB119_2449:
	s_andn2_b64 vcc, exec, s[2:3]
	s_cbranch_vccnz .LBB119_2451
; %bb.2450:
	global_load_dword v1, v[19:20], off
	s_waitcnt vmcnt(0)
	v_cvt_i32_f32_e32 v13, v1
.LBB119_2451:
	s_mov_b64 s[2:3], 0
.LBB119_2452:
	s_andn2_b64 vcc, exec, s[2:3]
	s_cbranch_vccnz .LBB119_2454
; %bb.2453:
	global_load_ushort v1, v[19:20], off
	s_waitcnt vmcnt(0)
	v_cvt_i16_f16_e32 v13, v1
.LBB119_2454:
	s_mov_b64 s[2:3], 0
.LBB119_2455:
	s_andn2_b64 vcc, exec, s[2:3]
	s_cbranch_vccnz .LBB119_2475
; %bb.2456:
	s_cmp_lt_i32 s6, 2
	s_cbranch_scc1 .LBB119_2460
; %bb.2457:
	s_cmp_lt_i32 s6, 3
	s_cbranch_scc1 .LBB119_2461
; %bb.2458:
	s_cmp_gt_i32 s6, 3
	s_cbranch_scc0 .LBB119_2462
; %bb.2459:
	global_load_dwordx2 v[13:14], v[19:20], off
	s_mov_b64 s[2:3], 0
	s_branch .LBB119_2463
.LBB119_2460:
	s_mov_b64 s[2:3], -1
                                        ; implicit-def: $vgpr13
	s_branch .LBB119_2469
.LBB119_2461:
	s_mov_b64 s[2:3], -1
                                        ; implicit-def: $vgpr13
	s_branch .LBB119_2466
.LBB119_2462:
	s_mov_b64 s[2:3], -1
                                        ; implicit-def: $vgpr13
.LBB119_2463:
	s_andn2_b64 vcc, exec, s[2:3]
	s_cbranch_vccnz .LBB119_2465
; %bb.2464:
	global_load_dword v13, v[19:20], off
.LBB119_2465:
	s_mov_b64 s[2:3], 0
.LBB119_2466:
	s_andn2_b64 vcc, exec, s[2:3]
	s_cbranch_vccnz .LBB119_2468
; %bb.2467:
	global_load_ushort v13, v[19:20], off
.LBB119_2468:
	s_mov_b64 s[2:3], 0
.LBB119_2469:
	s_andn2_b64 vcc, exec, s[2:3]
	s_cbranch_vccnz .LBB119_2475
; %bb.2470:
	s_cmp_gt_i32 s6, 0
	s_cbranch_scc0 .LBB119_2472
; %bb.2471:
	global_load_sbyte v13, v[19:20], off
	s_mov_b64 s[2:3], 0
	s_branch .LBB119_2473
.LBB119_2472:
	s_mov_b64 s[2:3], -1
                                        ; implicit-def: $vgpr13
.LBB119_2473:
	s_andn2_b64 vcc, exec, s[2:3]
	s_cbranch_vccnz .LBB119_2475
; %bb.2474:
	global_load_ubyte v13, v[19:20], off
.LBB119_2475:
	s_mov_b64 s[10:11], -1
.LBB119_2476:
	s_andn2_b64 vcc, exec, s[10:11]
	s_cbranch_vccnz .LBB119_3036
; %bb.2477:
	v_mov_b32_e32 v1, s1
	v_add_co_u32_e32 v19, vcc, s0, v9
	s_cmp_lt_i32 s21, 11
	v_addc_co_u32_e32 v20, vcc, 0, v1, vcc
	s_cbranch_scc1 .LBB119_2484
; %bb.2478:
	s_cmp_gt_i32 s21, 25
	s_mov_b64 s[2:3], 0
	s_cbranch_scc0 .LBB119_2485
; %bb.2479:
	s_cmp_gt_i32 s21, 28
	s_cbranch_scc0 .LBB119_2486
; %bb.2480:
	s_cmp_gt_i32 s21, 43
	;; [unrolled: 3-line block ×3, first 2 shown]
	s_cbranch_scc0 .LBB119_2489
; %bb.2482:
	s_cmp_eq_u32 s21, 46
	s_mov_b64 s[10:11], 0
	s_cbranch_scc0 .LBB119_2490
; %bb.2483:
	global_load_dword v1, v[19:20], off
	s_mov_b64 s[0:1], 0
	s_mov_b64 s[6:7], -1
	s_waitcnt vmcnt(0)
	v_lshlrev_b32_e32 v1, 16, v1
	v_cvt_i32_f32_e32 v8, v1
	s_branch .LBB119_2491
.LBB119_2484:
	s_mov_b64 s[0:1], -1
	s_mov_b64 s[6:7], 0
                                        ; implicit-def: $vgpr8
	s_branch .LBB119_2553
.LBB119_2485:
	s_mov_b64 s[10:11], -1
	s_mov_b64 s[6:7], 0
	s_mov_b64 s[0:1], 0
                                        ; implicit-def: $vgpr8
	s_branch .LBB119_2518
.LBB119_2486:
	s_mov_b64 s[10:11], -1
	s_mov_b64 s[6:7], 0
	s_mov_b64 s[0:1], 0
                                        ; implicit-def: $vgpr8
	s_branch .LBB119_2501
.LBB119_2487:
	s_mov_b64 s[10:11], -1
	s_mov_b64 s[6:7], 0
	s_mov_b64 s[0:1], 0
                                        ; implicit-def: $vgpr8
	s_branch .LBB119_2496
.LBB119_2488:
	s_trap 2
	s_or_b64 s[4:5], s[4:5], exec
	s_cbranch_execz .LBB119_2425
	s_branch .LBB119_2426
.LBB119_2489:
	s_mov_b64 s[10:11], -1
	s_mov_b64 s[6:7], 0
	s_mov_b64 s[0:1], 0
                                        ; implicit-def: $vgpr8
	s_branch .LBB119_2491
.LBB119_2490:
	s_mov_b64 s[0:1], -1
                                        ; implicit-def: $vgpr8
	s_mov_b64 s[6:7], 0
.LBB119_2491:
	s_and_b64 vcc, exec, s[10:11]
	s_cbranch_vccz .LBB119_2495
; %bb.2492:
	s_cmp_eq_u32 s21, 44
	s_cbranch_scc0 .LBB119_2494
; %bb.2493:
	global_load_ubyte v1, v[19:20], off
	s_mov_b64 s[0:1], 0
	s_mov_b64 s[6:7], -1
	s_waitcnt vmcnt(0)
	v_lshlrev_b32_e32 v3, 23, v1
	v_cvt_i32_f32_e32 v3, v3
	v_cmp_ne_u32_e32 vcc, 0, v1
	v_cndmask_b32_e32 v8, 0, v3, vcc
	s_branch .LBB119_2495
.LBB119_2494:
	s_mov_b64 s[0:1], -1
                                        ; implicit-def: $vgpr8
.LBB119_2495:
	s_mov_b64 s[10:11], 0
.LBB119_2496:
	s_and_b64 vcc, exec, s[10:11]
	s_cbranch_vccz .LBB119_2500
; %bb.2497:
	s_cmp_eq_u32 s21, 29
	s_cbranch_scc0 .LBB119_2499
; %bb.2498:
	global_load_dwordx2 v[8:9], v[19:20], off
	s_mov_b64 s[0:1], 0
	s_mov_b64 s[6:7], -1
	s_branch .LBB119_2500
.LBB119_2499:
	s_mov_b64 s[0:1], -1
                                        ; implicit-def: $vgpr8
.LBB119_2500:
	s_mov_b64 s[10:11], 0
.LBB119_2501:
	s_and_b64 vcc, exec, s[10:11]
	s_cbranch_vccz .LBB119_2517
; %bb.2502:
	s_cmp_lt_i32 s21, 27
	s_cbranch_scc1 .LBB119_2505
; %bb.2503:
	s_cmp_gt_i32 s21, 27
	s_cbranch_scc0 .LBB119_2506
; %bb.2504:
	global_load_dword v8, v[19:20], off
	s_mov_b64 s[6:7], 0
	s_branch .LBB119_2507
.LBB119_2505:
	s_mov_b64 s[6:7], -1
                                        ; implicit-def: $vgpr8
	s_branch .LBB119_2510
.LBB119_2506:
	s_mov_b64 s[6:7], -1
                                        ; implicit-def: $vgpr8
.LBB119_2507:
	s_andn2_b64 vcc, exec, s[6:7]
	s_cbranch_vccnz .LBB119_2509
; %bb.2508:
	global_load_ushort v8, v[19:20], off
.LBB119_2509:
	s_mov_b64 s[6:7], 0
.LBB119_2510:
	s_andn2_b64 vcc, exec, s[6:7]
	s_cbranch_vccnz .LBB119_2516
; %bb.2511:
	global_load_ubyte v1, v[19:20], off
	s_movk_i32 s6, 0x7f
	s_mov_b64 s[10:11], 0
	s_waitcnt vmcnt(0)
	v_cmp_lt_i16_e32 vcc, s6, v1
	s_and_saveexec_b64 s[6:7], vcc
	s_xor_b64 s[6:7], exec, s[6:7]
	s_cbranch_execz .LBB119_2528
; %bb.2512:
	s_movk_i32 s10, 0x80
	v_cmp_ne_u16_e32 vcc, s10, v1
	s_and_b64 s[10:11], vcc, exec
	s_andn2_saveexec_b64 s[6:7], s[6:7]
	s_cbranch_execnz .LBB119_2529
.LBB119_2513:
	s_or_b64 exec, exec, s[6:7]
	v_mov_b32_e32 v8, 0
	s_and_saveexec_b64 s[6:7], s[10:11]
	s_cbranch_execz .LBB119_2515
.LBB119_2514:
	v_lshlrev_b32_e32 v3, 24, v1
	v_and_b32_e32 v1, 0xffff, v1
	v_and_b32_e32 v5, 7, v1
	v_ffbh_u32_e32 v9, v5
	v_min_u32_e32 v9, 32, v9
	v_subrev_u32_e32 v11, 28, v9
	v_bfe_u32 v8, v1, 3, 4
	v_lshlrev_b32_e32 v1, v11, v1
	v_sub_u32_e32 v9, 29, v9
	v_and_b32_e32 v1, 7, v1
	v_cmp_eq_u32_e32 vcc, 0, v8
	v_cndmask_b32_e32 v8, v8, v9, vcc
	v_cndmask_b32_e32 v1, v5, v1, vcc
	v_mov_b32_e32 v5, 0x3b800000
	v_lshlrev_b32_e32 v1, 20, v1
	v_and_b32_e32 v3, 0x80000000, v3
	v_lshl_add_u32 v5, v8, 23, v5
	v_or3_b32 v1, v3, v5, v1
	v_cvt_i32_f32_e32 v8, v1
.LBB119_2515:
	s_or_b64 exec, exec, s[6:7]
.LBB119_2516:
	s_mov_b64 s[6:7], -1
.LBB119_2517:
	s_mov_b64 s[10:11], 0
.LBB119_2518:
	s_and_b64 vcc, exec, s[10:11]
	s_cbranch_vccz .LBB119_2549
; %bb.2519:
	s_cmp_gt_i32 s21, 22
	s_cbranch_scc0 .LBB119_2527
; %bb.2520:
	s_cmp_lt_i32 s21, 24
	s_cbranch_scc1 .LBB119_2530
; %bb.2521:
	s_cmp_gt_i32 s21, 24
	s_cbranch_scc0 .LBB119_2531
; %bb.2522:
	global_load_ubyte v1, v[19:20], off
	s_movk_i32 s2, 0x7f
	s_mov_b64 s[6:7], 0
	s_waitcnt vmcnt(0)
	v_cmp_lt_i16_e32 vcc, s2, v1
	s_and_saveexec_b64 s[2:3], vcc
	s_xor_b64 s[2:3], exec, s[2:3]
	s_cbranch_execz .LBB119_2543
; %bb.2523:
	s_movk_i32 s6, 0x80
	v_cmp_ne_u16_e32 vcc, s6, v1
	s_and_b64 s[6:7], vcc, exec
	s_andn2_saveexec_b64 s[2:3], s[2:3]
	s_cbranch_execnz .LBB119_2544
.LBB119_2524:
	s_or_b64 exec, exec, s[2:3]
	v_mov_b32_e32 v8, 0
	s_and_saveexec_b64 s[2:3], s[6:7]
	s_cbranch_execz .LBB119_2526
.LBB119_2525:
	v_lshlrev_b32_e32 v3, 24, v1
	v_and_b32_e32 v1, 0xffff, v1
	v_and_b32_e32 v5, 3, v1
	v_ffbh_u32_e32 v9, v5
	v_min_u32_e32 v9, 32, v9
	v_subrev_u32_e32 v11, 29, v9
	v_bfe_u32 v8, v1, 2, 5
	v_lshlrev_b32_e32 v1, v11, v1
	v_sub_u32_e32 v9, 30, v9
	v_and_b32_e32 v1, 3, v1
	v_cmp_eq_u32_e32 vcc, 0, v8
	v_cndmask_b32_e32 v8, v8, v9, vcc
	v_cndmask_b32_e32 v1, v5, v1, vcc
	v_mov_b32_e32 v5, 0x37800000
	v_lshlrev_b32_e32 v1, 21, v1
	v_and_b32_e32 v3, 0x80000000, v3
	v_lshl_add_u32 v5, v8, 23, v5
	v_or3_b32 v1, v3, v5, v1
	v_cvt_i32_f32_e32 v8, v1
.LBB119_2526:
	s_or_b64 exec, exec, s[2:3]
	s_mov_b64 s[2:3], 0
	s_branch .LBB119_2532
.LBB119_2527:
	s_mov_b64 s[2:3], -1
                                        ; implicit-def: $vgpr8
	s_branch .LBB119_2538
.LBB119_2528:
	s_andn2_saveexec_b64 s[6:7], s[6:7]
	s_cbranch_execz .LBB119_2513
.LBB119_2529:
	v_cmp_ne_u16_e32 vcc, 0, v1
	s_andn2_b64 s[10:11], s[10:11], exec
	s_and_b64 s[16:17], vcc, exec
	s_or_b64 s[10:11], s[10:11], s[16:17]
	s_or_b64 exec, exec, s[6:7]
	v_mov_b32_e32 v8, 0
	s_and_saveexec_b64 s[6:7], s[10:11]
	s_cbranch_execnz .LBB119_2514
	s_branch .LBB119_2515
.LBB119_2530:
	s_mov_b64 s[2:3], -1
                                        ; implicit-def: $vgpr8
	s_branch .LBB119_2535
.LBB119_2531:
	s_mov_b64 s[2:3], -1
                                        ; implicit-def: $vgpr8
.LBB119_2532:
	s_and_b64 vcc, exec, s[2:3]
	s_cbranch_vccz .LBB119_2534
; %bb.2533:
	global_load_ubyte v1, v[19:20], off
	s_mov_b32 s2, 0x7f800000
	s_waitcnt vmcnt(0)
	v_lshlrev_b32_e32 v1, 24, v1
	v_and_b32_e32 v3, 0x7f000000, v1
	v_ffbh_u32_e32 v5, v3
	v_min_u32_e32 v5, 32, v5
	v_sub_u32_e64 v5, v5, 4 clamp
	v_lshlrev_b32_e32 v9, v5, v3
	v_lshlrev_b32_e32 v5, 23, v5
	v_lshrrev_b32_e32 v9, 4, v9
	v_add_u32_e32 v8, 0x1000000, v3
	v_sub_u32_e32 v5, v9, v5
	v_ashrrev_i32_e32 v8, 8, v8
	v_add_u32_e32 v5, 0x3c000000, v5
	v_and_or_b32 v5, v8, s2, v5
	v_cmp_ne_u32_e32 vcc, 0, v3
	v_cndmask_b32_e32 v3, 0, v5, vcc
	s_brev_b32 s2, 1
	v_and_or_b32 v1, v1, s2, v3
	v_cvt_i32_f32_e32 v8, v1
.LBB119_2534:
	s_mov_b64 s[2:3], 0
.LBB119_2535:
	s_andn2_b64 vcc, exec, s[2:3]
	s_cbranch_vccnz .LBB119_2537
; %bb.2536:
	global_load_ubyte v1, v[19:20], off
	s_movk_i32 s2, 0x7f00
	s_brev_b32 s3, 16
	s_waitcnt vmcnt(0)
	v_lshlrev_b16_e32 v3, 8, v1
	v_lshlrev_b32_e32 v1, 25, v1
	v_lshrrev_b32_e32 v5, 4, v1
	v_and_or_b32 v8, v3, s2, 0.5
	v_or_b32_e32 v5, 0x70000000, v5
	v_add_f32_e32 v8, -0.5, v8
	v_mul_f32_e32 v5, 0x7800000, v5
	v_cmp_gt_u32_e32 vcc, s3, v1
	v_bfe_i32 v3, v3, 0, 16
	v_cndmask_b32_e32 v1, v5, v8, vcc
	s_brev_b32 s2, 1
	v_and_or_b32 v1, v3, s2, v1
	v_cvt_i32_f32_e32 v8, v1
.LBB119_2537:
	s_mov_b64 s[2:3], 0
	s_mov_b64 s[6:7], -1
.LBB119_2538:
	s_andn2_b64 vcc, exec, s[2:3]
	s_mov_b64 s[2:3], 0
	s_cbranch_vccnz .LBB119_2549
; %bb.2539:
	s_cmp_gt_i32 s21, 14
	s_cbranch_scc0 .LBB119_2542
; %bb.2540:
	s_cmp_eq_u32 s21, 15
	s_cbranch_scc0 .LBB119_2545
; %bb.2541:
	global_load_ushort v1, v[19:20], off
	s_mov_b64 s[0:1], 0
	s_mov_b64 s[6:7], -1
	s_waitcnt vmcnt(0)
	v_lshlrev_b32_e32 v1, 16, v1
	v_cvt_i32_f32_e32 v8, v1
	s_branch .LBB119_2546
.LBB119_2542:
	s_mov_b64 s[10:11], -1
                                        ; implicit-def: $vgpr8
	s_branch .LBB119_2547
.LBB119_2543:
	s_andn2_saveexec_b64 s[2:3], s[2:3]
	s_cbranch_execz .LBB119_2524
.LBB119_2544:
	v_cmp_ne_u16_e32 vcc, 0, v1
	s_andn2_b64 s[6:7], s[6:7], exec
	s_and_b64 s[10:11], vcc, exec
	s_or_b64 s[6:7], s[6:7], s[10:11]
	s_or_b64 exec, exec, s[2:3]
	v_mov_b32_e32 v8, 0
	s_and_saveexec_b64 s[2:3], s[6:7]
	s_cbranch_execnz .LBB119_2525
	s_branch .LBB119_2526
.LBB119_2545:
	s_mov_b64 s[0:1], -1
                                        ; implicit-def: $vgpr8
.LBB119_2546:
	s_mov_b64 s[10:11], 0
.LBB119_2547:
	s_and_b64 vcc, exec, s[10:11]
	s_cbranch_vccz .LBB119_2549
; %bb.2548:
	s_cmp_lg_u32 s21, 11
	s_mov_b64 s[2:3], -1
	s_cselect_b64 s[0:1], -1, 0
.LBB119_2549:
	s_and_b64 vcc, exec, s[0:1]
	s_cbranch_vccnz .LBB119_3082
; %bb.2550:
	s_andn2_b64 vcc, exec, s[2:3]
	s_cbranch_vccnz .LBB119_2552
.LBB119_2551:
	global_load_ubyte v1, v[19:20], off
	s_mov_b64 s[6:7], -1
	s_waitcnt vmcnt(0)
	v_cmp_ne_u16_e32 vcc, 0, v1
	v_cndmask_b32_e64 v8, 0, 1, vcc
.LBB119_2552:
	s_mov_b64 s[0:1], 0
.LBB119_2553:
	s_and_b64 vcc, exec, s[0:1]
	s_cbranch_vccz .LBB119_2602
; %bb.2554:
	s_cmp_lt_i32 s21, 5
	s_cbranch_scc1 .LBB119_2559
; %bb.2555:
	s_cmp_lt_i32 s21, 8
	s_cbranch_scc1 .LBB119_2560
	;; [unrolled: 3-line block ×3, first 2 shown]
; %bb.2557:
	s_cmp_gt_i32 s21, 9
	s_cbranch_scc0 .LBB119_2562
; %bb.2558:
	global_load_dwordx2 v[8:9], v[19:20], off
	s_mov_b64 s[0:1], 0
	s_waitcnt vmcnt(0)
	v_cvt_i32_f64_e32 v8, v[8:9]
	s_branch .LBB119_2563
.LBB119_2559:
	s_mov_b64 s[0:1], -1
                                        ; implicit-def: $vgpr8
	s_branch .LBB119_2581
.LBB119_2560:
	s_mov_b64 s[0:1], -1
                                        ; implicit-def: $vgpr8
	s_branch .LBB119_2569
.LBB119_2561:
	s_mov_b64 s[0:1], -1
                                        ; implicit-def: $vgpr8
	s_branch .LBB119_2566
.LBB119_2562:
	s_mov_b64 s[0:1], -1
                                        ; implicit-def: $vgpr8
.LBB119_2563:
	s_andn2_b64 vcc, exec, s[0:1]
	s_cbranch_vccnz .LBB119_2565
; %bb.2564:
	global_load_dword v1, v[19:20], off
	s_waitcnt vmcnt(0)
	v_cvt_i32_f32_e32 v8, v1
.LBB119_2565:
	s_mov_b64 s[0:1], 0
.LBB119_2566:
	s_andn2_b64 vcc, exec, s[0:1]
	s_cbranch_vccnz .LBB119_2568
; %bb.2567:
	global_load_dword v1, v[19:20], off
	s_waitcnt vmcnt(0)
	v_cvt_i16_f16_e32 v8, v1
.LBB119_2568:
	s_mov_b64 s[0:1], 0
.LBB119_2569:
	s_andn2_b64 vcc, exec, s[0:1]
	s_cbranch_vccnz .LBB119_2580
; %bb.2570:
	s_cmp_lt_i32 s21, 6
	s_cbranch_scc1 .LBB119_2573
; %bb.2571:
	s_cmp_gt_i32 s21, 6
	s_cbranch_scc0 .LBB119_2574
; %bb.2572:
	global_load_dwordx2 v[8:9], v[19:20], off
	s_mov_b64 s[0:1], 0
	s_waitcnt vmcnt(0)
	v_cvt_i32_f64_e32 v8, v[8:9]
	s_branch .LBB119_2575
.LBB119_2573:
	s_mov_b64 s[0:1], -1
                                        ; implicit-def: $vgpr8
	s_branch .LBB119_2578
.LBB119_2574:
	s_mov_b64 s[0:1], -1
                                        ; implicit-def: $vgpr8
.LBB119_2575:
	s_andn2_b64 vcc, exec, s[0:1]
	s_cbranch_vccnz .LBB119_2577
; %bb.2576:
	global_load_dword v1, v[19:20], off
	s_waitcnt vmcnt(0)
	v_cvt_i32_f32_e32 v8, v1
.LBB119_2577:
	s_mov_b64 s[0:1], 0
.LBB119_2578:
	s_andn2_b64 vcc, exec, s[0:1]
	s_cbranch_vccnz .LBB119_2580
; %bb.2579:
	global_load_ushort v1, v[19:20], off
	s_waitcnt vmcnt(0)
	v_cvt_i16_f16_e32 v8, v1
.LBB119_2580:
	s_mov_b64 s[0:1], 0
.LBB119_2581:
	s_andn2_b64 vcc, exec, s[0:1]
	s_cbranch_vccnz .LBB119_2601
; %bb.2582:
	s_cmp_lt_i32 s21, 2
	s_cbranch_scc1 .LBB119_2586
; %bb.2583:
	s_cmp_lt_i32 s21, 3
	s_cbranch_scc1 .LBB119_2587
; %bb.2584:
	s_cmp_gt_i32 s21, 3
	s_cbranch_scc0 .LBB119_2588
; %bb.2585:
	global_load_dwordx2 v[8:9], v[19:20], off
	s_mov_b64 s[0:1], 0
	s_branch .LBB119_2589
.LBB119_2586:
	s_mov_b64 s[0:1], -1
                                        ; implicit-def: $vgpr8
	s_branch .LBB119_2595
.LBB119_2587:
	s_mov_b64 s[0:1], -1
                                        ; implicit-def: $vgpr8
	s_branch .LBB119_2592
.LBB119_2588:
	s_mov_b64 s[0:1], -1
                                        ; implicit-def: $vgpr8
.LBB119_2589:
	s_andn2_b64 vcc, exec, s[0:1]
	s_cbranch_vccnz .LBB119_2591
; %bb.2590:
	global_load_dword v8, v[19:20], off
.LBB119_2591:
	s_mov_b64 s[0:1], 0
.LBB119_2592:
	s_andn2_b64 vcc, exec, s[0:1]
	s_cbranch_vccnz .LBB119_2594
; %bb.2593:
	global_load_ushort v8, v[19:20], off
.LBB119_2594:
	s_mov_b64 s[0:1], 0
.LBB119_2595:
	s_andn2_b64 vcc, exec, s[0:1]
	s_cbranch_vccnz .LBB119_2601
; %bb.2596:
	s_cmp_gt_i32 s21, 0
	s_cbranch_scc0 .LBB119_2598
; %bb.2597:
	global_load_sbyte v8, v[19:20], off
	s_mov_b64 s[0:1], 0
	s_branch .LBB119_2599
.LBB119_2598:
	s_mov_b64 s[0:1], -1
                                        ; implicit-def: $vgpr8
.LBB119_2599:
	s_andn2_b64 vcc, exec, s[0:1]
	s_cbranch_vccnz .LBB119_2601
; %bb.2600:
	global_load_ubyte v8, v[19:20], off
.LBB119_2601:
	s_mov_b64 s[6:7], -1
.LBB119_2602:
	s_andn2_b64 vcc, exec, s[6:7]
	s_cbranch_vccnz .LBB119_3036
; %bb.2603:
	v_lshlrev_b32_sdwa v1, v12, v7 dst_sel:DWORD dst_unused:UNUSED_PAD src0_sel:WORD_0 src1_sel:DWORD
	v_cmp_gt_u16_e32 vcc, 16, v12
	s_bfe_u32 s18, s20, 0x80008
	v_cndmask_b32_e32 v1, 0, v1, vcc
	v_mov_b32_e32 v3, s9
	v_add_co_u32_e32 v5, vcc, s8, v6
	s_cmp_lt_i32 s18, 11
	v_addc_co_u32_e32 v6, vcc, 0, v3, vcc
	s_cbranch_scc1 .LBB119_2681
; %bb.2604:
	s_and_b32 s19, 0xffff, s18
	s_mov_b64 s[10:11], -1
	s_mov_b64 s[2:3], 0
	s_cmp_gt_i32 s19, 25
	s_mov_b64 s[6:7], 0
	s_mov_b64 s[0:1], 0
	s_cbranch_scc0 .LBB119_2637
; %bb.2605:
	s_cmp_gt_i32 s19, 28
	s_cbranch_scc0 .LBB119_2620
; %bb.2606:
	s_cmp_gt_i32 s19, 43
	;; [unrolled: 3-line block ×3, first 2 shown]
	s_cbranch_scc0 .LBB119_2610
; %bb.2608:
	s_mov_b64 s[0:1], -1
	s_mov_b64 s[10:11], 0
	s_cmp_eq_u32 s19, 46
	s_cbranch_scc0 .LBB119_2610
; %bb.2609:
	v_cvt_f32_i32_sdwa v3, sext(v1) dst_sel:DWORD dst_unused:UNUSED_PAD src0_sel:WORD_0
	s_movk_i32 s6, 0x7fff
	s_mov_b64 s[0:1], 0
	v_bfe_u32 v7, v3, 16, 1
	v_add3_u32 v3, v3, v7, s6
	v_lshrrev_b32_e32 v3, 16, v3
	global_store_dword v[5:6], v3, off
	s_mov_b64 s[6:7], -1
.LBB119_2610:
	s_and_b64 vcc, exec, s[10:11]
	s_cbranch_vccz .LBB119_2615
; %bb.2611:
	s_cmp_eq_u32 s19, 44
	s_mov_b64 s[0:1], -1
	s_cbranch_scc0 .LBB119_2615
; %bb.2612:
	v_cvt_f32_i32_sdwa v3, sext(v1) dst_sel:DWORD dst_unused:UNUSED_PAD src0_sel:WORD_0
	s_movk_i32 s0, 0xff
	s_waitcnt vmcnt(0)
	v_mov_b32_e32 v9, 0xff
	v_bfe_u32 v7, v3, 23, 8
	v_cmp_ne_u32_e32 vcc, s0, v7
	s_and_saveexec_b64 s[6:7], vcc
; %bb.2613:
	s_mov_b32 s0, 0x3fffff
	v_lshrrev_b32_e32 v9, 23, v3
	v_and_b32_e32 v11, 0x400000, v3
	v_and_or_b32 v3, v3, s0, v7
	v_cmp_ne_u32_e32 vcc, 0, v11
	v_cmp_ne_u32_e64 s[0:1], 0, v3
	s_and_b64 s[0:1], vcc, s[0:1]
	v_cndmask_b32_e64 v3, 0, 1, s[0:1]
	v_add_u32_e32 v9, v9, v3
; %bb.2614:
	s_or_b64 exec, exec, s[6:7]
	s_mov_b64 s[0:1], 0
	s_mov_b64 s[6:7], -1
	global_store_byte v[5:6], v9, off
.LBB119_2615:
	s_mov_b64 s[10:11], 0
.LBB119_2616:
	s_and_b64 vcc, exec, s[10:11]
	s_cbranch_vccz .LBB119_2619
; %bb.2617:
	s_cmp_eq_u32 s19, 29
	s_mov_b64 s[0:1], -1
	s_cbranch_scc0 .LBB119_2619
; %bb.2618:
	v_bfe_i32 v11, v1, 0, 16
	v_ashrrev_i32_e32 v12, 31, v11
	global_store_dwordx2 v[5:6], v[11:12], off
	s_mov_b64 s[0:1], 0
	s_mov_b64 s[6:7], -1
.LBB119_2619:
	s_mov_b64 s[10:11], 0
.LBB119_2620:
	s_and_b64 vcc, exec, s[10:11]
	s_cbranch_vccz .LBB119_2636
; %bb.2621:
	s_cmp_lt_i32 s19, 27
	s_mov_b64 s[6:7], -1
	s_cbranch_scc1 .LBB119_2627
; %bb.2622:
	s_cmp_gt_i32 s19, 27
	s_cbranch_scc0 .LBB119_2624
; %bb.2623:
	v_bfe_i32 v3, v1, 0, 16
	s_mov_b64 s[6:7], 0
	global_store_dword v[5:6], v3, off
.LBB119_2624:
	s_andn2_b64 vcc, exec, s[6:7]
	s_cbranch_vccnz .LBB119_2626
; %bb.2625:
	global_store_short v[5:6], v1, off
.LBB119_2626:
	s_mov_b64 s[6:7], 0
.LBB119_2627:
	s_andn2_b64 vcc, exec, s[6:7]
	s_cbranch_vccnz .LBB119_2635
; %bb.2628:
	v_cvt_f32_i32_sdwa v3, sext(v1) dst_sel:DWORD dst_unused:UNUSED_PAD src0_sel:WORD_0
	s_mov_b32 s6, 0x43800000
	s_waitcnt vmcnt(0)
	v_mov_b32_e32 v9, 0x80
	v_and_b32_e32 v7, 0x7fffffff, v3
	v_cmp_gt_u32_e32 vcc, s6, v7
	s_and_saveexec_b64 s[6:7], vcc
	s_cbranch_execz .LBB119_2634
; %bb.2629:
	s_mov_b32 s10, 0x3bffffff
	v_cmp_lt_u32_e32 vcc, s10, v7
	s_mov_b64 s[10:11], 0
                                        ; implicit-def: $vgpr7
	s_and_saveexec_b64 s[16:17], vcc
	s_xor_b64 s[16:17], exec, s[16:17]
	s_cbranch_execz .LBB119_3083
; %bb.2630:
	v_bfe_u32 v7, v3, 20, 1
	s_mov_b32 s21, 0x487ffff
	v_add3_u32 v7, v3, v7, s21
	s_mov_b64 s[10:11], exec
	v_lshrrev_b32_e32 v7, 20, v7
	s_andn2_saveexec_b64 s[16:17], s[16:17]
	s_cbranch_execnz .LBB119_3084
.LBB119_2631:
	s_or_b64 exec, exec, s[16:17]
	v_mov_b32_e32 v9, 0
	s_and_saveexec_b64 s[16:17], s[10:11]
.LBB119_2632:
	v_lshrrev_b32_e32 v3, 24, v3
	s_movk_i32 s10, 0x80
	v_and_or_b32 v9, v3, s10, v7
.LBB119_2633:
	s_or_b64 exec, exec, s[16:17]
.LBB119_2634:
	s_or_b64 exec, exec, s[6:7]
	global_store_byte v[5:6], v9, off
.LBB119_2635:
	s_mov_b64 s[6:7], -1
.LBB119_2636:
	s_mov_b64 s[10:11], 0
.LBB119_2637:
	s_and_b64 vcc, exec, s[10:11]
	s_cbranch_vccz .LBB119_2677
; %bb.2638:
	s_cmp_gt_i32 s19, 22
	s_mov_b64 s[2:3], -1
	s_cbranch_scc0 .LBB119_2670
; %bb.2639:
	s_cmp_lt_i32 s19, 24
	s_cbranch_scc1 .LBB119_2659
; %bb.2640:
	s_cmp_gt_i32 s19, 24
	s_cbranch_scc0 .LBB119_2648
; %bb.2641:
	v_cvt_f32_i32_sdwa v3, sext(v1) dst_sel:DWORD dst_unused:UNUSED_PAD src0_sel:WORD_0
	s_mov_b32 s2, 0x47800000
	s_waitcnt vmcnt(0)
	v_mov_b32_e32 v9, 0x80
	v_and_b32_e32 v7, 0x7fffffff, v3
	v_cmp_gt_u32_e32 vcc, s2, v7
	s_and_saveexec_b64 s[2:3], vcc
	s_cbranch_execz .LBB119_2647
; %bb.2642:
	s_mov_b32 s6, 0x37ffffff
	v_cmp_lt_u32_e32 vcc, s6, v7
	s_mov_b64 s[6:7], 0
                                        ; implicit-def: $vgpr7
	s_and_saveexec_b64 s[10:11], vcc
	s_xor_b64 s[10:11], exec, s[10:11]
	s_cbranch_execz .LBB119_3086
; %bb.2643:
	v_bfe_u32 v7, v3, 21, 1
	s_mov_b32 s16, 0x88fffff
	v_add3_u32 v7, v3, v7, s16
	s_mov_b64 s[6:7], exec
	v_lshrrev_b32_e32 v7, 21, v7
	s_andn2_saveexec_b64 s[10:11], s[10:11]
	s_cbranch_execnz .LBB119_3087
.LBB119_2644:
	s_or_b64 exec, exec, s[10:11]
	v_mov_b32_e32 v9, 0
	s_and_saveexec_b64 s[10:11], s[6:7]
.LBB119_2645:
	v_lshrrev_b32_e32 v3, 24, v3
	s_movk_i32 s6, 0x80
	v_and_or_b32 v9, v3, s6, v7
.LBB119_2646:
	s_or_b64 exec, exec, s[10:11]
.LBB119_2647:
	s_or_b64 exec, exec, s[2:3]
	s_mov_b64 s[2:3], 0
	global_store_byte v[5:6], v9, off
.LBB119_2648:
	s_and_b64 vcc, exec, s[2:3]
	s_cbranch_vccz .LBB119_2658
; %bb.2649:
	v_cvt_f32_i32_sdwa v3, sext(v1) dst_sel:DWORD dst_unused:UNUSED_PAD src0_sel:WORD_0
	s_mov_b32 s2, 0x43f00000
                                        ; implicit-def: $vgpr7
	s_waitcnt vmcnt(0)
	v_and_b32_e32 v9, 0x7fffffff, v3
	v_cmp_gt_u32_e32 vcc, s2, v9
	s_and_saveexec_b64 s[2:3], vcc
	s_xor_b64 s[2:3], exec, s[2:3]
	s_cbranch_execz .LBB119_2655
; %bb.2650:
	s_mov_b32 s6, 0x3c7fffff
	v_cmp_lt_u32_e32 vcc, s6, v9
                                        ; implicit-def: $vgpr7
	s_and_saveexec_b64 s[6:7], vcc
	s_xor_b64 s[6:7], exec, s[6:7]
; %bb.2651:
	v_bfe_u32 v7, v3, 20, 1
	s_mov_b32 s10, 0x407ffff
	v_add3_u32 v7, v3, v7, s10
	v_lshrrev_b32_e32 v9, 20, v7
	v_and_b32_e32 v7, 0xff00000, v7
	s_mov_b32 s10, 0x7f00000
	v_mov_b32_e32 v11, 0x7e
	v_cmp_ne_u32_e32 vcc, s10, v7
	v_cndmask_b32_e32 v7, v11, v9, vcc
; %bb.2652:
	s_andn2_saveexec_b64 s[6:7], s[6:7]
; %bb.2653:
	s_mov_b32 s10, 0x46800000
	v_add_f32_e64 v7, |v3|, s10
; %bb.2654:
	s_or_b64 exec, exec, s[6:7]
                                        ; implicit-def: $vgpr9
.LBB119_2655:
	s_andn2_saveexec_b64 s[2:3], s[2:3]
; %bb.2656:
	s_mov_b32 s6, 0x7f800000
	v_mov_b32_e32 v7, 0x7e
	v_mov_b32_e32 v11, 0x7f
	v_cmp_lt_u32_e32 vcc, s6, v9
	v_cndmask_b32_e32 v7, v7, v11, vcc
; %bb.2657:
	s_or_b64 exec, exec, s[2:3]
	v_lshrrev_b32_e32 v3, 24, v3
	s_movk_i32 s2, 0x80
	v_and_or_b32 v3, v3, s2, v7
	global_store_byte v[5:6], v3, off
.LBB119_2658:
	s_mov_b64 s[2:3], 0
.LBB119_2659:
	s_andn2_b64 vcc, exec, s[2:3]
	s_cbranch_vccnz .LBB119_2669
; %bb.2660:
	v_cvt_f32_i32_sdwa v3, sext(v1) dst_sel:DWORD dst_unused:UNUSED_PAD src0_sel:WORD_0
	s_mov_b32 s2, 0x47800000
                                        ; implicit-def: $vgpr7
	s_waitcnt vmcnt(0)
	v_and_b32_e32 v9, 0x7fffffff, v3
	v_cmp_gt_u32_e32 vcc, s2, v9
	s_and_saveexec_b64 s[2:3], vcc
	s_xor_b64 s[2:3], exec, s[2:3]
	s_cbranch_execz .LBB119_2666
; %bb.2661:
	s_mov_b32 s6, 0x387fffff
	v_cmp_lt_u32_e32 vcc, s6, v9
                                        ; implicit-def: $vgpr7
	s_and_saveexec_b64 s[6:7], vcc
	s_xor_b64 s[6:7], exec, s[6:7]
; %bb.2662:
	v_bfe_u32 v7, v3, 21, 1
	s_mov_b32 s10, 0x80fffff
	v_add3_u32 v7, v3, v7, s10
	v_lshrrev_b32_e32 v7, 21, v7
; %bb.2663:
	s_andn2_saveexec_b64 s[6:7], s[6:7]
; %bb.2664:
	s_mov_b32 s10, 0x43000000
	v_add_f32_e64 v7, |v3|, s10
; %bb.2665:
	s_or_b64 exec, exec, s[6:7]
                                        ; implicit-def: $vgpr9
.LBB119_2666:
	s_andn2_saveexec_b64 s[2:3], s[2:3]
; %bb.2667:
	s_mov_b32 s6, 0x7f800000
	v_mov_b32_e32 v7, 0x7c
	v_mov_b32_e32 v11, 0x7f
	v_cmp_lt_u32_e32 vcc, s6, v9
	v_cndmask_b32_e32 v7, v7, v11, vcc
; %bb.2668:
	s_or_b64 exec, exec, s[2:3]
	v_lshrrev_b32_e32 v3, 24, v3
	s_movk_i32 s2, 0x80
	v_and_or_b32 v3, v3, s2, v7
	global_store_byte v[5:6], v3, off
.LBB119_2669:
	s_mov_b64 s[2:3], 0
	s_mov_b64 s[6:7], -1
.LBB119_2670:
	s_andn2_b64 vcc, exec, s[2:3]
	s_mov_b64 s[2:3], 0
	s_cbranch_vccnz .LBB119_2677
; %bb.2671:
	s_cmp_gt_i32 s19, 14
	s_mov_b64 s[10:11], -1
	s_cbranch_scc0 .LBB119_2675
; %bb.2672:
	s_cmp_eq_u32 s19, 15
	s_mov_b64 s[0:1], -1
	s_cbranch_scc0 .LBB119_2674
; %bb.2673:
	v_cvt_f32_i32_sdwa v3, sext(v1) dst_sel:DWORD dst_unused:UNUSED_PAD src0_sel:WORD_0
	s_movk_i32 s2, 0x7fff
	s_mov_b64 s[0:1], 0
	s_mov_b64 s[6:7], -1
	v_bfe_u32 v7, v3, 16, 1
	v_add3_u32 v3, v3, v7, s2
	global_store_short_d16_hi v[5:6], v3, off
.LBB119_2674:
	s_mov_b64 s[10:11], 0
.LBB119_2675:
	s_mov_b64 s[2:3], 0
	s_and_b64 vcc, exec, s[10:11]
	s_cbranch_vccz .LBB119_2677
; %bb.2676:
	s_cmp_lg_u32 s19, 11
	s_mov_b64 s[2:3], -1
	s_cselect_b64 s[0:1], -1, 0
.LBB119_2677:
	s_and_b64 vcc, exec, s[0:1]
	s_cbranch_vccnz .LBB119_3085
; %bb.2678:
	s_andn2_b64 vcc, exec, s[2:3]
	s_cbranch_vccnz .LBB119_2680
.LBB119_2679:
	v_cmp_ne_u16_e32 vcc, 0, v1
	v_cndmask_b32_e64 v3, 0, 1, vcc
	s_mov_b64 s[6:7], -1
	global_store_byte v[5:6], v3, off
.LBB119_2680:
	s_mov_b64 s[0:1], 0
	s_branch .LBB119_2682
.LBB119_2681:
	s_mov_b64 s[0:1], -1
	s_mov_b64 s[6:7], 0
.LBB119_2682:
	s_and_b64 vcc, exec, s[0:1]
	s_cbranch_vccz .LBB119_2721
; %bb.2683:
	s_and_b32 s2, 0xffff, s18
	s_cmp_lt_i32 s2, 5
	s_mov_b64 s[0:1], -1
	s_cbranch_scc1 .LBB119_2704
; %bb.2684:
	s_cmp_lt_i32 s2, 8
	s_cbranch_scc1 .LBB119_2694
; %bb.2685:
	s_cmp_lt_i32 s2, 9
	s_cbranch_scc1 .LBB119_2691
; %bb.2686:
	s_cmp_gt_i32 s2, 9
	s_cbranch_scc0 .LBB119_2688
; %bb.2687:
	v_bfe_i32 v3, v1, 0, 16
	v_cvt_f64_i32_e32 v[19:20], v3
	v_mov_b32_e32 v21, 0
	v_mov_b32_e32 v22, v21
	s_mov_b64 s[0:1], 0
	global_store_dwordx4 v[5:6], v[19:22], off
.LBB119_2688:
	s_andn2_b64 vcc, exec, s[0:1]
	s_cbranch_vccnz .LBB119_2690
; %bb.2689:
	v_cvt_f32_i32_sdwa v11, sext(v1) dst_sel:DWORD dst_unused:UNUSED_PAD src0_sel:WORD_0
	v_mov_b32_e32 v12, 0
	global_store_dwordx2 v[5:6], v[11:12], off
.LBB119_2690:
	s_mov_b64 s[0:1], 0
.LBB119_2691:
	s_andn2_b64 vcc, exec, s[0:1]
	s_cbranch_vccnz .LBB119_2693
; %bb.2692:
	v_cvt_f16_i16_e32 v3, v1
	global_store_dword v[5:6], v3, off
.LBB119_2693:
	s_mov_b64 s[0:1], 0
.LBB119_2694:
	s_andn2_b64 vcc, exec, s[0:1]
	s_cbranch_vccnz .LBB119_2703
; %bb.2695:
	s_cmp_lt_i32 s2, 6
	s_mov_b64 s[0:1], -1
	s_cbranch_scc1 .LBB119_2701
; %bb.2696:
	s_cmp_gt_i32 s2, 6
	s_cbranch_scc0 .LBB119_2698
; %bb.2697:
	v_bfe_i32 v3, v1, 0, 16
	v_cvt_f64_i32_e32 v[11:12], v3
	s_mov_b64 s[0:1], 0
	global_store_dwordx2 v[5:6], v[11:12], off
.LBB119_2698:
	s_andn2_b64 vcc, exec, s[0:1]
	s_cbranch_vccnz .LBB119_2700
; %bb.2699:
	v_cvt_f32_i32_sdwa v3, sext(v1) dst_sel:DWORD dst_unused:UNUSED_PAD src0_sel:WORD_0
	global_store_dword v[5:6], v3, off
.LBB119_2700:
	s_mov_b64 s[0:1], 0
.LBB119_2701:
	s_andn2_b64 vcc, exec, s[0:1]
	s_cbranch_vccnz .LBB119_2703
; %bb.2702:
	v_cvt_f16_i16_e32 v3, v1
	global_store_short v[5:6], v3, off
.LBB119_2703:
	s_mov_b64 s[0:1], 0
.LBB119_2704:
	s_andn2_b64 vcc, exec, s[0:1]
	s_cbranch_vccnz .LBB119_2720
; %bb.2705:
	s_cmp_lt_i32 s2, 2
	s_mov_b64 s[0:1], -1
	s_cbranch_scc1 .LBB119_2715
; %bb.2706:
	s_cmp_lt_i32 s2, 3
	s_cbranch_scc1 .LBB119_2712
; %bb.2707:
	s_cmp_gt_i32 s2, 3
	v_bfe_i32 v11, v1, 0, 16
	s_cbranch_scc0 .LBB119_2709
; %bb.2708:
	v_ashrrev_i32_e32 v12, 31, v11
	global_store_dwordx2 v[5:6], v[11:12], off
	s_mov_b64 s[0:1], 0
.LBB119_2709:
	s_andn2_b64 vcc, exec, s[0:1]
	s_cbranch_vccnz .LBB119_2711
; %bb.2710:
	global_store_dword v[5:6], v11, off
.LBB119_2711:
	s_mov_b64 s[0:1], 0
.LBB119_2712:
	s_andn2_b64 vcc, exec, s[0:1]
	s_cbranch_vccnz .LBB119_2714
; %bb.2713:
	global_store_short v[5:6], v1, off
.LBB119_2714:
	s_mov_b64 s[0:1], 0
.LBB119_2715:
	s_andn2_b64 vcc, exec, s[0:1]
	s_cbranch_vccnz .LBB119_2720
; %bb.2716:
	s_cmp_gt_i32 s2, 0
	s_mov_b64 s[0:1], -1
	s_cbranch_scc0 .LBB119_2718
; %bb.2717:
	global_store_byte v[5:6], v1, off
	s_mov_b64 s[0:1], 0
.LBB119_2718:
	s_andn2_b64 vcc, exec, s[0:1]
	s_cbranch_vccnz .LBB119_2720
; %bb.2719:
	global_store_byte v[5:6], v1, off
.LBB119_2720:
	s_mov_b64 s[6:7], -1
.LBB119_2721:
	s_andn2_b64 vcc, exec, s[6:7]
	s_cbranch_vccnz .LBB119_3036
; %bb.2722:
	s_lshr_b32 s0, s20, 8
	v_lshlrev_b32_sdwa v1, v17, v10 dst_sel:DWORD dst_unused:UNUSED_PAD src0_sel:WORD_0 src1_sel:DWORD
	v_cmp_gt_u16_e32 vcc, 16, v17
	s_and_b32 s18, s0, 0xff
	v_cndmask_b32_e32 v1, 0, v1, vcc
	v_mov_b32_e32 v5, s9
	v_add_co_u32_e32 v3, vcc, s8, v4
	s_cmp_lt_i32 s18, 11
	v_addc_co_u32_e32 v4, vcc, 0, v5, vcc
	s_cbranch_scc1 .LBB119_2800
; %bb.2723:
	s_and_b32 s19, 0xffff, s18
	s_mov_b64 s[10:11], -1
	s_mov_b64 s[2:3], 0
	s_cmp_gt_i32 s19, 25
	s_mov_b64 s[6:7], 0
	s_mov_b64 s[0:1], 0
	s_cbranch_scc0 .LBB119_2756
; %bb.2724:
	s_cmp_gt_i32 s19, 28
	s_cbranch_scc0 .LBB119_2739
; %bb.2725:
	s_cmp_gt_i32 s19, 43
	;; [unrolled: 3-line block ×3, first 2 shown]
	s_cbranch_scc0 .LBB119_2729
; %bb.2727:
	s_mov_b64 s[0:1], -1
	s_mov_b64 s[10:11], 0
	s_cmp_eq_u32 s19, 46
	s_cbranch_scc0 .LBB119_2729
; %bb.2728:
	v_cvt_f32_i32_sdwa v5, sext(v1) dst_sel:DWORD dst_unused:UNUSED_PAD src0_sel:WORD_0
	s_movk_i32 s6, 0x7fff
	s_mov_b64 s[0:1], 0
	v_bfe_u32 v6, v5, 16, 1
	v_add3_u32 v5, v5, v6, s6
	v_lshrrev_b32_e32 v5, 16, v5
	global_store_dword v[3:4], v5, off
	s_mov_b64 s[6:7], -1
.LBB119_2729:
	s_and_b64 vcc, exec, s[10:11]
	s_cbranch_vccz .LBB119_2734
; %bb.2730:
	s_cmp_eq_u32 s19, 44
	s_mov_b64 s[0:1], -1
	s_cbranch_scc0 .LBB119_2734
; %bb.2731:
	v_cvt_f32_i32_sdwa v5, sext(v1) dst_sel:DWORD dst_unused:UNUSED_PAD src0_sel:WORD_0
	s_movk_i32 s0, 0xff
	v_mov_b32_e32 v7, 0xff
	v_bfe_u32 v6, v5, 23, 8
	v_cmp_ne_u32_e32 vcc, s0, v6
	s_and_saveexec_b64 s[6:7], vcc
	s_cbranch_execz .LBB119_2733
; %bb.2732:
	s_mov_b32 s0, 0x3fffff
	v_lshrrev_b32_e32 v7, 23, v5
	s_waitcnt vmcnt(0)
	v_and_b32_e32 v9, 0x400000, v5
	v_and_or_b32 v5, v5, s0, v6
	v_cmp_ne_u32_e32 vcc, 0, v9
	v_cmp_ne_u32_e64 s[0:1], 0, v5
	s_and_b64 s[0:1], vcc, s[0:1]
	v_cndmask_b32_e64 v5, 0, 1, s[0:1]
	v_add_u32_e32 v7, v7, v5
.LBB119_2733:
	s_or_b64 exec, exec, s[6:7]
	s_mov_b64 s[0:1], 0
	s_mov_b64 s[6:7], -1
	global_store_byte v[3:4], v7, off
.LBB119_2734:
	s_mov_b64 s[10:11], 0
.LBB119_2735:
	s_and_b64 vcc, exec, s[10:11]
	s_cbranch_vccz .LBB119_2738
; %bb.2736:
	s_cmp_eq_u32 s19, 29
	s_mov_b64 s[0:1], -1
	s_cbranch_scc0 .LBB119_2738
; %bb.2737:
	v_bfe_i32 v5, v1, 0, 16
	v_ashrrev_i32_e32 v6, 31, v5
	global_store_dwordx2 v[3:4], v[5:6], off
	s_mov_b64 s[0:1], 0
	s_mov_b64 s[6:7], -1
.LBB119_2738:
	s_mov_b64 s[10:11], 0
.LBB119_2739:
	s_and_b64 vcc, exec, s[10:11]
	s_cbranch_vccz .LBB119_2755
; %bb.2740:
	s_cmp_lt_i32 s19, 27
	s_mov_b64 s[6:7], -1
	s_cbranch_scc1 .LBB119_2746
; %bb.2741:
	s_cmp_gt_i32 s19, 27
	s_cbranch_scc0 .LBB119_2743
; %bb.2742:
	v_bfe_i32 v5, v1, 0, 16
	s_mov_b64 s[6:7], 0
	global_store_dword v[3:4], v5, off
.LBB119_2743:
	s_andn2_b64 vcc, exec, s[6:7]
	s_cbranch_vccnz .LBB119_2745
; %bb.2744:
	global_store_short v[3:4], v1, off
.LBB119_2745:
	s_mov_b64 s[6:7], 0
.LBB119_2746:
	s_andn2_b64 vcc, exec, s[6:7]
	s_cbranch_vccnz .LBB119_2754
; %bb.2747:
	v_cvt_f32_i32_sdwa v5, sext(v1) dst_sel:DWORD dst_unused:UNUSED_PAD src0_sel:WORD_0
	s_mov_b32 s6, 0x43800000
	v_mov_b32_e32 v7, 0x80
	v_and_b32_e32 v6, 0x7fffffff, v5
	v_cmp_gt_u32_e32 vcc, s6, v6
	s_and_saveexec_b64 s[6:7], vcc
	s_cbranch_execz .LBB119_2753
; %bb.2748:
	s_mov_b32 s10, 0x3bffffff
	v_cmp_lt_u32_e32 vcc, s10, v6
	s_mov_b64 s[10:11], 0
                                        ; implicit-def: $vgpr6
	s_and_saveexec_b64 s[16:17], vcc
	s_xor_b64 s[16:17], exec, s[16:17]
	s_cbranch_execz .LBB119_3088
; %bb.2749:
	v_bfe_u32 v6, v5, 20, 1
	s_mov_b32 s20, 0x487ffff
	v_add3_u32 v6, v5, v6, s20
	s_mov_b64 s[10:11], exec
	v_lshrrev_b32_e32 v6, 20, v6
	s_andn2_saveexec_b64 s[16:17], s[16:17]
	s_cbranch_execnz .LBB119_3089
.LBB119_2750:
	s_or_b64 exec, exec, s[16:17]
	v_mov_b32_e32 v7, 0
	s_and_saveexec_b64 s[16:17], s[10:11]
.LBB119_2751:
	v_lshrrev_b32_e32 v5, 24, v5
	s_movk_i32 s10, 0x80
	v_and_or_b32 v7, v5, s10, v6
.LBB119_2752:
	s_or_b64 exec, exec, s[16:17]
.LBB119_2753:
	s_or_b64 exec, exec, s[6:7]
	global_store_byte v[3:4], v7, off
.LBB119_2754:
	s_mov_b64 s[6:7], -1
.LBB119_2755:
	s_mov_b64 s[10:11], 0
.LBB119_2756:
	s_and_b64 vcc, exec, s[10:11]
	s_cbranch_vccz .LBB119_2796
; %bb.2757:
	s_cmp_gt_i32 s19, 22
	s_mov_b64 s[2:3], -1
	s_cbranch_scc0 .LBB119_2789
; %bb.2758:
	s_cmp_lt_i32 s19, 24
	s_cbranch_scc1 .LBB119_2778
; %bb.2759:
	s_cmp_gt_i32 s19, 24
	s_cbranch_scc0 .LBB119_2767
; %bb.2760:
	v_cvt_f32_i32_sdwa v5, sext(v1) dst_sel:DWORD dst_unused:UNUSED_PAD src0_sel:WORD_0
	s_mov_b32 s2, 0x47800000
	v_mov_b32_e32 v7, 0x80
	v_and_b32_e32 v6, 0x7fffffff, v5
	v_cmp_gt_u32_e32 vcc, s2, v6
	s_and_saveexec_b64 s[2:3], vcc
	s_cbranch_execz .LBB119_2766
; %bb.2761:
	s_mov_b32 s6, 0x37ffffff
	v_cmp_lt_u32_e32 vcc, s6, v6
	s_mov_b64 s[6:7], 0
                                        ; implicit-def: $vgpr6
	s_and_saveexec_b64 s[10:11], vcc
	s_xor_b64 s[10:11], exec, s[10:11]
	s_cbranch_execz .LBB119_3091
; %bb.2762:
	v_bfe_u32 v6, v5, 21, 1
	s_mov_b32 s16, 0x88fffff
	v_add3_u32 v6, v5, v6, s16
	s_mov_b64 s[6:7], exec
	v_lshrrev_b32_e32 v6, 21, v6
	s_andn2_saveexec_b64 s[10:11], s[10:11]
	s_cbranch_execnz .LBB119_3092
.LBB119_2763:
	s_or_b64 exec, exec, s[10:11]
	v_mov_b32_e32 v7, 0
	s_and_saveexec_b64 s[10:11], s[6:7]
.LBB119_2764:
	v_lshrrev_b32_e32 v5, 24, v5
	s_movk_i32 s6, 0x80
	v_and_or_b32 v7, v5, s6, v6
.LBB119_2765:
	s_or_b64 exec, exec, s[10:11]
.LBB119_2766:
	s_or_b64 exec, exec, s[2:3]
	s_mov_b64 s[2:3], 0
	global_store_byte v[3:4], v7, off
.LBB119_2767:
	s_and_b64 vcc, exec, s[2:3]
	s_cbranch_vccz .LBB119_2777
; %bb.2768:
	v_cvt_f32_i32_sdwa v5, sext(v1) dst_sel:DWORD dst_unused:UNUSED_PAD src0_sel:WORD_0
	s_mov_b32 s2, 0x43f00000
                                        ; implicit-def: $vgpr6
	v_and_b32_e32 v7, 0x7fffffff, v5
	v_cmp_gt_u32_e32 vcc, s2, v7
	s_and_saveexec_b64 s[2:3], vcc
	s_xor_b64 s[2:3], exec, s[2:3]
	s_cbranch_execz .LBB119_2774
; %bb.2769:
	s_mov_b32 s6, 0x3c7fffff
	v_cmp_lt_u32_e32 vcc, s6, v7
                                        ; implicit-def: $vgpr6
	s_and_saveexec_b64 s[6:7], vcc
	s_xor_b64 s[6:7], exec, s[6:7]
	s_cbranch_execz .LBB119_2771
; %bb.2770:
	v_bfe_u32 v6, v5, 20, 1
	s_mov_b32 s10, 0x407ffff
	v_add3_u32 v6, v5, v6, s10
	v_lshrrev_b32_e32 v7, 20, v6
	v_and_b32_e32 v6, 0xff00000, v6
	s_mov_b32 s10, 0x7f00000
	s_waitcnt vmcnt(0)
	v_mov_b32_e32 v9, 0x7e
	v_cmp_ne_u32_e32 vcc, s10, v6
	v_cndmask_b32_e32 v6, v9, v7, vcc
.LBB119_2771:
	s_andn2_saveexec_b64 s[6:7], s[6:7]
; %bb.2772:
	s_mov_b32 s10, 0x46800000
	v_add_f32_e64 v6, |v5|, s10
; %bb.2773:
	s_or_b64 exec, exec, s[6:7]
                                        ; implicit-def: $vgpr7
.LBB119_2774:
	s_andn2_saveexec_b64 s[2:3], s[2:3]
	s_cbranch_execz .LBB119_2776
; %bb.2775:
	s_mov_b32 s6, 0x7f800000
	v_mov_b32_e32 v6, 0x7e
	s_waitcnt vmcnt(0)
	v_mov_b32_e32 v9, 0x7f
	v_cmp_lt_u32_e32 vcc, s6, v7
	v_cndmask_b32_e32 v6, v6, v9, vcc
.LBB119_2776:
	s_or_b64 exec, exec, s[2:3]
	v_lshrrev_b32_e32 v5, 24, v5
	s_movk_i32 s2, 0x80
	v_and_or_b32 v5, v5, s2, v6
	global_store_byte v[3:4], v5, off
.LBB119_2777:
	s_mov_b64 s[2:3], 0
.LBB119_2778:
	s_andn2_b64 vcc, exec, s[2:3]
	s_cbranch_vccnz .LBB119_2788
; %bb.2779:
	v_cvt_f32_i32_sdwa v5, sext(v1) dst_sel:DWORD dst_unused:UNUSED_PAD src0_sel:WORD_0
	s_mov_b32 s2, 0x47800000
                                        ; implicit-def: $vgpr6
	v_and_b32_e32 v7, 0x7fffffff, v5
	v_cmp_gt_u32_e32 vcc, s2, v7
	s_and_saveexec_b64 s[2:3], vcc
	s_xor_b64 s[2:3], exec, s[2:3]
	s_cbranch_execz .LBB119_2785
; %bb.2780:
	s_mov_b32 s6, 0x387fffff
	v_cmp_lt_u32_e32 vcc, s6, v7
                                        ; implicit-def: $vgpr6
	s_and_saveexec_b64 s[6:7], vcc
	s_xor_b64 s[6:7], exec, s[6:7]
; %bb.2781:
	v_bfe_u32 v6, v5, 21, 1
	s_mov_b32 s10, 0x80fffff
	v_add3_u32 v6, v5, v6, s10
	v_lshrrev_b32_e32 v6, 21, v6
; %bb.2782:
	s_andn2_saveexec_b64 s[6:7], s[6:7]
; %bb.2783:
	s_mov_b32 s10, 0x43000000
	v_add_f32_e64 v6, |v5|, s10
; %bb.2784:
	s_or_b64 exec, exec, s[6:7]
                                        ; implicit-def: $vgpr7
.LBB119_2785:
	s_andn2_saveexec_b64 s[2:3], s[2:3]
	s_cbranch_execz .LBB119_2787
; %bb.2786:
	s_mov_b32 s6, 0x7f800000
	v_mov_b32_e32 v6, 0x7c
	s_waitcnt vmcnt(0)
	v_mov_b32_e32 v9, 0x7f
	v_cmp_lt_u32_e32 vcc, s6, v7
	v_cndmask_b32_e32 v6, v6, v9, vcc
.LBB119_2787:
	s_or_b64 exec, exec, s[2:3]
	v_lshrrev_b32_e32 v5, 24, v5
	s_movk_i32 s2, 0x80
	v_and_or_b32 v5, v5, s2, v6
	global_store_byte v[3:4], v5, off
.LBB119_2788:
	s_mov_b64 s[2:3], 0
	s_mov_b64 s[6:7], -1
.LBB119_2789:
	s_andn2_b64 vcc, exec, s[2:3]
	s_mov_b64 s[2:3], 0
	s_cbranch_vccnz .LBB119_2796
; %bb.2790:
	s_cmp_gt_i32 s19, 14
	s_mov_b64 s[10:11], -1
	s_cbranch_scc0 .LBB119_2794
; %bb.2791:
	s_cmp_eq_u32 s19, 15
	s_mov_b64 s[0:1], -1
	s_cbranch_scc0 .LBB119_2793
; %bb.2792:
	v_cvt_f32_i32_sdwa v5, sext(v1) dst_sel:DWORD dst_unused:UNUSED_PAD src0_sel:WORD_0
	s_movk_i32 s2, 0x7fff
	s_mov_b64 s[0:1], 0
	s_mov_b64 s[6:7], -1
	v_bfe_u32 v6, v5, 16, 1
	v_add3_u32 v5, v5, v6, s2
	global_store_short_d16_hi v[3:4], v5, off
.LBB119_2793:
	s_mov_b64 s[10:11], 0
.LBB119_2794:
	s_mov_b64 s[2:3], 0
	s_and_b64 vcc, exec, s[10:11]
	s_cbranch_vccz .LBB119_2796
; %bb.2795:
	s_cmp_lg_u32 s19, 11
	s_mov_b64 s[2:3], -1
	s_cselect_b64 s[0:1], -1, 0
.LBB119_2796:
	s_and_b64 vcc, exec, s[0:1]
	s_cbranch_vccnz .LBB119_3090
; %bb.2797:
	s_andn2_b64 vcc, exec, s[2:3]
	s_cbranch_vccnz .LBB119_2799
.LBB119_2798:
	v_cmp_ne_u16_e32 vcc, 0, v1
	v_cndmask_b32_e64 v5, 0, 1, vcc
	s_mov_b64 s[6:7], -1
	global_store_byte v[3:4], v5, off
.LBB119_2799:
	s_mov_b64 s[0:1], 0
	s_branch .LBB119_2801
.LBB119_2800:
	s_mov_b64 s[0:1], -1
	s_mov_b64 s[6:7], 0
.LBB119_2801:
	s_and_b64 vcc, exec, s[0:1]
	s_cbranch_vccz .LBB119_2840
; %bb.2802:
	s_and_b32 s2, 0xffff, s18
	s_cmp_lt_i32 s2, 5
	s_mov_b64 s[0:1], -1
	s_cbranch_scc1 .LBB119_2823
; %bb.2803:
	s_cmp_lt_i32 s2, 8
	s_cbranch_scc1 .LBB119_2813
; %bb.2804:
	s_cmp_lt_i32 s2, 9
	s_cbranch_scc1 .LBB119_2810
; %bb.2805:
	s_cmp_gt_i32 s2, 9
	s_cbranch_scc0 .LBB119_2807
; %bb.2806:
	v_bfe_i32 v5, v1, 0, 16
	s_waitcnt vmcnt(0)
	v_cvt_f64_i32_e32 v[9:10], v5
	v_mov_b32_e32 v11, 0
	v_mov_b32_e32 v12, v11
	s_mov_b64 s[0:1], 0
	global_store_dwordx4 v[3:4], v[9:12], off
.LBB119_2807:
	s_andn2_b64 vcc, exec, s[0:1]
	s_cbranch_vccnz .LBB119_2809
; %bb.2808:
	v_cvt_f32_i32_sdwa v5, sext(v1) dst_sel:DWORD dst_unused:UNUSED_PAD src0_sel:WORD_0
	v_mov_b32_e32 v6, 0
	global_store_dwordx2 v[3:4], v[5:6], off
.LBB119_2809:
	s_mov_b64 s[0:1], 0
.LBB119_2810:
	s_andn2_b64 vcc, exec, s[0:1]
	s_cbranch_vccnz .LBB119_2812
; %bb.2811:
	v_cvt_f16_i16_e32 v5, v1
	global_store_dword v[3:4], v5, off
.LBB119_2812:
	s_mov_b64 s[0:1], 0
.LBB119_2813:
	s_andn2_b64 vcc, exec, s[0:1]
	s_cbranch_vccnz .LBB119_2822
; %bb.2814:
	s_cmp_lt_i32 s2, 6
	s_mov_b64 s[0:1], -1
	s_cbranch_scc1 .LBB119_2820
; %bb.2815:
	s_cmp_gt_i32 s2, 6
	s_cbranch_scc0 .LBB119_2817
; %bb.2816:
	v_bfe_i32 v5, v1, 0, 16
	v_cvt_f64_i32_e32 v[5:6], v5
	s_mov_b64 s[0:1], 0
	global_store_dwordx2 v[3:4], v[5:6], off
.LBB119_2817:
	s_andn2_b64 vcc, exec, s[0:1]
	s_cbranch_vccnz .LBB119_2819
; %bb.2818:
	v_cvt_f32_i32_sdwa v5, sext(v1) dst_sel:DWORD dst_unused:UNUSED_PAD src0_sel:WORD_0
	global_store_dword v[3:4], v5, off
.LBB119_2819:
	s_mov_b64 s[0:1], 0
.LBB119_2820:
	s_andn2_b64 vcc, exec, s[0:1]
	s_cbranch_vccnz .LBB119_2822
; %bb.2821:
	v_cvt_f16_i16_e32 v5, v1
	global_store_short v[3:4], v5, off
.LBB119_2822:
	s_mov_b64 s[0:1], 0
.LBB119_2823:
	s_andn2_b64 vcc, exec, s[0:1]
	s_cbranch_vccnz .LBB119_2839
; %bb.2824:
	s_cmp_lt_i32 s2, 2
	s_mov_b64 s[0:1], -1
	s_cbranch_scc1 .LBB119_2834
; %bb.2825:
	s_cmp_lt_i32 s2, 3
	s_cbranch_scc1 .LBB119_2831
; %bb.2826:
	s_cmp_gt_i32 s2, 3
	s_cbranch_scc0 .LBB119_2828
; %bb.2827:
	v_bfe_i32 v5, v1, 0, 16
	v_ashrrev_i32_e32 v6, 31, v5
	global_store_dwordx2 v[3:4], v[5:6], off
	s_mov_b64 s[0:1], 0
.LBB119_2828:
	s_andn2_b64 vcc, exec, s[0:1]
	s_cbranch_vccnz .LBB119_2830
; %bb.2829:
	v_bfe_i32 v5, v1, 0, 16
	global_store_dword v[3:4], v5, off
.LBB119_2830:
	s_mov_b64 s[0:1], 0
.LBB119_2831:
	s_andn2_b64 vcc, exec, s[0:1]
	s_cbranch_vccnz .LBB119_2833
; %bb.2832:
	global_store_short v[3:4], v1, off
.LBB119_2833:
	s_mov_b64 s[0:1], 0
.LBB119_2834:
	s_andn2_b64 vcc, exec, s[0:1]
	s_cbranch_vccnz .LBB119_2839
; %bb.2835:
	s_cmp_gt_i32 s2, 0
	s_mov_b64 s[0:1], -1
	s_cbranch_scc0 .LBB119_2837
; %bb.2836:
	global_store_byte v[3:4], v1, off
	s_mov_b64 s[0:1], 0
.LBB119_2837:
	s_andn2_b64 vcc, exec, s[0:1]
	s_cbranch_vccnz .LBB119_2839
; %bb.2838:
	global_store_byte v[3:4], v1, off
.LBB119_2839:
	s_mov_b64 s[6:7], -1
.LBB119_2840:
	s_andn2_b64 vcc, exec, s[6:7]
	s_cbranch_vccnz .LBB119_3036
; %bb.2841:
	v_lshlrev_b32_sdwa v1, v18, v15 dst_sel:DWORD dst_unused:UNUSED_PAD src0_sel:WORD_0 src1_sel:DWORD
	v_cmp_gt_u16_e32 vcc, 16, v18
	v_cndmask_b32_e32 v3, 0, v1, vcc
	v_mov_b32_e32 v4, s9
	v_add_co_u32_e32 v1, vcc, s8, v2
	s_cmp_lt_i32 s18, 11
	v_addc_co_u32_e32 v2, vcc, 0, v4, vcc
	s_cbranch_scc1 .LBB119_2919
; %bb.2842:
	s_and_b32 s19, 0xffff, s18
	s_mov_b64 s[10:11], -1
	s_mov_b64 s[2:3], 0
	s_cmp_gt_i32 s19, 25
	s_mov_b64 s[6:7], 0
	s_mov_b64 s[0:1], 0
	s_cbranch_scc0 .LBB119_2875
; %bb.2843:
	s_cmp_gt_i32 s19, 28
	s_cbranch_scc0 .LBB119_2858
; %bb.2844:
	s_cmp_gt_i32 s19, 43
	;; [unrolled: 3-line block ×3, first 2 shown]
	s_cbranch_scc0 .LBB119_2848
; %bb.2846:
	s_mov_b64 s[0:1], -1
	s_mov_b64 s[10:11], 0
	s_cmp_eq_u32 s19, 46
	s_cbranch_scc0 .LBB119_2848
; %bb.2847:
	v_cvt_f32_i32_sdwa v4, sext(v3) dst_sel:DWORD dst_unused:UNUSED_PAD src0_sel:WORD_0
	s_movk_i32 s6, 0x7fff
	s_mov_b64 s[0:1], 0
	v_bfe_u32 v5, v4, 16, 1
	v_add3_u32 v4, v4, v5, s6
	v_lshrrev_b32_e32 v4, 16, v4
	global_store_dword v[1:2], v4, off
	s_mov_b64 s[6:7], -1
.LBB119_2848:
	s_and_b64 vcc, exec, s[10:11]
	s_cbranch_vccz .LBB119_2853
; %bb.2849:
	s_cmp_eq_u32 s19, 44
	s_mov_b64 s[0:1], -1
	s_cbranch_scc0 .LBB119_2853
; %bb.2850:
	v_cvt_f32_i32_sdwa v4, sext(v3) dst_sel:DWORD dst_unused:UNUSED_PAD src0_sel:WORD_0
	s_movk_i32 s0, 0xff
	v_mov_b32_e32 v6, 0xff
	v_bfe_u32 v5, v4, 23, 8
	v_cmp_ne_u32_e32 vcc, s0, v5
	s_and_saveexec_b64 s[6:7], vcc
; %bb.2851:
	s_mov_b32 s0, 0x3fffff
	v_lshrrev_b32_e32 v6, 23, v4
	v_and_b32_e32 v7, 0x400000, v4
	v_and_or_b32 v4, v4, s0, v5
	v_cmp_ne_u32_e32 vcc, 0, v7
	v_cmp_ne_u32_e64 s[0:1], 0, v4
	s_and_b64 s[0:1], vcc, s[0:1]
	v_cndmask_b32_e64 v4, 0, 1, s[0:1]
	v_add_u32_e32 v6, v6, v4
; %bb.2852:
	s_or_b64 exec, exec, s[6:7]
	s_mov_b64 s[0:1], 0
	s_mov_b64 s[6:7], -1
	global_store_byte v[1:2], v6, off
.LBB119_2853:
	s_mov_b64 s[10:11], 0
.LBB119_2854:
	s_and_b64 vcc, exec, s[10:11]
	s_cbranch_vccz .LBB119_2857
; %bb.2855:
	s_cmp_eq_u32 s19, 29
	s_mov_b64 s[0:1], -1
	s_cbranch_scc0 .LBB119_2857
; %bb.2856:
	v_bfe_i32 v4, v3, 0, 16
	v_ashrrev_i32_e32 v5, 31, v4
	global_store_dwordx2 v[1:2], v[4:5], off
	s_mov_b64 s[0:1], 0
	s_mov_b64 s[6:7], -1
.LBB119_2857:
	s_mov_b64 s[10:11], 0
.LBB119_2858:
	s_and_b64 vcc, exec, s[10:11]
	s_cbranch_vccz .LBB119_2874
; %bb.2859:
	s_cmp_lt_i32 s19, 27
	s_mov_b64 s[6:7], -1
	s_cbranch_scc1 .LBB119_2865
; %bb.2860:
	s_cmp_gt_i32 s19, 27
	s_cbranch_scc0 .LBB119_2862
; %bb.2861:
	v_bfe_i32 v4, v3, 0, 16
	s_mov_b64 s[6:7], 0
	global_store_dword v[1:2], v4, off
.LBB119_2862:
	s_andn2_b64 vcc, exec, s[6:7]
	s_cbranch_vccnz .LBB119_2864
; %bb.2863:
	global_store_short v[1:2], v3, off
.LBB119_2864:
	s_mov_b64 s[6:7], 0
.LBB119_2865:
	s_andn2_b64 vcc, exec, s[6:7]
	s_cbranch_vccnz .LBB119_2873
; %bb.2866:
	v_cvt_f32_i32_sdwa v4, sext(v3) dst_sel:DWORD dst_unused:UNUSED_PAD src0_sel:WORD_0
	s_mov_b32 s6, 0x43800000
	v_mov_b32_e32 v6, 0x80
	v_and_b32_e32 v5, 0x7fffffff, v4
	v_cmp_gt_u32_e32 vcc, s6, v5
	s_and_saveexec_b64 s[6:7], vcc
	s_cbranch_execz .LBB119_2872
; %bb.2867:
	s_mov_b32 s10, 0x3bffffff
	v_cmp_lt_u32_e32 vcc, s10, v5
	s_mov_b64 s[10:11], 0
                                        ; implicit-def: $vgpr5
	s_and_saveexec_b64 s[16:17], vcc
	s_xor_b64 s[16:17], exec, s[16:17]
	s_cbranch_execz .LBB119_3093
; %bb.2868:
	v_bfe_u32 v5, v4, 20, 1
	s_mov_b32 s20, 0x487ffff
	v_add3_u32 v5, v4, v5, s20
	s_mov_b64 s[10:11], exec
	v_lshrrev_b32_e32 v5, 20, v5
	s_andn2_saveexec_b64 s[16:17], s[16:17]
	s_cbranch_execnz .LBB119_3094
.LBB119_2869:
	s_or_b64 exec, exec, s[16:17]
	v_mov_b32_e32 v6, 0
	s_and_saveexec_b64 s[16:17], s[10:11]
.LBB119_2870:
	v_lshrrev_b32_e32 v4, 24, v4
	s_movk_i32 s10, 0x80
	v_and_or_b32 v6, v4, s10, v5
.LBB119_2871:
	s_or_b64 exec, exec, s[16:17]
.LBB119_2872:
	s_or_b64 exec, exec, s[6:7]
	global_store_byte v[1:2], v6, off
.LBB119_2873:
	s_mov_b64 s[6:7], -1
.LBB119_2874:
	s_mov_b64 s[10:11], 0
.LBB119_2875:
	s_and_b64 vcc, exec, s[10:11]
	s_cbranch_vccz .LBB119_2915
; %bb.2876:
	s_cmp_gt_i32 s19, 22
	s_mov_b64 s[2:3], -1
	s_cbranch_scc0 .LBB119_2908
; %bb.2877:
	s_cmp_lt_i32 s19, 24
	s_cbranch_scc1 .LBB119_2897
; %bb.2878:
	s_cmp_gt_i32 s19, 24
	s_cbranch_scc0 .LBB119_2886
; %bb.2879:
	v_cvt_f32_i32_sdwa v4, sext(v3) dst_sel:DWORD dst_unused:UNUSED_PAD src0_sel:WORD_0
	s_mov_b32 s2, 0x47800000
	v_mov_b32_e32 v6, 0x80
	v_and_b32_e32 v5, 0x7fffffff, v4
	v_cmp_gt_u32_e32 vcc, s2, v5
	s_and_saveexec_b64 s[2:3], vcc
	s_cbranch_execz .LBB119_2885
; %bb.2880:
	s_mov_b32 s6, 0x37ffffff
	v_cmp_lt_u32_e32 vcc, s6, v5
	s_mov_b64 s[6:7], 0
                                        ; implicit-def: $vgpr5
	s_and_saveexec_b64 s[10:11], vcc
	s_xor_b64 s[10:11], exec, s[10:11]
	s_cbranch_execz .LBB119_3096
; %bb.2881:
	v_bfe_u32 v5, v4, 21, 1
	s_mov_b32 s16, 0x88fffff
	v_add3_u32 v5, v4, v5, s16
	s_mov_b64 s[6:7], exec
	v_lshrrev_b32_e32 v5, 21, v5
	s_andn2_saveexec_b64 s[10:11], s[10:11]
	s_cbranch_execnz .LBB119_3097
.LBB119_2882:
	s_or_b64 exec, exec, s[10:11]
	v_mov_b32_e32 v6, 0
	s_and_saveexec_b64 s[10:11], s[6:7]
.LBB119_2883:
	v_lshrrev_b32_e32 v4, 24, v4
	s_movk_i32 s6, 0x80
	v_and_or_b32 v6, v4, s6, v5
.LBB119_2884:
	s_or_b64 exec, exec, s[10:11]
.LBB119_2885:
	s_or_b64 exec, exec, s[2:3]
	s_mov_b64 s[2:3], 0
	global_store_byte v[1:2], v6, off
.LBB119_2886:
	s_and_b64 vcc, exec, s[2:3]
	s_cbranch_vccz .LBB119_2896
; %bb.2887:
	v_cvt_f32_i32_sdwa v4, sext(v3) dst_sel:DWORD dst_unused:UNUSED_PAD src0_sel:WORD_0
	s_mov_b32 s2, 0x43f00000
                                        ; implicit-def: $vgpr5
	v_and_b32_e32 v6, 0x7fffffff, v4
	v_cmp_gt_u32_e32 vcc, s2, v6
	s_and_saveexec_b64 s[2:3], vcc
	s_xor_b64 s[2:3], exec, s[2:3]
	s_cbranch_execz .LBB119_2893
; %bb.2888:
	s_mov_b32 s6, 0x3c7fffff
	v_cmp_lt_u32_e32 vcc, s6, v6
                                        ; implicit-def: $vgpr5
	s_and_saveexec_b64 s[6:7], vcc
	s_xor_b64 s[6:7], exec, s[6:7]
; %bb.2889:
	v_bfe_u32 v5, v4, 20, 1
	s_mov_b32 s10, 0x407ffff
	v_add3_u32 v5, v4, v5, s10
	v_lshrrev_b32_e32 v6, 20, v5
	v_and_b32_e32 v5, 0xff00000, v5
	s_mov_b32 s10, 0x7f00000
	v_mov_b32_e32 v7, 0x7e
	v_cmp_ne_u32_e32 vcc, s10, v5
	v_cndmask_b32_e32 v5, v7, v6, vcc
; %bb.2890:
	s_andn2_saveexec_b64 s[6:7], s[6:7]
; %bb.2891:
	s_mov_b32 s10, 0x46800000
	v_add_f32_e64 v5, |v4|, s10
; %bb.2892:
	s_or_b64 exec, exec, s[6:7]
                                        ; implicit-def: $vgpr6
.LBB119_2893:
	s_andn2_saveexec_b64 s[2:3], s[2:3]
; %bb.2894:
	s_mov_b32 s6, 0x7f800000
	v_mov_b32_e32 v5, 0x7e
	v_mov_b32_e32 v7, 0x7f
	v_cmp_lt_u32_e32 vcc, s6, v6
	v_cndmask_b32_e32 v5, v5, v7, vcc
; %bb.2895:
	s_or_b64 exec, exec, s[2:3]
	v_lshrrev_b32_e32 v4, 24, v4
	s_movk_i32 s2, 0x80
	v_and_or_b32 v4, v4, s2, v5
	global_store_byte v[1:2], v4, off
.LBB119_2896:
	s_mov_b64 s[2:3], 0
.LBB119_2897:
	s_andn2_b64 vcc, exec, s[2:3]
	s_cbranch_vccnz .LBB119_2907
; %bb.2898:
	v_cvt_f32_i32_sdwa v4, sext(v3) dst_sel:DWORD dst_unused:UNUSED_PAD src0_sel:WORD_0
	s_mov_b32 s2, 0x47800000
                                        ; implicit-def: $vgpr5
	v_and_b32_e32 v6, 0x7fffffff, v4
	v_cmp_gt_u32_e32 vcc, s2, v6
	s_and_saveexec_b64 s[2:3], vcc
	s_xor_b64 s[2:3], exec, s[2:3]
	s_cbranch_execz .LBB119_2904
; %bb.2899:
	s_mov_b32 s6, 0x387fffff
	v_cmp_lt_u32_e32 vcc, s6, v6
                                        ; implicit-def: $vgpr5
	s_and_saveexec_b64 s[6:7], vcc
	s_xor_b64 s[6:7], exec, s[6:7]
; %bb.2900:
	v_bfe_u32 v5, v4, 21, 1
	s_mov_b32 s10, 0x80fffff
	v_add3_u32 v5, v4, v5, s10
	v_lshrrev_b32_e32 v5, 21, v5
; %bb.2901:
	s_andn2_saveexec_b64 s[6:7], s[6:7]
; %bb.2902:
	s_mov_b32 s10, 0x43000000
	v_add_f32_e64 v5, |v4|, s10
; %bb.2903:
	s_or_b64 exec, exec, s[6:7]
                                        ; implicit-def: $vgpr6
.LBB119_2904:
	s_andn2_saveexec_b64 s[2:3], s[2:3]
; %bb.2905:
	s_mov_b32 s6, 0x7f800000
	v_mov_b32_e32 v5, 0x7c
	v_mov_b32_e32 v7, 0x7f
	v_cmp_lt_u32_e32 vcc, s6, v6
	v_cndmask_b32_e32 v5, v5, v7, vcc
; %bb.2906:
	s_or_b64 exec, exec, s[2:3]
	v_lshrrev_b32_e32 v4, 24, v4
	s_movk_i32 s2, 0x80
	v_and_or_b32 v4, v4, s2, v5
	global_store_byte v[1:2], v4, off
.LBB119_2907:
	s_mov_b64 s[2:3], 0
	s_mov_b64 s[6:7], -1
.LBB119_2908:
	s_andn2_b64 vcc, exec, s[2:3]
	s_mov_b64 s[2:3], 0
	s_cbranch_vccnz .LBB119_2915
; %bb.2909:
	s_cmp_gt_i32 s19, 14
	s_mov_b64 s[10:11], -1
	s_cbranch_scc0 .LBB119_2913
; %bb.2910:
	s_cmp_eq_u32 s19, 15
	s_mov_b64 s[0:1], -1
	s_cbranch_scc0 .LBB119_2912
; %bb.2911:
	v_cvt_f32_i32_sdwa v4, sext(v3) dst_sel:DWORD dst_unused:UNUSED_PAD src0_sel:WORD_0
	s_movk_i32 s2, 0x7fff
	s_mov_b64 s[0:1], 0
	s_mov_b64 s[6:7], -1
	v_bfe_u32 v5, v4, 16, 1
	v_add3_u32 v4, v4, v5, s2
	global_store_short_d16_hi v[1:2], v4, off
.LBB119_2912:
	s_mov_b64 s[10:11], 0
.LBB119_2913:
	s_mov_b64 s[2:3], 0
	s_and_b64 vcc, exec, s[10:11]
	s_cbranch_vccz .LBB119_2915
; %bb.2914:
	s_cmp_lg_u32 s19, 11
	s_mov_b64 s[2:3], -1
	s_cselect_b64 s[0:1], -1, 0
.LBB119_2915:
	s_and_b64 vcc, exec, s[0:1]
	s_cbranch_vccnz .LBB119_3095
; %bb.2916:
	s_andn2_b64 vcc, exec, s[2:3]
	s_cbranch_vccnz .LBB119_2918
.LBB119_2917:
	v_cmp_ne_u16_e32 vcc, 0, v3
	v_cndmask_b32_e64 v4, 0, 1, vcc
	s_mov_b64 s[6:7], -1
	global_store_byte v[1:2], v4, off
.LBB119_2918:
	s_mov_b64 s[0:1], 0
	s_branch .LBB119_2920
.LBB119_2919:
	s_mov_b64 s[0:1], -1
	s_mov_b64 s[6:7], 0
.LBB119_2920:
	s_and_b64 vcc, exec, s[0:1]
	s_cbranch_vccz .LBB119_2959
; %bb.2921:
	s_and_b32 s2, 0xffff, s18
	s_cmp_lt_i32 s2, 5
	s_mov_b64 s[0:1], -1
	s_cbranch_scc1 .LBB119_2942
; %bb.2922:
	s_cmp_lt_i32 s2, 8
	s_cbranch_scc1 .LBB119_2932
; %bb.2923:
	s_cmp_lt_i32 s2, 9
	s_cbranch_scc1 .LBB119_2929
; %bb.2924:
	s_cmp_gt_i32 s2, 9
	s_cbranch_scc0 .LBB119_2926
; %bb.2925:
	v_bfe_i32 v4, v3, 0, 16
	v_cvt_f64_i32_e32 v[4:5], v4
	v_mov_b32_e32 v6, 0
	v_mov_b32_e32 v7, v6
	s_mov_b64 s[0:1], 0
	global_store_dwordx4 v[1:2], v[4:7], off
.LBB119_2926:
	s_andn2_b64 vcc, exec, s[0:1]
	s_cbranch_vccnz .LBB119_2928
; %bb.2927:
	v_cvt_f32_i32_sdwa v4, sext(v3) dst_sel:DWORD dst_unused:UNUSED_PAD src0_sel:WORD_0
	v_mov_b32_e32 v5, 0
	global_store_dwordx2 v[1:2], v[4:5], off
.LBB119_2928:
	s_mov_b64 s[0:1], 0
.LBB119_2929:
	s_andn2_b64 vcc, exec, s[0:1]
	s_cbranch_vccnz .LBB119_2931
; %bb.2930:
	v_cvt_f16_i16_e32 v4, v3
	global_store_dword v[1:2], v4, off
.LBB119_2931:
	s_mov_b64 s[0:1], 0
.LBB119_2932:
	s_andn2_b64 vcc, exec, s[0:1]
	s_cbranch_vccnz .LBB119_2941
; %bb.2933:
	s_cmp_lt_i32 s2, 6
	s_mov_b64 s[0:1], -1
	s_cbranch_scc1 .LBB119_2939
; %bb.2934:
	s_cmp_gt_i32 s2, 6
	s_cbranch_scc0 .LBB119_2936
; %bb.2935:
	v_bfe_i32 v4, v3, 0, 16
	v_cvt_f64_i32_e32 v[4:5], v4
	s_mov_b64 s[0:1], 0
	global_store_dwordx2 v[1:2], v[4:5], off
.LBB119_2936:
	s_andn2_b64 vcc, exec, s[0:1]
	s_cbranch_vccnz .LBB119_2938
; %bb.2937:
	v_cvt_f32_i32_sdwa v4, sext(v3) dst_sel:DWORD dst_unused:UNUSED_PAD src0_sel:WORD_0
	global_store_dword v[1:2], v4, off
.LBB119_2938:
	s_mov_b64 s[0:1], 0
.LBB119_2939:
	s_andn2_b64 vcc, exec, s[0:1]
	s_cbranch_vccnz .LBB119_2941
; %bb.2940:
	v_cvt_f16_i16_e32 v4, v3
	global_store_short v[1:2], v4, off
.LBB119_2941:
	s_mov_b64 s[0:1], 0
.LBB119_2942:
	s_andn2_b64 vcc, exec, s[0:1]
	s_cbranch_vccnz .LBB119_2958
; %bb.2943:
	s_cmp_lt_i32 s2, 2
	s_mov_b64 s[0:1], -1
	s_cbranch_scc1 .LBB119_2953
; %bb.2944:
	s_cmp_lt_i32 s2, 3
	s_cbranch_scc1 .LBB119_2950
; %bb.2945:
	s_cmp_gt_i32 s2, 3
	s_cbranch_scc0 .LBB119_2947
; %bb.2946:
	v_bfe_i32 v4, v3, 0, 16
	v_ashrrev_i32_e32 v5, 31, v4
	global_store_dwordx2 v[1:2], v[4:5], off
	s_mov_b64 s[0:1], 0
.LBB119_2947:
	s_andn2_b64 vcc, exec, s[0:1]
	s_cbranch_vccnz .LBB119_2949
; %bb.2948:
	v_bfe_i32 v4, v3, 0, 16
	global_store_dword v[1:2], v4, off
.LBB119_2949:
	s_mov_b64 s[0:1], 0
.LBB119_2950:
	s_andn2_b64 vcc, exec, s[0:1]
	s_cbranch_vccnz .LBB119_2952
; %bb.2951:
	global_store_short v[1:2], v3, off
.LBB119_2952:
	s_mov_b64 s[0:1], 0
.LBB119_2953:
	s_andn2_b64 vcc, exec, s[0:1]
	s_cbranch_vccnz .LBB119_2958
; %bb.2954:
	s_cmp_gt_i32 s2, 0
	s_mov_b64 s[0:1], -1
	s_cbranch_scc0 .LBB119_2956
; %bb.2955:
	global_store_byte v[1:2], v3, off
	s_mov_b64 s[0:1], 0
.LBB119_2956:
	s_andn2_b64 vcc, exec, s[0:1]
	s_cbranch_vccnz .LBB119_2958
; %bb.2957:
	global_store_byte v[1:2], v3, off
.LBB119_2958:
	s_mov_b64 s[6:7], -1
.LBB119_2959:
	s_andn2_b64 vcc, exec, s[6:7]
	s_cbranch_vccnz .LBB119_3036
; %bb.2960:
	s_waitcnt vmcnt(0)
	v_lshlrev_b32_sdwa v1, v8, v13 dst_sel:DWORD dst_unused:UNUSED_PAD src0_sel:WORD_0 src1_sel:DWORD
	v_cmp_gt_u16_e32 vcc, 16, v8
	v_cndmask_b32_e32 v4, 0, v1, vcc
	v_mov_b32_e32 v1, s9
	v_add_co_u32_e32 v0, vcc, s8, v0
	s_cmp_lt_i32 s18, 11
	v_addc_co_u32_e32 v1, vcc, 0, v1, vcc
	s_cbranch_scc1 .LBB119_3081
; %bb.2961:
	s_and_b32 s16, 0xffff, s18
	s_mov_b64 s[6:7], -1
	s_mov_b64 s[2:3], 0
	s_cmp_gt_i32 s16, 25
	s_mov_b64 s[0:1], 0
	s_cbranch_scc0 .LBB119_2994
; %bb.2962:
	s_cmp_gt_i32 s16, 28
	s_cbranch_scc0 .LBB119_2978
; %bb.2963:
	s_cmp_gt_i32 s16, 43
	;; [unrolled: 3-line block ×3, first 2 shown]
	s_cbranch_scc0 .LBB119_2968
; %bb.2965:
	s_cmp_eq_u32 s16, 46
	s_mov_b64 s[0:1], -1
	s_cbranch_scc0 .LBB119_2967
; %bb.2966:
	v_cvt_f32_i32_sdwa v2, sext(v4) dst_sel:DWORD dst_unused:UNUSED_PAD src0_sel:WORD_0
	s_movk_i32 s0, 0x7fff
	v_bfe_u32 v3, v2, 16, 1
	v_add3_u32 v2, v2, v3, s0
	v_lshrrev_b32_e32 v2, 16, v2
	global_store_dword v[0:1], v2, off
	s_mov_b64 s[0:1], 0
.LBB119_2967:
	s_mov_b64 s[6:7], 0
.LBB119_2968:
	s_and_b64 vcc, exec, s[6:7]
	s_cbranch_vccz .LBB119_2973
; %bb.2969:
	s_cmp_eq_u32 s16, 44
	s_mov_b64 s[0:1], -1
	s_cbranch_scc0 .LBB119_2973
; %bb.2970:
	v_cvt_f32_i32_sdwa v2, sext(v4) dst_sel:DWORD dst_unused:UNUSED_PAD src0_sel:WORD_0
	s_movk_i32 s0, 0xff
	v_mov_b32_e32 v5, 0xff
	v_bfe_u32 v3, v2, 23, 8
	v_cmp_ne_u32_e32 vcc, s0, v3
	s_and_saveexec_b64 s[6:7], vcc
; %bb.2971:
	s_mov_b32 s0, 0x3fffff
	v_lshrrev_b32_e32 v5, 23, v2
	v_and_b32_e32 v6, 0x400000, v2
	v_and_or_b32 v2, v2, s0, v3
	v_cmp_ne_u32_e32 vcc, 0, v6
	v_cmp_ne_u32_e64 s[0:1], 0, v2
	s_and_b64 s[0:1], vcc, s[0:1]
	v_cndmask_b32_e64 v2, 0, 1, s[0:1]
	v_add_u32_e32 v5, v5, v2
; %bb.2972:
	s_or_b64 exec, exec, s[6:7]
	s_mov_b64 s[0:1], 0
	global_store_byte v[0:1], v5, off
.LBB119_2973:
	s_mov_b64 s[6:7], 0
.LBB119_2974:
	s_and_b64 vcc, exec, s[6:7]
	s_cbranch_vccz .LBB119_2977
; %bb.2975:
	s_cmp_eq_u32 s16, 29
	s_mov_b64 s[0:1], -1
	s_cbranch_scc0 .LBB119_2977
; %bb.2976:
	v_bfe_i32 v2, v4, 0, 16
	v_ashrrev_i32_e32 v3, 31, v2
	global_store_dwordx2 v[0:1], v[2:3], off
	s_mov_b64 s[0:1], 0
.LBB119_2977:
	s_mov_b64 s[6:7], 0
.LBB119_2978:
	s_and_b64 vcc, exec, s[6:7]
	s_cbranch_vccz .LBB119_2993
; %bb.2979:
	s_cmp_lt_i32 s16, 27
	s_mov_b64 s[6:7], -1
	s_cbranch_scc1 .LBB119_2985
; %bb.2980:
	s_cmp_gt_i32 s16, 27
	s_cbranch_scc0 .LBB119_2982
; %bb.2981:
	v_bfe_i32 v2, v4, 0, 16
	global_store_dword v[0:1], v2, off
	s_mov_b64 s[6:7], 0
.LBB119_2982:
	s_andn2_b64 vcc, exec, s[6:7]
	s_cbranch_vccnz .LBB119_2984
; %bb.2983:
	global_store_short v[0:1], v4, off
.LBB119_2984:
	s_mov_b64 s[6:7], 0
.LBB119_2985:
	s_andn2_b64 vcc, exec, s[6:7]
	s_cbranch_vccnz .LBB119_2993
; %bb.2986:
	v_cvt_f32_i32_sdwa v2, sext(v4) dst_sel:DWORD dst_unused:UNUSED_PAD src0_sel:WORD_0
	s_mov_b32 s6, 0x43800000
	v_mov_b32_e32 v5, 0x80
	v_and_b32_e32 v3, 0x7fffffff, v2
	v_cmp_gt_u32_e32 vcc, s6, v3
	s_and_saveexec_b64 s[6:7], vcc
	s_cbranch_execz .LBB119_2992
; %bb.2987:
	s_mov_b32 s8, 0x3bffffff
	v_cmp_lt_u32_e32 vcc, s8, v3
	s_mov_b64 s[8:9], 0
                                        ; implicit-def: $vgpr3
	s_and_saveexec_b64 s[10:11], vcc
	s_xor_b64 s[10:11], exec, s[10:11]
	s_cbranch_execz .LBB119_3098
; %bb.2988:
	v_bfe_u32 v3, v2, 20, 1
	s_mov_b32 s17, 0x487ffff
	v_add3_u32 v3, v2, v3, s17
	s_mov_b64 s[8:9], exec
	v_lshrrev_b32_e32 v3, 20, v3
	s_andn2_saveexec_b64 s[10:11], s[10:11]
	s_cbranch_execnz .LBB119_3099
.LBB119_2989:
	s_or_b64 exec, exec, s[10:11]
	v_mov_b32_e32 v5, 0
	s_and_saveexec_b64 s[10:11], s[8:9]
.LBB119_2990:
	v_lshrrev_b32_e32 v2, 24, v2
	s_movk_i32 s8, 0x80
	v_and_or_b32 v5, v2, s8, v3
.LBB119_2991:
	s_or_b64 exec, exec, s[10:11]
.LBB119_2992:
	s_or_b64 exec, exec, s[6:7]
	global_store_byte v[0:1], v5, off
.LBB119_2993:
	s_mov_b64 s[6:7], 0
.LBB119_2994:
	s_and_b64 vcc, exec, s[6:7]
	s_cbranch_vccz .LBB119_3034
; %bb.2995:
	s_cmp_gt_i32 s16, 22
	s_mov_b64 s[2:3], -1
	s_cbranch_scc0 .LBB119_3027
; %bb.2996:
	s_cmp_lt_i32 s16, 24
	s_cbranch_scc1 .LBB119_3016
; %bb.2997:
	s_cmp_gt_i32 s16, 24
	s_cbranch_scc0 .LBB119_3005
; %bb.2998:
	v_cvt_f32_i32_sdwa v2, sext(v4) dst_sel:DWORD dst_unused:UNUSED_PAD src0_sel:WORD_0
	s_mov_b32 s2, 0x47800000
	v_mov_b32_e32 v5, 0x80
	v_and_b32_e32 v3, 0x7fffffff, v2
	v_cmp_gt_u32_e32 vcc, s2, v3
	s_and_saveexec_b64 s[2:3], vcc
	s_cbranch_execz .LBB119_3004
; %bb.2999:
	s_mov_b32 s6, 0x37ffffff
	v_cmp_lt_u32_e32 vcc, s6, v3
	s_mov_b64 s[6:7], 0
                                        ; implicit-def: $vgpr3
	s_and_saveexec_b64 s[8:9], vcc
	s_xor_b64 s[8:9], exec, s[8:9]
	s_cbranch_execz .LBB119_3101
; %bb.3000:
	v_bfe_u32 v3, v2, 21, 1
	s_mov_b32 s10, 0x88fffff
	v_add3_u32 v3, v2, v3, s10
	s_mov_b64 s[6:7], exec
	v_lshrrev_b32_e32 v3, 21, v3
	s_andn2_saveexec_b64 s[8:9], s[8:9]
	s_cbranch_execnz .LBB119_3102
.LBB119_3001:
	s_or_b64 exec, exec, s[8:9]
	v_mov_b32_e32 v5, 0
	s_and_saveexec_b64 s[8:9], s[6:7]
.LBB119_3002:
	v_lshrrev_b32_e32 v2, 24, v2
	s_movk_i32 s6, 0x80
	v_and_or_b32 v5, v2, s6, v3
.LBB119_3003:
	s_or_b64 exec, exec, s[8:9]
.LBB119_3004:
	s_or_b64 exec, exec, s[2:3]
	s_mov_b64 s[2:3], 0
	global_store_byte v[0:1], v5, off
.LBB119_3005:
	s_and_b64 vcc, exec, s[2:3]
	s_cbranch_vccz .LBB119_3015
; %bb.3006:
	v_cvt_f32_i32_sdwa v2, sext(v4) dst_sel:DWORD dst_unused:UNUSED_PAD src0_sel:WORD_0
	s_mov_b32 s2, 0x43f00000
                                        ; implicit-def: $vgpr3
	v_and_b32_e32 v5, 0x7fffffff, v2
	v_cmp_gt_u32_e32 vcc, s2, v5
	s_and_saveexec_b64 s[2:3], vcc
	s_xor_b64 s[2:3], exec, s[2:3]
	s_cbranch_execz .LBB119_3012
; %bb.3007:
	s_mov_b32 s6, 0x3c7fffff
	v_cmp_lt_u32_e32 vcc, s6, v5
                                        ; implicit-def: $vgpr3
	s_and_saveexec_b64 s[6:7], vcc
	s_xor_b64 s[6:7], exec, s[6:7]
; %bb.3008:
	v_bfe_u32 v3, v2, 20, 1
	s_mov_b32 s8, 0x407ffff
	v_add3_u32 v3, v2, v3, s8
	v_lshrrev_b32_e32 v5, 20, v3
	v_and_b32_e32 v3, 0xff00000, v3
	s_mov_b32 s8, 0x7f00000
	v_mov_b32_e32 v6, 0x7e
	v_cmp_ne_u32_e32 vcc, s8, v3
	v_cndmask_b32_e32 v3, v6, v5, vcc
; %bb.3009:
	s_andn2_saveexec_b64 s[6:7], s[6:7]
; %bb.3010:
	s_mov_b32 s8, 0x46800000
	v_add_f32_e64 v3, |v2|, s8
; %bb.3011:
	s_or_b64 exec, exec, s[6:7]
                                        ; implicit-def: $vgpr5
.LBB119_3012:
	s_andn2_saveexec_b64 s[2:3], s[2:3]
; %bb.3013:
	s_mov_b32 s6, 0x7f800000
	v_mov_b32_e32 v3, 0x7e
	v_mov_b32_e32 v6, 0x7f
	v_cmp_lt_u32_e32 vcc, s6, v5
	v_cndmask_b32_e32 v3, v3, v6, vcc
; %bb.3014:
	s_or_b64 exec, exec, s[2:3]
	v_lshrrev_b32_e32 v2, 24, v2
	s_movk_i32 s2, 0x80
	v_and_or_b32 v2, v2, s2, v3
	global_store_byte v[0:1], v2, off
.LBB119_3015:
	s_mov_b64 s[2:3], 0
.LBB119_3016:
	s_andn2_b64 vcc, exec, s[2:3]
	s_cbranch_vccnz .LBB119_3026
; %bb.3017:
	v_cvt_f32_i32_sdwa v2, sext(v4) dst_sel:DWORD dst_unused:UNUSED_PAD src0_sel:WORD_0
	s_mov_b32 s2, 0x47800000
                                        ; implicit-def: $vgpr3
	v_and_b32_e32 v5, 0x7fffffff, v2
	v_cmp_gt_u32_e32 vcc, s2, v5
	s_and_saveexec_b64 s[2:3], vcc
	s_xor_b64 s[2:3], exec, s[2:3]
	s_cbranch_execz .LBB119_3023
; %bb.3018:
	s_mov_b32 s6, 0x387fffff
	v_cmp_lt_u32_e32 vcc, s6, v5
                                        ; implicit-def: $vgpr3
	s_and_saveexec_b64 s[6:7], vcc
	s_xor_b64 s[6:7], exec, s[6:7]
; %bb.3019:
	v_bfe_u32 v3, v2, 21, 1
	s_mov_b32 s8, 0x80fffff
	v_add3_u32 v3, v2, v3, s8
	v_lshrrev_b32_e32 v3, 21, v3
; %bb.3020:
	s_andn2_saveexec_b64 s[6:7], s[6:7]
; %bb.3021:
	s_mov_b32 s8, 0x43000000
	v_add_f32_e64 v3, |v2|, s8
; %bb.3022:
	s_or_b64 exec, exec, s[6:7]
                                        ; implicit-def: $vgpr5
.LBB119_3023:
	s_andn2_saveexec_b64 s[2:3], s[2:3]
; %bb.3024:
	s_mov_b32 s6, 0x7f800000
	v_mov_b32_e32 v3, 0x7c
	v_mov_b32_e32 v6, 0x7f
	v_cmp_lt_u32_e32 vcc, s6, v5
	v_cndmask_b32_e32 v3, v3, v6, vcc
; %bb.3025:
	s_or_b64 exec, exec, s[2:3]
	v_lshrrev_b32_e32 v2, 24, v2
	s_movk_i32 s2, 0x80
	v_and_or_b32 v2, v2, s2, v3
	global_store_byte v[0:1], v2, off
.LBB119_3026:
	s_mov_b64 s[2:3], 0
.LBB119_3027:
	s_andn2_b64 vcc, exec, s[2:3]
	s_mov_b64 s[2:3], 0
	s_cbranch_vccnz .LBB119_3034
; %bb.3028:
	s_cmp_gt_i32 s16, 14
	s_mov_b64 s[6:7], -1
	s_cbranch_scc0 .LBB119_3032
; %bb.3029:
	s_cmp_eq_u32 s16, 15
	s_mov_b64 s[0:1], -1
	s_cbranch_scc0 .LBB119_3031
; %bb.3030:
	v_cvt_f32_i32_sdwa v2, sext(v4) dst_sel:DWORD dst_unused:UNUSED_PAD src0_sel:WORD_0
	s_movk_i32 s0, 0x7fff
	v_bfe_u32 v3, v2, 16, 1
	v_add3_u32 v2, v2, v3, s0
	global_store_short_d16_hi v[0:1], v2, off
	s_mov_b64 s[0:1], 0
.LBB119_3031:
	s_mov_b64 s[6:7], 0
.LBB119_3032:
	s_and_b64 vcc, exec, s[6:7]
	s_cbranch_vccz .LBB119_3034
; %bb.3033:
	s_cmp_lg_u32 s16, 11
	s_mov_b64 s[2:3], -1
	s_cselect_b64 s[0:1], -1, 0
.LBB119_3034:
	s_and_b64 vcc, exec, s[0:1]
	s_cbranch_vccnz .LBB119_3100
.LBB119_3035:
	s_mov_b64 s[0:1], 0
	s_branch .LBB119_3037
.LBB119_3036:
	s_mov_b64 s[0:1], 0
	s_mov_b64 s[2:3], 0
                                        ; implicit-def: $vgpr0_vgpr1
                                        ; implicit-def: $sgpr18
                                        ; implicit-def: $vgpr4
.LBB119_3037:
	s_and_b64 s[6:7], s[2:3], exec
	s_andn2_b64 s[2:3], s[12:13], exec
	s_and_b64 s[4:5], s[4:5], exec
	s_and_b64 s[0:1], s[0:1], exec
	s_or_b64 s[12:13], s[2:3], s[4:5]
.LBB119_3038:
	s_or_b64 exec, exec, s[14:15]
	s_and_saveexec_b64 s[2:3], s[12:13]
	s_cbranch_execz .LBB119_3041
; %bb.3039:
	; divergent unreachable
	s_or_b64 exec, exec, s[2:3]
	s_and_saveexec_b64 s[2:3], s[6:7]
	s_xor_b64 s[2:3], exec, s[2:3]
	s_cbranch_execnz .LBB119_3042
.LBB119_3040:
	s_or_b64 exec, exec, s[2:3]
	s_and_saveexec_b64 s[2:3], s[0:1]
	s_cbranch_execnz .LBB119_3043
	s_branch .LBB119_3080
.LBB119_3041:
	s_or_b64 exec, exec, s[2:3]
	s_and_saveexec_b64 s[2:3], s[6:7]
	s_xor_b64 s[2:3], exec, s[2:3]
	s_cbranch_execz .LBB119_3040
.LBB119_3042:
	s_waitcnt vmcnt(0)
	v_cmp_ne_u16_e32 vcc, 0, v4
	v_cndmask_b32_e64 v2, 0, 1, vcc
	global_store_byte v[0:1], v2, off
	s_or_b64 exec, exec, s[2:3]
	s_and_saveexec_b64 s[2:3], s[0:1]
	s_cbranch_execz .LBB119_3080
.LBB119_3043:
	s_sext_i32_i16 s2, s18
	s_cmp_lt_i32 s2, 5
	s_mov_b64 s[0:1], -1
	s_cbranch_scc1 .LBB119_3064
; %bb.3044:
	s_cmp_lt_i32 s2, 8
	s_cbranch_scc1 .LBB119_3054
; %bb.3045:
	s_cmp_lt_i32 s2, 9
	s_cbranch_scc1 .LBB119_3051
; %bb.3046:
	s_cmp_gt_i32 s2, 9
	s_cbranch_scc0 .LBB119_3048
; %bb.3047:
	s_waitcnt vmcnt(0)
	v_bfe_i32 v2, v4, 0, 16
	v_cvt_f64_i32_e32 v[5:6], v2
	v_mov_b32_e32 v7, 0
	v_mov_b32_e32 v8, v7
	s_mov_b64 s[0:1], 0
	global_store_dwordx4 v[0:1], v[5:8], off
.LBB119_3048:
	s_andn2_b64 vcc, exec, s[0:1]
	s_cbranch_vccnz .LBB119_3050
; %bb.3049:
	s_waitcnt vmcnt(0)
	v_cvt_f32_i32_sdwa v2, sext(v4) dst_sel:DWORD dst_unused:UNUSED_PAD src0_sel:WORD_0
	v_mov_b32_e32 v3, 0
	global_store_dwordx2 v[0:1], v[2:3], off
.LBB119_3050:
	s_mov_b64 s[0:1], 0
.LBB119_3051:
	s_andn2_b64 vcc, exec, s[0:1]
	s_cbranch_vccnz .LBB119_3053
; %bb.3052:
	s_waitcnt vmcnt(0)
	v_cvt_f16_i16_e32 v2, v4
	global_store_dword v[0:1], v2, off
.LBB119_3053:
	s_mov_b64 s[0:1], 0
.LBB119_3054:
	s_andn2_b64 vcc, exec, s[0:1]
	s_cbranch_vccnz .LBB119_3063
; %bb.3055:
	s_sext_i32_i16 s2, s18
	s_cmp_lt_i32 s2, 6
	s_mov_b64 s[0:1], -1
	s_cbranch_scc1 .LBB119_3061
; %bb.3056:
	s_cmp_gt_i32 s2, 6
	s_cbranch_scc0 .LBB119_3058
; %bb.3057:
	s_waitcnt vmcnt(0)
	v_bfe_i32 v2, v4, 0, 16
	v_cvt_f64_i32_e32 v[2:3], v2
	s_mov_b64 s[0:1], 0
	global_store_dwordx2 v[0:1], v[2:3], off
.LBB119_3058:
	s_andn2_b64 vcc, exec, s[0:1]
	s_cbranch_vccnz .LBB119_3060
; %bb.3059:
	s_waitcnt vmcnt(0)
	v_cvt_f32_i32_sdwa v2, sext(v4) dst_sel:DWORD dst_unused:UNUSED_PAD src0_sel:WORD_0
	global_store_dword v[0:1], v2, off
.LBB119_3060:
	s_mov_b64 s[0:1], 0
.LBB119_3061:
	s_andn2_b64 vcc, exec, s[0:1]
	s_cbranch_vccnz .LBB119_3063
; %bb.3062:
	s_waitcnt vmcnt(0)
	v_cvt_f16_i16_e32 v2, v4
	global_store_short v[0:1], v2, off
.LBB119_3063:
	s_mov_b64 s[0:1], 0
.LBB119_3064:
	s_andn2_b64 vcc, exec, s[0:1]
	s_cbranch_vccnz .LBB119_3080
; %bb.3065:
	s_sext_i32_i16 s2, s18
	s_cmp_lt_i32 s2, 2
	s_mov_b64 s[0:1], -1
	s_cbranch_scc1 .LBB119_3075
; %bb.3066:
	s_cmp_lt_i32 s2, 3
	s_cbranch_scc1 .LBB119_3072
; %bb.3067:
	s_cmp_gt_i32 s2, 3
	s_waitcnt vmcnt(0)
	v_bfe_i32 v2, v4, 0, 16
	s_cbranch_scc0 .LBB119_3069
; %bb.3068:
	v_ashrrev_i32_e32 v3, 31, v2
	global_store_dwordx2 v[0:1], v[2:3], off
	s_mov_b64 s[0:1], 0
.LBB119_3069:
	s_andn2_b64 vcc, exec, s[0:1]
	s_cbranch_vccnz .LBB119_3071
; %bb.3070:
	global_store_dword v[0:1], v2, off
.LBB119_3071:
	s_mov_b64 s[0:1], 0
.LBB119_3072:
	s_andn2_b64 vcc, exec, s[0:1]
	s_cbranch_vccnz .LBB119_3074
; %bb.3073:
	s_waitcnt vmcnt(0)
	global_store_short v[0:1], v4, off
.LBB119_3074:
	s_mov_b64 s[0:1], 0
.LBB119_3075:
	s_andn2_b64 vcc, exec, s[0:1]
	s_cbranch_vccnz .LBB119_3080
; %bb.3076:
	s_sext_i32_i16 s0, s18
	s_cmp_gt_i32 s0, 0
	s_mov_b64 s[0:1], -1
	s_cbranch_scc0 .LBB119_3078
; %bb.3077:
	s_waitcnt vmcnt(0)
	global_store_byte v[0:1], v4, off
	s_mov_b64 s[0:1], 0
.LBB119_3078:
	s_andn2_b64 vcc, exec, s[0:1]
	s_cbranch_vccnz .LBB119_3080
; %bb.3079:
	s_waitcnt vmcnt(0)
	global_store_byte v[0:1], v4, off
	s_endpgm
.LBB119_3080:
	s_endpgm
.LBB119_3081:
	s_mov_b64 s[2:3], 0
	s_mov_b64 s[0:1], -1
	s_branch .LBB119_3037
.LBB119_3082:
	s_trap 2
	s_or_b64 s[4:5], s[4:5], exec
	s_cbranch_execz .LBB119_2551
	s_branch .LBB119_2552
.LBB119_3083:
	s_andn2_saveexec_b64 s[16:17], s[16:17]
	s_cbranch_execz .LBB119_2631
.LBB119_3084:
	s_mov_b32 s21, 0x46000000
	v_add_f32_e64 v7, |v3|, s21
	v_and_b32_e32 v7, 0xff, v7
	v_cmp_ne_u32_e32 vcc, 0, v7
	s_andn2_b64 s[10:11], s[10:11], exec
	s_and_b64 s[22:23], vcc, exec
	s_or_b64 s[10:11], s[10:11], s[22:23]
	s_or_b64 exec, exec, s[16:17]
	v_mov_b32_e32 v9, 0
	s_and_saveexec_b64 s[16:17], s[10:11]
	s_cbranch_execnz .LBB119_2632
	s_branch .LBB119_2633
.LBB119_3085:
	s_trap 2
	s_or_b64 s[4:5], s[4:5], exec
	s_cbranch_execz .LBB119_2679
	s_branch .LBB119_2680
.LBB119_3086:
	s_andn2_saveexec_b64 s[10:11], s[10:11]
	s_cbranch_execz .LBB119_2644
.LBB119_3087:
	s_mov_b32 s16, 0x42800000
	v_add_f32_e64 v7, |v3|, s16
	v_and_b32_e32 v7, 0xff, v7
	v_cmp_ne_u32_e32 vcc, 0, v7
	s_andn2_b64 s[6:7], s[6:7], exec
	s_and_b64 s[16:17], vcc, exec
	s_or_b64 s[6:7], s[6:7], s[16:17]
	s_or_b64 exec, exec, s[10:11]
	v_mov_b32_e32 v9, 0
	s_and_saveexec_b64 s[10:11], s[6:7]
	s_cbranch_execnz .LBB119_2645
	s_branch .LBB119_2646
.LBB119_3088:
	s_andn2_saveexec_b64 s[16:17], s[16:17]
	s_cbranch_execz .LBB119_2750
.LBB119_3089:
	s_mov_b32 s20, 0x46000000
	v_add_f32_e64 v6, |v5|, s20
	v_and_b32_e32 v6, 0xff, v6
	v_cmp_ne_u32_e32 vcc, 0, v6
	s_andn2_b64 s[10:11], s[10:11], exec
	s_and_b64 s[20:21], vcc, exec
	s_or_b64 s[10:11], s[10:11], s[20:21]
	s_or_b64 exec, exec, s[16:17]
	v_mov_b32_e32 v7, 0
	s_and_saveexec_b64 s[16:17], s[10:11]
	s_cbranch_execnz .LBB119_2751
	s_branch .LBB119_2752
.LBB119_3090:
	s_trap 2
	s_or_b64 s[4:5], s[4:5], exec
	s_cbranch_execz .LBB119_2798
	s_branch .LBB119_2799
.LBB119_3091:
	s_andn2_saveexec_b64 s[10:11], s[10:11]
	s_cbranch_execz .LBB119_2763
.LBB119_3092:
	s_mov_b32 s16, 0x42800000
	v_add_f32_e64 v6, |v5|, s16
	v_and_b32_e32 v6, 0xff, v6
	v_cmp_ne_u32_e32 vcc, 0, v6
	s_andn2_b64 s[6:7], s[6:7], exec
	s_and_b64 s[16:17], vcc, exec
	s_or_b64 s[6:7], s[6:7], s[16:17]
	s_or_b64 exec, exec, s[10:11]
	v_mov_b32_e32 v7, 0
	s_and_saveexec_b64 s[10:11], s[6:7]
	s_cbranch_execnz .LBB119_2764
	s_branch .LBB119_2765
.LBB119_3093:
	s_andn2_saveexec_b64 s[16:17], s[16:17]
	s_cbranch_execz .LBB119_2869
.LBB119_3094:
	s_mov_b32 s20, 0x46000000
	v_add_f32_e64 v5, |v4|, s20
	v_and_b32_e32 v5, 0xff, v5
	v_cmp_ne_u32_e32 vcc, 0, v5
	s_andn2_b64 s[10:11], s[10:11], exec
	s_and_b64 s[20:21], vcc, exec
	s_or_b64 s[10:11], s[10:11], s[20:21]
	s_or_b64 exec, exec, s[16:17]
	v_mov_b32_e32 v6, 0
	s_and_saveexec_b64 s[16:17], s[10:11]
	s_cbranch_execnz .LBB119_2870
	s_branch .LBB119_2871
.LBB119_3095:
	s_trap 2
	s_or_b64 s[4:5], s[4:5], exec
	s_cbranch_execz .LBB119_2917
	s_branch .LBB119_2918
.LBB119_3096:
	s_andn2_saveexec_b64 s[10:11], s[10:11]
	s_cbranch_execz .LBB119_2882
.LBB119_3097:
	s_mov_b32 s16, 0x42800000
	v_add_f32_e64 v5, |v4|, s16
	v_and_b32_e32 v5, 0xff, v5
	v_cmp_ne_u32_e32 vcc, 0, v5
	s_andn2_b64 s[6:7], s[6:7], exec
	s_and_b64 s[16:17], vcc, exec
	s_or_b64 s[6:7], s[6:7], s[16:17]
	s_or_b64 exec, exec, s[10:11]
	v_mov_b32_e32 v6, 0
	s_and_saveexec_b64 s[10:11], s[6:7]
	s_cbranch_execnz .LBB119_2883
	s_branch .LBB119_2884
.LBB119_3098:
	s_andn2_saveexec_b64 s[10:11], s[10:11]
	s_cbranch_execz .LBB119_2989
.LBB119_3099:
	s_mov_b32 s17, 0x46000000
	v_add_f32_e64 v3, |v2|, s17
	v_and_b32_e32 v3, 0xff, v3
	v_cmp_ne_u32_e32 vcc, 0, v3
	s_andn2_b64 s[8:9], s[8:9], exec
	s_and_b64 s[20:21], vcc, exec
	s_or_b64 s[8:9], s[8:9], s[20:21]
	s_or_b64 exec, exec, s[10:11]
	v_mov_b32_e32 v5, 0
	s_and_saveexec_b64 s[10:11], s[8:9]
	s_cbranch_execnz .LBB119_2990
	s_branch .LBB119_2991
.LBB119_3100:
	s_mov_b64 s[2:3], 0
	s_or_b64 s[4:5], s[4:5], exec
	s_trap 2
	s_branch .LBB119_3035
.LBB119_3101:
	s_andn2_saveexec_b64 s[8:9], s[8:9]
	s_cbranch_execz .LBB119_3001
.LBB119_3102:
	s_mov_b32 s10, 0x42800000
	v_add_f32_e64 v3, |v2|, s10
	v_and_b32_e32 v3, 0xff, v3
	v_cmp_ne_u32_e32 vcc, 0, v3
	s_andn2_b64 s[6:7], s[6:7], exec
	s_and_b64 s[10:11], vcc, exec
	s_or_b64 s[6:7], s[6:7], s[10:11]
	s_or_b64 exec, exec, s[8:9]
	v_mov_b32_e32 v5, 0
	s_and_saveexec_b64 s[8:9], s[6:7]
	s_cbranch_execnz .LBB119_3002
	s_branch .LBB119_3003
	.section	.rodata,"a",@progbits
	.p2align	6, 0x0
	.amdhsa_kernel _ZN2at6native32elementwise_kernel_manual_unrollILi128ELi4EZNS0_15gpu_kernel_implINS0_13BinaryFunctorIsssZZZNS0_18lshift_kernel_cudaERNS_18TensorIteratorBaseEENKUlvE_clEvENKUlvE3_clEvEUlssE_EEEEvS5_RKT_EUlibE0_EEviT1_
		.amdhsa_group_segment_fixed_size 0
		.amdhsa_private_segment_fixed_size 0
		.amdhsa_kernarg_size 432
		.amdhsa_user_sgpr_count 6
		.amdhsa_user_sgpr_private_segment_buffer 1
		.amdhsa_user_sgpr_dispatch_ptr 0
		.amdhsa_user_sgpr_queue_ptr 0
		.amdhsa_user_sgpr_kernarg_segment_ptr 1
		.amdhsa_user_sgpr_dispatch_id 0
		.amdhsa_user_sgpr_flat_scratch_init 0
		.amdhsa_user_sgpr_private_segment_size 0
		.amdhsa_uses_dynamic_stack 0
		.amdhsa_system_sgpr_private_segment_wavefront_offset 0
		.amdhsa_system_sgpr_workgroup_id_x 1
		.amdhsa_system_sgpr_workgroup_id_y 0
		.amdhsa_system_sgpr_workgroup_id_z 0
		.amdhsa_system_sgpr_workgroup_info 0
		.amdhsa_system_vgpr_workitem_id 0
		.amdhsa_next_free_vgpr 23
		.amdhsa_next_free_sgpr 80
		.amdhsa_reserve_vcc 1
		.amdhsa_reserve_flat_scratch 0
		.amdhsa_float_round_mode_32 0
		.amdhsa_float_round_mode_16_64 0
		.amdhsa_float_denorm_mode_32 3
		.amdhsa_float_denorm_mode_16_64 3
		.amdhsa_dx10_clamp 1
		.amdhsa_ieee_mode 1
		.amdhsa_fp16_overflow 0
		.amdhsa_exception_fp_ieee_invalid_op 0
		.amdhsa_exception_fp_denorm_src 0
		.amdhsa_exception_fp_ieee_div_zero 0
		.amdhsa_exception_fp_ieee_overflow 0
		.amdhsa_exception_fp_ieee_underflow 0
		.amdhsa_exception_fp_ieee_inexact 0
		.amdhsa_exception_int_div_zero 0
	.end_amdhsa_kernel
	.section	.text._ZN2at6native32elementwise_kernel_manual_unrollILi128ELi4EZNS0_15gpu_kernel_implINS0_13BinaryFunctorIsssZZZNS0_18lshift_kernel_cudaERNS_18TensorIteratorBaseEENKUlvE_clEvENKUlvE3_clEvEUlssE_EEEEvS5_RKT_EUlibE0_EEviT1_,"axG",@progbits,_ZN2at6native32elementwise_kernel_manual_unrollILi128ELi4EZNS0_15gpu_kernel_implINS0_13BinaryFunctorIsssZZZNS0_18lshift_kernel_cudaERNS_18TensorIteratorBaseEENKUlvE_clEvENKUlvE3_clEvEUlssE_EEEEvS5_RKT_EUlibE0_EEviT1_,comdat
.Lfunc_end119:
	.size	_ZN2at6native32elementwise_kernel_manual_unrollILi128ELi4EZNS0_15gpu_kernel_implINS0_13BinaryFunctorIsssZZZNS0_18lshift_kernel_cudaERNS_18TensorIteratorBaseEENKUlvE_clEvENKUlvE3_clEvEUlssE_EEEEvS5_RKT_EUlibE0_EEviT1_, .Lfunc_end119-_ZN2at6native32elementwise_kernel_manual_unrollILi128ELi4EZNS0_15gpu_kernel_implINS0_13BinaryFunctorIsssZZZNS0_18lshift_kernel_cudaERNS_18TensorIteratorBaseEENKUlvE_clEvENKUlvE3_clEvEUlssE_EEEEvS5_RKT_EUlibE0_EEviT1_
                                        ; -- End function
	.set _ZN2at6native32elementwise_kernel_manual_unrollILi128ELi4EZNS0_15gpu_kernel_implINS0_13BinaryFunctorIsssZZZNS0_18lshift_kernel_cudaERNS_18TensorIteratorBaseEENKUlvE_clEvENKUlvE3_clEvEUlssE_EEEEvS5_RKT_EUlibE0_EEviT1_.num_vgpr, 23
	.set _ZN2at6native32elementwise_kernel_manual_unrollILi128ELi4EZNS0_15gpu_kernel_implINS0_13BinaryFunctorIsssZZZNS0_18lshift_kernel_cudaERNS_18TensorIteratorBaseEENKUlvE_clEvENKUlvE3_clEvEUlssE_EEEEvS5_RKT_EUlibE0_EEviT1_.num_agpr, 0
	.set _ZN2at6native32elementwise_kernel_manual_unrollILi128ELi4EZNS0_15gpu_kernel_implINS0_13BinaryFunctorIsssZZZNS0_18lshift_kernel_cudaERNS_18TensorIteratorBaseEENKUlvE_clEvENKUlvE3_clEvEUlssE_EEEEvS5_RKT_EUlibE0_EEviT1_.numbered_sgpr, 80
	.set _ZN2at6native32elementwise_kernel_manual_unrollILi128ELi4EZNS0_15gpu_kernel_implINS0_13BinaryFunctorIsssZZZNS0_18lshift_kernel_cudaERNS_18TensorIteratorBaseEENKUlvE_clEvENKUlvE3_clEvEUlssE_EEEEvS5_RKT_EUlibE0_EEviT1_.num_named_barrier, 0
	.set _ZN2at6native32elementwise_kernel_manual_unrollILi128ELi4EZNS0_15gpu_kernel_implINS0_13BinaryFunctorIsssZZZNS0_18lshift_kernel_cudaERNS_18TensorIteratorBaseEENKUlvE_clEvENKUlvE3_clEvEUlssE_EEEEvS5_RKT_EUlibE0_EEviT1_.private_seg_size, 0
	.set _ZN2at6native32elementwise_kernel_manual_unrollILi128ELi4EZNS0_15gpu_kernel_implINS0_13BinaryFunctorIsssZZZNS0_18lshift_kernel_cudaERNS_18TensorIteratorBaseEENKUlvE_clEvENKUlvE3_clEvEUlssE_EEEEvS5_RKT_EUlibE0_EEviT1_.uses_vcc, 1
	.set _ZN2at6native32elementwise_kernel_manual_unrollILi128ELi4EZNS0_15gpu_kernel_implINS0_13BinaryFunctorIsssZZZNS0_18lshift_kernel_cudaERNS_18TensorIteratorBaseEENKUlvE_clEvENKUlvE3_clEvEUlssE_EEEEvS5_RKT_EUlibE0_EEviT1_.uses_flat_scratch, 0
	.set _ZN2at6native32elementwise_kernel_manual_unrollILi128ELi4EZNS0_15gpu_kernel_implINS0_13BinaryFunctorIsssZZZNS0_18lshift_kernel_cudaERNS_18TensorIteratorBaseEENKUlvE_clEvENKUlvE3_clEvEUlssE_EEEEvS5_RKT_EUlibE0_EEviT1_.has_dyn_sized_stack, 0
	.set _ZN2at6native32elementwise_kernel_manual_unrollILi128ELi4EZNS0_15gpu_kernel_implINS0_13BinaryFunctorIsssZZZNS0_18lshift_kernel_cudaERNS_18TensorIteratorBaseEENKUlvE_clEvENKUlvE3_clEvEUlssE_EEEEvS5_RKT_EUlibE0_EEviT1_.has_recursion, 0
	.set _ZN2at6native32elementwise_kernel_manual_unrollILi128ELi4EZNS0_15gpu_kernel_implINS0_13BinaryFunctorIsssZZZNS0_18lshift_kernel_cudaERNS_18TensorIteratorBaseEENKUlvE_clEvENKUlvE3_clEvEUlssE_EEEEvS5_RKT_EUlibE0_EEviT1_.has_indirect_call, 0
	.section	.AMDGPU.csdata,"",@progbits
; Kernel info:
; codeLenInByte = 48360
; TotalNumSgprs: 84
; NumVgprs: 23
; ScratchSize: 0
; MemoryBound: 1
; FloatMode: 240
; IeeeMode: 1
; LDSByteSize: 0 bytes/workgroup (compile time only)
; SGPRBlocks: 10
; VGPRBlocks: 5
; NumSGPRsForWavesPerEU: 84
; NumVGPRsForWavesPerEU: 23
; Occupancy: 9
; WaveLimiterHint : 1
; COMPUTE_PGM_RSRC2:SCRATCH_EN: 0
; COMPUTE_PGM_RSRC2:USER_SGPR: 6
; COMPUTE_PGM_RSRC2:TRAP_HANDLER: 0
; COMPUTE_PGM_RSRC2:TGID_X_EN: 1
; COMPUTE_PGM_RSRC2:TGID_Y_EN: 0
; COMPUTE_PGM_RSRC2:TGID_Z_EN: 0
; COMPUTE_PGM_RSRC2:TIDIG_COMP_CNT: 0
	.section	.text._ZN2at6native29vectorized_elementwise_kernelILi16ENS0_13AUnaryFunctorIhhhZZZNS0_18rshift_kernel_cudaERNS_18TensorIteratorBaseEENKUlvE_clEvENKUlvE_clEvEUlhhE_EESt5arrayIPcLm2EEEEviT0_T1_,"axG",@progbits,_ZN2at6native29vectorized_elementwise_kernelILi16ENS0_13AUnaryFunctorIhhhZZZNS0_18rshift_kernel_cudaERNS_18TensorIteratorBaseEENKUlvE_clEvENKUlvE_clEvEUlhhE_EESt5arrayIPcLm2EEEEviT0_T1_,comdat
	.globl	_ZN2at6native29vectorized_elementwise_kernelILi16ENS0_13AUnaryFunctorIhhhZZZNS0_18rshift_kernel_cudaERNS_18TensorIteratorBaseEENKUlvE_clEvENKUlvE_clEvEUlhhE_EESt5arrayIPcLm2EEEEviT0_T1_ ; -- Begin function _ZN2at6native29vectorized_elementwise_kernelILi16ENS0_13AUnaryFunctorIhhhZZZNS0_18rshift_kernel_cudaERNS_18TensorIteratorBaseEENKUlvE_clEvENKUlvE_clEvEUlhhE_EESt5arrayIPcLm2EEEEviT0_T1_
	.p2align	8
	.type	_ZN2at6native29vectorized_elementwise_kernelILi16ENS0_13AUnaryFunctorIhhhZZZNS0_18rshift_kernel_cudaERNS_18TensorIteratorBaseEENKUlvE_clEvENKUlvE_clEvEUlhhE_EESt5arrayIPcLm2EEEEviT0_T1_,@function
_ZN2at6native29vectorized_elementwise_kernelILi16ENS0_13AUnaryFunctorIhhhZZZNS0_18rshift_kernel_cudaERNS_18TensorIteratorBaseEENKUlvE_clEvENKUlvE_clEvEUlhhE_EESt5arrayIPcLm2EEEEviT0_T1_: ; @_ZN2at6native29vectorized_elementwise_kernelILi16ENS0_13AUnaryFunctorIhhhZZZNS0_18rshift_kernel_cudaERNS_18TensorIteratorBaseEENKUlvE_clEvENKUlvE_clEvEUlhhE_EESt5arrayIPcLm2EEEEviT0_T1_
; %bb.0:
	v_mov_b32_e32 v1, 0
	global_load_ushort v1, v1, s[4:5] offset:4
	s_load_dword s0, s[4:5], 0x0
	s_load_dwordx4 s[56:59], s[4:5], 0x8
	s_lshl_b32 s54, s6, 12
	s_waitcnt lgkmcnt(0)
	s_sub_i32 s33, s0, s54
	s_cmpk_gt_i32 s33, 0xfff
	s_mov_b64 s[0:1], -1
	s_waitcnt vmcnt(0)
	v_readfirstlane_b32 s36, v1
	s_cbranch_scc0 .LBB120_2
; %bb.1:
	s_and_b32 s0, 0xffff, s36
	s_lshr_b32 s2, s0, 8
	s_ashr_i32 s3, s54, 31
	s_add_u32 s0, s58, s54
	s_addc_u32 s1, s59, s3
	v_lshlrev_b32_e32 v5, 4, v0
	global_load_dwordx4 v[1:4], v5, s[0:1]
	v_mov_b32_e32 v15, 8
	s_movk_i32 s0, 0xff
	s_waitcnt vmcnt(0)
	v_lshrrev_b32_e32 v6, 8, v1
	v_lshrrev_b16_sdwa v14, v1, s2 dst_sel:DWORD dst_unused:UNUSED_PAD src0_sel:BYTE_0 src1_sel:DWORD
	v_cmp_lt_u16_sdwa vcc, v1, v15 src0_sel:BYTE_0 src1_sel:DWORD
	v_and_b32_sdwa v7, v1, s0 dst_sel:DWORD dst_unused:UNUSED_PAD src0_sel:WORD_1 src1_sel:DWORD
	v_cndmask_b32_e32 v14, 0, v14, vcc
	v_lshrrev_b16_sdwa v16, v1, s2 dst_sel:DWORD dst_unused:UNUSED_PAD src0_sel:BYTE_1 src1_sel:DWORD
	v_cmp_lt_u16_sdwa vcc, v6, v15 src0_sel:BYTE_0 src1_sel:DWORD
	v_cndmask_b32_e32 v6, 0, v16, vcc
	v_lshrrev_b16_sdwa v16, v1, s2 dst_sel:DWORD dst_unused:UNUSED_PAD src0_sel:BYTE_2 src1_sel:DWORD
	v_cmp_gt_u16_e32 vcc, 8, v7
	v_cndmask_b32_e32 v7, 0, v16, vcc
	v_lshrrev_b16_sdwa v16, v1, s2 dst_sel:DWORD dst_unused:UNUSED_PAD src0_sel:BYTE_3 src1_sel:DWORD
	v_cmp_lt_u16_sdwa vcc, v1, v15 src0_sel:BYTE_3 src1_sel:DWORD
	v_lshrrev_b32_e32 v8, 8, v2
	v_cndmask_b32_e32 v1, 0, v16, vcc
	v_lshrrev_b16_sdwa v16, v2, s2 dst_sel:DWORD dst_unused:UNUSED_PAD src0_sel:BYTE_0 src1_sel:DWORD
	v_cmp_lt_u16_sdwa vcc, v2, v15 src0_sel:BYTE_0 src1_sel:DWORD
	v_and_b32_sdwa v9, v2, s0 dst_sel:DWORD dst_unused:UNUSED_PAD src0_sel:WORD_1 src1_sel:DWORD
	v_cndmask_b32_e32 v16, 0, v16, vcc
	v_lshrrev_b16_sdwa v17, v2, s2 dst_sel:DWORD dst_unused:UNUSED_PAD src0_sel:BYTE_1 src1_sel:DWORD
	v_cmp_lt_u16_sdwa vcc, v8, v15 src0_sel:BYTE_0 src1_sel:DWORD
	v_cndmask_b32_e32 v8, 0, v17, vcc
	v_lshrrev_b16_sdwa v17, v2, s2 dst_sel:DWORD dst_unused:UNUSED_PAD src0_sel:BYTE_2 src1_sel:DWORD
	v_cmp_gt_u16_e32 vcc, 8, v9
	v_cndmask_b32_e32 v9, 0, v17, vcc
	v_lshrrev_b16_sdwa v17, v2, s2 dst_sel:DWORD dst_unused:UNUSED_PAD src0_sel:BYTE_3 src1_sel:DWORD
	v_cmp_lt_u16_sdwa vcc, v2, v15 src0_sel:BYTE_3 src1_sel:DWORD
	v_lshrrev_b32_e32 v10, 8, v3
	v_cndmask_b32_e32 v2, 0, v17, vcc
	;; [unrolled: 14-line block ×3, first 2 shown]
	v_lshrrev_b16_sdwa v18, v4, s2 dst_sel:DWORD dst_unused:UNUSED_PAD src0_sel:BYTE_0 src1_sel:DWORD
	v_cmp_lt_u16_sdwa vcc, v4, v15 src0_sel:BYTE_0 src1_sel:DWORD
	v_and_b32_sdwa v13, v4, s0 dst_sel:DWORD dst_unused:UNUSED_PAD src0_sel:WORD_1 src1_sel:DWORD
	v_cndmask_b32_e32 v18, 0, v18, vcc
	v_lshrrev_b16_sdwa v19, v4, s2 dst_sel:DWORD dst_unused:UNUSED_PAD src0_sel:BYTE_1 src1_sel:DWORD
	v_cmp_lt_u16_sdwa vcc, v12, v15 src0_sel:BYTE_0 src1_sel:DWORD
	v_cndmask_b32_e32 v12, 0, v19, vcc
	v_lshrrev_b16_sdwa v19, v4, s2 dst_sel:DWORD dst_unused:UNUSED_PAD src0_sel:BYTE_2 src1_sel:DWORD
	v_cmp_gt_u16_e32 vcc, 8, v13
	v_cndmask_b32_e32 v13, 0, v19, vcc
	v_lshrrev_b16_sdwa v19, v4, s2 dst_sel:DWORD dst_unused:UNUSED_PAD src0_sel:BYTE_3 src1_sel:DWORD
	v_cmp_lt_u16_sdwa vcc, v4, v15 src0_sel:BYTE_3 src1_sel:DWORD
	v_cndmask_b32_e32 v4, 0, v19, vcc
	v_lshlrev_b16_e32 v12, 8, v12
	v_lshlrev_b16_e32 v4, 8, v4
	;; [unrolled: 1-line block ×8, first 2 shown]
	s_add_u32 s0, s56, s54
	v_or_b32_e32 v12, v18, v12
	v_or_b32_sdwa v4, v13, v4 dst_sel:WORD_1 dst_unused:UNUSED_PAD src0_sel:DWORD src1_sel:DWORD
	v_or_b32_e32 v10, v17, v10
	v_or_b32_sdwa v3, v11, v3 dst_sel:WORD_1 dst_unused:UNUSED_PAD src0_sel:DWORD src1_sel:DWORD
	;; [unrolled: 2-line block ×4, first 2 shown]
	s_addc_u32 s1, s57, s3
	v_or_b32_sdwa v4, v12, v4 dst_sel:DWORD dst_unused:UNUSED_PAD src0_sel:WORD_0 src1_sel:DWORD
	v_or_b32_sdwa v3, v10, v3 dst_sel:DWORD dst_unused:UNUSED_PAD src0_sel:WORD_0 src1_sel:DWORD
	v_or_b32_sdwa v2, v8, v2 dst_sel:DWORD dst_unused:UNUSED_PAD src0_sel:WORD_0 src1_sel:DWORD
	v_or_b32_sdwa v1, v6, v1 dst_sel:DWORD dst_unused:UNUSED_PAD src0_sel:WORD_0 src1_sel:DWORD
	global_store_dwordx4 v5, v[1:4], s[0:1]
	s_mov_b64 s[0:1], 0
.LBB120_2:
	s_andn2_b64 vcc, exec, s[0:1]
	s_cbranch_vccnz .LBB120_52
; %bb.3:
	v_cmp_gt_i32_e32 vcc, s33, v0
	v_or_b32_e32 v8, 0x100, v0
	v_mov_b32_e32 v20, 0
	v_or_b32_e32 v3, s54, v0
	v_mov_b32_e32 v19, 0
	v_mov_b32_e32 v18, 0
	;; [unrolled: 1-line block ×15, first 2 shown]
	s_and_saveexec_b64 s[2:3], vcc
	s_cbranch_execz .LBB120_35
; %bb.4:
	global_load_ubyte v16, v3, s[58:59]
	v_cmp_gt_u32_e64 s[0:1], s33, v8
	v_mov_b32_e32 v15, 0
	v_mov_b32_e32 v14, 0
	;; [unrolled: 1-line block ×15, first 2 shown]
	s_and_saveexec_b64 s[4:5], s[0:1]
	s_cbranch_execz .LBB120_34
; %bb.5:
	v_add_u32_e32 v1, s54, v0
	global_load_ubyte v15, v1, s[58:59] offset:256
	v_or_b32_e32 v2, 0x200, v0
	v_mov_b32_e32 v14, 0
	v_cmp_gt_u32_e64 s[0:1], s33, v2
	v_mov_b32_e32 v13, 0
	v_mov_b32_e32 v4, 0
	;; [unrolled: 1-line block ×13, first 2 shown]
	s_and_saveexec_b64 s[6:7], s[0:1]
	s_cbranch_execz .LBB120_33
; %bb.6:
	v_mov_b32_e32 v2, s59
	v_add_co_u32_e64 v1, s[0:1], s58, v1
	v_addc_co_u32_e64 v2, s[0:1], 0, v2, s[0:1]
	global_load_ubyte v14, v[1:2], off offset:512
	v_or_b32_e32 v4, 0x300, v0
	v_cmp_gt_u32_e64 s[0:1], s33, v4
	v_mov_b32_e32 v13, 0
	v_mov_b32_e32 v4, 0
	;; [unrolled: 1-line block ×13, first 2 shown]
	s_and_saveexec_b64 s[8:9], s[0:1]
	s_cbranch_execz .LBB120_32
; %bb.7:
	global_load_ubyte v13, v[1:2], off offset:768
	v_or_b32_e32 v4, 0x400, v0
	v_cmp_gt_u32_e64 s[0:1], s33, v4
	v_mov_b32_e32 v4, 0
	v_mov_b32_e32 v5, 0
	;; [unrolled: 1-line block ×12, first 2 shown]
	s_and_saveexec_b64 s[10:11], s[0:1]
	s_cbranch_execz .LBB120_31
; %bb.8:
	global_load_ubyte v4, v[1:2], off offset:1024
	v_or_b32_e32 v5, 0x500, v0
	v_cmp_gt_u32_e64 s[0:1], s33, v5
	v_mov_b32_e32 v5, 0
	v_mov_b32_e32 v6, 0
	;; [unrolled: 1-line block ×11, first 2 shown]
	s_and_saveexec_b64 s[12:13], s[0:1]
	s_cbranch_execz .LBB120_30
; %bb.9:
	global_load_ubyte v5, v[1:2], off offset:1280
	v_or_b32_e32 v6, 0x600, v0
	v_cmp_gt_u32_e64 s[0:1], s33, v6
	v_mov_b32_e32 v6, 0
	v_mov_b32_e32 v7, 0
	;; [unrolled: 1-line block ×10, first 2 shown]
	s_and_saveexec_b64 s[14:15], s[0:1]
	s_cbranch_execz .LBB120_29
; %bb.10:
	global_load_ubyte v6, v[1:2], off offset:1536
	v_or_b32_e32 v7, 0x700, v0
	v_cmp_gt_u32_e64 s[0:1], s33, v7
	v_mov_b32_e32 v7, 0
	v_mov_b32_e32 v9, 0
	;; [unrolled: 1-line block ×9, first 2 shown]
	s_and_saveexec_b64 s[16:17], s[0:1]
	s_cbranch_execz .LBB120_28
; %bb.11:
	global_load_ubyte v7, v[1:2], off offset:1792
	v_or_b32_e32 v9, 0x800, v0
	v_cmp_gt_u32_e64 s[0:1], s33, v9
	v_mov_b32_e32 v9, 0
	v_mov_b32_e32 v10, 0
	;; [unrolled: 1-line block ×8, first 2 shown]
	s_and_saveexec_b64 s[18:19], s[0:1]
	s_cbranch_execz .LBB120_27
; %bb.12:
	global_load_ubyte v9, v[1:2], off offset:2048
	v_or_b32_e32 v10, 0x900, v0
	v_cmp_gt_u32_e64 s[0:1], s33, v10
	v_mov_b32_e32 v10, 0
	v_mov_b32_e32 v11, 0
	;; [unrolled: 1-line block ×7, first 2 shown]
	s_and_saveexec_b64 s[20:21], s[0:1]
	s_cbranch_execz .LBB120_26
; %bb.13:
	global_load_ubyte v10, v[1:2], off offset:2304
	v_or_b32_e32 v11, 0xa00, v0
	v_cmp_gt_u32_e64 s[0:1], s33, v11
	v_mov_b32_e32 v11, 0
	v_mov_b32_e32 v12, 0
	;; [unrolled: 1-line block ×6, first 2 shown]
	s_and_saveexec_b64 s[22:23], s[0:1]
	s_cbranch_execz .LBB120_25
; %bb.14:
	global_load_ubyte v11, v[1:2], off offset:2560
	v_or_b32_e32 v12, 0xb00, v0
	v_cmp_gt_u32_e64 s[0:1], s33, v12
	v_mov_b32_e32 v12, 0
	v_mov_b32_e32 v17, 0
	;; [unrolled: 1-line block ×5, first 2 shown]
	s_and_saveexec_b64 s[24:25], s[0:1]
	s_cbranch_execz .LBB120_24
; %bb.15:
	global_load_ubyte v12, v[1:2], off offset:2816
	v_or_b32_e32 v17, 0xc00, v0
	v_cmp_gt_u32_e64 s[0:1], s33, v17
	v_mov_b32_e32 v17, 0
	v_mov_b32_e32 v18, 0
	;; [unrolled: 1-line block ×4, first 2 shown]
	s_and_saveexec_b64 s[26:27], s[0:1]
	s_cbranch_execz .LBB120_23
; %bb.16:
	global_load_ubyte v17, v[1:2], off offset:3072
	v_or_b32_e32 v18, 0xd00, v0
	v_cmp_gt_u32_e64 s[0:1], s33, v18
	v_mov_b32_e32 v18, 0
	v_mov_b32_e32 v19, 0
	v_mov_b32_e32 v20, 0
	s_and_saveexec_b64 s[28:29], s[0:1]
	s_cbranch_execz .LBB120_22
; %bb.17:
	global_load_ubyte v18, v[1:2], off offset:3328
	v_or_b32_e32 v19, 0xe00, v0
	v_cmp_gt_u32_e64 s[0:1], s33, v19
	v_mov_b32_e32 v19, 0
	v_mov_b32_e32 v20, 0
	s_and_saveexec_b64 s[30:31], s[0:1]
	s_cbranch_execz .LBB120_21
; %bb.18:
	global_load_ubyte v19, v[1:2], off offset:3584
	v_or_b32_e32 v20, 0xf00, v0
	v_cmp_gt_u32_e64 s[0:1], s33, v20
	v_mov_b32_e32 v20, 0
	s_and_saveexec_b64 s[34:35], s[0:1]
	s_cbranch_execz .LBB120_20
; %bb.19:
	global_load_ubyte v20, v[1:2], off offset:3840
.LBB120_20:
	s_or_b64 exec, exec, s[34:35]
.LBB120_21:
	s_or_b64 exec, exec, s[30:31]
.LBB120_22:
	s_or_b64 exec, exec, s[28:29]
.LBB120_23:
	s_or_b64 exec, exec, s[26:27]
.LBB120_24:
	s_or_b64 exec, exec, s[24:25]
.LBB120_25:
	s_or_b64 exec, exec, s[22:23]
.LBB120_26:
	s_or_b64 exec, exec, s[20:21]
.LBB120_27:
	s_or_b64 exec, exec, s[18:19]
.LBB120_28:
	s_or_b64 exec, exec, s[16:17]
.LBB120_29:
	s_or_b64 exec, exec, s[14:15]
.LBB120_30:
	s_or_b64 exec, exec, s[12:13]
.LBB120_31:
	s_or_b64 exec, exec, s[10:11]
.LBB120_32:
	s_or_b64 exec, exec, s[8:9]
.LBB120_33:
	s_or_b64 exec, exec, s[6:7]
.LBB120_34:
	s_or_b64 exec, exec, s[4:5]
.LBB120_35:
	s_or_b64 exec, exec, s[2:3]
	s_and_saveexec_b64 s[0:1], vcc
	s_cbranch_execz .LBB120_52
; %bb.36:
	s_and_b32 s0, 0xffff, s36
	s_lshr_b32 s55, s0, 8
	v_mov_b32_e32 v21, 8
	s_waitcnt vmcnt(0)
	v_lshrrev_b16_sdwa v1, v16, s55 dst_sel:DWORD dst_unused:UNUSED_PAD src0_sel:BYTE_0 src1_sel:DWORD
	v_cmp_lt_u16_sdwa s[0:1], v16, v21 src0_sel:BYTE_0 src1_sel:DWORD
	v_lshrrev_b16_sdwa v2, v15, s55 dst_sel:DWORD dst_unused:UNUSED_PAD src0_sel:BYTE_0 src1_sel:DWORD
	v_cmp_lt_u16_sdwa s[2:3], v15, v21 src0_sel:BYTE_0 src1_sel:DWORD
	v_cndmask_b32_e64 v1, 0, v1, s[0:1]
	v_and_b32_e32 v1, 0xffff, v1
	v_cndmask_b32_e64 v2, 0, v2, s[2:3]
	v_cndmask_b32_e32 v1, 0, v1, vcc
	v_lshlrev_b16_e32 v2, 8, v2
	v_or_b32_sdwa v2, v1, v2 dst_sel:DWORD dst_unused:UNUSED_PAD src0_sel:BYTE_0 src1_sel:DWORD
	v_cmp_gt_i32_e64 s[52:53], s33, v8
	v_lshrrev_b16_sdwa v8, v14, s55 dst_sel:DWORD dst_unused:UNUSED_PAD src0_sel:BYTE_0 src1_sel:DWORD
	v_cmp_lt_u16_sdwa vcc, v14, v21 src0_sel:BYTE_0 src1_sel:DWORD
	v_and_b32_e32 v2, 0xffff, v2
	v_cndmask_b32_e32 v8, 0, v8, vcc
	v_cndmask_b32_e64 v1, v1, v2, s[52:53]
	v_or_b32_e32 v2, 0x200, v0
	v_lshlrev_b32_e32 v8, 16, v8
	v_or_b32_e32 v8, v1, v8
	v_cmp_gt_i32_e64 s[20:21], s33, v2
	v_lshrrev_b16_sdwa v14, v13, s55 dst_sel:DWORD dst_unused:UNUSED_PAD src0_sel:BYTE_0 src1_sel:DWORD
	v_cmp_lt_u16_sdwa vcc, v13, v21 src0_sel:BYTE_0 src1_sel:DWORD
	s_movk_i32 s59, 0xff
	v_cndmask_b32_e64 v1, v1, v8, s[20:21]
	v_cndmask_b32_e32 v13, 0, v14, vcc
	v_and_b32_sdwa v2, v1, s59 dst_sel:DWORD dst_unused:UNUSED_PAD src0_sel:WORD_1 src1_sel:DWORD
	v_lshlrev_b16_e32 v13, 8, v13
	s_mov_b32 s58, 0xffff
	v_or_b32_e32 v8, 0x300, v0
	v_or_b32_sdwa v2, v2, v13 dst_sel:WORD_1 dst_unused:UNUSED_PAD src0_sel:DWORD src1_sel:DWORD
	v_and_or_b32 v2, v1, s58, v2
	v_cmp_gt_i32_e64 s[18:19], s33, v8
	v_cndmask_b32_e64 v14, v1, v2, s[18:19]
	v_or_b32_e32 v1, 0x500, v0
	v_cmp_gt_i32_e64 s[16:17], s33, v1
	v_or_b32_e32 v1, 0x600, v0
	v_cmp_gt_i32_e64 s[14:15], s33, v1
	v_or_b32_e32 v1, 0x700, v0
	v_cmp_gt_i32_e64 s[12:13], s33, v1
	v_or_b32_e32 v1, 0x900, v0
	v_cmp_gt_i32_e64 s[10:11], s33, v1
	v_or_b32_e32 v1, 0xa00, v0
	v_cmp_gt_i32_e64 s[8:9], s33, v1
	v_or_b32_e32 v1, 0xb00, v0
	v_cmp_gt_i32_e64 s[6:7], s33, v1
	v_or_b32_e32 v1, 0xd00, v0
	v_cmp_gt_i32_e64 s[4:5], s33, v1
	v_or_b32_e32 v1, 0xe00, v0
	v_or_b32_e32 v13, 0x400, v0
	;; [unrolled: 1-line block ×4, first 2 shown]
	v_cmp_gt_i32_e64 s[2:3], s33, v1
	v_or_b32_e32 v1, 0xf00, v0
	v_cmp_lt_u16_sdwa s[48:49], v4, v21 src0_sel:BYTE_0 src1_sel:DWORD
	v_cmp_gt_i32_e32 vcc, s33, v13
	v_cmp_lt_u16_sdwa s[50:51], v5, v21 src0_sel:BYTE_0 src1_sel:DWORD
	v_cmp_lt_u16_sdwa s[46:47], v6, v21 src0_sel:BYTE_0 src1_sel:DWORD
	;; [unrolled: 1-line block ×3, first 2 shown]
	v_cmp_gt_i32_e64 s[38:39], s33, v8
	v_cmp_lt_u16_sdwa s[42:43], v9, v21 src0_sel:BYTE_0 src1_sel:DWORD
	v_cmp_lt_u16_sdwa s[40:41], v10, v21 src0_sel:BYTE_0 src1_sel:DWORD
	;; [unrolled: 1-line block ×4, first 2 shown]
	v_cmp_gt_i32_e64 s[26:27], s33, v2
	v_cmp_lt_u16_sdwa s[30:31], v17, v21 src0_sel:BYTE_0 src1_sel:DWORD
	v_cmp_lt_u16_sdwa s[28:29], v18, v21 src0_sel:BYTE_0 src1_sel:DWORD
	;; [unrolled: 1-line block ×3, first 2 shown]
	v_cmp_gt_i32_e64 s[0:1], s33, v1
	v_cmp_lt_u16_sdwa s[24:25], v20, v21 src0_sel:BYTE_0 src1_sel:DWORD
	global_store_byte v3, v14, s[56:57]
	s_and_b64 exec, exec, s[52:53]
	s_cbranch_execz .LBB120_52
; %bb.37:
	v_lshrrev_b16_sdwa v1, v4, s55 dst_sel:DWORD dst_unused:UNUSED_PAD src0_sel:BYTE_0 src1_sel:DWORD
	v_lshrrev_b16_sdwa v4, v5, s55 dst_sel:DWORD dst_unused:UNUSED_PAD src0_sel:BYTE_0 src1_sel:DWORD
	v_cndmask_b32_e64 v1, 0, v1, s[48:49]
	v_mov_b32_e32 v3, 0
	v_cndmask_b32_e64 v4, 0, v4, s[50:51]
	v_cndmask_b32_sdwa v1, v3, v1, vcc dst_sel:DWORD dst_unused:UNUSED_PAD src0_sel:DWORD src1_sel:WORD_0
	v_lshlrev_b16_e32 v4, 8, v4
	v_or_b32_sdwa v4, v1, v4 dst_sel:DWORD dst_unused:UNUSED_PAD src0_sel:BYTE_0 src1_sel:DWORD
	v_and_b32_e32 v4, 0xffff, v4
	s_movk_i32 s52, 0xff00
	v_cndmask_b32_e64 v1, v1, v4, s[16:17]
	v_lshrrev_b16_sdwa v5, v6, s55 dst_sel:DWORD dst_unused:UNUSED_PAD src0_sel:BYTE_0 src1_sel:DWORD
	v_and_b32_sdwa v4, v1, s52 dst_sel:DWORD dst_unused:UNUSED_PAD src0_sel:WORD_1 src1_sel:DWORD
	v_cndmask_b32_e64 v5, 0, v5, s[46:47]
	v_or_b32_sdwa v4, v5, v4 dst_sel:WORD_1 dst_unused:UNUSED_PAD src0_sel:DWORD src1_sel:DWORD
	v_and_or_b32 v4, v1, s58, v4
	v_lshrrev_b16_sdwa v5, v7, s55 dst_sel:DWORD dst_unused:UNUSED_PAD src0_sel:BYTE_0 src1_sel:DWORD
	v_cndmask_b32_e64 v1, v1, v4, s[14:15]
	v_cndmask_b32_e64 v5, 0, v5, s[44:45]
	v_and_b32_sdwa v4, v1, s59 dst_sel:DWORD dst_unused:UNUSED_PAD src0_sel:WORD_1 src1_sel:DWORD
	v_lshlrev_b16_e32 v5, 8, v5
	v_or_b32_sdwa v4, v4, v5 dst_sel:WORD_1 dst_unused:UNUSED_PAD src0_sel:DWORD src1_sel:DWORD
	v_and_or_b32 v4, v1, s58, v4
	v_cndmask_b32_e64 v5, v1, v4, s[12:13]
	v_lshrrev_b16_sdwa v1, v9, s55 dst_sel:DWORD dst_unused:UNUSED_PAD src0_sel:BYTE_0 src1_sel:DWORD
	v_cndmask_b32_e64 v1, 0, v1, s[42:43]
	v_lshrrev_b16_sdwa v4, v10, s55 dst_sel:DWORD dst_unused:UNUSED_PAD src0_sel:BYTE_0 src1_sel:DWORD
	v_and_b32_e32 v1, 0xffff, v1
	v_cndmask_b32_e64 v4, 0, v4, s[40:41]
	v_cndmask_b32_e64 v1, 0, v1, s[38:39]
	v_lshlrev_b16_e32 v4, 8, v4
	v_or_b32_sdwa v4, v1, v4 dst_sel:DWORD dst_unused:UNUSED_PAD src0_sel:BYTE_0 src1_sel:DWORD
	v_and_b32_e32 v4, 0xffff, v4
	v_cndmask_b32_e64 v1, v1, v4, s[10:11]
	v_lshrrev_b16_sdwa v4, v11, s55 dst_sel:DWORD dst_unused:UNUSED_PAD src0_sel:BYTE_0 src1_sel:DWORD
	v_cndmask_b32_e64 v4, 0, v4, s[36:37]
	v_lshlrev_b32_e32 v4, 16, v4
	v_or_b32_e32 v4, v1, v4
	v_lshrrev_b16_sdwa v6, v12, s55 dst_sel:DWORD dst_unused:UNUSED_PAD src0_sel:BYTE_0 src1_sel:DWORD
	v_cndmask_b32_e64 v1, v1, v4, s[8:9]
	v_cndmask_b32_e64 v6, 0, v6, s[34:35]
	v_and_b32_sdwa v4, v1, s59 dst_sel:DWORD dst_unused:UNUSED_PAD src0_sel:WORD_1 src1_sel:DWORD
	v_lshlrev_b16_e32 v6, 8, v6
	v_or_b32_sdwa v4, v4, v6 dst_sel:WORD_1 dst_unused:UNUSED_PAD src0_sel:DWORD src1_sel:DWORD
	v_and_or_b32 v4, v1, s58, v4
	v_cndmask_b32_e64 v4, v1, v4, s[6:7]
	v_lshrrev_b16_sdwa v1, v17, s55 dst_sel:DWORD dst_unused:UNUSED_PAD src0_sel:BYTE_0 src1_sel:DWORD
	v_cndmask_b32_e64 v1, 0, v1, s[30:31]
	v_lshrrev_b16_sdwa v6, v18, s55 dst_sel:DWORD dst_unused:UNUSED_PAD src0_sel:BYTE_0 src1_sel:DWORD
	v_and_b32_e32 v1, 0xffff, v1
	v_cndmask_b32_e64 v6, 0, v6, s[28:29]
	v_cndmask_b32_e64 v1, 0, v1, s[26:27]
	v_lshlrev_b16_e32 v6, 8, v6
	v_or_b32_sdwa v6, v1, v6 dst_sel:DWORD dst_unused:UNUSED_PAD src0_sel:BYTE_0 src1_sel:DWORD
	v_and_b32_e32 v6, 0xffff, v6
	v_cndmask_b32_e64 v1, v1, v6, s[4:5]
	v_lshrrev_b16_sdwa v7, v19, s55 dst_sel:DWORD dst_unused:UNUSED_PAD src0_sel:BYTE_0 src1_sel:DWORD
	v_and_b32_sdwa v6, v1, s52 dst_sel:DWORD dst_unused:UNUSED_PAD src0_sel:WORD_1 src1_sel:DWORD
	v_cndmask_b32_e64 v7, 0, v7, s[22:23]
	v_or_b32_sdwa v6, v7, v6 dst_sel:WORD_1 dst_unused:UNUSED_PAD src0_sel:DWORD src1_sel:DWORD
	v_and_or_b32 v6, v1, s58, v6
	v_cndmask_b32_e64 v1, v1, v6, s[2:3]
	v_lshrrev_b16_sdwa v7, v20, s55 dst_sel:DWORD dst_unused:UNUSED_PAD src0_sel:BYTE_0 src1_sel:DWORD
	s_mov_b64 vcc, s[24:25]
	v_and_b32_sdwa v6, v1, s59 dst_sel:DWORD dst_unused:UNUSED_PAD src0_sel:WORD_1 src1_sel:DWORD
	v_cndmask_b32_sdwa v3, v3, v7, vcc dst_sel:BYTE_1 dst_unused:UNUSED_PAD src0_sel:DWORD src1_sel:DWORD
	v_or_b32_sdwa v3, v6, v3 dst_sel:WORD_1 dst_unused:UNUSED_PAD src0_sel:DWORD src1_sel:DWORD
	v_and_or_b32 v3, v1, s58, v3
	v_cndmask_b32_e64 v3, v1, v3, s[0:1]
	v_lshrrev_b32_e32 v1, 8, v14
	v_add_u32_e32 v0, s54, v0
	global_store_byte v0, v1, s[56:57] offset:256
	s_and_b64 exec, exec, s[20:21]
	s_cbranch_execz .LBB120_52
; %bb.38:
	v_mov_b32_e32 v1, s57
	v_add_co_u32_e32 v0, vcc, s56, v0
	v_addc_co_u32_e32 v1, vcc, 0, v1, vcc
	global_store_byte_d16_hi v[0:1], v14, off offset:512
	s_and_b64 exec, exec, s[18:19]
	s_cbranch_execz .LBB120_52
; %bb.39:
	v_lshrrev_b32_e32 v6, 24, v14
	v_cmp_gt_u32_e32 vcc, s33, v13
	global_store_byte v[0:1], v6, off offset:768
	s_and_b64 exec, exec, vcc
	s_cbranch_execz .LBB120_52
; %bb.40:
	global_store_byte v[0:1], v5, off offset:1024
	s_and_b64 exec, exec, s[16:17]
	s_cbranch_execz .LBB120_52
; %bb.41:
	v_lshrrev_b32_e32 v6, 8, v5
	global_store_byte v[0:1], v6, off offset:1280
	s_and_b64 exec, exec, s[14:15]
	s_cbranch_execz .LBB120_52
; %bb.42:
	global_store_byte_d16_hi v[0:1], v5, off offset:1536
	s_and_b64 exec, exec, s[12:13]
	s_cbranch_execz .LBB120_52
; %bb.43:
	v_lshrrev_b32_e32 v5, 24, v5
	v_cmp_gt_u32_e32 vcc, s33, v8
	global_store_byte v[0:1], v5, off offset:1792
	s_and_b64 exec, exec, vcc
	s_cbranch_execz .LBB120_52
; %bb.44:
	global_store_byte v[0:1], v4, off offset:2048
	s_and_b64 exec, exec, s[10:11]
	s_cbranch_execz .LBB120_52
; %bb.45:
	v_lshrrev_b32_e32 v5, 8, v4
	global_store_byte v[0:1], v5, off offset:2304
	s_and_b64 exec, exec, s[8:9]
	s_cbranch_execz .LBB120_52
; %bb.46:
	;; [unrolled: 19-line block ×3, first 2 shown]
	global_store_byte_d16_hi v[0:1], v3, off offset:3584
	s_and_b64 exec, exec, s[0:1]
	s_cbranch_execz .LBB120_52
; %bb.51:
	v_lshrrev_b32_e32 v2, 24, v3
	global_store_byte v[0:1], v2, off offset:3840
.LBB120_52:
	s_endpgm
	.section	.rodata,"a",@progbits
	.p2align	6, 0x0
	.amdhsa_kernel _ZN2at6native29vectorized_elementwise_kernelILi16ENS0_13AUnaryFunctorIhhhZZZNS0_18rshift_kernel_cudaERNS_18TensorIteratorBaseEENKUlvE_clEvENKUlvE_clEvEUlhhE_EESt5arrayIPcLm2EEEEviT0_T1_
		.amdhsa_group_segment_fixed_size 0
		.amdhsa_private_segment_fixed_size 0
		.amdhsa_kernarg_size 24
		.amdhsa_user_sgpr_count 6
		.amdhsa_user_sgpr_private_segment_buffer 1
		.amdhsa_user_sgpr_dispatch_ptr 0
		.amdhsa_user_sgpr_queue_ptr 0
		.amdhsa_user_sgpr_kernarg_segment_ptr 1
		.amdhsa_user_sgpr_dispatch_id 0
		.amdhsa_user_sgpr_flat_scratch_init 0
		.amdhsa_user_sgpr_private_segment_size 0
		.amdhsa_uses_dynamic_stack 0
		.amdhsa_system_sgpr_private_segment_wavefront_offset 0
		.amdhsa_system_sgpr_workgroup_id_x 1
		.amdhsa_system_sgpr_workgroup_id_y 0
		.amdhsa_system_sgpr_workgroup_id_z 0
		.amdhsa_system_sgpr_workgroup_info 0
		.amdhsa_system_vgpr_workitem_id 0
		.amdhsa_next_free_vgpr 22
		.amdhsa_next_free_sgpr 60
		.amdhsa_reserve_vcc 1
		.amdhsa_reserve_flat_scratch 0
		.amdhsa_float_round_mode_32 0
		.amdhsa_float_round_mode_16_64 0
		.amdhsa_float_denorm_mode_32 3
		.amdhsa_float_denorm_mode_16_64 3
		.amdhsa_dx10_clamp 1
		.amdhsa_ieee_mode 1
		.amdhsa_fp16_overflow 0
		.amdhsa_exception_fp_ieee_invalid_op 0
		.amdhsa_exception_fp_denorm_src 0
		.amdhsa_exception_fp_ieee_div_zero 0
		.amdhsa_exception_fp_ieee_overflow 0
		.amdhsa_exception_fp_ieee_underflow 0
		.amdhsa_exception_fp_ieee_inexact 0
		.amdhsa_exception_int_div_zero 0
	.end_amdhsa_kernel
	.section	.text._ZN2at6native29vectorized_elementwise_kernelILi16ENS0_13AUnaryFunctorIhhhZZZNS0_18rshift_kernel_cudaERNS_18TensorIteratorBaseEENKUlvE_clEvENKUlvE_clEvEUlhhE_EESt5arrayIPcLm2EEEEviT0_T1_,"axG",@progbits,_ZN2at6native29vectorized_elementwise_kernelILi16ENS0_13AUnaryFunctorIhhhZZZNS0_18rshift_kernel_cudaERNS_18TensorIteratorBaseEENKUlvE_clEvENKUlvE_clEvEUlhhE_EESt5arrayIPcLm2EEEEviT0_T1_,comdat
.Lfunc_end120:
	.size	_ZN2at6native29vectorized_elementwise_kernelILi16ENS0_13AUnaryFunctorIhhhZZZNS0_18rshift_kernel_cudaERNS_18TensorIteratorBaseEENKUlvE_clEvENKUlvE_clEvEUlhhE_EESt5arrayIPcLm2EEEEviT0_T1_, .Lfunc_end120-_ZN2at6native29vectorized_elementwise_kernelILi16ENS0_13AUnaryFunctorIhhhZZZNS0_18rshift_kernel_cudaERNS_18TensorIteratorBaseEENKUlvE_clEvENKUlvE_clEvEUlhhE_EESt5arrayIPcLm2EEEEviT0_T1_
                                        ; -- End function
	.set _ZN2at6native29vectorized_elementwise_kernelILi16ENS0_13AUnaryFunctorIhhhZZZNS0_18rshift_kernel_cudaERNS_18TensorIteratorBaseEENKUlvE_clEvENKUlvE_clEvEUlhhE_EESt5arrayIPcLm2EEEEviT0_T1_.num_vgpr, 22
	.set _ZN2at6native29vectorized_elementwise_kernelILi16ENS0_13AUnaryFunctorIhhhZZZNS0_18rshift_kernel_cudaERNS_18TensorIteratorBaseEENKUlvE_clEvENKUlvE_clEvEUlhhE_EESt5arrayIPcLm2EEEEviT0_T1_.num_agpr, 0
	.set _ZN2at6native29vectorized_elementwise_kernelILi16ENS0_13AUnaryFunctorIhhhZZZNS0_18rshift_kernel_cudaERNS_18TensorIteratorBaseEENKUlvE_clEvENKUlvE_clEvEUlhhE_EESt5arrayIPcLm2EEEEviT0_T1_.numbered_sgpr, 60
	.set _ZN2at6native29vectorized_elementwise_kernelILi16ENS0_13AUnaryFunctorIhhhZZZNS0_18rshift_kernel_cudaERNS_18TensorIteratorBaseEENKUlvE_clEvENKUlvE_clEvEUlhhE_EESt5arrayIPcLm2EEEEviT0_T1_.num_named_barrier, 0
	.set _ZN2at6native29vectorized_elementwise_kernelILi16ENS0_13AUnaryFunctorIhhhZZZNS0_18rshift_kernel_cudaERNS_18TensorIteratorBaseEENKUlvE_clEvENKUlvE_clEvEUlhhE_EESt5arrayIPcLm2EEEEviT0_T1_.private_seg_size, 0
	.set _ZN2at6native29vectorized_elementwise_kernelILi16ENS0_13AUnaryFunctorIhhhZZZNS0_18rshift_kernel_cudaERNS_18TensorIteratorBaseEENKUlvE_clEvENKUlvE_clEvEUlhhE_EESt5arrayIPcLm2EEEEviT0_T1_.uses_vcc, 1
	.set _ZN2at6native29vectorized_elementwise_kernelILi16ENS0_13AUnaryFunctorIhhhZZZNS0_18rshift_kernel_cudaERNS_18TensorIteratorBaseEENKUlvE_clEvENKUlvE_clEvEUlhhE_EESt5arrayIPcLm2EEEEviT0_T1_.uses_flat_scratch, 0
	.set _ZN2at6native29vectorized_elementwise_kernelILi16ENS0_13AUnaryFunctorIhhhZZZNS0_18rshift_kernel_cudaERNS_18TensorIteratorBaseEENKUlvE_clEvENKUlvE_clEvEUlhhE_EESt5arrayIPcLm2EEEEviT0_T1_.has_dyn_sized_stack, 0
	.set _ZN2at6native29vectorized_elementwise_kernelILi16ENS0_13AUnaryFunctorIhhhZZZNS0_18rshift_kernel_cudaERNS_18TensorIteratorBaseEENKUlvE_clEvENKUlvE_clEvEUlhhE_EESt5arrayIPcLm2EEEEviT0_T1_.has_recursion, 0
	.set _ZN2at6native29vectorized_elementwise_kernelILi16ENS0_13AUnaryFunctorIhhhZZZNS0_18rshift_kernel_cudaERNS_18TensorIteratorBaseEENKUlvE_clEvENKUlvE_clEvEUlhhE_EESt5arrayIPcLm2EEEEviT0_T1_.has_indirect_call, 0
	.section	.AMDGPU.csdata,"",@progbits
; Kernel info:
; codeLenInByte = 3104
; TotalNumSgprs: 64
; NumVgprs: 22
; ScratchSize: 0
; MemoryBound: 0
; FloatMode: 240
; IeeeMode: 1
; LDSByteSize: 0 bytes/workgroup (compile time only)
; SGPRBlocks: 7
; VGPRBlocks: 5
; NumSGPRsForWavesPerEU: 64
; NumVGPRsForWavesPerEU: 22
; Occupancy: 10
; WaveLimiterHint : 0
; COMPUTE_PGM_RSRC2:SCRATCH_EN: 0
; COMPUTE_PGM_RSRC2:USER_SGPR: 6
; COMPUTE_PGM_RSRC2:TRAP_HANDLER: 0
; COMPUTE_PGM_RSRC2:TGID_X_EN: 1
; COMPUTE_PGM_RSRC2:TGID_Y_EN: 0
; COMPUTE_PGM_RSRC2:TGID_Z_EN: 0
; COMPUTE_PGM_RSRC2:TIDIG_COMP_CNT: 0
	.section	.text._ZN2at6native29vectorized_elementwise_kernelILi8ENS0_13AUnaryFunctorIhhhZZZNS0_18rshift_kernel_cudaERNS_18TensorIteratorBaseEENKUlvE_clEvENKUlvE_clEvEUlhhE_EESt5arrayIPcLm2EEEEviT0_T1_,"axG",@progbits,_ZN2at6native29vectorized_elementwise_kernelILi8ENS0_13AUnaryFunctorIhhhZZZNS0_18rshift_kernel_cudaERNS_18TensorIteratorBaseEENKUlvE_clEvENKUlvE_clEvEUlhhE_EESt5arrayIPcLm2EEEEviT0_T1_,comdat
	.globl	_ZN2at6native29vectorized_elementwise_kernelILi8ENS0_13AUnaryFunctorIhhhZZZNS0_18rshift_kernel_cudaERNS_18TensorIteratorBaseEENKUlvE_clEvENKUlvE_clEvEUlhhE_EESt5arrayIPcLm2EEEEviT0_T1_ ; -- Begin function _ZN2at6native29vectorized_elementwise_kernelILi8ENS0_13AUnaryFunctorIhhhZZZNS0_18rshift_kernel_cudaERNS_18TensorIteratorBaseEENKUlvE_clEvENKUlvE_clEvEUlhhE_EESt5arrayIPcLm2EEEEviT0_T1_
	.p2align	8
	.type	_ZN2at6native29vectorized_elementwise_kernelILi8ENS0_13AUnaryFunctorIhhhZZZNS0_18rshift_kernel_cudaERNS_18TensorIteratorBaseEENKUlvE_clEvENKUlvE_clEvEUlhhE_EESt5arrayIPcLm2EEEEviT0_T1_,@function
_ZN2at6native29vectorized_elementwise_kernelILi8ENS0_13AUnaryFunctorIhhhZZZNS0_18rshift_kernel_cudaERNS_18TensorIteratorBaseEENKUlvE_clEvENKUlvE_clEvEUlhhE_EESt5arrayIPcLm2EEEEviT0_T1_: ; @_ZN2at6native29vectorized_elementwise_kernelILi8ENS0_13AUnaryFunctorIhhhZZZNS0_18rshift_kernel_cudaERNS_18TensorIteratorBaseEENKUlvE_clEvENKUlvE_clEvEUlhhE_EESt5arrayIPcLm2EEEEviT0_T1_
; %bb.0:
	v_mov_b32_e32 v1, 0
	global_load_ushort v1, v1, s[4:5] offset:4
	s_load_dword s0, s[4:5], 0x0
	s_load_dwordx4 s[56:59], s[4:5], 0x8
	s_lshl_b32 s54, s6, 12
	s_waitcnt lgkmcnt(0)
	s_sub_i32 s33, s0, s54
	s_cmpk_gt_i32 s33, 0xfff
	s_mov_b64 s[0:1], -1
	s_waitcnt vmcnt(0)
	v_readfirstlane_b32 s36, v1
	s_cbranch_scc0 .LBB121_2
; %bb.1:
	s_and_b32 s0, 0xffff, s36
	s_lshr_b32 s28, s0, 8
	s_ashr_i32 s2, s54, 31
	s_add_u32 s0, s58, s54
	s_addc_u32 s1, s59, s2
	v_lshlrev_b32_e32 v5, 3, v0
	global_load_dwordx2 v[1:2], v5, s[0:1]
	global_load_dwordx2 v[3:4], v5, s[0:1] offset:2048
	s_movk_i32 s22, 0xff
	v_mov_b32_e32 v6, 8
	s_brev_b32 s29, 16
	s_add_u32 s26, s56, s54
	s_addc_u32 s27, s57, s2
	s_waitcnt vmcnt(1)
	v_lshrrev_b16_sdwa v7, v1, s28 dst_sel:DWORD dst_unused:UNUSED_PAD src0_sel:BYTE_0 src1_sel:DWORD
	v_cmp_lt_u16_sdwa vcc, v1, v6 src0_sel:BYTE_0 src1_sel:DWORD
	v_and_b32_sdwa v10, v1, s22 dst_sel:DWORD dst_unused:UNUSED_PAD src0_sel:WORD_1 src1_sel:DWORD
	v_lshrrev_b32_e32 v13, 8, v2
	v_and_b32_sdwa v15, v2, s22 dst_sel:DWORD dst_unused:UNUSED_PAD src0_sel:WORD_1 src1_sel:DWORD
	v_lshrrev_b32_e32 v8, 8, v1
	s_waitcnt vmcnt(0)
	v_lshrrev_b32_e32 v18, 8, v3
	v_cmp_lt_u16_sdwa s[10:11], v13, v6 src0_sel:BYTE_0 src1_sel:DWORD
	v_lshrrev_b32_e32 v13, 8, v4
	v_cmp_gt_u16_e64 s[18:19], 8, v10
	v_lshrrev_b16_sdwa v10, v3, s28 dst_sel:DWORD dst_unused:UNUSED_PAD src0_sel:BYTE_3 src1_sel:DWORD
	v_cmp_gt_u16_e64 s[20:21], 8, v15
	v_and_b32_sdwa v15, v4, s22 dst_sel:DWORD dst_unused:UNUSED_PAD src0_sel:WORD_1 src1_sel:DWORD
	v_cndmask_b32_e32 v7, 0, v7, vcc
	v_cmp_gt_u32_e32 vcc, s29, v3
	v_lshrrev_b16_sdwa v9, v1, s28 dst_sel:DWORD dst_unused:UNUSED_PAD src0_sel:BYTE_1 src1_sel:DWORD
	v_lshrrev_b16_sdwa v11, v1, s28 dst_sel:DWORD dst_unused:UNUSED_PAD src0_sel:BYTE_2 src1_sel:DWORD
	v_lshrrev_b16_sdwa v12, v1, s28 dst_sel:DWORD dst_unused:UNUSED_PAD src0_sel:BYTE_3 src1_sel:DWORD
	v_cmp_gt_u32_e64 s[0:1], s29, v1
	v_lshrrev_b16_sdwa v1, v2, s28 dst_sel:DWORD dst_unused:UNUSED_PAD src0_sel:BYTE_0 src1_sel:DWORD
	v_cmp_lt_u16_sdwa s[2:3], v2, v6 src0_sel:BYTE_0 src1_sel:DWORD
	v_lshrrev_b16_sdwa v14, v2, s28 dst_sel:DWORD dst_unused:UNUSED_PAD src0_sel:BYTE_1 src1_sel:DWORD
	v_lshrrev_b16_sdwa v16, v2, s28 dst_sel:DWORD dst_unused:UNUSED_PAD src0_sel:BYTE_2 src1_sel:DWORD
	v_lshrrev_b16_sdwa v17, v2, s28 dst_sel:DWORD dst_unused:UNUSED_PAD src0_sel:BYTE_3 src1_sel:DWORD
	v_cmp_gt_u32_e64 s[4:5], s29, v2
	v_lshrrev_b16_sdwa v2, v3, s28 dst_sel:DWORD dst_unused:UNUSED_PAD src0_sel:BYTE_0 src1_sel:DWORD
	v_cmp_lt_u16_sdwa s[6:7], v3, v6 src0_sel:BYTE_0 src1_sel:DWORD
	v_lshrrev_b16_sdwa v19, v3, s28 dst_sel:DWORD dst_unused:UNUSED_PAD src0_sel:BYTE_1 src1_sel:DWORD
	v_cmp_lt_u16_sdwa s[8:9], v8, v6 src0_sel:BYTE_0 src1_sel:DWORD
	v_and_b32_sdwa v8, v3, s22 dst_sel:DWORD dst_unused:UNUSED_PAD src0_sel:WORD_1 src1_sel:DWORD
	v_cmp_lt_u16_sdwa s[12:13], v18, v6 src0_sel:BYTE_0 src1_sel:DWORD
	v_lshrrev_b16_sdwa v18, v4, s28 dst_sel:DWORD dst_unused:UNUSED_PAD src0_sel:BYTE_1 src1_sel:DWORD
	v_cmp_lt_u16_sdwa s[14:15], v13, v6 src0_sel:BYTE_0 src1_sel:DWORD
	v_lshrrev_b16_sdwa v13, v4, s28 dst_sel:DWORD dst_unused:UNUSED_PAD src0_sel:BYTE_0 src1_sel:DWORD
	v_cmp_lt_u16_sdwa s[16:17], v4, v6 src0_sel:BYTE_0 src1_sel:DWORD
	v_lshrrev_b16_sdwa v6, v3, s28 dst_sel:DWORD dst_unused:UNUSED_PAD src0_sel:BYTE_2 src1_sel:DWORD
	v_cmp_gt_u16_e64 s[24:25], 8, v15
	v_lshrrev_b16_sdwa v15, v4, s28 dst_sel:DWORD dst_unused:UNUSED_PAD src0_sel:BYTE_3 src1_sel:DWORD
	v_cndmask_b32_e32 v3, 0, v10, vcc
	v_cmp_gt_u32_e32 vcc, s29, v4
	v_cmp_gt_u16_e64 s[22:23], 8, v8
	v_lshrrev_b16_sdwa v8, v4, s28 dst_sel:DWORD dst_unused:UNUSED_PAD src0_sel:BYTE_2 src1_sel:DWORD
	v_cndmask_b32_e64 v9, 0, v9, s[8:9]
	v_cndmask_b32_e64 v12, 0, v12, s[0:1]
	;; [unrolled: 1-line block ×7, first 2 shown]
	v_cndmask_b32_e32 v4, 0, v15, vcc
	v_cndmask_b32_e64 v11, 0, v11, s[18:19]
	v_cndmask_b32_e64 v1, 0, v1, s[2:3]
	;; [unrolled: 1-line block ×6, first 2 shown]
	v_lshlrev_b16_e32 v13, 8, v13
	v_lshlrev_b16_e32 v4, 8, v4
	v_lshlrev_b16_e32 v15, 8, v19
	v_lshlrev_b16_e32 v3, 8, v3
	v_lshlrev_b16_e32 v14, 8, v14
	v_lshlrev_b16_e32 v17, 8, v17
	v_lshlrev_b16_e32 v9, 8, v9
	v_lshlrev_b16_e32 v12, 8, v12
	v_or_b32_e32 v10, v10, v13
	v_or_b32_sdwa v4, v8, v4 dst_sel:WORD_1 dst_unused:UNUSED_PAD src0_sel:DWORD src1_sel:DWORD
	v_or_b32_e32 v8, v2, v15
	v_or_b32_sdwa v3, v6, v3 dst_sel:WORD_1 dst_unused:UNUSED_PAD src0_sel:DWORD src1_sel:DWORD
	;; [unrolled: 2-line block ×4, first 2 shown]
	v_or_b32_sdwa v2, v10, v4 dst_sel:DWORD dst_unused:UNUSED_PAD src0_sel:WORD_0 src1_sel:DWORD
	v_or_b32_sdwa v1, v8, v3 dst_sel:DWORD dst_unused:UNUSED_PAD src0_sel:WORD_0 src1_sel:DWORD
	;; [unrolled: 1-line block ×4, first 2 shown]
	global_store_dwordx2 v5, v[3:4], s[26:27]
	global_store_dwordx2 v5, v[1:2], s[26:27] offset:2048
	s_mov_b64 s[0:1], 0
.LBB121_2:
	s_andn2_b64 vcc, exec, s[0:1]
	s_cbranch_vccnz .LBB121_52
; %bb.3:
	v_cmp_gt_i32_e32 vcc, s33, v0
	v_or_b32_e32 v8, 0x100, v0
	v_mov_b32_e32 v20, 0
	v_or_b32_e32 v3, s54, v0
	v_mov_b32_e32 v19, 0
	v_mov_b32_e32 v18, 0
	;; [unrolled: 1-line block ×15, first 2 shown]
	s_and_saveexec_b64 s[2:3], vcc
	s_cbranch_execz .LBB121_35
; %bb.4:
	global_load_ubyte v16, v3, s[58:59]
	v_cmp_gt_u32_e64 s[0:1], s33, v8
	v_mov_b32_e32 v15, 0
	v_mov_b32_e32 v14, 0
	;; [unrolled: 1-line block ×15, first 2 shown]
	s_and_saveexec_b64 s[4:5], s[0:1]
	s_cbranch_execz .LBB121_34
; %bb.5:
	v_add_u32_e32 v1, s54, v0
	global_load_ubyte v15, v1, s[58:59] offset:256
	v_or_b32_e32 v2, 0x200, v0
	v_mov_b32_e32 v14, 0
	v_cmp_gt_u32_e64 s[0:1], s33, v2
	v_mov_b32_e32 v13, 0
	v_mov_b32_e32 v4, 0
	;; [unrolled: 1-line block ×13, first 2 shown]
	s_and_saveexec_b64 s[6:7], s[0:1]
	s_cbranch_execz .LBB121_33
; %bb.6:
	v_mov_b32_e32 v2, s59
	v_add_co_u32_e64 v1, s[0:1], s58, v1
	v_addc_co_u32_e64 v2, s[0:1], 0, v2, s[0:1]
	global_load_ubyte v14, v[1:2], off offset:512
	v_or_b32_e32 v4, 0x300, v0
	v_cmp_gt_u32_e64 s[0:1], s33, v4
	v_mov_b32_e32 v13, 0
	v_mov_b32_e32 v4, 0
	;; [unrolled: 1-line block ×13, first 2 shown]
	s_and_saveexec_b64 s[8:9], s[0:1]
	s_cbranch_execz .LBB121_32
; %bb.7:
	global_load_ubyte v13, v[1:2], off offset:768
	v_or_b32_e32 v4, 0x400, v0
	v_cmp_gt_u32_e64 s[0:1], s33, v4
	v_mov_b32_e32 v4, 0
	v_mov_b32_e32 v5, 0
	;; [unrolled: 1-line block ×12, first 2 shown]
	s_and_saveexec_b64 s[10:11], s[0:1]
	s_cbranch_execz .LBB121_31
; %bb.8:
	global_load_ubyte v4, v[1:2], off offset:1024
	v_or_b32_e32 v5, 0x500, v0
	v_cmp_gt_u32_e64 s[0:1], s33, v5
	v_mov_b32_e32 v5, 0
	v_mov_b32_e32 v6, 0
	;; [unrolled: 1-line block ×11, first 2 shown]
	s_and_saveexec_b64 s[12:13], s[0:1]
	s_cbranch_execz .LBB121_30
; %bb.9:
	global_load_ubyte v5, v[1:2], off offset:1280
	v_or_b32_e32 v6, 0x600, v0
	v_cmp_gt_u32_e64 s[0:1], s33, v6
	v_mov_b32_e32 v6, 0
	v_mov_b32_e32 v7, 0
	;; [unrolled: 1-line block ×10, first 2 shown]
	s_and_saveexec_b64 s[14:15], s[0:1]
	s_cbranch_execz .LBB121_29
; %bb.10:
	global_load_ubyte v6, v[1:2], off offset:1536
	v_or_b32_e32 v7, 0x700, v0
	v_cmp_gt_u32_e64 s[0:1], s33, v7
	v_mov_b32_e32 v7, 0
	v_mov_b32_e32 v9, 0
	;; [unrolled: 1-line block ×9, first 2 shown]
	s_and_saveexec_b64 s[16:17], s[0:1]
	s_cbranch_execz .LBB121_28
; %bb.11:
	global_load_ubyte v7, v[1:2], off offset:1792
	v_or_b32_e32 v9, 0x800, v0
	v_cmp_gt_u32_e64 s[0:1], s33, v9
	v_mov_b32_e32 v9, 0
	v_mov_b32_e32 v10, 0
	;; [unrolled: 1-line block ×8, first 2 shown]
	s_and_saveexec_b64 s[18:19], s[0:1]
	s_cbranch_execz .LBB121_27
; %bb.12:
	global_load_ubyte v9, v[1:2], off offset:2048
	v_or_b32_e32 v10, 0x900, v0
	v_cmp_gt_u32_e64 s[0:1], s33, v10
	v_mov_b32_e32 v10, 0
	v_mov_b32_e32 v11, 0
	;; [unrolled: 1-line block ×7, first 2 shown]
	s_and_saveexec_b64 s[20:21], s[0:1]
	s_cbranch_execz .LBB121_26
; %bb.13:
	global_load_ubyte v10, v[1:2], off offset:2304
	v_or_b32_e32 v11, 0xa00, v0
	v_cmp_gt_u32_e64 s[0:1], s33, v11
	v_mov_b32_e32 v11, 0
	v_mov_b32_e32 v12, 0
	;; [unrolled: 1-line block ×6, first 2 shown]
	s_and_saveexec_b64 s[22:23], s[0:1]
	s_cbranch_execz .LBB121_25
; %bb.14:
	global_load_ubyte v11, v[1:2], off offset:2560
	v_or_b32_e32 v12, 0xb00, v0
	v_cmp_gt_u32_e64 s[0:1], s33, v12
	v_mov_b32_e32 v12, 0
	v_mov_b32_e32 v17, 0
	;; [unrolled: 1-line block ×5, first 2 shown]
	s_and_saveexec_b64 s[24:25], s[0:1]
	s_cbranch_execz .LBB121_24
; %bb.15:
	global_load_ubyte v12, v[1:2], off offset:2816
	v_or_b32_e32 v17, 0xc00, v0
	v_cmp_gt_u32_e64 s[0:1], s33, v17
	v_mov_b32_e32 v17, 0
	v_mov_b32_e32 v18, 0
	;; [unrolled: 1-line block ×4, first 2 shown]
	s_and_saveexec_b64 s[26:27], s[0:1]
	s_cbranch_execz .LBB121_23
; %bb.16:
	global_load_ubyte v17, v[1:2], off offset:3072
	v_or_b32_e32 v18, 0xd00, v0
	v_cmp_gt_u32_e64 s[0:1], s33, v18
	v_mov_b32_e32 v18, 0
	v_mov_b32_e32 v19, 0
	;; [unrolled: 1-line block ×3, first 2 shown]
	s_and_saveexec_b64 s[28:29], s[0:1]
	s_cbranch_execz .LBB121_22
; %bb.17:
	global_load_ubyte v18, v[1:2], off offset:3328
	v_or_b32_e32 v19, 0xe00, v0
	v_cmp_gt_u32_e64 s[0:1], s33, v19
	v_mov_b32_e32 v19, 0
	v_mov_b32_e32 v20, 0
	s_and_saveexec_b64 s[30:31], s[0:1]
	s_cbranch_execz .LBB121_21
; %bb.18:
	global_load_ubyte v19, v[1:2], off offset:3584
	v_or_b32_e32 v20, 0xf00, v0
	v_cmp_gt_u32_e64 s[0:1], s33, v20
	v_mov_b32_e32 v20, 0
	s_and_saveexec_b64 s[34:35], s[0:1]
	s_cbranch_execz .LBB121_20
; %bb.19:
	global_load_ubyte v20, v[1:2], off offset:3840
.LBB121_20:
	s_or_b64 exec, exec, s[34:35]
.LBB121_21:
	s_or_b64 exec, exec, s[30:31]
.LBB121_22:
	s_or_b64 exec, exec, s[28:29]
.LBB121_23:
	s_or_b64 exec, exec, s[26:27]
.LBB121_24:
	s_or_b64 exec, exec, s[24:25]
.LBB121_25:
	s_or_b64 exec, exec, s[22:23]
.LBB121_26:
	s_or_b64 exec, exec, s[20:21]
.LBB121_27:
	s_or_b64 exec, exec, s[18:19]
.LBB121_28:
	s_or_b64 exec, exec, s[16:17]
.LBB121_29:
	s_or_b64 exec, exec, s[14:15]
.LBB121_30:
	s_or_b64 exec, exec, s[12:13]
.LBB121_31:
	s_or_b64 exec, exec, s[10:11]
.LBB121_32:
	s_or_b64 exec, exec, s[8:9]
.LBB121_33:
	s_or_b64 exec, exec, s[6:7]
.LBB121_34:
	s_or_b64 exec, exec, s[4:5]
.LBB121_35:
	s_or_b64 exec, exec, s[2:3]
	s_and_saveexec_b64 s[0:1], vcc
	s_cbranch_execz .LBB121_52
; %bb.36:
	s_and_b32 s0, 0xffff, s36
	s_lshr_b32 s55, s0, 8
	v_mov_b32_e32 v21, 8
	s_waitcnt vmcnt(0)
	v_lshrrev_b16_sdwa v1, v16, s55 dst_sel:DWORD dst_unused:UNUSED_PAD src0_sel:BYTE_0 src1_sel:DWORD
	v_cmp_lt_u16_sdwa s[0:1], v16, v21 src0_sel:BYTE_0 src1_sel:DWORD
	v_lshrrev_b16_sdwa v2, v15, s55 dst_sel:DWORD dst_unused:UNUSED_PAD src0_sel:BYTE_0 src1_sel:DWORD
	v_cmp_lt_u16_sdwa s[2:3], v15, v21 src0_sel:BYTE_0 src1_sel:DWORD
	v_cndmask_b32_e64 v1, 0, v1, s[0:1]
	v_and_b32_e32 v1, 0xffff, v1
	v_cndmask_b32_e64 v2, 0, v2, s[2:3]
	v_cndmask_b32_e32 v1, 0, v1, vcc
	v_lshlrev_b16_e32 v2, 8, v2
	v_or_b32_sdwa v2, v1, v2 dst_sel:DWORD dst_unused:UNUSED_PAD src0_sel:BYTE_0 src1_sel:DWORD
	v_cmp_gt_i32_e64 s[52:53], s33, v8
	v_lshrrev_b16_sdwa v8, v14, s55 dst_sel:DWORD dst_unused:UNUSED_PAD src0_sel:BYTE_0 src1_sel:DWORD
	v_cmp_lt_u16_sdwa vcc, v14, v21 src0_sel:BYTE_0 src1_sel:DWORD
	v_and_b32_e32 v2, 0xffff, v2
	v_cndmask_b32_e32 v8, 0, v8, vcc
	v_cndmask_b32_e64 v1, v1, v2, s[52:53]
	v_or_b32_e32 v2, 0x200, v0
	v_lshlrev_b32_e32 v8, 16, v8
	v_or_b32_e32 v8, v1, v8
	v_cmp_gt_i32_e64 s[20:21], s33, v2
	v_lshrrev_b16_sdwa v14, v13, s55 dst_sel:DWORD dst_unused:UNUSED_PAD src0_sel:BYTE_0 src1_sel:DWORD
	v_cmp_lt_u16_sdwa vcc, v13, v21 src0_sel:BYTE_0 src1_sel:DWORD
	s_movk_i32 s59, 0xff
	v_cndmask_b32_e64 v1, v1, v8, s[20:21]
	v_cndmask_b32_e32 v13, 0, v14, vcc
	v_and_b32_sdwa v2, v1, s59 dst_sel:DWORD dst_unused:UNUSED_PAD src0_sel:WORD_1 src1_sel:DWORD
	v_lshlrev_b16_e32 v13, 8, v13
	s_mov_b32 s58, 0xffff
	v_or_b32_e32 v8, 0x300, v0
	v_or_b32_sdwa v2, v2, v13 dst_sel:WORD_1 dst_unused:UNUSED_PAD src0_sel:DWORD src1_sel:DWORD
	v_and_or_b32 v2, v1, s58, v2
	v_cmp_gt_i32_e64 s[18:19], s33, v8
	v_cndmask_b32_e64 v14, v1, v2, s[18:19]
	v_or_b32_e32 v1, 0x500, v0
	v_cmp_gt_i32_e64 s[16:17], s33, v1
	v_or_b32_e32 v1, 0x600, v0
	v_cmp_gt_i32_e64 s[14:15], s33, v1
	v_or_b32_e32 v1, 0x700, v0
	v_cmp_gt_i32_e64 s[12:13], s33, v1
	v_or_b32_e32 v1, 0x900, v0
	v_cmp_gt_i32_e64 s[10:11], s33, v1
	v_or_b32_e32 v1, 0xa00, v0
	v_cmp_gt_i32_e64 s[8:9], s33, v1
	v_or_b32_e32 v1, 0xb00, v0
	v_cmp_gt_i32_e64 s[6:7], s33, v1
	v_or_b32_e32 v1, 0xd00, v0
	v_cmp_gt_i32_e64 s[4:5], s33, v1
	v_or_b32_e32 v1, 0xe00, v0
	v_or_b32_e32 v13, 0x400, v0
	;; [unrolled: 1-line block ×4, first 2 shown]
	v_cmp_gt_i32_e64 s[2:3], s33, v1
	v_or_b32_e32 v1, 0xf00, v0
	v_cmp_lt_u16_sdwa s[48:49], v4, v21 src0_sel:BYTE_0 src1_sel:DWORD
	v_cmp_gt_i32_e32 vcc, s33, v13
	v_cmp_lt_u16_sdwa s[50:51], v5, v21 src0_sel:BYTE_0 src1_sel:DWORD
	v_cmp_lt_u16_sdwa s[46:47], v6, v21 src0_sel:BYTE_0 src1_sel:DWORD
	;; [unrolled: 1-line block ×3, first 2 shown]
	v_cmp_gt_i32_e64 s[38:39], s33, v8
	v_cmp_lt_u16_sdwa s[42:43], v9, v21 src0_sel:BYTE_0 src1_sel:DWORD
	v_cmp_lt_u16_sdwa s[40:41], v10, v21 src0_sel:BYTE_0 src1_sel:DWORD
	;; [unrolled: 1-line block ×4, first 2 shown]
	v_cmp_gt_i32_e64 s[26:27], s33, v2
	v_cmp_lt_u16_sdwa s[30:31], v17, v21 src0_sel:BYTE_0 src1_sel:DWORD
	v_cmp_lt_u16_sdwa s[28:29], v18, v21 src0_sel:BYTE_0 src1_sel:DWORD
	;; [unrolled: 1-line block ×3, first 2 shown]
	v_cmp_gt_i32_e64 s[0:1], s33, v1
	v_cmp_lt_u16_sdwa s[24:25], v20, v21 src0_sel:BYTE_0 src1_sel:DWORD
	global_store_byte v3, v14, s[56:57]
	s_and_b64 exec, exec, s[52:53]
	s_cbranch_execz .LBB121_52
; %bb.37:
	v_lshrrev_b16_sdwa v1, v4, s55 dst_sel:DWORD dst_unused:UNUSED_PAD src0_sel:BYTE_0 src1_sel:DWORD
	v_lshrrev_b16_sdwa v4, v5, s55 dst_sel:DWORD dst_unused:UNUSED_PAD src0_sel:BYTE_0 src1_sel:DWORD
	v_cndmask_b32_e64 v1, 0, v1, s[48:49]
	v_mov_b32_e32 v3, 0
	v_cndmask_b32_e64 v4, 0, v4, s[50:51]
	v_cndmask_b32_sdwa v1, v3, v1, vcc dst_sel:DWORD dst_unused:UNUSED_PAD src0_sel:DWORD src1_sel:WORD_0
	v_lshlrev_b16_e32 v4, 8, v4
	v_or_b32_sdwa v4, v1, v4 dst_sel:DWORD dst_unused:UNUSED_PAD src0_sel:BYTE_0 src1_sel:DWORD
	v_and_b32_e32 v4, 0xffff, v4
	s_movk_i32 s52, 0xff00
	v_cndmask_b32_e64 v1, v1, v4, s[16:17]
	v_lshrrev_b16_sdwa v5, v6, s55 dst_sel:DWORD dst_unused:UNUSED_PAD src0_sel:BYTE_0 src1_sel:DWORD
	v_and_b32_sdwa v4, v1, s52 dst_sel:DWORD dst_unused:UNUSED_PAD src0_sel:WORD_1 src1_sel:DWORD
	v_cndmask_b32_e64 v5, 0, v5, s[46:47]
	v_or_b32_sdwa v4, v5, v4 dst_sel:WORD_1 dst_unused:UNUSED_PAD src0_sel:DWORD src1_sel:DWORD
	v_and_or_b32 v4, v1, s58, v4
	v_lshrrev_b16_sdwa v5, v7, s55 dst_sel:DWORD dst_unused:UNUSED_PAD src0_sel:BYTE_0 src1_sel:DWORD
	v_cndmask_b32_e64 v1, v1, v4, s[14:15]
	v_cndmask_b32_e64 v5, 0, v5, s[44:45]
	v_and_b32_sdwa v4, v1, s59 dst_sel:DWORD dst_unused:UNUSED_PAD src0_sel:WORD_1 src1_sel:DWORD
	v_lshlrev_b16_e32 v5, 8, v5
	v_or_b32_sdwa v4, v4, v5 dst_sel:WORD_1 dst_unused:UNUSED_PAD src0_sel:DWORD src1_sel:DWORD
	v_and_or_b32 v4, v1, s58, v4
	v_cndmask_b32_e64 v5, v1, v4, s[12:13]
	v_lshrrev_b16_sdwa v1, v9, s55 dst_sel:DWORD dst_unused:UNUSED_PAD src0_sel:BYTE_0 src1_sel:DWORD
	v_cndmask_b32_e64 v1, 0, v1, s[42:43]
	v_lshrrev_b16_sdwa v4, v10, s55 dst_sel:DWORD dst_unused:UNUSED_PAD src0_sel:BYTE_0 src1_sel:DWORD
	v_and_b32_e32 v1, 0xffff, v1
	v_cndmask_b32_e64 v4, 0, v4, s[40:41]
	v_cndmask_b32_e64 v1, 0, v1, s[38:39]
	v_lshlrev_b16_e32 v4, 8, v4
	v_or_b32_sdwa v4, v1, v4 dst_sel:DWORD dst_unused:UNUSED_PAD src0_sel:BYTE_0 src1_sel:DWORD
	v_and_b32_e32 v4, 0xffff, v4
	v_cndmask_b32_e64 v1, v1, v4, s[10:11]
	v_lshrrev_b16_sdwa v4, v11, s55 dst_sel:DWORD dst_unused:UNUSED_PAD src0_sel:BYTE_0 src1_sel:DWORD
	v_cndmask_b32_e64 v4, 0, v4, s[36:37]
	v_lshlrev_b32_e32 v4, 16, v4
	v_or_b32_e32 v4, v1, v4
	v_lshrrev_b16_sdwa v6, v12, s55 dst_sel:DWORD dst_unused:UNUSED_PAD src0_sel:BYTE_0 src1_sel:DWORD
	v_cndmask_b32_e64 v1, v1, v4, s[8:9]
	v_cndmask_b32_e64 v6, 0, v6, s[34:35]
	v_and_b32_sdwa v4, v1, s59 dst_sel:DWORD dst_unused:UNUSED_PAD src0_sel:WORD_1 src1_sel:DWORD
	v_lshlrev_b16_e32 v6, 8, v6
	v_or_b32_sdwa v4, v4, v6 dst_sel:WORD_1 dst_unused:UNUSED_PAD src0_sel:DWORD src1_sel:DWORD
	v_and_or_b32 v4, v1, s58, v4
	v_cndmask_b32_e64 v4, v1, v4, s[6:7]
	v_lshrrev_b16_sdwa v1, v17, s55 dst_sel:DWORD dst_unused:UNUSED_PAD src0_sel:BYTE_0 src1_sel:DWORD
	v_cndmask_b32_e64 v1, 0, v1, s[30:31]
	v_lshrrev_b16_sdwa v6, v18, s55 dst_sel:DWORD dst_unused:UNUSED_PAD src0_sel:BYTE_0 src1_sel:DWORD
	v_and_b32_e32 v1, 0xffff, v1
	v_cndmask_b32_e64 v6, 0, v6, s[28:29]
	v_cndmask_b32_e64 v1, 0, v1, s[26:27]
	v_lshlrev_b16_e32 v6, 8, v6
	v_or_b32_sdwa v6, v1, v6 dst_sel:DWORD dst_unused:UNUSED_PAD src0_sel:BYTE_0 src1_sel:DWORD
	v_and_b32_e32 v6, 0xffff, v6
	v_cndmask_b32_e64 v1, v1, v6, s[4:5]
	v_lshrrev_b16_sdwa v7, v19, s55 dst_sel:DWORD dst_unused:UNUSED_PAD src0_sel:BYTE_0 src1_sel:DWORD
	v_and_b32_sdwa v6, v1, s52 dst_sel:DWORD dst_unused:UNUSED_PAD src0_sel:WORD_1 src1_sel:DWORD
	v_cndmask_b32_e64 v7, 0, v7, s[22:23]
	v_or_b32_sdwa v6, v7, v6 dst_sel:WORD_1 dst_unused:UNUSED_PAD src0_sel:DWORD src1_sel:DWORD
	v_and_or_b32 v6, v1, s58, v6
	v_cndmask_b32_e64 v1, v1, v6, s[2:3]
	v_lshrrev_b16_sdwa v7, v20, s55 dst_sel:DWORD dst_unused:UNUSED_PAD src0_sel:BYTE_0 src1_sel:DWORD
	s_mov_b64 vcc, s[24:25]
	v_and_b32_sdwa v6, v1, s59 dst_sel:DWORD dst_unused:UNUSED_PAD src0_sel:WORD_1 src1_sel:DWORD
	v_cndmask_b32_sdwa v3, v3, v7, vcc dst_sel:BYTE_1 dst_unused:UNUSED_PAD src0_sel:DWORD src1_sel:DWORD
	v_or_b32_sdwa v3, v6, v3 dst_sel:WORD_1 dst_unused:UNUSED_PAD src0_sel:DWORD src1_sel:DWORD
	v_and_or_b32 v3, v1, s58, v3
	v_cndmask_b32_e64 v3, v1, v3, s[0:1]
	v_lshrrev_b32_e32 v1, 8, v14
	v_add_u32_e32 v0, s54, v0
	global_store_byte v0, v1, s[56:57] offset:256
	s_and_b64 exec, exec, s[20:21]
	s_cbranch_execz .LBB121_52
; %bb.38:
	v_mov_b32_e32 v1, s57
	v_add_co_u32_e32 v0, vcc, s56, v0
	v_addc_co_u32_e32 v1, vcc, 0, v1, vcc
	global_store_byte_d16_hi v[0:1], v14, off offset:512
	s_and_b64 exec, exec, s[18:19]
	s_cbranch_execz .LBB121_52
; %bb.39:
	v_lshrrev_b32_e32 v6, 24, v14
	v_cmp_gt_u32_e32 vcc, s33, v13
	global_store_byte v[0:1], v6, off offset:768
	s_and_b64 exec, exec, vcc
	s_cbranch_execz .LBB121_52
; %bb.40:
	global_store_byte v[0:1], v5, off offset:1024
	s_and_b64 exec, exec, s[16:17]
	s_cbranch_execz .LBB121_52
; %bb.41:
	v_lshrrev_b32_e32 v6, 8, v5
	global_store_byte v[0:1], v6, off offset:1280
	s_and_b64 exec, exec, s[14:15]
	s_cbranch_execz .LBB121_52
; %bb.42:
	global_store_byte_d16_hi v[0:1], v5, off offset:1536
	s_and_b64 exec, exec, s[12:13]
	s_cbranch_execz .LBB121_52
; %bb.43:
	v_lshrrev_b32_e32 v5, 24, v5
	v_cmp_gt_u32_e32 vcc, s33, v8
	global_store_byte v[0:1], v5, off offset:1792
	s_and_b64 exec, exec, vcc
	s_cbranch_execz .LBB121_52
; %bb.44:
	global_store_byte v[0:1], v4, off offset:2048
	s_and_b64 exec, exec, s[10:11]
	s_cbranch_execz .LBB121_52
; %bb.45:
	v_lshrrev_b32_e32 v5, 8, v4
	global_store_byte v[0:1], v5, off offset:2304
	s_and_b64 exec, exec, s[8:9]
	s_cbranch_execz .LBB121_52
; %bb.46:
	;; [unrolled: 19-line block ×3, first 2 shown]
	global_store_byte_d16_hi v[0:1], v3, off offset:3584
	s_and_b64 exec, exec, s[0:1]
	s_cbranch_execz .LBB121_52
; %bb.51:
	v_lshrrev_b32_e32 v2, 24, v3
	global_store_byte v[0:1], v2, off offset:3840
.LBB121_52:
	s_endpgm
	.section	.rodata,"a",@progbits
	.p2align	6, 0x0
	.amdhsa_kernel _ZN2at6native29vectorized_elementwise_kernelILi8ENS0_13AUnaryFunctorIhhhZZZNS0_18rshift_kernel_cudaERNS_18TensorIteratorBaseEENKUlvE_clEvENKUlvE_clEvEUlhhE_EESt5arrayIPcLm2EEEEviT0_T1_
		.amdhsa_group_segment_fixed_size 0
		.amdhsa_private_segment_fixed_size 0
		.amdhsa_kernarg_size 24
		.amdhsa_user_sgpr_count 6
		.amdhsa_user_sgpr_private_segment_buffer 1
		.amdhsa_user_sgpr_dispatch_ptr 0
		.amdhsa_user_sgpr_queue_ptr 0
		.amdhsa_user_sgpr_kernarg_segment_ptr 1
		.amdhsa_user_sgpr_dispatch_id 0
		.amdhsa_user_sgpr_flat_scratch_init 0
		.amdhsa_user_sgpr_private_segment_size 0
		.amdhsa_uses_dynamic_stack 0
		.amdhsa_system_sgpr_private_segment_wavefront_offset 0
		.amdhsa_system_sgpr_workgroup_id_x 1
		.amdhsa_system_sgpr_workgroup_id_y 0
		.amdhsa_system_sgpr_workgroup_id_z 0
		.amdhsa_system_sgpr_workgroup_info 0
		.amdhsa_system_vgpr_workitem_id 0
		.amdhsa_next_free_vgpr 22
		.amdhsa_next_free_sgpr 60
		.amdhsa_reserve_vcc 1
		.amdhsa_reserve_flat_scratch 0
		.amdhsa_float_round_mode_32 0
		.amdhsa_float_round_mode_16_64 0
		.amdhsa_float_denorm_mode_32 3
		.amdhsa_float_denorm_mode_16_64 3
		.amdhsa_dx10_clamp 1
		.amdhsa_ieee_mode 1
		.amdhsa_fp16_overflow 0
		.amdhsa_exception_fp_ieee_invalid_op 0
		.amdhsa_exception_fp_denorm_src 0
		.amdhsa_exception_fp_ieee_div_zero 0
		.amdhsa_exception_fp_ieee_overflow 0
		.amdhsa_exception_fp_ieee_underflow 0
		.amdhsa_exception_fp_ieee_inexact 0
		.amdhsa_exception_int_div_zero 0
	.end_amdhsa_kernel
	.section	.text._ZN2at6native29vectorized_elementwise_kernelILi8ENS0_13AUnaryFunctorIhhhZZZNS0_18rshift_kernel_cudaERNS_18TensorIteratorBaseEENKUlvE_clEvENKUlvE_clEvEUlhhE_EESt5arrayIPcLm2EEEEviT0_T1_,"axG",@progbits,_ZN2at6native29vectorized_elementwise_kernelILi8ENS0_13AUnaryFunctorIhhhZZZNS0_18rshift_kernel_cudaERNS_18TensorIteratorBaseEENKUlvE_clEvENKUlvE_clEvEUlhhE_EESt5arrayIPcLm2EEEEviT0_T1_,comdat
.Lfunc_end121:
	.size	_ZN2at6native29vectorized_elementwise_kernelILi8ENS0_13AUnaryFunctorIhhhZZZNS0_18rshift_kernel_cudaERNS_18TensorIteratorBaseEENKUlvE_clEvENKUlvE_clEvEUlhhE_EESt5arrayIPcLm2EEEEviT0_T1_, .Lfunc_end121-_ZN2at6native29vectorized_elementwise_kernelILi8ENS0_13AUnaryFunctorIhhhZZZNS0_18rshift_kernel_cudaERNS_18TensorIteratorBaseEENKUlvE_clEvENKUlvE_clEvEUlhhE_EESt5arrayIPcLm2EEEEviT0_T1_
                                        ; -- End function
	.set _ZN2at6native29vectorized_elementwise_kernelILi8ENS0_13AUnaryFunctorIhhhZZZNS0_18rshift_kernel_cudaERNS_18TensorIteratorBaseEENKUlvE_clEvENKUlvE_clEvEUlhhE_EESt5arrayIPcLm2EEEEviT0_T1_.num_vgpr, 22
	.set _ZN2at6native29vectorized_elementwise_kernelILi8ENS0_13AUnaryFunctorIhhhZZZNS0_18rshift_kernel_cudaERNS_18TensorIteratorBaseEENKUlvE_clEvENKUlvE_clEvEUlhhE_EESt5arrayIPcLm2EEEEviT0_T1_.num_agpr, 0
	.set _ZN2at6native29vectorized_elementwise_kernelILi8ENS0_13AUnaryFunctorIhhhZZZNS0_18rshift_kernel_cudaERNS_18TensorIteratorBaseEENKUlvE_clEvENKUlvE_clEvEUlhhE_EESt5arrayIPcLm2EEEEviT0_T1_.numbered_sgpr, 60
	.set _ZN2at6native29vectorized_elementwise_kernelILi8ENS0_13AUnaryFunctorIhhhZZZNS0_18rshift_kernel_cudaERNS_18TensorIteratorBaseEENKUlvE_clEvENKUlvE_clEvEUlhhE_EESt5arrayIPcLm2EEEEviT0_T1_.num_named_barrier, 0
	.set _ZN2at6native29vectorized_elementwise_kernelILi8ENS0_13AUnaryFunctorIhhhZZZNS0_18rshift_kernel_cudaERNS_18TensorIteratorBaseEENKUlvE_clEvENKUlvE_clEvEUlhhE_EESt5arrayIPcLm2EEEEviT0_T1_.private_seg_size, 0
	.set _ZN2at6native29vectorized_elementwise_kernelILi8ENS0_13AUnaryFunctorIhhhZZZNS0_18rshift_kernel_cudaERNS_18TensorIteratorBaseEENKUlvE_clEvENKUlvE_clEvEUlhhE_EESt5arrayIPcLm2EEEEviT0_T1_.uses_vcc, 1
	.set _ZN2at6native29vectorized_elementwise_kernelILi8ENS0_13AUnaryFunctorIhhhZZZNS0_18rshift_kernel_cudaERNS_18TensorIteratorBaseEENKUlvE_clEvENKUlvE_clEvEUlhhE_EESt5arrayIPcLm2EEEEviT0_T1_.uses_flat_scratch, 0
	.set _ZN2at6native29vectorized_elementwise_kernelILi8ENS0_13AUnaryFunctorIhhhZZZNS0_18rshift_kernel_cudaERNS_18TensorIteratorBaseEENKUlvE_clEvENKUlvE_clEvEUlhhE_EESt5arrayIPcLm2EEEEviT0_T1_.has_dyn_sized_stack, 0
	.set _ZN2at6native29vectorized_elementwise_kernelILi8ENS0_13AUnaryFunctorIhhhZZZNS0_18rshift_kernel_cudaERNS_18TensorIteratorBaseEENKUlvE_clEvENKUlvE_clEvEUlhhE_EESt5arrayIPcLm2EEEEviT0_T1_.has_recursion, 0
	.set _ZN2at6native29vectorized_elementwise_kernelILi8ENS0_13AUnaryFunctorIhhhZZZNS0_18rshift_kernel_cudaERNS_18TensorIteratorBaseEENKUlvE_clEvENKUlvE_clEvEUlhhE_EESt5arrayIPcLm2EEEEviT0_T1_.has_indirect_call, 0
	.section	.AMDGPU.csdata,"",@progbits
; Kernel info:
; codeLenInByte = 3188
; TotalNumSgprs: 64
; NumVgprs: 22
; ScratchSize: 0
; MemoryBound: 0
; FloatMode: 240
; IeeeMode: 1
; LDSByteSize: 0 bytes/workgroup (compile time only)
; SGPRBlocks: 7
; VGPRBlocks: 5
; NumSGPRsForWavesPerEU: 64
; NumVGPRsForWavesPerEU: 22
; Occupancy: 10
; WaveLimiterHint : 1
; COMPUTE_PGM_RSRC2:SCRATCH_EN: 0
; COMPUTE_PGM_RSRC2:USER_SGPR: 6
; COMPUTE_PGM_RSRC2:TRAP_HANDLER: 0
; COMPUTE_PGM_RSRC2:TGID_X_EN: 1
; COMPUTE_PGM_RSRC2:TGID_Y_EN: 0
; COMPUTE_PGM_RSRC2:TGID_Z_EN: 0
; COMPUTE_PGM_RSRC2:TIDIG_COMP_CNT: 0
	.section	.text._ZN2at6native29vectorized_elementwise_kernelILi4ENS0_13AUnaryFunctorIhhhZZZNS0_18rshift_kernel_cudaERNS_18TensorIteratorBaseEENKUlvE_clEvENKUlvE_clEvEUlhhE_EESt5arrayIPcLm2EEEEviT0_T1_,"axG",@progbits,_ZN2at6native29vectorized_elementwise_kernelILi4ENS0_13AUnaryFunctorIhhhZZZNS0_18rshift_kernel_cudaERNS_18TensorIteratorBaseEENKUlvE_clEvENKUlvE_clEvEUlhhE_EESt5arrayIPcLm2EEEEviT0_T1_,comdat
	.globl	_ZN2at6native29vectorized_elementwise_kernelILi4ENS0_13AUnaryFunctorIhhhZZZNS0_18rshift_kernel_cudaERNS_18TensorIteratorBaseEENKUlvE_clEvENKUlvE_clEvEUlhhE_EESt5arrayIPcLm2EEEEviT0_T1_ ; -- Begin function _ZN2at6native29vectorized_elementwise_kernelILi4ENS0_13AUnaryFunctorIhhhZZZNS0_18rshift_kernel_cudaERNS_18TensorIteratorBaseEENKUlvE_clEvENKUlvE_clEvEUlhhE_EESt5arrayIPcLm2EEEEviT0_T1_
	.p2align	8
	.type	_ZN2at6native29vectorized_elementwise_kernelILi4ENS0_13AUnaryFunctorIhhhZZZNS0_18rshift_kernel_cudaERNS_18TensorIteratorBaseEENKUlvE_clEvENKUlvE_clEvEUlhhE_EESt5arrayIPcLm2EEEEviT0_T1_,@function
_ZN2at6native29vectorized_elementwise_kernelILi4ENS0_13AUnaryFunctorIhhhZZZNS0_18rshift_kernel_cudaERNS_18TensorIteratorBaseEENKUlvE_clEvENKUlvE_clEvEUlhhE_EESt5arrayIPcLm2EEEEviT0_T1_: ; @_ZN2at6native29vectorized_elementwise_kernelILi4ENS0_13AUnaryFunctorIhhhZZZNS0_18rshift_kernel_cudaERNS_18TensorIteratorBaseEENKUlvE_clEvENKUlvE_clEvEUlhhE_EESt5arrayIPcLm2EEEEviT0_T1_
; %bb.0:
	v_mov_b32_e32 v1, 0
	global_load_ushort v1, v1, s[4:5] offset:4
	s_load_dword s0, s[4:5], 0x0
	s_load_dwordx4 s[56:59], s[4:5], 0x8
	s_lshl_b32 s54, s6, 12
	s_waitcnt lgkmcnt(0)
	s_sub_i32 s33, s0, s54
	s_cmpk_gt_i32 s33, 0xfff
	s_mov_b64 s[0:1], -1
	s_waitcnt vmcnt(0)
	v_readfirstlane_b32 s36, v1
	s_cbranch_scc0 .LBB122_2
; %bb.1:
	s_and_b32 s0, 0xffff, s36
	s_lshr_b32 s26, s0, 8
	s_ashr_i32 s27, s54, 31
	s_add_u32 s0, s58, s54
	s_addc_u32 s1, s59, s27
	v_lshlrev_b32_e32 v1, 2, v0
	global_load_dword v2, v1, s[0:1]
	global_load_dword v3, v1, s[0:1] offset:1024
	global_load_dword v4, v1, s[0:1] offset:2048
	;; [unrolled: 1-line block ×3, first 2 shown]
	s_movk_i32 s22, 0xff
	v_mov_b32_e32 v6, 8
	s_brev_b32 s28, 16
	s_waitcnt vmcnt(3)
	v_and_b32_sdwa v10, v2, s22 dst_sel:DWORD dst_unused:UNUSED_PAD src0_sel:WORD_1 src1_sel:DWORD
	s_waitcnt vmcnt(2)
	v_lshrrev_b32_e32 v13, 8, v3
	v_lshrrev_b16_sdwa v7, v2, s26 dst_sel:DWORD dst_unused:UNUSED_PAD src0_sel:BYTE_0 src1_sel:DWORD
	v_cmp_lt_u16_sdwa vcc, v2, v6 src0_sel:BYTE_0 src1_sel:DWORD
	v_lshrrev_b32_e32 v8, 8, v2
	v_and_b32_sdwa v15, v3, s22 dst_sel:DWORD dst_unused:UNUSED_PAD src0_sel:WORD_1 src1_sel:DWORD
	s_waitcnt vmcnt(1)
	v_lshrrev_b32_e32 v18, 8, v4
	v_cmp_lt_u16_sdwa s[10:11], v13, v6 src0_sel:BYTE_0 src1_sel:DWORD
	s_waitcnt vmcnt(0)
	v_lshrrev_b32_e32 v13, 8, v5
	v_cmp_gt_u16_e64 s[20:21], 8, v10
	v_and_b32_sdwa v10, v5, s22 dst_sel:DWORD dst_unused:UNUSED_PAD src0_sel:WORD_1 src1_sel:DWORD
	v_lshrrev_b16_sdwa v9, v2, s26 dst_sel:DWORD dst_unused:UNUSED_PAD src0_sel:BYTE_1 src1_sel:DWORD
	v_lshrrev_b16_sdwa v12, v2, s26 dst_sel:DWORD dst_unused:UNUSED_PAD src0_sel:BYTE_3 src1_sel:DWORD
	v_cmp_gt_u32_e64 s[0:1], s28, v2
	v_cmp_lt_u16_sdwa s[2:3], v3, v6 src0_sel:BYTE_0 src1_sel:DWORD
	v_cmp_lt_u16_sdwa s[6:7], v4, v6 src0_sel:BYTE_0 src1_sel:DWORD
	v_lshrrev_b16_sdwa v19, v4, s26 dst_sel:DWORD dst_unused:UNUSED_PAD src0_sel:BYTE_1 src1_sel:DWORD
	v_cmp_lt_u16_sdwa s[8:9], v8, v6 src0_sel:BYTE_0 src1_sel:DWORD
	v_and_b32_sdwa v8, v4, s22 dst_sel:DWORD dst_unused:UNUSED_PAD src0_sel:WORD_1 src1_sel:DWORD
	v_cmp_lt_u16_sdwa s[12:13], v18, v6 src0_sel:BYTE_0 src1_sel:DWORD
	v_cmp_lt_u16_sdwa s[14:15], v13, v6 src0_sel:BYTE_0 src1_sel:DWORD
	;; [unrolled: 1-line block ×3, first 2 shown]
	v_lshrrev_b16_sdwa v6, v4, s26 dst_sel:DWORD dst_unused:UNUSED_PAD src0_sel:BYTE_3 src1_sel:DWORD
	v_cmp_gt_u32_e64 s[18:19], s28, v4
	v_cmp_gt_u16_e64 s[22:23], 8, v15
	v_lshrrev_b16_sdwa v15, v5, s26 dst_sel:DWORD dst_unused:UNUSED_PAD src0_sel:BYTE_2 src1_sel:DWORD
	v_cndmask_b32_e32 v7, 0, v7, vcc
	v_cmp_gt_u16_e32 vcc, 8, v10
	v_lshrrev_b16_sdwa v11, v2, s26 dst_sel:DWORD dst_unused:UNUSED_PAD src0_sel:BYTE_2 src1_sel:DWORD
	v_lshrrev_b16_sdwa v2, v3, s26 dst_sel:DWORD dst_unused:UNUSED_PAD src0_sel:BYTE_0 src1_sel:DWORD
	v_lshrrev_b16_sdwa v14, v3, s26 dst_sel:DWORD dst_unused:UNUSED_PAD src0_sel:BYTE_1 src1_sel:DWORD
	v_lshrrev_b16_sdwa v16, v3, s26 dst_sel:DWORD dst_unused:UNUSED_PAD src0_sel:BYTE_2 src1_sel:DWORD
	v_lshrrev_b16_sdwa v17, v3, s26 dst_sel:DWORD dst_unused:UNUSED_PAD src0_sel:BYTE_3 src1_sel:DWORD
	v_cmp_gt_u32_e64 s[4:5], s28, v3
	v_lshrrev_b16_sdwa v3, v4, s26 dst_sel:DWORD dst_unused:UNUSED_PAD src0_sel:BYTE_0 src1_sel:DWORD
	v_lshrrev_b16_sdwa v18, v5, s26 dst_sel:DWORD dst_unused:UNUSED_PAD src0_sel:BYTE_1 src1_sel:DWORD
	v_lshrrev_b16_sdwa v4, v4, s26 dst_sel:DWORD dst_unused:UNUSED_PAD src0_sel:BYTE_2 src1_sel:DWORD
	v_cmp_gt_u16_e64 s[24:25], 8, v8
	v_lshrrev_b16_sdwa v8, v5, s26 dst_sel:DWORD dst_unused:UNUSED_PAD src0_sel:BYTE_3 src1_sel:DWORD
	v_cndmask_b32_e64 v9, 0, v9, s[8:9]
	v_cndmask_b32_e64 v12, 0, v12, s[0:1]
	;; [unrolled: 1-line block ×4, first 2 shown]
	v_cndmask_b32_e32 v10, 0, v15, vcc
	v_cmp_gt_u32_e32 vcc, s28, v5
	v_lshrrev_b16_sdwa v13, v5, s26 dst_sel:DWORD dst_unused:UNUSED_PAD src0_sel:BYTE_0 src1_sel:DWORD
	v_cndmask_b32_e64 v11, 0, v11, s[20:21]
	v_cndmask_b32_e64 v14, 0, v14, s[10:11]
	;; [unrolled: 1-line block ×6, first 2 shown]
	v_cndmask_b32_e32 v5, 0, v8, vcc
	v_lshlrev_b16_e32 v15, 8, v19
	v_lshlrev_b16_e32 v6, 8, v6
	;; [unrolled: 1-line block ×4, first 2 shown]
	v_cndmask_b32_e64 v2, 0, v2, s[2:3]
	v_cndmask_b32_e64 v16, 0, v16, s[22:23]
	;; [unrolled: 1-line block ×3, first 2 shown]
	v_lshlrev_b16_e32 v8, 8, v18
	v_lshlrev_b16_e32 v5, 8, v5
	;; [unrolled: 1-line block ×4, first 2 shown]
	v_or_b32_e32 v3, v3, v15
	v_or_b32_sdwa v4, v4, v6 dst_sel:WORD_1 dst_unused:UNUSED_PAD src0_sel:DWORD src1_sel:DWORD
	v_or_b32_e32 v7, v7, v9
	v_or_b32_sdwa v9, v11, v12 dst_sel:WORD_1 dst_unused:UNUSED_PAD src0_sel:DWORD src1_sel:DWORD
	s_add_u32 s0, s56, s54
	v_or_b32_e32 v8, v13, v8
	v_or_b32_sdwa v5, v10, v5 dst_sel:WORD_1 dst_unused:UNUSED_PAD src0_sel:DWORD src1_sel:DWORD
	v_or_b32_e32 v2, v2, v14
	v_or_b32_sdwa v6, v16, v17 dst_sel:WORD_1 dst_unused:UNUSED_PAD src0_sel:DWORD src1_sel:DWORD
	v_or_b32_sdwa v3, v3, v4 dst_sel:DWORD dst_unused:UNUSED_PAD src0_sel:WORD_0 src1_sel:DWORD
	v_or_b32_sdwa v4, v7, v9 dst_sel:DWORD dst_unused:UNUSED_PAD src0_sel:WORD_0 src1_sel:DWORD
	s_addc_u32 s1, s57, s27
	v_or_b32_sdwa v5, v8, v5 dst_sel:DWORD dst_unused:UNUSED_PAD src0_sel:WORD_0 src1_sel:DWORD
	v_or_b32_sdwa v2, v2, v6 dst_sel:DWORD dst_unused:UNUSED_PAD src0_sel:WORD_0 src1_sel:DWORD
	global_store_dword v1, v4, s[0:1]
	global_store_dword v1, v2, s[0:1] offset:1024
	global_store_dword v1, v3, s[0:1] offset:2048
	;; [unrolled: 1-line block ×3, first 2 shown]
	s_mov_b64 s[0:1], 0
.LBB122_2:
	s_andn2_b64 vcc, exec, s[0:1]
	s_cbranch_vccnz .LBB122_52
; %bb.3:
	v_cmp_gt_i32_e32 vcc, s33, v0
	v_or_b32_e32 v8, 0x100, v0
	v_mov_b32_e32 v20, 0
	v_or_b32_e32 v3, s54, v0
	v_mov_b32_e32 v19, 0
	v_mov_b32_e32 v18, 0
	;; [unrolled: 1-line block ×15, first 2 shown]
	s_and_saveexec_b64 s[2:3], vcc
	s_cbranch_execz .LBB122_35
; %bb.4:
	global_load_ubyte v16, v3, s[58:59]
	v_cmp_gt_u32_e64 s[0:1], s33, v8
	v_mov_b32_e32 v15, 0
	v_mov_b32_e32 v14, 0
	;; [unrolled: 1-line block ×15, first 2 shown]
	s_and_saveexec_b64 s[4:5], s[0:1]
	s_cbranch_execz .LBB122_34
; %bb.5:
	v_add_u32_e32 v1, s54, v0
	global_load_ubyte v15, v1, s[58:59] offset:256
	v_or_b32_e32 v2, 0x200, v0
	v_mov_b32_e32 v14, 0
	v_cmp_gt_u32_e64 s[0:1], s33, v2
	v_mov_b32_e32 v13, 0
	v_mov_b32_e32 v4, 0
	;; [unrolled: 1-line block ×13, first 2 shown]
	s_and_saveexec_b64 s[6:7], s[0:1]
	s_cbranch_execz .LBB122_33
; %bb.6:
	v_mov_b32_e32 v2, s59
	v_add_co_u32_e64 v1, s[0:1], s58, v1
	v_addc_co_u32_e64 v2, s[0:1], 0, v2, s[0:1]
	global_load_ubyte v14, v[1:2], off offset:512
	v_or_b32_e32 v4, 0x300, v0
	v_cmp_gt_u32_e64 s[0:1], s33, v4
	v_mov_b32_e32 v13, 0
	v_mov_b32_e32 v4, 0
	;; [unrolled: 1-line block ×13, first 2 shown]
	s_and_saveexec_b64 s[8:9], s[0:1]
	s_cbranch_execz .LBB122_32
; %bb.7:
	global_load_ubyte v13, v[1:2], off offset:768
	v_or_b32_e32 v4, 0x400, v0
	v_cmp_gt_u32_e64 s[0:1], s33, v4
	v_mov_b32_e32 v4, 0
	v_mov_b32_e32 v5, 0
	;; [unrolled: 1-line block ×12, first 2 shown]
	s_and_saveexec_b64 s[10:11], s[0:1]
	s_cbranch_execz .LBB122_31
; %bb.8:
	global_load_ubyte v4, v[1:2], off offset:1024
	v_or_b32_e32 v5, 0x500, v0
	v_cmp_gt_u32_e64 s[0:1], s33, v5
	v_mov_b32_e32 v5, 0
	v_mov_b32_e32 v6, 0
	;; [unrolled: 1-line block ×11, first 2 shown]
	s_and_saveexec_b64 s[12:13], s[0:1]
	s_cbranch_execz .LBB122_30
; %bb.9:
	global_load_ubyte v5, v[1:2], off offset:1280
	v_or_b32_e32 v6, 0x600, v0
	v_cmp_gt_u32_e64 s[0:1], s33, v6
	v_mov_b32_e32 v6, 0
	v_mov_b32_e32 v7, 0
	;; [unrolled: 1-line block ×10, first 2 shown]
	s_and_saveexec_b64 s[14:15], s[0:1]
	s_cbranch_execz .LBB122_29
; %bb.10:
	global_load_ubyte v6, v[1:2], off offset:1536
	v_or_b32_e32 v7, 0x700, v0
	v_cmp_gt_u32_e64 s[0:1], s33, v7
	v_mov_b32_e32 v7, 0
	v_mov_b32_e32 v9, 0
	;; [unrolled: 1-line block ×9, first 2 shown]
	s_and_saveexec_b64 s[16:17], s[0:1]
	s_cbranch_execz .LBB122_28
; %bb.11:
	global_load_ubyte v7, v[1:2], off offset:1792
	v_or_b32_e32 v9, 0x800, v0
	v_cmp_gt_u32_e64 s[0:1], s33, v9
	v_mov_b32_e32 v9, 0
	v_mov_b32_e32 v10, 0
	;; [unrolled: 1-line block ×8, first 2 shown]
	s_and_saveexec_b64 s[18:19], s[0:1]
	s_cbranch_execz .LBB122_27
; %bb.12:
	global_load_ubyte v9, v[1:2], off offset:2048
	v_or_b32_e32 v10, 0x900, v0
	v_cmp_gt_u32_e64 s[0:1], s33, v10
	v_mov_b32_e32 v10, 0
	v_mov_b32_e32 v11, 0
	v_mov_b32_e32 v12, 0
	v_mov_b32_e32 v17, 0
	v_mov_b32_e32 v18, 0
	v_mov_b32_e32 v19, 0
	v_mov_b32_e32 v20, 0
	s_and_saveexec_b64 s[20:21], s[0:1]
	s_cbranch_execz .LBB122_26
; %bb.13:
	global_load_ubyte v10, v[1:2], off offset:2304
	v_or_b32_e32 v11, 0xa00, v0
	v_cmp_gt_u32_e64 s[0:1], s33, v11
	v_mov_b32_e32 v11, 0
	v_mov_b32_e32 v12, 0
	;; [unrolled: 1-line block ×6, first 2 shown]
	s_and_saveexec_b64 s[22:23], s[0:1]
	s_cbranch_execz .LBB122_25
; %bb.14:
	global_load_ubyte v11, v[1:2], off offset:2560
	v_or_b32_e32 v12, 0xb00, v0
	v_cmp_gt_u32_e64 s[0:1], s33, v12
	v_mov_b32_e32 v12, 0
	v_mov_b32_e32 v17, 0
	;; [unrolled: 1-line block ×5, first 2 shown]
	s_and_saveexec_b64 s[24:25], s[0:1]
	s_cbranch_execz .LBB122_24
; %bb.15:
	global_load_ubyte v12, v[1:2], off offset:2816
	v_or_b32_e32 v17, 0xc00, v0
	v_cmp_gt_u32_e64 s[0:1], s33, v17
	v_mov_b32_e32 v17, 0
	v_mov_b32_e32 v18, 0
	;; [unrolled: 1-line block ×4, first 2 shown]
	s_and_saveexec_b64 s[26:27], s[0:1]
	s_cbranch_execz .LBB122_23
; %bb.16:
	global_load_ubyte v17, v[1:2], off offset:3072
	v_or_b32_e32 v18, 0xd00, v0
	v_cmp_gt_u32_e64 s[0:1], s33, v18
	v_mov_b32_e32 v18, 0
	v_mov_b32_e32 v19, 0
	;; [unrolled: 1-line block ×3, first 2 shown]
	s_and_saveexec_b64 s[28:29], s[0:1]
	s_cbranch_execz .LBB122_22
; %bb.17:
	global_load_ubyte v18, v[1:2], off offset:3328
	v_or_b32_e32 v19, 0xe00, v0
	v_cmp_gt_u32_e64 s[0:1], s33, v19
	v_mov_b32_e32 v19, 0
	v_mov_b32_e32 v20, 0
	s_and_saveexec_b64 s[30:31], s[0:1]
	s_cbranch_execz .LBB122_21
; %bb.18:
	global_load_ubyte v19, v[1:2], off offset:3584
	v_or_b32_e32 v20, 0xf00, v0
	v_cmp_gt_u32_e64 s[0:1], s33, v20
	v_mov_b32_e32 v20, 0
	s_and_saveexec_b64 s[34:35], s[0:1]
	s_cbranch_execz .LBB122_20
; %bb.19:
	global_load_ubyte v20, v[1:2], off offset:3840
.LBB122_20:
	s_or_b64 exec, exec, s[34:35]
.LBB122_21:
	s_or_b64 exec, exec, s[30:31]
.LBB122_22:
	s_or_b64 exec, exec, s[28:29]
.LBB122_23:
	s_or_b64 exec, exec, s[26:27]
.LBB122_24:
	s_or_b64 exec, exec, s[24:25]
.LBB122_25:
	s_or_b64 exec, exec, s[22:23]
.LBB122_26:
	s_or_b64 exec, exec, s[20:21]
.LBB122_27:
	s_or_b64 exec, exec, s[18:19]
.LBB122_28:
	s_or_b64 exec, exec, s[16:17]
.LBB122_29:
	s_or_b64 exec, exec, s[14:15]
.LBB122_30:
	s_or_b64 exec, exec, s[12:13]
.LBB122_31:
	s_or_b64 exec, exec, s[10:11]
.LBB122_32:
	s_or_b64 exec, exec, s[8:9]
.LBB122_33:
	s_or_b64 exec, exec, s[6:7]
.LBB122_34:
	s_or_b64 exec, exec, s[4:5]
.LBB122_35:
	s_or_b64 exec, exec, s[2:3]
	s_and_saveexec_b64 s[0:1], vcc
	s_cbranch_execz .LBB122_52
; %bb.36:
	s_and_b32 s0, 0xffff, s36
	s_lshr_b32 s55, s0, 8
	v_mov_b32_e32 v21, 8
	s_waitcnt vmcnt(0)
	v_lshrrev_b16_sdwa v1, v16, s55 dst_sel:DWORD dst_unused:UNUSED_PAD src0_sel:BYTE_0 src1_sel:DWORD
	v_cmp_lt_u16_sdwa s[0:1], v16, v21 src0_sel:BYTE_0 src1_sel:DWORD
	v_lshrrev_b16_sdwa v2, v15, s55 dst_sel:DWORD dst_unused:UNUSED_PAD src0_sel:BYTE_0 src1_sel:DWORD
	v_cmp_lt_u16_sdwa s[2:3], v15, v21 src0_sel:BYTE_0 src1_sel:DWORD
	v_cndmask_b32_e64 v1, 0, v1, s[0:1]
	v_and_b32_e32 v1, 0xffff, v1
	v_cndmask_b32_e64 v2, 0, v2, s[2:3]
	v_cndmask_b32_e32 v1, 0, v1, vcc
	v_lshlrev_b16_e32 v2, 8, v2
	v_or_b32_sdwa v2, v1, v2 dst_sel:DWORD dst_unused:UNUSED_PAD src0_sel:BYTE_0 src1_sel:DWORD
	v_cmp_gt_i32_e64 s[52:53], s33, v8
	v_lshrrev_b16_sdwa v8, v14, s55 dst_sel:DWORD dst_unused:UNUSED_PAD src0_sel:BYTE_0 src1_sel:DWORD
	v_cmp_lt_u16_sdwa vcc, v14, v21 src0_sel:BYTE_0 src1_sel:DWORD
	v_and_b32_e32 v2, 0xffff, v2
	v_cndmask_b32_e32 v8, 0, v8, vcc
	v_cndmask_b32_e64 v1, v1, v2, s[52:53]
	v_or_b32_e32 v2, 0x200, v0
	v_lshlrev_b32_e32 v8, 16, v8
	v_or_b32_e32 v8, v1, v8
	v_cmp_gt_i32_e64 s[20:21], s33, v2
	v_lshrrev_b16_sdwa v14, v13, s55 dst_sel:DWORD dst_unused:UNUSED_PAD src0_sel:BYTE_0 src1_sel:DWORD
	v_cmp_lt_u16_sdwa vcc, v13, v21 src0_sel:BYTE_0 src1_sel:DWORD
	s_movk_i32 s59, 0xff
	v_cndmask_b32_e64 v1, v1, v8, s[20:21]
	v_cndmask_b32_e32 v13, 0, v14, vcc
	v_and_b32_sdwa v2, v1, s59 dst_sel:DWORD dst_unused:UNUSED_PAD src0_sel:WORD_1 src1_sel:DWORD
	v_lshlrev_b16_e32 v13, 8, v13
	s_mov_b32 s58, 0xffff
	v_or_b32_e32 v8, 0x300, v0
	v_or_b32_sdwa v2, v2, v13 dst_sel:WORD_1 dst_unused:UNUSED_PAD src0_sel:DWORD src1_sel:DWORD
	v_and_or_b32 v2, v1, s58, v2
	v_cmp_gt_i32_e64 s[18:19], s33, v8
	v_cndmask_b32_e64 v14, v1, v2, s[18:19]
	v_or_b32_e32 v1, 0x500, v0
	v_cmp_gt_i32_e64 s[16:17], s33, v1
	v_or_b32_e32 v1, 0x600, v0
	v_cmp_gt_i32_e64 s[14:15], s33, v1
	;; [unrolled: 2-line block ×7, first 2 shown]
	v_or_b32_e32 v1, 0xe00, v0
	v_or_b32_e32 v13, 0x400, v0
	;; [unrolled: 1-line block ×4, first 2 shown]
	v_cmp_gt_i32_e64 s[2:3], s33, v1
	v_or_b32_e32 v1, 0xf00, v0
	v_cmp_lt_u16_sdwa s[48:49], v4, v21 src0_sel:BYTE_0 src1_sel:DWORD
	v_cmp_gt_i32_e32 vcc, s33, v13
	v_cmp_lt_u16_sdwa s[50:51], v5, v21 src0_sel:BYTE_0 src1_sel:DWORD
	v_cmp_lt_u16_sdwa s[46:47], v6, v21 src0_sel:BYTE_0 src1_sel:DWORD
	;; [unrolled: 1-line block ×3, first 2 shown]
	v_cmp_gt_i32_e64 s[38:39], s33, v8
	v_cmp_lt_u16_sdwa s[42:43], v9, v21 src0_sel:BYTE_0 src1_sel:DWORD
	v_cmp_lt_u16_sdwa s[40:41], v10, v21 src0_sel:BYTE_0 src1_sel:DWORD
	;; [unrolled: 1-line block ×4, first 2 shown]
	v_cmp_gt_i32_e64 s[26:27], s33, v2
	v_cmp_lt_u16_sdwa s[30:31], v17, v21 src0_sel:BYTE_0 src1_sel:DWORD
	v_cmp_lt_u16_sdwa s[28:29], v18, v21 src0_sel:BYTE_0 src1_sel:DWORD
	;; [unrolled: 1-line block ×3, first 2 shown]
	v_cmp_gt_i32_e64 s[0:1], s33, v1
	v_cmp_lt_u16_sdwa s[24:25], v20, v21 src0_sel:BYTE_0 src1_sel:DWORD
	global_store_byte v3, v14, s[56:57]
	s_and_b64 exec, exec, s[52:53]
	s_cbranch_execz .LBB122_52
; %bb.37:
	v_lshrrev_b16_sdwa v1, v4, s55 dst_sel:DWORD dst_unused:UNUSED_PAD src0_sel:BYTE_0 src1_sel:DWORD
	v_lshrrev_b16_sdwa v4, v5, s55 dst_sel:DWORD dst_unused:UNUSED_PAD src0_sel:BYTE_0 src1_sel:DWORD
	v_cndmask_b32_e64 v1, 0, v1, s[48:49]
	v_mov_b32_e32 v3, 0
	v_cndmask_b32_e64 v4, 0, v4, s[50:51]
	v_cndmask_b32_sdwa v1, v3, v1, vcc dst_sel:DWORD dst_unused:UNUSED_PAD src0_sel:DWORD src1_sel:WORD_0
	v_lshlrev_b16_e32 v4, 8, v4
	v_or_b32_sdwa v4, v1, v4 dst_sel:DWORD dst_unused:UNUSED_PAD src0_sel:BYTE_0 src1_sel:DWORD
	v_and_b32_e32 v4, 0xffff, v4
	s_movk_i32 s52, 0xff00
	v_cndmask_b32_e64 v1, v1, v4, s[16:17]
	v_lshrrev_b16_sdwa v5, v6, s55 dst_sel:DWORD dst_unused:UNUSED_PAD src0_sel:BYTE_0 src1_sel:DWORD
	v_and_b32_sdwa v4, v1, s52 dst_sel:DWORD dst_unused:UNUSED_PAD src0_sel:WORD_1 src1_sel:DWORD
	v_cndmask_b32_e64 v5, 0, v5, s[46:47]
	v_or_b32_sdwa v4, v5, v4 dst_sel:WORD_1 dst_unused:UNUSED_PAD src0_sel:DWORD src1_sel:DWORD
	v_and_or_b32 v4, v1, s58, v4
	v_lshrrev_b16_sdwa v5, v7, s55 dst_sel:DWORD dst_unused:UNUSED_PAD src0_sel:BYTE_0 src1_sel:DWORD
	v_cndmask_b32_e64 v1, v1, v4, s[14:15]
	v_cndmask_b32_e64 v5, 0, v5, s[44:45]
	v_and_b32_sdwa v4, v1, s59 dst_sel:DWORD dst_unused:UNUSED_PAD src0_sel:WORD_1 src1_sel:DWORD
	v_lshlrev_b16_e32 v5, 8, v5
	v_or_b32_sdwa v4, v4, v5 dst_sel:WORD_1 dst_unused:UNUSED_PAD src0_sel:DWORD src1_sel:DWORD
	v_and_or_b32 v4, v1, s58, v4
	v_cndmask_b32_e64 v5, v1, v4, s[12:13]
	v_lshrrev_b16_sdwa v1, v9, s55 dst_sel:DWORD dst_unused:UNUSED_PAD src0_sel:BYTE_0 src1_sel:DWORD
	v_cndmask_b32_e64 v1, 0, v1, s[42:43]
	v_lshrrev_b16_sdwa v4, v10, s55 dst_sel:DWORD dst_unused:UNUSED_PAD src0_sel:BYTE_0 src1_sel:DWORD
	v_and_b32_e32 v1, 0xffff, v1
	v_cndmask_b32_e64 v4, 0, v4, s[40:41]
	v_cndmask_b32_e64 v1, 0, v1, s[38:39]
	v_lshlrev_b16_e32 v4, 8, v4
	v_or_b32_sdwa v4, v1, v4 dst_sel:DWORD dst_unused:UNUSED_PAD src0_sel:BYTE_0 src1_sel:DWORD
	v_and_b32_e32 v4, 0xffff, v4
	v_cndmask_b32_e64 v1, v1, v4, s[10:11]
	v_lshrrev_b16_sdwa v4, v11, s55 dst_sel:DWORD dst_unused:UNUSED_PAD src0_sel:BYTE_0 src1_sel:DWORD
	v_cndmask_b32_e64 v4, 0, v4, s[36:37]
	v_lshlrev_b32_e32 v4, 16, v4
	v_or_b32_e32 v4, v1, v4
	v_lshrrev_b16_sdwa v6, v12, s55 dst_sel:DWORD dst_unused:UNUSED_PAD src0_sel:BYTE_0 src1_sel:DWORD
	v_cndmask_b32_e64 v1, v1, v4, s[8:9]
	v_cndmask_b32_e64 v6, 0, v6, s[34:35]
	v_and_b32_sdwa v4, v1, s59 dst_sel:DWORD dst_unused:UNUSED_PAD src0_sel:WORD_1 src1_sel:DWORD
	v_lshlrev_b16_e32 v6, 8, v6
	v_or_b32_sdwa v4, v4, v6 dst_sel:WORD_1 dst_unused:UNUSED_PAD src0_sel:DWORD src1_sel:DWORD
	v_and_or_b32 v4, v1, s58, v4
	v_cndmask_b32_e64 v4, v1, v4, s[6:7]
	v_lshrrev_b16_sdwa v1, v17, s55 dst_sel:DWORD dst_unused:UNUSED_PAD src0_sel:BYTE_0 src1_sel:DWORD
	v_cndmask_b32_e64 v1, 0, v1, s[30:31]
	v_lshrrev_b16_sdwa v6, v18, s55 dst_sel:DWORD dst_unused:UNUSED_PAD src0_sel:BYTE_0 src1_sel:DWORD
	v_and_b32_e32 v1, 0xffff, v1
	v_cndmask_b32_e64 v6, 0, v6, s[28:29]
	v_cndmask_b32_e64 v1, 0, v1, s[26:27]
	v_lshlrev_b16_e32 v6, 8, v6
	v_or_b32_sdwa v6, v1, v6 dst_sel:DWORD dst_unused:UNUSED_PAD src0_sel:BYTE_0 src1_sel:DWORD
	v_and_b32_e32 v6, 0xffff, v6
	v_cndmask_b32_e64 v1, v1, v6, s[4:5]
	v_lshrrev_b16_sdwa v7, v19, s55 dst_sel:DWORD dst_unused:UNUSED_PAD src0_sel:BYTE_0 src1_sel:DWORD
	v_and_b32_sdwa v6, v1, s52 dst_sel:DWORD dst_unused:UNUSED_PAD src0_sel:WORD_1 src1_sel:DWORD
	v_cndmask_b32_e64 v7, 0, v7, s[22:23]
	v_or_b32_sdwa v6, v7, v6 dst_sel:WORD_1 dst_unused:UNUSED_PAD src0_sel:DWORD src1_sel:DWORD
	v_and_or_b32 v6, v1, s58, v6
	v_cndmask_b32_e64 v1, v1, v6, s[2:3]
	v_lshrrev_b16_sdwa v7, v20, s55 dst_sel:DWORD dst_unused:UNUSED_PAD src0_sel:BYTE_0 src1_sel:DWORD
	s_mov_b64 vcc, s[24:25]
	v_and_b32_sdwa v6, v1, s59 dst_sel:DWORD dst_unused:UNUSED_PAD src0_sel:WORD_1 src1_sel:DWORD
	v_cndmask_b32_sdwa v3, v3, v7, vcc dst_sel:BYTE_1 dst_unused:UNUSED_PAD src0_sel:DWORD src1_sel:DWORD
	v_or_b32_sdwa v3, v6, v3 dst_sel:WORD_1 dst_unused:UNUSED_PAD src0_sel:DWORD src1_sel:DWORD
	v_and_or_b32 v3, v1, s58, v3
	v_cndmask_b32_e64 v3, v1, v3, s[0:1]
	v_lshrrev_b32_e32 v1, 8, v14
	v_add_u32_e32 v0, s54, v0
	global_store_byte v0, v1, s[56:57] offset:256
	s_and_b64 exec, exec, s[20:21]
	s_cbranch_execz .LBB122_52
; %bb.38:
	v_mov_b32_e32 v1, s57
	v_add_co_u32_e32 v0, vcc, s56, v0
	v_addc_co_u32_e32 v1, vcc, 0, v1, vcc
	global_store_byte_d16_hi v[0:1], v14, off offset:512
	s_and_b64 exec, exec, s[18:19]
	s_cbranch_execz .LBB122_52
; %bb.39:
	v_lshrrev_b32_e32 v6, 24, v14
	v_cmp_gt_u32_e32 vcc, s33, v13
	global_store_byte v[0:1], v6, off offset:768
	s_and_b64 exec, exec, vcc
	s_cbranch_execz .LBB122_52
; %bb.40:
	global_store_byte v[0:1], v5, off offset:1024
	s_and_b64 exec, exec, s[16:17]
	s_cbranch_execz .LBB122_52
; %bb.41:
	v_lshrrev_b32_e32 v6, 8, v5
	global_store_byte v[0:1], v6, off offset:1280
	s_and_b64 exec, exec, s[14:15]
	s_cbranch_execz .LBB122_52
; %bb.42:
	global_store_byte_d16_hi v[0:1], v5, off offset:1536
	s_and_b64 exec, exec, s[12:13]
	s_cbranch_execz .LBB122_52
; %bb.43:
	v_lshrrev_b32_e32 v5, 24, v5
	v_cmp_gt_u32_e32 vcc, s33, v8
	global_store_byte v[0:1], v5, off offset:1792
	s_and_b64 exec, exec, vcc
	s_cbranch_execz .LBB122_52
; %bb.44:
	global_store_byte v[0:1], v4, off offset:2048
	s_and_b64 exec, exec, s[10:11]
	s_cbranch_execz .LBB122_52
; %bb.45:
	v_lshrrev_b32_e32 v5, 8, v4
	global_store_byte v[0:1], v5, off offset:2304
	s_and_b64 exec, exec, s[8:9]
	s_cbranch_execz .LBB122_52
; %bb.46:
	;; [unrolled: 19-line block ×3, first 2 shown]
	global_store_byte_d16_hi v[0:1], v3, off offset:3584
	s_and_b64 exec, exec, s[0:1]
	s_cbranch_execz .LBB122_52
; %bb.51:
	v_lshrrev_b32_e32 v2, 24, v3
	global_store_byte v[0:1], v2, off offset:3840
.LBB122_52:
	s_endpgm
	.section	.rodata,"a",@progbits
	.p2align	6, 0x0
	.amdhsa_kernel _ZN2at6native29vectorized_elementwise_kernelILi4ENS0_13AUnaryFunctorIhhhZZZNS0_18rshift_kernel_cudaERNS_18TensorIteratorBaseEENKUlvE_clEvENKUlvE_clEvEUlhhE_EESt5arrayIPcLm2EEEEviT0_T1_
		.amdhsa_group_segment_fixed_size 0
		.amdhsa_private_segment_fixed_size 0
		.amdhsa_kernarg_size 24
		.amdhsa_user_sgpr_count 6
		.amdhsa_user_sgpr_private_segment_buffer 1
		.amdhsa_user_sgpr_dispatch_ptr 0
		.amdhsa_user_sgpr_queue_ptr 0
		.amdhsa_user_sgpr_kernarg_segment_ptr 1
		.amdhsa_user_sgpr_dispatch_id 0
		.amdhsa_user_sgpr_flat_scratch_init 0
		.amdhsa_user_sgpr_private_segment_size 0
		.amdhsa_uses_dynamic_stack 0
		.amdhsa_system_sgpr_private_segment_wavefront_offset 0
		.amdhsa_system_sgpr_workgroup_id_x 1
		.amdhsa_system_sgpr_workgroup_id_y 0
		.amdhsa_system_sgpr_workgroup_id_z 0
		.amdhsa_system_sgpr_workgroup_info 0
		.amdhsa_system_vgpr_workitem_id 0
		.amdhsa_next_free_vgpr 22
		.amdhsa_next_free_sgpr 60
		.amdhsa_reserve_vcc 1
		.amdhsa_reserve_flat_scratch 0
		.amdhsa_float_round_mode_32 0
		.amdhsa_float_round_mode_16_64 0
		.amdhsa_float_denorm_mode_32 3
		.amdhsa_float_denorm_mode_16_64 3
		.amdhsa_dx10_clamp 1
		.amdhsa_ieee_mode 1
		.amdhsa_fp16_overflow 0
		.amdhsa_exception_fp_ieee_invalid_op 0
		.amdhsa_exception_fp_denorm_src 0
		.amdhsa_exception_fp_ieee_div_zero 0
		.amdhsa_exception_fp_ieee_overflow 0
		.amdhsa_exception_fp_ieee_underflow 0
		.amdhsa_exception_fp_ieee_inexact 0
		.amdhsa_exception_int_div_zero 0
	.end_amdhsa_kernel
	.section	.text._ZN2at6native29vectorized_elementwise_kernelILi4ENS0_13AUnaryFunctorIhhhZZZNS0_18rshift_kernel_cudaERNS_18TensorIteratorBaseEENKUlvE_clEvENKUlvE_clEvEUlhhE_EESt5arrayIPcLm2EEEEviT0_T1_,"axG",@progbits,_ZN2at6native29vectorized_elementwise_kernelILi4ENS0_13AUnaryFunctorIhhhZZZNS0_18rshift_kernel_cudaERNS_18TensorIteratorBaseEENKUlvE_clEvENKUlvE_clEvEUlhhE_EESt5arrayIPcLm2EEEEviT0_T1_,comdat
.Lfunc_end122:
	.size	_ZN2at6native29vectorized_elementwise_kernelILi4ENS0_13AUnaryFunctorIhhhZZZNS0_18rshift_kernel_cudaERNS_18TensorIteratorBaseEENKUlvE_clEvENKUlvE_clEvEUlhhE_EESt5arrayIPcLm2EEEEviT0_T1_, .Lfunc_end122-_ZN2at6native29vectorized_elementwise_kernelILi4ENS0_13AUnaryFunctorIhhhZZZNS0_18rshift_kernel_cudaERNS_18TensorIteratorBaseEENKUlvE_clEvENKUlvE_clEvEUlhhE_EESt5arrayIPcLm2EEEEviT0_T1_
                                        ; -- End function
	.set _ZN2at6native29vectorized_elementwise_kernelILi4ENS0_13AUnaryFunctorIhhhZZZNS0_18rshift_kernel_cudaERNS_18TensorIteratorBaseEENKUlvE_clEvENKUlvE_clEvEUlhhE_EESt5arrayIPcLm2EEEEviT0_T1_.num_vgpr, 22
	.set _ZN2at6native29vectorized_elementwise_kernelILi4ENS0_13AUnaryFunctorIhhhZZZNS0_18rshift_kernel_cudaERNS_18TensorIteratorBaseEENKUlvE_clEvENKUlvE_clEvEUlhhE_EESt5arrayIPcLm2EEEEviT0_T1_.num_agpr, 0
	.set _ZN2at6native29vectorized_elementwise_kernelILi4ENS0_13AUnaryFunctorIhhhZZZNS0_18rshift_kernel_cudaERNS_18TensorIteratorBaseEENKUlvE_clEvENKUlvE_clEvEUlhhE_EESt5arrayIPcLm2EEEEviT0_T1_.numbered_sgpr, 60
	.set _ZN2at6native29vectorized_elementwise_kernelILi4ENS0_13AUnaryFunctorIhhhZZZNS0_18rshift_kernel_cudaERNS_18TensorIteratorBaseEENKUlvE_clEvENKUlvE_clEvEUlhhE_EESt5arrayIPcLm2EEEEviT0_T1_.num_named_barrier, 0
	.set _ZN2at6native29vectorized_elementwise_kernelILi4ENS0_13AUnaryFunctorIhhhZZZNS0_18rshift_kernel_cudaERNS_18TensorIteratorBaseEENKUlvE_clEvENKUlvE_clEvEUlhhE_EESt5arrayIPcLm2EEEEviT0_T1_.private_seg_size, 0
	.set _ZN2at6native29vectorized_elementwise_kernelILi4ENS0_13AUnaryFunctorIhhhZZZNS0_18rshift_kernel_cudaERNS_18TensorIteratorBaseEENKUlvE_clEvENKUlvE_clEvEUlhhE_EESt5arrayIPcLm2EEEEviT0_T1_.uses_vcc, 1
	.set _ZN2at6native29vectorized_elementwise_kernelILi4ENS0_13AUnaryFunctorIhhhZZZNS0_18rshift_kernel_cudaERNS_18TensorIteratorBaseEENKUlvE_clEvENKUlvE_clEvEUlhhE_EESt5arrayIPcLm2EEEEviT0_T1_.uses_flat_scratch, 0
	.set _ZN2at6native29vectorized_elementwise_kernelILi4ENS0_13AUnaryFunctorIhhhZZZNS0_18rshift_kernel_cudaERNS_18TensorIteratorBaseEENKUlvE_clEvENKUlvE_clEvEUlhhE_EESt5arrayIPcLm2EEEEviT0_T1_.has_dyn_sized_stack, 0
	.set _ZN2at6native29vectorized_elementwise_kernelILi4ENS0_13AUnaryFunctorIhhhZZZNS0_18rshift_kernel_cudaERNS_18TensorIteratorBaseEENKUlvE_clEvENKUlvE_clEvEUlhhE_EESt5arrayIPcLm2EEEEviT0_T1_.has_recursion, 0
	.set _ZN2at6native29vectorized_elementwise_kernelILi4ENS0_13AUnaryFunctorIhhhZZZNS0_18rshift_kernel_cudaERNS_18TensorIteratorBaseEENKUlvE_clEvENKUlvE_clEvEUlhhE_EESt5arrayIPcLm2EEEEviT0_T1_.has_indirect_call, 0
	.section	.AMDGPU.csdata,"",@progbits
; Kernel info:
; codeLenInByte = 3228
; TotalNumSgprs: 64
; NumVgprs: 22
; ScratchSize: 0
; MemoryBound: 0
; FloatMode: 240
; IeeeMode: 1
; LDSByteSize: 0 bytes/workgroup (compile time only)
; SGPRBlocks: 7
; VGPRBlocks: 5
; NumSGPRsForWavesPerEU: 64
; NumVGPRsForWavesPerEU: 22
; Occupancy: 10
; WaveLimiterHint : 1
; COMPUTE_PGM_RSRC2:SCRATCH_EN: 0
; COMPUTE_PGM_RSRC2:USER_SGPR: 6
; COMPUTE_PGM_RSRC2:TRAP_HANDLER: 0
; COMPUTE_PGM_RSRC2:TGID_X_EN: 1
; COMPUTE_PGM_RSRC2:TGID_Y_EN: 0
; COMPUTE_PGM_RSRC2:TGID_Z_EN: 0
; COMPUTE_PGM_RSRC2:TIDIG_COMP_CNT: 0
	.section	.text._ZN2at6native29vectorized_elementwise_kernelILi2ENS0_13AUnaryFunctorIhhhZZZNS0_18rshift_kernel_cudaERNS_18TensorIteratorBaseEENKUlvE_clEvENKUlvE_clEvEUlhhE_EESt5arrayIPcLm2EEEEviT0_T1_,"axG",@progbits,_ZN2at6native29vectorized_elementwise_kernelILi2ENS0_13AUnaryFunctorIhhhZZZNS0_18rshift_kernel_cudaERNS_18TensorIteratorBaseEENKUlvE_clEvENKUlvE_clEvEUlhhE_EESt5arrayIPcLm2EEEEviT0_T1_,comdat
	.globl	_ZN2at6native29vectorized_elementwise_kernelILi2ENS0_13AUnaryFunctorIhhhZZZNS0_18rshift_kernel_cudaERNS_18TensorIteratorBaseEENKUlvE_clEvENKUlvE_clEvEUlhhE_EESt5arrayIPcLm2EEEEviT0_T1_ ; -- Begin function _ZN2at6native29vectorized_elementwise_kernelILi2ENS0_13AUnaryFunctorIhhhZZZNS0_18rshift_kernel_cudaERNS_18TensorIteratorBaseEENKUlvE_clEvENKUlvE_clEvEUlhhE_EESt5arrayIPcLm2EEEEviT0_T1_
	.p2align	8
	.type	_ZN2at6native29vectorized_elementwise_kernelILi2ENS0_13AUnaryFunctorIhhhZZZNS0_18rshift_kernel_cudaERNS_18TensorIteratorBaseEENKUlvE_clEvENKUlvE_clEvEUlhhE_EESt5arrayIPcLm2EEEEviT0_T1_,@function
_ZN2at6native29vectorized_elementwise_kernelILi2ENS0_13AUnaryFunctorIhhhZZZNS0_18rshift_kernel_cudaERNS_18TensorIteratorBaseEENKUlvE_clEvENKUlvE_clEvEUlhhE_EESt5arrayIPcLm2EEEEviT0_T1_: ; @_ZN2at6native29vectorized_elementwise_kernelILi2ENS0_13AUnaryFunctorIhhhZZZNS0_18rshift_kernel_cudaERNS_18TensorIteratorBaseEENKUlvE_clEvENKUlvE_clEvEUlhhE_EESt5arrayIPcLm2EEEEviT0_T1_
; %bb.0:
	v_mov_b32_e32 v1, 0
	global_load_ushort v1, v1, s[4:5] offset:4
	s_load_dword s0, s[4:5], 0x0
	s_load_dwordx4 s[56:59], s[4:5], 0x8
	s_lshl_b32 s54, s6, 12
	s_waitcnt lgkmcnt(0)
	s_sub_i32 s33, s0, s54
	s_cmpk_gt_i32 s33, 0xfff
	s_mov_b64 s[0:1], -1
	s_waitcnt vmcnt(0)
	v_readfirstlane_b32 s36, v1
	s_cbranch_scc0 .LBB123_2
; %bb.1:
	s_and_b32 s0, 0xffff, s36
	s_lshr_b32 s28, s0, 8
	s_ashr_i32 s2, s54, 31
	s_add_u32 s0, s58, s54
	s_addc_u32 s1, s59, s2
	v_lshlrev_b32_e32 v1, 1, v0
	global_load_ushort v2, v1, s[0:1]
	global_load_ushort v3, v1, s[0:1] offset:512
	global_load_ushort v4, v1, s[0:1] offset:1024
	;; [unrolled: 1-line block ×7, first 2 shown]
	v_mov_b32_e32 v10, 8
	s_add_u32 s26, s56, s54
	s_addc_u32 s27, s57, s2
	s_waitcnt vmcnt(7)
	v_lshrrev_b16_sdwa v11, v2, s28 dst_sel:DWORD dst_unused:UNUSED_PAD src0_sel:BYTE_0 src1_sel:DWORD
	v_cmp_lt_u16_sdwa vcc, v2, v10 src0_sel:BYTE_0 src1_sel:DWORD
	v_lshrrev_b16_sdwa v12, v2, s28 dst_sel:DWORD dst_unused:UNUSED_PAD src0_sel:BYTE_1 src1_sel:DWORD
	v_cmp_lt_u16_sdwa s[0:1], v2, v10 src0_sel:BYTE_1 src1_sel:DWORD
	s_waitcnt vmcnt(6)
	v_lshrrev_b16_sdwa v2, v3, s28 dst_sel:DWORD dst_unused:UNUSED_PAD src0_sel:BYTE_0 src1_sel:DWORD
	v_cmp_lt_u16_sdwa s[2:3], v3, v10 src0_sel:BYTE_0 src1_sel:DWORD
	v_lshrrev_b16_sdwa v13, v3, s28 dst_sel:DWORD dst_unused:UNUSED_PAD src0_sel:BYTE_1 src1_sel:DWORD
	v_cmp_lt_u16_sdwa s[4:5], v3, v10 src0_sel:BYTE_1 src1_sel:DWORD
	s_waitcnt vmcnt(5)
	v_lshrrev_b16_sdwa v3, v4, s28 dst_sel:DWORD dst_unused:UNUSED_PAD src0_sel:BYTE_0 src1_sel:DWORD
	v_cmp_lt_u16_sdwa s[6:7], v4, v10 src0_sel:BYTE_0 src1_sel:DWORD
	;; [unrolled: 5-line block ×6, first 2 shown]
	v_lshrrev_b16_sdwa v18, v8, s28 dst_sel:DWORD dst_unused:UNUSED_PAD src0_sel:BYTE_1 src1_sel:DWORD
	v_cmp_lt_u16_sdwa s[24:25], v8, v10 src0_sel:BYTE_1 src1_sel:DWORD
	s_waitcnt vmcnt(0)
	v_lshrrev_b16_sdwa v8, v9, s28 dst_sel:DWORD dst_unused:UNUSED_PAD src0_sel:BYTE_0 src1_sel:DWORD
	v_cndmask_b32_e32 v11, 0, v11, vcc
	v_cmp_lt_u16_sdwa vcc, v9, v10 src0_sel:BYTE_0 src1_sel:DWORD
	v_lshrrev_b16_sdwa v19, v9, s28 dst_sel:DWORD dst_unused:UNUSED_PAD src0_sel:BYTE_1 src1_sel:DWORD
	v_cndmask_b32_e32 v8, 0, v8, vcc
	v_cmp_lt_u16_sdwa vcc, v9, v10 src0_sel:BYTE_1 src1_sel:DWORD
	v_cndmask_b32_e64 v12, 0, v12, s[0:1]
	v_cndmask_b32_e32 v9, 0, v19, vcc
	v_cndmask_b32_e64 v13, 0, v13, s[4:5]
	v_cndmask_b32_e64 v14, 0, v14, s[8:9]
	;; [unrolled: 1-line block ×6, first 2 shown]
	v_lshlrev_b16_e32 v9, 8, v9
	v_lshlrev_b16_e32 v12, 8, v12
	v_cndmask_b32_e64 v2, 0, v2, s[2:3]
	v_cndmask_b32_e64 v3, 0, v3, s[6:7]
	;; [unrolled: 1-line block ×6, first 2 shown]
	v_lshlrev_b16_e32 v10, 8, v18
	v_lshlrev_b16_e32 v17, 8, v17
	;; [unrolled: 1-line block ×6, first 2 shown]
	v_or_b32_e32 v8, v8, v9
	v_or_b32_e32 v9, v11, v12
	;; [unrolled: 1-line block ×8, first 2 shown]
	global_store_short v1, v9, s[26:27]
	global_store_short v1, v2, s[26:27] offset:512
	global_store_short v1, v3, s[26:27] offset:1024
	;; [unrolled: 1-line block ×7, first 2 shown]
	s_mov_b64 s[0:1], 0
.LBB123_2:
	s_andn2_b64 vcc, exec, s[0:1]
	s_cbranch_vccnz .LBB123_52
; %bb.3:
	v_cmp_gt_i32_e32 vcc, s33, v0
	v_or_b32_e32 v8, 0x100, v0
	v_mov_b32_e32 v20, 0
	v_or_b32_e32 v3, s54, v0
	v_mov_b32_e32 v19, 0
	v_mov_b32_e32 v18, 0
	;; [unrolled: 1-line block ×15, first 2 shown]
	s_and_saveexec_b64 s[2:3], vcc
	s_cbranch_execz .LBB123_35
; %bb.4:
	global_load_ubyte v16, v3, s[58:59]
	v_cmp_gt_u32_e64 s[0:1], s33, v8
	v_mov_b32_e32 v15, 0
	v_mov_b32_e32 v14, 0
	v_mov_b32_e32 v13, 0
	v_mov_b32_e32 v4, 0
	v_mov_b32_e32 v5, 0
	v_mov_b32_e32 v6, 0
	v_mov_b32_e32 v7, 0
	v_mov_b32_e32 v9, 0
	v_mov_b32_e32 v10, 0
	v_mov_b32_e32 v11, 0
	v_mov_b32_e32 v12, 0
	v_mov_b32_e32 v17, 0
	v_mov_b32_e32 v18, 0
	v_mov_b32_e32 v19, 0
	v_mov_b32_e32 v20, 0
	s_and_saveexec_b64 s[4:5], s[0:1]
	s_cbranch_execz .LBB123_34
; %bb.5:
	v_add_u32_e32 v1, s54, v0
	global_load_ubyte v15, v1, s[58:59] offset:256
	v_or_b32_e32 v2, 0x200, v0
	v_mov_b32_e32 v14, 0
	v_cmp_gt_u32_e64 s[0:1], s33, v2
	v_mov_b32_e32 v13, 0
	v_mov_b32_e32 v4, 0
	;; [unrolled: 1-line block ×13, first 2 shown]
	s_and_saveexec_b64 s[6:7], s[0:1]
	s_cbranch_execz .LBB123_33
; %bb.6:
	v_mov_b32_e32 v2, s59
	v_add_co_u32_e64 v1, s[0:1], s58, v1
	v_addc_co_u32_e64 v2, s[0:1], 0, v2, s[0:1]
	global_load_ubyte v14, v[1:2], off offset:512
	v_or_b32_e32 v4, 0x300, v0
	v_cmp_gt_u32_e64 s[0:1], s33, v4
	v_mov_b32_e32 v13, 0
	v_mov_b32_e32 v4, 0
	;; [unrolled: 1-line block ×13, first 2 shown]
	s_and_saveexec_b64 s[8:9], s[0:1]
	s_cbranch_execz .LBB123_32
; %bb.7:
	global_load_ubyte v13, v[1:2], off offset:768
	v_or_b32_e32 v4, 0x400, v0
	v_cmp_gt_u32_e64 s[0:1], s33, v4
	v_mov_b32_e32 v4, 0
	v_mov_b32_e32 v5, 0
	;; [unrolled: 1-line block ×12, first 2 shown]
	s_and_saveexec_b64 s[10:11], s[0:1]
	s_cbranch_execz .LBB123_31
; %bb.8:
	global_load_ubyte v4, v[1:2], off offset:1024
	v_or_b32_e32 v5, 0x500, v0
	v_cmp_gt_u32_e64 s[0:1], s33, v5
	v_mov_b32_e32 v5, 0
	v_mov_b32_e32 v6, 0
	;; [unrolled: 1-line block ×11, first 2 shown]
	s_and_saveexec_b64 s[12:13], s[0:1]
	s_cbranch_execz .LBB123_30
; %bb.9:
	global_load_ubyte v5, v[1:2], off offset:1280
	v_or_b32_e32 v6, 0x600, v0
	v_cmp_gt_u32_e64 s[0:1], s33, v6
	v_mov_b32_e32 v6, 0
	v_mov_b32_e32 v7, 0
	;; [unrolled: 1-line block ×10, first 2 shown]
	s_and_saveexec_b64 s[14:15], s[0:1]
	s_cbranch_execz .LBB123_29
; %bb.10:
	global_load_ubyte v6, v[1:2], off offset:1536
	v_or_b32_e32 v7, 0x700, v0
	v_cmp_gt_u32_e64 s[0:1], s33, v7
	v_mov_b32_e32 v7, 0
	v_mov_b32_e32 v9, 0
	v_mov_b32_e32 v10, 0
	v_mov_b32_e32 v11, 0
	v_mov_b32_e32 v12, 0
	v_mov_b32_e32 v17, 0
	v_mov_b32_e32 v18, 0
	v_mov_b32_e32 v19, 0
	v_mov_b32_e32 v20, 0
	s_and_saveexec_b64 s[16:17], s[0:1]
	s_cbranch_execz .LBB123_28
; %bb.11:
	global_load_ubyte v7, v[1:2], off offset:1792
	v_or_b32_e32 v9, 0x800, v0
	v_cmp_gt_u32_e64 s[0:1], s33, v9
	v_mov_b32_e32 v9, 0
	v_mov_b32_e32 v10, 0
	;; [unrolled: 1-line block ×8, first 2 shown]
	s_and_saveexec_b64 s[18:19], s[0:1]
	s_cbranch_execz .LBB123_27
; %bb.12:
	global_load_ubyte v9, v[1:2], off offset:2048
	v_or_b32_e32 v10, 0x900, v0
	v_cmp_gt_u32_e64 s[0:1], s33, v10
	v_mov_b32_e32 v10, 0
	v_mov_b32_e32 v11, 0
	;; [unrolled: 1-line block ×7, first 2 shown]
	s_and_saveexec_b64 s[20:21], s[0:1]
	s_cbranch_execz .LBB123_26
; %bb.13:
	global_load_ubyte v10, v[1:2], off offset:2304
	v_or_b32_e32 v11, 0xa00, v0
	v_cmp_gt_u32_e64 s[0:1], s33, v11
	v_mov_b32_e32 v11, 0
	v_mov_b32_e32 v12, 0
	;; [unrolled: 1-line block ×6, first 2 shown]
	s_and_saveexec_b64 s[22:23], s[0:1]
	s_cbranch_execz .LBB123_25
; %bb.14:
	global_load_ubyte v11, v[1:2], off offset:2560
	v_or_b32_e32 v12, 0xb00, v0
	v_cmp_gt_u32_e64 s[0:1], s33, v12
	v_mov_b32_e32 v12, 0
	v_mov_b32_e32 v17, 0
	;; [unrolled: 1-line block ×5, first 2 shown]
	s_and_saveexec_b64 s[24:25], s[0:1]
	s_cbranch_execz .LBB123_24
; %bb.15:
	global_load_ubyte v12, v[1:2], off offset:2816
	v_or_b32_e32 v17, 0xc00, v0
	v_cmp_gt_u32_e64 s[0:1], s33, v17
	v_mov_b32_e32 v17, 0
	v_mov_b32_e32 v18, 0
	;; [unrolled: 1-line block ×4, first 2 shown]
	s_and_saveexec_b64 s[26:27], s[0:1]
	s_cbranch_execz .LBB123_23
; %bb.16:
	global_load_ubyte v17, v[1:2], off offset:3072
	v_or_b32_e32 v18, 0xd00, v0
	v_cmp_gt_u32_e64 s[0:1], s33, v18
	v_mov_b32_e32 v18, 0
	v_mov_b32_e32 v19, 0
	;; [unrolled: 1-line block ×3, first 2 shown]
	s_and_saveexec_b64 s[28:29], s[0:1]
	s_cbranch_execz .LBB123_22
; %bb.17:
	global_load_ubyte v18, v[1:2], off offset:3328
	v_or_b32_e32 v19, 0xe00, v0
	v_cmp_gt_u32_e64 s[0:1], s33, v19
	v_mov_b32_e32 v19, 0
	v_mov_b32_e32 v20, 0
	s_and_saveexec_b64 s[30:31], s[0:1]
	s_cbranch_execz .LBB123_21
; %bb.18:
	global_load_ubyte v19, v[1:2], off offset:3584
	v_or_b32_e32 v20, 0xf00, v0
	v_cmp_gt_u32_e64 s[0:1], s33, v20
	v_mov_b32_e32 v20, 0
	s_and_saveexec_b64 s[34:35], s[0:1]
	s_cbranch_execz .LBB123_20
; %bb.19:
	global_load_ubyte v20, v[1:2], off offset:3840
.LBB123_20:
	s_or_b64 exec, exec, s[34:35]
.LBB123_21:
	s_or_b64 exec, exec, s[30:31]
.LBB123_22:
	s_or_b64 exec, exec, s[28:29]
.LBB123_23:
	s_or_b64 exec, exec, s[26:27]
.LBB123_24:
	s_or_b64 exec, exec, s[24:25]
.LBB123_25:
	s_or_b64 exec, exec, s[22:23]
.LBB123_26:
	s_or_b64 exec, exec, s[20:21]
.LBB123_27:
	s_or_b64 exec, exec, s[18:19]
.LBB123_28:
	s_or_b64 exec, exec, s[16:17]
.LBB123_29:
	s_or_b64 exec, exec, s[14:15]
.LBB123_30:
	s_or_b64 exec, exec, s[12:13]
.LBB123_31:
	s_or_b64 exec, exec, s[10:11]
.LBB123_32:
	s_or_b64 exec, exec, s[8:9]
.LBB123_33:
	s_or_b64 exec, exec, s[6:7]
.LBB123_34:
	s_or_b64 exec, exec, s[4:5]
.LBB123_35:
	s_or_b64 exec, exec, s[2:3]
	s_and_saveexec_b64 s[0:1], vcc
	s_cbranch_execz .LBB123_52
; %bb.36:
	s_and_b32 s0, 0xffff, s36
	s_lshr_b32 s55, s0, 8
	v_mov_b32_e32 v21, 8
	s_waitcnt vmcnt(0)
	v_lshrrev_b16_sdwa v1, v16, s55 dst_sel:DWORD dst_unused:UNUSED_PAD src0_sel:BYTE_0 src1_sel:DWORD
	v_cmp_lt_u16_sdwa s[0:1], v16, v21 src0_sel:BYTE_0 src1_sel:DWORD
	v_lshrrev_b16_sdwa v2, v15, s55 dst_sel:DWORD dst_unused:UNUSED_PAD src0_sel:BYTE_0 src1_sel:DWORD
	v_cmp_lt_u16_sdwa s[2:3], v15, v21 src0_sel:BYTE_0 src1_sel:DWORD
	v_cndmask_b32_e64 v1, 0, v1, s[0:1]
	v_and_b32_e32 v1, 0xffff, v1
	v_cndmask_b32_e64 v2, 0, v2, s[2:3]
	v_cndmask_b32_e32 v1, 0, v1, vcc
	v_lshlrev_b16_e32 v2, 8, v2
	v_or_b32_sdwa v2, v1, v2 dst_sel:DWORD dst_unused:UNUSED_PAD src0_sel:BYTE_0 src1_sel:DWORD
	v_cmp_gt_i32_e64 s[52:53], s33, v8
	v_lshrrev_b16_sdwa v8, v14, s55 dst_sel:DWORD dst_unused:UNUSED_PAD src0_sel:BYTE_0 src1_sel:DWORD
	v_cmp_lt_u16_sdwa vcc, v14, v21 src0_sel:BYTE_0 src1_sel:DWORD
	v_and_b32_e32 v2, 0xffff, v2
	v_cndmask_b32_e32 v8, 0, v8, vcc
	v_cndmask_b32_e64 v1, v1, v2, s[52:53]
	v_or_b32_e32 v2, 0x200, v0
	v_lshlrev_b32_e32 v8, 16, v8
	v_or_b32_e32 v8, v1, v8
	v_cmp_gt_i32_e64 s[20:21], s33, v2
	v_lshrrev_b16_sdwa v14, v13, s55 dst_sel:DWORD dst_unused:UNUSED_PAD src0_sel:BYTE_0 src1_sel:DWORD
	v_cmp_lt_u16_sdwa vcc, v13, v21 src0_sel:BYTE_0 src1_sel:DWORD
	s_movk_i32 s59, 0xff
	v_cndmask_b32_e64 v1, v1, v8, s[20:21]
	v_cndmask_b32_e32 v13, 0, v14, vcc
	v_and_b32_sdwa v2, v1, s59 dst_sel:DWORD dst_unused:UNUSED_PAD src0_sel:WORD_1 src1_sel:DWORD
	v_lshlrev_b16_e32 v13, 8, v13
	s_mov_b32 s58, 0xffff
	v_or_b32_e32 v8, 0x300, v0
	v_or_b32_sdwa v2, v2, v13 dst_sel:WORD_1 dst_unused:UNUSED_PAD src0_sel:DWORD src1_sel:DWORD
	v_and_or_b32 v2, v1, s58, v2
	v_cmp_gt_i32_e64 s[18:19], s33, v8
	v_cndmask_b32_e64 v14, v1, v2, s[18:19]
	v_or_b32_e32 v1, 0x500, v0
	v_cmp_gt_i32_e64 s[16:17], s33, v1
	v_or_b32_e32 v1, 0x600, v0
	v_cmp_gt_i32_e64 s[14:15], s33, v1
	;; [unrolled: 2-line block ×7, first 2 shown]
	v_or_b32_e32 v1, 0xe00, v0
	v_or_b32_e32 v13, 0x400, v0
	;; [unrolled: 1-line block ×4, first 2 shown]
	v_cmp_gt_i32_e64 s[2:3], s33, v1
	v_or_b32_e32 v1, 0xf00, v0
	v_cmp_lt_u16_sdwa s[48:49], v4, v21 src0_sel:BYTE_0 src1_sel:DWORD
	v_cmp_gt_i32_e32 vcc, s33, v13
	v_cmp_lt_u16_sdwa s[50:51], v5, v21 src0_sel:BYTE_0 src1_sel:DWORD
	v_cmp_lt_u16_sdwa s[46:47], v6, v21 src0_sel:BYTE_0 src1_sel:DWORD
	;; [unrolled: 1-line block ×3, first 2 shown]
	v_cmp_gt_i32_e64 s[38:39], s33, v8
	v_cmp_lt_u16_sdwa s[42:43], v9, v21 src0_sel:BYTE_0 src1_sel:DWORD
	v_cmp_lt_u16_sdwa s[40:41], v10, v21 src0_sel:BYTE_0 src1_sel:DWORD
	v_cmp_lt_u16_sdwa s[36:37], v11, v21 src0_sel:BYTE_0 src1_sel:DWORD
	v_cmp_lt_u16_sdwa s[34:35], v12, v21 src0_sel:BYTE_0 src1_sel:DWORD
	v_cmp_gt_i32_e64 s[26:27], s33, v2
	v_cmp_lt_u16_sdwa s[30:31], v17, v21 src0_sel:BYTE_0 src1_sel:DWORD
	v_cmp_lt_u16_sdwa s[28:29], v18, v21 src0_sel:BYTE_0 src1_sel:DWORD
	;; [unrolled: 1-line block ×3, first 2 shown]
	v_cmp_gt_i32_e64 s[0:1], s33, v1
	v_cmp_lt_u16_sdwa s[24:25], v20, v21 src0_sel:BYTE_0 src1_sel:DWORD
	global_store_byte v3, v14, s[56:57]
	s_and_b64 exec, exec, s[52:53]
	s_cbranch_execz .LBB123_52
; %bb.37:
	v_lshrrev_b16_sdwa v1, v4, s55 dst_sel:DWORD dst_unused:UNUSED_PAD src0_sel:BYTE_0 src1_sel:DWORD
	v_lshrrev_b16_sdwa v4, v5, s55 dst_sel:DWORD dst_unused:UNUSED_PAD src0_sel:BYTE_0 src1_sel:DWORD
	v_cndmask_b32_e64 v1, 0, v1, s[48:49]
	v_mov_b32_e32 v3, 0
	v_cndmask_b32_e64 v4, 0, v4, s[50:51]
	v_cndmask_b32_sdwa v1, v3, v1, vcc dst_sel:DWORD dst_unused:UNUSED_PAD src0_sel:DWORD src1_sel:WORD_0
	v_lshlrev_b16_e32 v4, 8, v4
	v_or_b32_sdwa v4, v1, v4 dst_sel:DWORD dst_unused:UNUSED_PAD src0_sel:BYTE_0 src1_sel:DWORD
	v_and_b32_e32 v4, 0xffff, v4
	s_movk_i32 s52, 0xff00
	v_cndmask_b32_e64 v1, v1, v4, s[16:17]
	v_lshrrev_b16_sdwa v5, v6, s55 dst_sel:DWORD dst_unused:UNUSED_PAD src0_sel:BYTE_0 src1_sel:DWORD
	v_and_b32_sdwa v4, v1, s52 dst_sel:DWORD dst_unused:UNUSED_PAD src0_sel:WORD_1 src1_sel:DWORD
	v_cndmask_b32_e64 v5, 0, v5, s[46:47]
	v_or_b32_sdwa v4, v5, v4 dst_sel:WORD_1 dst_unused:UNUSED_PAD src0_sel:DWORD src1_sel:DWORD
	v_and_or_b32 v4, v1, s58, v4
	v_lshrrev_b16_sdwa v5, v7, s55 dst_sel:DWORD dst_unused:UNUSED_PAD src0_sel:BYTE_0 src1_sel:DWORD
	v_cndmask_b32_e64 v1, v1, v4, s[14:15]
	v_cndmask_b32_e64 v5, 0, v5, s[44:45]
	v_and_b32_sdwa v4, v1, s59 dst_sel:DWORD dst_unused:UNUSED_PAD src0_sel:WORD_1 src1_sel:DWORD
	v_lshlrev_b16_e32 v5, 8, v5
	v_or_b32_sdwa v4, v4, v5 dst_sel:WORD_1 dst_unused:UNUSED_PAD src0_sel:DWORD src1_sel:DWORD
	v_and_or_b32 v4, v1, s58, v4
	v_cndmask_b32_e64 v5, v1, v4, s[12:13]
	v_lshrrev_b16_sdwa v1, v9, s55 dst_sel:DWORD dst_unused:UNUSED_PAD src0_sel:BYTE_0 src1_sel:DWORD
	v_cndmask_b32_e64 v1, 0, v1, s[42:43]
	v_lshrrev_b16_sdwa v4, v10, s55 dst_sel:DWORD dst_unused:UNUSED_PAD src0_sel:BYTE_0 src1_sel:DWORD
	v_and_b32_e32 v1, 0xffff, v1
	v_cndmask_b32_e64 v4, 0, v4, s[40:41]
	v_cndmask_b32_e64 v1, 0, v1, s[38:39]
	v_lshlrev_b16_e32 v4, 8, v4
	v_or_b32_sdwa v4, v1, v4 dst_sel:DWORD dst_unused:UNUSED_PAD src0_sel:BYTE_0 src1_sel:DWORD
	v_and_b32_e32 v4, 0xffff, v4
	v_cndmask_b32_e64 v1, v1, v4, s[10:11]
	v_lshrrev_b16_sdwa v4, v11, s55 dst_sel:DWORD dst_unused:UNUSED_PAD src0_sel:BYTE_0 src1_sel:DWORD
	v_cndmask_b32_e64 v4, 0, v4, s[36:37]
	v_lshlrev_b32_e32 v4, 16, v4
	v_or_b32_e32 v4, v1, v4
	v_lshrrev_b16_sdwa v6, v12, s55 dst_sel:DWORD dst_unused:UNUSED_PAD src0_sel:BYTE_0 src1_sel:DWORD
	v_cndmask_b32_e64 v1, v1, v4, s[8:9]
	v_cndmask_b32_e64 v6, 0, v6, s[34:35]
	v_and_b32_sdwa v4, v1, s59 dst_sel:DWORD dst_unused:UNUSED_PAD src0_sel:WORD_1 src1_sel:DWORD
	v_lshlrev_b16_e32 v6, 8, v6
	v_or_b32_sdwa v4, v4, v6 dst_sel:WORD_1 dst_unused:UNUSED_PAD src0_sel:DWORD src1_sel:DWORD
	v_and_or_b32 v4, v1, s58, v4
	v_cndmask_b32_e64 v4, v1, v4, s[6:7]
	v_lshrrev_b16_sdwa v1, v17, s55 dst_sel:DWORD dst_unused:UNUSED_PAD src0_sel:BYTE_0 src1_sel:DWORD
	v_cndmask_b32_e64 v1, 0, v1, s[30:31]
	v_lshrrev_b16_sdwa v6, v18, s55 dst_sel:DWORD dst_unused:UNUSED_PAD src0_sel:BYTE_0 src1_sel:DWORD
	v_and_b32_e32 v1, 0xffff, v1
	v_cndmask_b32_e64 v6, 0, v6, s[28:29]
	v_cndmask_b32_e64 v1, 0, v1, s[26:27]
	v_lshlrev_b16_e32 v6, 8, v6
	v_or_b32_sdwa v6, v1, v6 dst_sel:DWORD dst_unused:UNUSED_PAD src0_sel:BYTE_0 src1_sel:DWORD
	v_and_b32_e32 v6, 0xffff, v6
	v_cndmask_b32_e64 v1, v1, v6, s[4:5]
	v_lshrrev_b16_sdwa v7, v19, s55 dst_sel:DWORD dst_unused:UNUSED_PAD src0_sel:BYTE_0 src1_sel:DWORD
	v_and_b32_sdwa v6, v1, s52 dst_sel:DWORD dst_unused:UNUSED_PAD src0_sel:WORD_1 src1_sel:DWORD
	v_cndmask_b32_e64 v7, 0, v7, s[22:23]
	v_or_b32_sdwa v6, v7, v6 dst_sel:WORD_1 dst_unused:UNUSED_PAD src0_sel:DWORD src1_sel:DWORD
	v_and_or_b32 v6, v1, s58, v6
	v_cndmask_b32_e64 v1, v1, v6, s[2:3]
	v_lshrrev_b16_sdwa v7, v20, s55 dst_sel:DWORD dst_unused:UNUSED_PAD src0_sel:BYTE_0 src1_sel:DWORD
	s_mov_b64 vcc, s[24:25]
	v_and_b32_sdwa v6, v1, s59 dst_sel:DWORD dst_unused:UNUSED_PAD src0_sel:WORD_1 src1_sel:DWORD
	v_cndmask_b32_sdwa v3, v3, v7, vcc dst_sel:BYTE_1 dst_unused:UNUSED_PAD src0_sel:DWORD src1_sel:DWORD
	v_or_b32_sdwa v3, v6, v3 dst_sel:WORD_1 dst_unused:UNUSED_PAD src0_sel:DWORD src1_sel:DWORD
	v_and_or_b32 v3, v1, s58, v3
	v_cndmask_b32_e64 v3, v1, v3, s[0:1]
	v_lshrrev_b32_e32 v1, 8, v14
	v_add_u32_e32 v0, s54, v0
	global_store_byte v0, v1, s[56:57] offset:256
	s_and_b64 exec, exec, s[20:21]
	s_cbranch_execz .LBB123_52
; %bb.38:
	v_mov_b32_e32 v1, s57
	v_add_co_u32_e32 v0, vcc, s56, v0
	v_addc_co_u32_e32 v1, vcc, 0, v1, vcc
	global_store_byte_d16_hi v[0:1], v14, off offset:512
	s_and_b64 exec, exec, s[18:19]
	s_cbranch_execz .LBB123_52
; %bb.39:
	v_lshrrev_b32_e32 v6, 24, v14
	v_cmp_gt_u32_e32 vcc, s33, v13
	global_store_byte v[0:1], v6, off offset:768
	s_and_b64 exec, exec, vcc
	s_cbranch_execz .LBB123_52
; %bb.40:
	global_store_byte v[0:1], v5, off offset:1024
	s_and_b64 exec, exec, s[16:17]
	s_cbranch_execz .LBB123_52
; %bb.41:
	v_lshrrev_b32_e32 v6, 8, v5
	global_store_byte v[0:1], v6, off offset:1280
	s_and_b64 exec, exec, s[14:15]
	s_cbranch_execz .LBB123_52
; %bb.42:
	global_store_byte_d16_hi v[0:1], v5, off offset:1536
	s_and_b64 exec, exec, s[12:13]
	s_cbranch_execz .LBB123_52
; %bb.43:
	v_lshrrev_b32_e32 v5, 24, v5
	v_cmp_gt_u32_e32 vcc, s33, v8
	global_store_byte v[0:1], v5, off offset:1792
	s_and_b64 exec, exec, vcc
	s_cbranch_execz .LBB123_52
; %bb.44:
	global_store_byte v[0:1], v4, off offset:2048
	s_and_b64 exec, exec, s[10:11]
	s_cbranch_execz .LBB123_52
; %bb.45:
	v_lshrrev_b32_e32 v5, 8, v4
	global_store_byte v[0:1], v5, off offset:2304
	s_and_b64 exec, exec, s[8:9]
	s_cbranch_execz .LBB123_52
; %bb.46:
	;; [unrolled: 19-line block ×3, first 2 shown]
	global_store_byte_d16_hi v[0:1], v3, off offset:3584
	s_and_b64 exec, exec, s[0:1]
	s_cbranch_execz .LBB123_52
; %bb.51:
	v_lshrrev_b32_e32 v2, 24, v3
	global_store_byte v[0:1], v2, off offset:3840
.LBB123_52:
	s_endpgm
	.section	.rodata,"a",@progbits
	.p2align	6, 0x0
	.amdhsa_kernel _ZN2at6native29vectorized_elementwise_kernelILi2ENS0_13AUnaryFunctorIhhhZZZNS0_18rshift_kernel_cudaERNS_18TensorIteratorBaseEENKUlvE_clEvENKUlvE_clEvEUlhhE_EESt5arrayIPcLm2EEEEviT0_T1_
		.amdhsa_group_segment_fixed_size 0
		.amdhsa_private_segment_fixed_size 0
		.amdhsa_kernarg_size 24
		.amdhsa_user_sgpr_count 6
		.amdhsa_user_sgpr_private_segment_buffer 1
		.amdhsa_user_sgpr_dispatch_ptr 0
		.amdhsa_user_sgpr_queue_ptr 0
		.amdhsa_user_sgpr_kernarg_segment_ptr 1
		.amdhsa_user_sgpr_dispatch_id 0
		.amdhsa_user_sgpr_flat_scratch_init 0
		.amdhsa_user_sgpr_private_segment_size 0
		.amdhsa_uses_dynamic_stack 0
		.amdhsa_system_sgpr_private_segment_wavefront_offset 0
		.amdhsa_system_sgpr_workgroup_id_x 1
		.amdhsa_system_sgpr_workgroup_id_y 0
		.amdhsa_system_sgpr_workgroup_id_z 0
		.amdhsa_system_sgpr_workgroup_info 0
		.amdhsa_system_vgpr_workitem_id 0
		.amdhsa_next_free_vgpr 22
		.amdhsa_next_free_sgpr 60
		.amdhsa_reserve_vcc 1
		.amdhsa_reserve_flat_scratch 0
		.amdhsa_float_round_mode_32 0
		.amdhsa_float_round_mode_16_64 0
		.amdhsa_float_denorm_mode_32 3
		.amdhsa_float_denorm_mode_16_64 3
		.amdhsa_dx10_clamp 1
		.amdhsa_ieee_mode 1
		.amdhsa_fp16_overflow 0
		.amdhsa_exception_fp_ieee_invalid_op 0
		.amdhsa_exception_fp_denorm_src 0
		.amdhsa_exception_fp_ieee_div_zero 0
		.amdhsa_exception_fp_ieee_overflow 0
		.amdhsa_exception_fp_ieee_underflow 0
		.amdhsa_exception_fp_ieee_inexact 0
		.amdhsa_exception_int_div_zero 0
	.end_amdhsa_kernel
	.section	.text._ZN2at6native29vectorized_elementwise_kernelILi2ENS0_13AUnaryFunctorIhhhZZZNS0_18rshift_kernel_cudaERNS_18TensorIteratorBaseEENKUlvE_clEvENKUlvE_clEvEUlhhE_EESt5arrayIPcLm2EEEEviT0_T1_,"axG",@progbits,_ZN2at6native29vectorized_elementwise_kernelILi2ENS0_13AUnaryFunctorIhhhZZZNS0_18rshift_kernel_cudaERNS_18TensorIteratorBaseEENKUlvE_clEvENKUlvE_clEvEUlhhE_EESt5arrayIPcLm2EEEEviT0_T1_,comdat
.Lfunc_end123:
	.size	_ZN2at6native29vectorized_elementwise_kernelILi2ENS0_13AUnaryFunctorIhhhZZZNS0_18rshift_kernel_cudaERNS_18TensorIteratorBaseEENKUlvE_clEvENKUlvE_clEvEUlhhE_EESt5arrayIPcLm2EEEEviT0_T1_, .Lfunc_end123-_ZN2at6native29vectorized_elementwise_kernelILi2ENS0_13AUnaryFunctorIhhhZZZNS0_18rshift_kernel_cudaERNS_18TensorIteratorBaseEENKUlvE_clEvENKUlvE_clEvEUlhhE_EESt5arrayIPcLm2EEEEviT0_T1_
                                        ; -- End function
	.set _ZN2at6native29vectorized_elementwise_kernelILi2ENS0_13AUnaryFunctorIhhhZZZNS0_18rshift_kernel_cudaERNS_18TensorIteratorBaseEENKUlvE_clEvENKUlvE_clEvEUlhhE_EESt5arrayIPcLm2EEEEviT0_T1_.num_vgpr, 22
	.set _ZN2at6native29vectorized_elementwise_kernelILi2ENS0_13AUnaryFunctorIhhhZZZNS0_18rshift_kernel_cudaERNS_18TensorIteratorBaseEENKUlvE_clEvENKUlvE_clEvEUlhhE_EESt5arrayIPcLm2EEEEviT0_T1_.num_agpr, 0
	.set _ZN2at6native29vectorized_elementwise_kernelILi2ENS0_13AUnaryFunctorIhhhZZZNS0_18rshift_kernel_cudaERNS_18TensorIteratorBaseEENKUlvE_clEvENKUlvE_clEvEUlhhE_EESt5arrayIPcLm2EEEEviT0_T1_.numbered_sgpr, 60
	.set _ZN2at6native29vectorized_elementwise_kernelILi2ENS0_13AUnaryFunctorIhhhZZZNS0_18rshift_kernel_cudaERNS_18TensorIteratorBaseEENKUlvE_clEvENKUlvE_clEvEUlhhE_EESt5arrayIPcLm2EEEEviT0_T1_.num_named_barrier, 0
	.set _ZN2at6native29vectorized_elementwise_kernelILi2ENS0_13AUnaryFunctorIhhhZZZNS0_18rshift_kernel_cudaERNS_18TensorIteratorBaseEENKUlvE_clEvENKUlvE_clEvEUlhhE_EESt5arrayIPcLm2EEEEviT0_T1_.private_seg_size, 0
	.set _ZN2at6native29vectorized_elementwise_kernelILi2ENS0_13AUnaryFunctorIhhhZZZNS0_18rshift_kernel_cudaERNS_18TensorIteratorBaseEENKUlvE_clEvENKUlvE_clEvEUlhhE_EESt5arrayIPcLm2EEEEviT0_T1_.uses_vcc, 1
	.set _ZN2at6native29vectorized_elementwise_kernelILi2ENS0_13AUnaryFunctorIhhhZZZNS0_18rshift_kernel_cudaERNS_18TensorIteratorBaseEENKUlvE_clEvENKUlvE_clEvEUlhhE_EESt5arrayIPcLm2EEEEviT0_T1_.uses_flat_scratch, 0
	.set _ZN2at6native29vectorized_elementwise_kernelILi2ENS0_13AUnaryFunctorIhhhZZZNS0_18rshift_kernel_cudaERNS_18TensorIteratorBaseEENKUlvE_clEvENKUlvE_clEvEUlhhE_EESt5arrayIPcLm2EEEEviT0_T1_.has_dyn_sized_stack, 0
	.set _ZN2at6native29vectorized_elementwise_kernelILi2ENS0_13AUnaryFunctorIhhhZZZNS0_18rshift_kernel_cudaERNS_18TensorIteratorBaseEENKUlvE_clEvENKUlvE_clEvEUlhhE_EESt5arrayIPcLm2EEEEviT0_T1_.has_recursion, 0
	.set _ZN2at6native29vectorized_elementwise_kernelILi2ENS0_13AUnaryFunctorIhhhZZZNS0_18rshift_kernel_cudaERNS_18TensorIteratorBaseEENKUlvE_clEvENKUlvE_clEvEUlhhE_EESt5arrayIPcLm2EEEEviT0_T1_.has_indirect_call, 0
	.section	.AMDGPU.csdata,"",@progbits
; Kernel info:
; codeLenInByte = 3212
; TotalNumSgprs: 64
; NumVgprs: 22
; ScratchSize: 0
; MemoryBound: 0
; FloatMode: 240
; IeeeMode: 1
; LDSByteSize: 0 bytes/workgroup (compile time only)
; SGPRBlocks: 7
; VGPRBlocks: 5
; NumSGPRsForWavesPerEU: 64
; NumVGPRsForWavesPerEU: 22
; Occupancy: 10
; WaveLimiterHint : 1
; COMPUTE_PGM_RSRC2:SCRATCH_EN: 0
; COMPUTE_PGM_RSRC2:USER_SGPR: 6
; COMPUTE_PGM_RSRC2:TRAP_HANDLER: 0
; COMPUTE_PGM_RSRC2:TGID_X_EN: 1
; COMPUTE_PGM_RSRC2:TGID_Y_EN: 0
; COMPUTE_PGM_RSRC2:TGID_Z_EN: 0
; COMPUTE_PGM_RSRC2:TIDIG_COMP_CNT: 0
	.section	.text._ZN2at6native27unrolled_elementwise_kernelINS0_13AUnaryFunctorIhhhZZZNS0_18rshift_kernel_cudaERNS_18TensorIteratorBaseEENKUlvE_clEvENKUlvE_clEvEUlhhE_EESt5arrayIPcLm2EELi4E23TrivialOffsetCalculatorILi1EjESD_NS0_6memory15LoadWithoutCastENSE_16StoreWithoutCastEEEviT_T0_T2_T3_T4_T5_,"axG",@progbits,_ZN2at6native27unrolled_elementwise_kernelINS0_13AUnaryFunctorIhhhZZZNS0_18rshift_kernel_cudaERNS_18TensorIteratorBaseEENKUlvE_clEvENKUlvE_clEvEUlhhE_EESt5arrayIPcLm2EELi4E23TrivialOffsetCalculatorILi1EjESD_NS0_6memory15LoadWithoutCastENSE_16StoreWithoutCastEEEviT_T0_T2_T3_T4_T5_,comdat
	.globl	_ZN2at6native27unrolled_elementwise_kernelINS0_13AUnaryFunctorIhhhZZZNS0_18rshift_kernel_cudaERNS_18TensorIteratorBaseEENKUlvE_clEvENKUlvE_clEvEUlhhE_EESt5arrayIPcLm2EELi4E23TrivialOffsetCalculatorILi1EjESD_NS0_6memory15LoadWithoutCastENSE_16StoreWithoutCastEEEviT_T0_T2_T3_T4_T5_ ; -- Begin function _ZN2at6native27unrolled_elementwise_kernelINS0_13AUnaryFunctorIhhhZZZNS0_18rshift_kernel_cudaERNS_18TensorIteratorBaseEENKUlvE_clEvENKUlvE_clEvEUlhhE_EESt5arrayIPcLm2EELi4E23TrivialOffsetCalculatorILi1EjESD_NS0_6memory15LoadWithoutCastENSE_16StoreWithoutCastEEEviT_T0_T2_T3_T4_T5_
	.p2align	8
	.type	_ZN2at6native27unrolled_elementwise_kernelINS0_13AUnaryFunctorIhhhZZZNS0_18rshift_kernel_cudaERNS_18TensorIteratorBaseEENKUlvE_clEvENKUlvE_clEvEUlhhE_EESt5arrayIPcLm2EELi4E23TrivialOffsetCalculatorILi1EjESD_NS0_6memory15LoadWithoutCastENSE_16StoreWithoutCastEEEviT_T0_T2_T3_T4_T5_,@function
_ZN2at6native27unrolled_elementwise_kernelINS0_13AUnaryFunctorIhhhZZZNS0_18rshift_kernel_cudaERNS_18TensorIteratorBaseEENKUlvE_clEvENKUlvE_clEvEUlhhE_EESt5arrayIPcLm2EELi4E23TrivialOffsetCalculatorILi1EjESD_NS0_6memory15LoadWithoutCastENSE_16StoreWithoutCastEEEviT_T0_T2_T3_T4_T5_: ; @_ZN2at6native27unrolled_elementwise_kernelINS0_13AUnaryFunctorIhhhZZZNS0_18rshift_kernel_cudaERNS_18TensorIteratorBaseEENKUlvE_clEvENKUlvE_clEvEUlhhE_EESt5arrayIPcLm2EELi4E23TrivialOffsetCalculatorILi1EjESD_NS0_6memory15LoadWithoutCastENSE_16StoreWithoutCastEEEviT_T0_T2_T3_T4_T5_
; %bb.0:
	v_mov_b32_e32 v3, 0
	global_load_ushort v4, v3, s[4:5] offset:4
	s_load_dword s0, s[4:5], 0x0
	s_load_dwordx4 s[8:11], s[4:5], 0x8
	s_lshl_b32 s14, s6, 10
	v_or_b32_e32 v1, 0x100, v0
	v_or_b32_e32 v2, s14, v0
	s_waitcnt lgkmcnt(0)
	s_sub_i32 s15, s0, s14
	v_cmp_gt_i32_e32 vcc, s15, v0
	v_mov_b32_e32 v5, 0
	v_mov_b32_e32 v6, 0
	;; [unrolled: 1-line block ×3, first 2 shown]
	s_and_saveexec_b64 s[2:3], vcc
	s_cbranch_execz .LBB124_8
; %bb.1:
	global_load_ubyte v7, v2, s[10:11]
	v_cmp_gt_u32_e64 s[0:1], s15, v1
	v_mov_b32_e32 v6, 0
	v_mov_b32_e32 v5, 0
	v_mov_b32_e32 v3, 0
	s_and_saveexec_b64 s[4:5], s[0:1]
	s_cbranch_execz .LBB124_7
; %bb.2:
	v_add_u32_e32 v3, s14, v1
	global_load_ubyte v6, v3, s[10:11]
	v_or_b32_e32 v8, 0x200, v0
	v_cmp_gt_u32_e64 s[0:1], s15, v8
	v_mov_b32_e32 v5, 0
	v_mov_b32_e32 v3, 0
	s_and_saveexec_b64 s[6:7], s[0:1]
	s_cbranch_execz .LBB124_6
; %bb.3:
	v_add_u32_e32 v3, s14, v8
	global_load_ubyte v5, v3, s[10:11]
	v_or_b32_e32 v8, 0x300, v0
	v_cmp_gt_u32_e64 s[0:1], s15, v8
	v_mov_b32_e32 v3, 0
	s_and_saveexec_b64 s[12:13], s[0:1]
	s_cbranch_execz .LBB124_5
; %bb.4:
	v_add_u32_e32 v3, s14, v8
	global_load_ubyte v3, v3, s[10:11]
.LBB124_5:
	s_or_b64 exec, exec, s[12:13]
.LBB124_6:
	s_or_b64 exec, exec, s[6:7]
.LBB124_7:
	s_or_b64 exec, exec, s[4:5]
.LBB124_8:
	s_or_b64 exec, exec, s[2:3]
	s_and_saveexec_b64 s[0:1], vcc
	s_cbranch_execz .LBB124_13
; %bb.9:
	v_mov_b32_e32 v8, 8
	s_waitcnt vmcnt(0)
	v_lshrrev_b32_sdwa v9, v8, v4 dst_sel:DWORD dst_unused:UNUSED_PAD src0_sel:DWORD src1_sel:WORD_0
	v_lshrrev_b16_sdwa v4, v7, v9 dst_sel:DWORD dst_unused:UNUSED_PAD src0_sel:BYTE_0 src1_sel:DWORD
	v_cmp_lt_u16_sdwa s[0:1], v7, v8 src0_sel:BYTE_0 src1_sel:DWORD
	v_cndmask_b32_e64 v4, 0, v4, s[0:1]
	v_mov_b32_e32 v7, 0
	v_cndmask_b32_sdwa v4, v7, v4, vcc dst_sel:DWORD dst_unused:UNUSED_PAD src0_sel:DWORD src1_sel:WORD_0
	v_lshrrev_b16_sdwa v10, v6, v9 dst_sel:DWORD dst_unused:UNUSED_PAD src0_sel:BYTE_0 src1_sel:DWORD
	v_cmp_lt_u16_sdwa vcc, v6, v8 src0_sel:BYTE_0 src1_sel:DWORD
	v_cndmask_b32_e32 v6, 0, v10, vcc
	v_lshlrev_b16_e32 v6, 8, v6
	v_or_b32_e32 v6, v4, v6
	v_lshrrev_b16_sdwa v10, v5, v9 dst_sel:DWORD dst_unused:UNUSED_PAD src0_sel:BYTE_0 src1_sel:DWORD
	v_cmp_lt_u16_sdwa vcc, v5, v8 src0_sel:BYTE_0 src1_sel:DWORD
	v_and_b32_e32 v6, 0xffff, v6
	v_cmp_gt_i32_e64 s[2:3], s15, v1
	v_cndmask_b32_e32 v5, 0, v10, vcc
	v_cndmask_b32_e64 v6, v4, v6, s[2:3]
	v_or_b32_e32 v4, 0x200, v0
	v_lshlrev_b32_e32 v5, 16, v5
	v_or_b32_e32 v5, v6, v5
	v_cmp_gt_i32_e64 s[0:1], s15, v4
	s_movk_i32 s5, 0xff
	v_cndmask_b32_e64 v5, v6, v5, s[0:1]
	v_lshrrev_b16_sdwa v9, v3, v9 dst_sel:DWORD dst_unused:UNUSED_PAD src0_sel:BYTE_0 src1_sel:DWORD
	v_cmp_lt_u16_sdwa vcc, v3, v8 src0_sel:BYTE_0 src1_sel:DWORD
	v_and_b32_sdwa v6, v5, s5 dst_sel:DWORD dst_unused:UNUSED_PAD src0_sel:WORD_1 src1_sel:DWORD
	v_cndmask_b32_sdwa v3, v7, v9, vcc dst_sel:BYTE_1 dst_unused:UNUSED_PAD src0_sel:DWORD src1_sel:DWORD
	s_mov_b32 s4, 0xffff
	v_or_b32_e32 v0, 0x300, v0
	v_or_b32_sdwa v3, v6, v3 dst_sel:WORD_1 dst_unused:UNUSED_PAD src0_sel:DWORD src1_sel:DWORD
	v_and_or_b32 v3, v5, s4, v3
	v_cmp_gt_i32_e32 vcc, s15, v0
	v_cndmask_b32_e32 v3, v5, v3, vcc
	global_store_byte v2, v3, s[8:9]
	s_and_b64 exec, exec, s[2:3]
	s_cbranch_execz .LBB124_13
; %bb.10:
	v_add_u32_e32 v1, s14, v1
	v_lshrrev_b32_e32 v2, 8, v3
	global_store_byte v1, v2, s[8:9]
	s_and_b64 exec, exec, s[0:1]
	s_cbranch_execz .LBB124_13
; %bb.11:
	v_add_u32_e32 v1, s14, v4
	global_store_byte_d16_hi v1, v3, s[8:9]
	s_and_b64 exec, exec, vcc
	s_cbranch_execz .LBB124_13
; %bb.12:
	v_lshrrev_b32_e32 v1, 24, v3
	v_add_u32_e32 v0, s14, v0
	global_store_byte v0, v1, s[8:9]
.LBB124_13:
	s_endpgm
	.section	.rodata,"a",@progbits
	.p2align	6, 0x0
	.amdhsa_kernel _ZN2at6native27unrolled_elementwise_kernelINS0_13AUnaryFunctorIhhhZZZNS0_18rshift_kernel_cudaERNS_18TensorIteratorBaseEENKUlvE_clEvENKUlvE_clEvEUlhhE_EESt5arrayIPcLm2EELi4E23TrivialOffsetCalculatorILi1EjESD_NS0_6memory15LoadWithoutCastENSE_16StoreWithoutCastEEEviT_T0_T2_T3_T4_T5_
		.amdhsa_group_segment_fixed_size 0
		.amdhsa_private_segment_fixed_size 0
		.amdhsa_kernarg_size 28
		.amdhsa_user_sgpr_count 6
		.amdhsa_user_sgpr_private_segment_buffer 1
		.amdhsa_user_sgpr_dispatch_ptr 0
		.amdhsa_user_sgpr_queue_ptr 0
		.amdhsa_user_sgpr_kernarg_segment_ptr 1
		.amdhsa_user_sgpr_dispatch_id 0
		.amdhsa_user_sgpr_flat_scratch_init 0
		.amdhsa_user_sgpr_private_segment_size 0
		.amdhsa_uses_dynamic_stack 0
		.amdhsa_system_sgpr_private_segment_wavefront_offset 0
		.amdhsa_system_sgpr_workgroup_id_x 1
		.amdhsa_system_sgpr_workgroup_id_y 0
		.amdhsa_system_sgpr_workgroup_id_z 0
		.amdhsa_system_sgpr_workgroup_info 0
		.amdhsa_system_vgpr_workitem_id 0
		.amdhsa_next_free_vgpr 11
		.amdhsa_next_free_sgpr 16
		.amdhsa_reserve_vcc 1
		.amdhsa_reserve_flat_scratch 0
		.amdhsa_float_round_mode_32 0
		.amdhsa_float_round_mode_16_64 0
		.amdhsa_float_denorm_mode_32 3
		.amdhsa_float_denorm_mode_16_64 3
		.amdhsa_dx10_clamp 1
		.amdhsa_ieee_mode 1
		.amdhsa_fp16_overflow 0
		.amdhsa_exception_fp_ieee_invalid_op 0
		.amdhsa_exception_fp_denorm_src 0
		.amdhsa_exception_fp_ieee_div_zero 0
		.amdhsa_exception_fp_ieee_overflow 0
		.amdhsa_exception_fp_ieee_underflow 0
		.amdhsa_exception_fp_ieee_inexact 0
		.amdhsa_exception_int_div_zero 0
	.end_amdhsa_kernel
	.section	.text._ZN2at6native27unrolled_elementwise_kernelINS0_13AUnaryFunctorIhhhZZZNS0_18rshift_kernel_cudaERNS_18TensorIteratorBaseEENKUlvE_clEvENKUlvE_clEvEUlhhE_EESt5arrayIPcLm2EELi4E23TrivialOffsetCalculatorILi1EjESD_NS0_6memory15LoadWithoutCastENSE_16StoreWithoutCastEEEviT_T0_T2_T3_T4_T5_,"axG",@progbits,_ZN2at6native27unrolled_elementwise_kernelINS0_13AUnaryFunctorIhhhZZZNS0_18rshift_kernel_cudaERNS_18TensorIteratorBaseEENKUlvE_clEvENKUlvE_clEvEUlhhE_EESt5arrayIPcLm2EELi4E23TrivialOffsetCalculatorILi1EjESD_NS0_6memory15LoadWithoutCastENSE_16StoreWithoutCastEEEviT_T0_T2_T3_T4_T5_,comdat
.Lfunc_end124:
	.size	_ZN2at6native27unrolled_elementwise_kernelINS0_13AUnaryFunctorIhhhZZZNS0_18rshift_kernel_cudaERNS_18TensorIteratorBaseEENKUlvE_clEvENKUlvE_clEvEUlhhE_EESt5arrayIPcLm2EELi4E23TrivialOffsetCalculatorILi1EjESD_NS0_6memory15LoadWithoutCastENSE_16StoreWithoutCastEEEviT_T0_T2_T3_T4_T5_, .Lfunc_end124-_ZN2at6native27unrolled_elementwise_kernelINS0_13AUnaryFunctorIhhhZZZNS0_18rshift_kernel_cudaERNS_18TensorIteratorBaseEENKUlvE_clEvENKUlvE_clEvEUlhhE_EESt5arrayIPcLm2EELi4E23TrivialOffsetCalculatorILi1EjESD_NS0_6memory15LoadWithoutCastENSE_16StoreWithoutCastEEEviT_T0_T2_T3_T4_T5_
                                        ; -- End function
	.set _ZN2at6native27unrolled_elementwise_kernelINS0_13AUnaryFunctorIhhhZZZNS0_18rshift_kernel_cudaERNS_18TensorIteratorBaseEENKUlvE_clEvENKUlvE_clEvEUlhhE_EESt5arrayIPcLm2EELi4E23TrivialOffsetCalculatorILi1EjESD_NS0_6memory15LoadWithoutCastENSE_16StoreWithoutCastEEEviT_T0_T2_T3_T4_T5_.num_vgpr, 11
	.set _ZN2at6native27unrolled_elementwise_kernelINS0_13AUnaryFunctorIhhhZZZNS0_18rshift_kernel_cudaERNS_18TensorIteratorBaseEENKUlvE_clEvENKUlvE_clEvEUlhhE_EESt5arrayIPcLm2EELi4E23TrivialOffsetCalculatorILi1EjESD_NS0_6memory15LoadWithoutCastENSE_16StoreWithoutCastEEEviT_T0_T2_T3_T4_T5_.num_agpr, 0
	.set _ZN2at6native27unrolled_elementwise_kernelINS0_13AUnaryFunctorIhhhZZZNS0_18rshift_kernel_cudaERNS_18TensorIteratorBaseEENKUlvE_clEvENKUlvE_clEvEUlhhE_EESt5arrayIPcLm2EELi4E23TrivialOffsetCalculatorILi1EjESD_NS0_6memory15LoadWithoutCastENSE_16StoreWithoutCastEEEviT_T0_T2_T3_T4_T5_.numbered_sgpr, 16
	.set _ZN2at6native27unrolled_elementwise_kernelINS0_13AUnaryFunctorIhhhZZZNS0_18rshift_kernel_cudaERNS_18TensorIteratorBaseEENKUlvE_clEvENKUlvE_clEvEUlhhE_EESt5arrayIPcLm2EELi4E23TrivialOffsetCalculatorILi1EjESD_NS0_6memory15LoadWithoutCastENSE_16StoreWithoutCastEEEviT_T0_T2_T3_T4_T5_.num_named_barrier, 0
	.set _ZN2at6native27unrolled_elementwise_kernelINS0_13AUnaryFunctorIhhhZZZNS0_18rshift_kernel_cudaERNS_18TensorIteratorBaseEENKUlvE_clEvENKUlvE_clEvEUlhhE_EESt5arrayIPcLm2EELi4E23TrivialOffsetCalculatorILi1EjESD_NS0_6memory15LoadWithoutCastENSE_16StoreWithoutCastEEEviT_T0_T2_T3_T4_T5_.private_seg_size, 0
	.set _ZN2at6native27unrolled_elementwise_kernelINS0_13AUnaryFunctorIhhhZZZNS0_18rshift_kernel_cudaERNS_18TensorIteratorBaseEENKUlvE_clEvENKUlvE_clEvEUlhhE_EESt5arrayIPcLm2EELi4E23TrivialOffsetCalculatorILi1EjESD_NS0_6memory15LoadWithoutCastENSE_16StoreWithoutCastEEEviT_T0_T2_T3_T4_T5_.uses_vcc, 1
	.set _ZN2at6native27unrolled_elementwise_kernelINS0_13AUnaryFunctorIhhhZZZNS0_18rshift_kernel_cudaERNS_18TensorIteratorBaseEENKUlvE_clEvENKUlvE_clEvEUlhhE_EESt5arrayIPcLm2EELi4E23TrivialOffsetCalculatorILi1EjESD_NS0_6memory15LoadWithoutCastENSE_16StoreWithoutCastEEEviT_T0_T2_T3_T4_T5_.uses_flat_scratch, 0
	.set _ZN2at6native27unrolled_elementwise_kernelINS0_13AUnaryFunctorIhhhZZZNS0_18rshift_kernel_cudaERNS_18TensorIteratorBaseEENKUlvE_clEvENKUlvE_clEvEUlhhE_EESt5arrayIPcLm2EELi4E23TrivialOffsetCalculatorILi1EjESD_NS0_6memory15LoadWithoutCastENSE_16StoreWithoutCastEEEviT_T0_T2_T3_T4_T5_.has_dyn_sized_stack, 0
	.set _ZN2at6native27unrolled_elementwise_kernelINS0_13AUnaryFunctorIhhhZZZNS0_18rshift_kernel_cudaERNS_18TensorIteratorBaseEENKUlvE_clEvENKUlvE_clEvEUlhhE_EESt5arrayIPcLm2EELi4E23TrivialOffsetCalculatorILi1EjESD_NS0_6memory15LoadWithoutCastENSE_16StoreWithoutCastEEEviT_T0_T2_T3_T4_T5_.has_recursion, 0
	.set _ZN2at6native27unrolled_elementwise_kernelINS0_13AUnaryFunctorIhhhZZZNS0_18rshift_kernel_cudaERNS_18TensorIteratorBaseEENKUlvE_clEvENKUlvE_clEvEUlhhE_EESt5arrayIPcLm2EELi4E23TrivialOffsetCalculatorILi1EjESD_NS0_6memory15LoadWithoutCastENSE_16StoreWithoutCastEEEviT_T0_T2_T3_T4_T5_.has_indirect_call, 0
	.section	.AMDGPU.csdata,"",@progbits
; Kernel info:
; codeLenInByte = 544
; TotalNumSgprs: 20
; NumVgprs: 11
; ScratchSize: 0
; MemoryBound: 0
; FloatMode: 240
; IeeeMode: 1
; LDSByteSize: 0 bytes/workgroup (compile time only)
; SGPRBlocks: 2
; VGPRBlocks: 2
; NumSGPRsForWavesPerEU: 20
; NumVGPRsForWavesPerEU: 11
; Occupancy: 10
; WaveLimiterHint : 0
; COMPUTE_PGM_RSRC2:SCRATCH_EN: 0
; COMPUTE_PGM_RSRC2:USER_SGPR: 6
; COMPUTE_PGM_RSRC2:TRAP_HANDLER: 0
; COMPUTE_PGM_RSRC2:TGID_X_EN: 1
; COMPUTE_PGM_RSRC2:TGID_Y_EN: 0
; COMPUTE_PGM_RSRC2:TGID_Z_EN: 0
; COMPUTE_PGM_RSRC2:TIDIG_COMP_CNT: 0
	.section	.text._ZN2at6native32elementwise_kernel_manual_unrollILi128ELi8EZNS0_22gpu_kernel_impl_nocastINS0_13AUnaryFunctorIhhhZZZNS0_18rshift_kernel_cudaERNS_18TensorIteratorBaseEENKUlvE_clEvENKUlvE_clEvEUlhhE_EEEEvS5_RKT_EUlibE_EEviT1_,"axG",@progbits,_ZN2at6native32elementwise_kernel_manual_unrollILi128ELi8EZNS0_22gpu_kernel_impl_nocastINS0_13AUnaryFunctorIhhhZZZNS0_18rshift_kernel_cudaERNS_18TensorIteratorBaseEENKUlvE_clEvENKUlvE_clEvEUlhhE_EEEEvS5_RKT_EUlibE_EEviT1_,comdat
	.globl	_ZN2at6native32elementwise_kernel_manual_unrollILi128ELi8EZNS0_22gpu_kernel_impl_nocastINS0_13AUnaryFunctorIhhhZZZNS0_18rshift_kernel_cudaERNS_18TensorIteratorBaseEENKUlvE_clEvENKUlvE_clEvEUlhhE_EEEEvS5_RKT_EUlibE_EEviT1_ ; -- Begin function _ZN2at6native32elementwise_kernel_manual_unrollILi128ELi8EZNS0_22gpu_kernel_impl_nocastINS0_13AUnaryFunctorIhhhZZZNS0_18rshift_kernel_cudaERNS_18TensorIteratorBaseEENKUlvE_clEvENKUlvE_clEvEUlhhE_EEEEvS5_RKT_EUlibE_EEviT1_
	.p2align	8
	.type	_ZN2at6native32elementwise_kernel_manual_unrollILi128ELi8EZNS0_22gpu_kernel_impl_nocastINS0_13AUnaryFunctorIhhhZZZNS0_18rshift_kernel_cudaERNS_18TensorIteratorBaseEENKUlvE_clEvENKUlvE_clEvEUlhhE_EEEEvS5_RKT_EUlibE_EEviT1_,@function
_ZN2at6native32elementwise_kernel_manual_unrollILi128ELi8EZNS0_22gpu_kernel_impl_nocastINS0_13AUnaryFunctorIhhhZZZNS0_18rshift_kernel_cudaERNS_18TensorIteratorBaseEENKUlvE_clEvENKUlvE_clEvEUlhhE_EEEEvS5_RKT_EUlibE_EEviT1_: ; @_ZN2at6native32elementwise_kernel_manual_unrollILi128ELi8EZNS0_22gpu_kernel_impl_nocastINS0_13AUnaryFunctorIhhhZZZNS0_18rshift_kernel_cudaERNS_18TensorIteratorBaseEENKUlvE_clEvENKUlvE_clEvEUlhhE_EEEEvS5_RKT_EUlibE_EEviT1_
; %bb.0:
	s_load_dword s58, s[4:5], 0x0
	s_load_dword s33, s[4:5], 0x8
	s_add_u32 s34, s4, 8
	s_addc_u32 s35, s5, 0
	v_lshl_or_b32 v19, s6, 10, v0
	v_or_b32_e32 v25, 0x380, v19
	s_waitcnt lgkmcnt(0)
	s_add_i32 s56, s33, -1
	s_cmp_gt_u32 s56, 1
	v_cmp_le_i32_e32 vcc, s58, v25
	s_cselect_b64 s[6:7], -1, 0
	s_and_saveexec_b64 s[0:1], vcc
	s_xor_b64 s[40:41], exec, s[0:1]
	s_cbranch_execz .LBB125_7
; %bb.1:
	s_cmp_lg_u32 s33, 0
	s_cselect_b64 s[48:49], -1, 0
	s_add_u32 s46, s34, 0xc4
	s_load_dwordx4 s[24:27], s[34:35], 0x4
	s_load_dwordx2 s[42:43], s[34:35], 0x14
	s_load_dword s8, s[4:5], 0x160
	s_load_dwordx4 s[28:31], s[34:35], 0xc4
	s_load_dwordx4 s[0:3], s[34:35], 0x148
	s_addc_u32 s47, s35, 0
	s_min_u32 s59, s56, 15
	s_cmp_gt_u32 s33, 1
	s_cselect_b64 s[44:45], -1, 0
	s_waitcnt lgkmcnt(0)
	s_lshr_b32 s57, s8, 8
	v_cmp_gt_i32_e32 vcc, s58, v19
	s_and_saveexec_b64 s[50:51], vcc
	s_cbranch_execz .LBB125_14
; %bb.2:
	s_andn2_b64 vcc, exec, s[6:7]
	s_cbranch_vccnz .LBB125_21
; %bb.3:
	s_andn2_b64 vcc, exec, s[48:49]
	s_cbranch_vccnz .LBB125_129
; %bb.4:
	s_add_i32 s61, s59, 1
	s_cmp_eq_u32 s56, 2
	s_cbranch_scc1 .LBB125_131
; %bb.5:
	s_and_b32 s60, s61, 28
	v_mov_b32_e32 v2, 0
	s_mov_b32 s62, 0
	s_mov_b64 s[52:53], s[34:35]
	s_mov_b64 s[54:55], s[46:47]
	v_mov_b32_e32 v0, 0
	v_mov_b32_e32 v1, v19
.LBB125_6:                              ; =>This Inner Loop Header: Depth=1
	s_load_dwordx8 s[16:23], s[52:53], 0x4
	s_load_dwordx4 s[36:39], s[52:53], 0x24
	s_load_dwordx8 s[8:15], s[54:55], 0x0
	s_add_u32 s52, s52, 48
	s_addc_u32 s53, s53, 0
	s_waitcnt lgkmcnt(0)
	v_mul_hi_u32 v3, s17, v1
	s_add_i32 s62, s62, 4
	s_add_u32 s54, s54, 32
	s_addc_u32 s55, s55, 0
	v_add_u32_e32 v3, v1, v3
	v_lshrrev_b32_e32 v3, s18, v3
	v_mul_lo_u32 v4, v3, s16
	v_mul_hi_u32 v5, s20, v3
	s_cmp_lg_u32 s60, s62
	v_sub_u32_e32 v1, v1, v4
	v_add_u32_e32 v4, v3, v5
	v_mul_lo_u32 v5, v1, s8
	v_mul_lo_u32 v6, v1, s9
	v_lshrrev_b32_e32 v1, s21, v4
	v_mul_lo_u32 v4, v1, s19
	v_mul_hi_u32 v7, s23, v1
	v_sub_u32_e32 v3, v3, v4
	v_add_u32_e32 v4, v1, v7
	v_lshrrev_b32_e32 v4, s36, v4
	v_mul_hi_u32 v8, s38, v4
	v_mul_lo_u32 v9, v4, s22
	v_mul_lo_u32 v7, v3, s10
	;; [unrolled: 1-line block ×3, first 2 shown]
	v_sub_u32_e32 v9, v1, v9
	v_add_u32_e32 v1, v4, v8
	v_lshrrev_b32_e32 v1, s39, v1
	v_mul_lo_u32 v8, v1, s37
	v_mul_lo_u32 v10, v9, s12
	;; [unrolled: 1-line block ×3, first 2 shown]
	v_add3_u32 v0, v5, v0, v7
	v_sub_u32_e32 v4, v4, v8
	v_mul_lo_u32 v8, v4, s14
	v_mul_lo_u32 v4, v4, s15
	v_add3_u32 v2, v6, v2, v3
	v_add3_u32 v0, v10, v0, v8
	;; [unrolled: 1-line block ×3, first 2 shown]
	s_cbranch_scc1 .LBB125_6
	s_branch .LBB125_132
.LBB125_7:
	s_andn2_saveexec_b64 s[0:1], s[40:41]
	s_cbranch_execz .LBB125_221
.LBB125_8:
	v_cndmask_b32_e64 v0, 0, 1, s[6:7]
	v_cmp_ne_u32_e64 s[0:1], 1, v0
	s_andn2_b64 vcc, exec, s[6:7]
	s_cbranch_vccnz .LBB125_20
; %bb.9:
	s_cmp_lg_u32 s33, 0
	s_mov_b32 s28, 0
	s_cbranch_scc0 .LBB125_23
; %bb.10:
	s_min_u32 s29, s56, 15
	s_add_i32 s29, s29, 1
	s_cmp_eq_u32 s56, 2
	s_cbranch_scc1 .LBB125_24
; %bb.11:
	s_and_b32 s28, s29, 28
	s_add_u32 s2, s34, 0xc4
	s_addc_u32 s3, s35, 0
	v_mov_b32_e32 v2, 0
	s_mov_b32 s30, 0
	s_mov_b64 s[6:7], s[34:35]
	v_mov_b32_e32 v0, 0
	v_mov_b32_e32 v1, v19
.LBB125_12:                             ; =>This Inner Loop Header: Depth=1
	s_load_dwordx8 s[16:23], s[6:7], 0x4
	s_load_dwordx4 s[24:27], s[6:7], 0x24
	s_load_dwordx8 s[8:15], s[2:3], 0x0
	s_add_u32 s6, s6, 48
	s_addc_u32 s7, s7, 0
	s_waitcnt lgkmcnt(0)
	v_mul_hi_u32 v3, s17, v1
	s_add_i32 s30, s30, 4
	s_add_u32 s2, s2, 32
	s_addc_u32 s3, s3, 0
	v_add_u32_e32 v3, v1, v3
	v_lshrrev_b32_e32 v3, s18, v3
	v_mul_lo_u32 v4, v3, s16
	v_mul_hi_u32 v5, s20, v3
	s_cmp_lg_u32 s28, s30
	v_sub_u32_e32 v1, v1, v4
	v_add_u32_e32 v4, v3, v5
	v_mul_lo_u32 v5, v1, s8
	v_mul_lo_u32 v6, v1, s9
	v_lshrrev_b32_e32 v1, s21, v4
	v_mul_lo_u32 v4, v1, s19
	v_mul_hi_u32 v7, s23, v1
	v_sub_u32_e32 v3, v3, v4
	v_add_u32_e32 v4, v1, v7
	v_lshrrev_b32_e32 v4, s24, v4
	v_mul_hi_u32 v8, s26, v4
	v_mul_lo_u32 v9, v4, s22
	v_mul_lo_u32 v7, v3, s10
	v_mul_lo_u32 v3, v3, s11
	v_sub_u32_e32 v9, v1, v9
	v_add_u32_e32 v1, v4, v8
	v_lshrrev_b32_e32 v1, s27, v1
	v_mul_lo_u32 v8, v1, s25
	v_mul_lo_u32 v10, v9, s12
	;; [unrolled: 1-line block ×3, first 2 shown]
	v_add3_u32 v0, v5, v0, v7
	v_sub_u32_e32 v4, v4, v8
	v_mul_lo_u32 v8, v4, s14
	v_mul_lo_u32 v4, v4, s15
	v_add3_u32 v2, v6, v2, v3
	v_add3_u32 v0, v10, v0, v8
	;; [unrolled: 1-line block ×3, first 2 shown]
	s_cbranch_scc1 .LBB125_12
; %bb.13:
	s_and_b32 s8, s29, 3
	s_cmp_eq_u32 s8, 0
	s_cbranch_scc0 .LBB125_25
	s_branch .LBB125_27
.LBB125_14:
	s_or_b64 exec, exec, s[50:51]
	v_cmp_gt_i32_e32 vcc, s58, v19
	s_and_saveexec_b64 s[50:51], vcc
	s_cbranch_execz .LBB125_139
.LBB125_15:
	s_andn2_b64 vcc, exec, s[6:7]
	s_cbranch_vccnz .LBB125_22
; %bb.16:
	s_andn2_b64 vcc, exec, s[48:49]
	s_cbranch_vccnz .LBB125_130
; %bb.17:
	s_add_i32 s61, s59, 1
	s_cmp_eq_u32 s56, 2
	s_cbranch_scc1 .LBB125_147
; %bb.18:
	s_and_b32 s60, s61, 28
	v_mov_b32_e32 v2, 0
	s_mov_b32 s62, 0
	s_mov_b64 s[52:53], s[34:35]
	s_mov_b64 s[54:55], s[46:47]
	v_mov_b32_e32 v0, 0
	v_mov_b32_e32 v1, v19
.LBB125_19:                             ; =>This Inner Loop Header: Depth=1
	s_load_dwordx8 s[16:23], s[52:53], 0x4
	s_load_dwordx4 s[36:39], s[52:53], 0x24
	s_load_dwordx8 s[8:15], s[54:55], 0x0
	s_add_u32 s52, s52, 48
	s_addc_u32 s53, s53, 0
	s_waitcnt lgkmcnt(0)
	v_mul_hi_u32 v3, s17, v1
	s_add_i32 s62, s62, 4
	s_add_u32 s54, s54, 32
	s_addc_u32 s55, s55, 0
	v_add_u32_e32 v3, v1, v3
	v_lshrrev_b32_e32 v3, s18, v3
	v_mul_lo_u32 v4, v3, s16
	v_mul_hi_u32 v5, s20, v3
	s_cmp_eq_u32 s60, s62
	v_sub_u32_e32 v1, v1, v4
	v_add_u32_e32 v4, v3, v5
	v_mul_lo_u32 v5, v1, s8
	v_mul_lo_u32 v6, v1, s9
	v_lshrrev_b32_e32 v1, s21, v4
	v_mul_lo_u32 v4, v1, s19
	v_mul_hi_u32 v7, s23, v1
	v_sub_u32_e32 v3, v3, v4
	v_add_u32_e32 v4, v1, v7
	v_lshrrev_b32_e32 v4, s36, v4
	v_mul_hi_u32 v8, s38, v4
	v_mul_lo_u32 v9, v4, s22
	v_mul_lo_u32 v7, v3, s10
	;; [unrolled: 1-line block ×3, first 2 shown]
	v_sub_u32_e32 v9, v1, v9
	v_add_u32_e32 v1, v4, v8
	v_lshrrev_b32_e32 v1, s39, v1
	v_mul_lo_u32 v8, v1, s37
	v_mul_lo_u32 v10, v9, s12
	;; [unrolled: 1-line block ×3, first 2 shown]
	v_add3_u32 v0, v5, v0, v7
	v_sub_u32_e32 v4, v4, v8
	v_mul_lo_u32 v8, v4, s14
	v_mul_lo_u32 v4, v4, s15
	v_add3_u32 v2, v6, v2, v3
	v_add3_u32 v0, v10, v0, v8
	;; [unrolled: 1-line block ×3, first 2 shown]
	s_cbranch_scc0 .LBB125_19
	s_branch .LBB125_148
.LBB125_20:
                                        ; implicit-def: $vgpr0
                                        ; implicit-def: $vgpr2
	s_branch .LBB125_28
.LBB125_21:
                                        ; implicit-def: $vgpr0
                                        ; implicit-def: $vgpr2
	s_branch .LBB125_136
.LBB125_22:
                                        ; implicit-def: $vgpr0
                                        ; implicit-def: $vgpr2
	s_branch .LBB125_152
.LBB125_23:
	v_mov_b32_e32 v0, 0
	v_mov_b32_e32 v2, 0
	s_branch .LBB125_27
.LBB125_24:
	v_mov_b32_e32 v0, 0
	v_mov_b32_e32 v2, 0
	;; [unrolled: 1-line block ×3, first 2 shown]
	s_and_b32 s8, s29, 3
	s_cmp_eq_u32 s8, 0
	s_cbranch_scc1 .LBB125_27
.LBB125_25:
	s_lshl_b32 s2, s28, 3
	s_add_u32 s2, s34, s2
	s_addc_u32 s3, s35, 0
	s_add_u32 s2, s2, 0xc4
	s_addc_u32 s3, s3, 0
	s_mul_i32 s6, s28, 12
	s_add_u32 s6, s34, s6
	s_addc_u32 s7, s35, 0
.LBB125_26:                             ; =>This Inner Loop Header: Depth=1
	s_load_dwordx2 s[10:11], s[6:7], 0x4
	s_load_dword s9, s[6:7], 0xc
	s_load_dwordx2 s[12:13], s[2:3], 0x0
	s_add_u32 s6, s6, 12
	s_addc_u32 s7, s7, 0
	s_waitcnt lgkmcnt(0)
	v_mul_hi_u32 v4, s11, v1
	s_add_u32 s2, s2, 8
	s_addc_u32 s3, s3, 0
	s_add_i32 s8, s8, -1
	v_add_u32_e32 v4, v1, v4
	v_lshrrev_b32_e32 v4, s9, v4
	v_mul_lo_u32 v5, v4, s10
	s_cmp_lg_u32 s8, 0
	v_sub_u32_e32 v5, v1, v5
	v_mad_u64_u32 v[0:1], s[10:11], v5, s12, v[0:1]
	v_mad_u64_u32 v[2:3], s[10:11], v5, s13, v[2:3]
	v_mov_b32_e32 v1, v4
	s_cbranch_scc1 .LBB125_26
.LBB125_27:
	s_cbranch_execnz .LBB125_30
.LBB125_28:
	s_load_dwordx4 s[8:11], s[34:35], 0x4
	s_load_dwordx2 s[2:3], s[34:35], 0xc4
	s_cmp_lt_u32 s33, 2
	s_waitcnt lgkmcnt(0)
	v_mul_hi_u32 v0, s9, v19
	v_add_u32_e32 v0, v19, v0
	v_lshrrev_b32_e32 v1, s10, v0
	v_mul_lo_u32 v0, v1, s8
	v_sub_u32_e32 v2, v19, v0
	v_mul_lo_u32 v0, v2, s2
	v_mul_lo_u32 v2, v2, s3
	s_cbranch_scc1 .LBB125_30
; %bb.29:
	s_load_dwordx4 s[8:11], s[34:35], 0x10
	s_load_dwordx2 s[2:3], s[34:35], 0xcc
	s_waitcnt lgkmcnt(0)
	v_mul_hi_u32 v3, s9, v1
	v_add_u32_e32 v3, v1, v3
	v_lshrrev_b32_e32 v3, s10, v3
	v_mul_lo_u32 v3, v3, s8
	v_sub_u32_e32 v3, v1, v3
	v_mad_u64_u32 v[0:1], s[6:7], v3, s2, v[0:1]
	v_mad_u64_u32 v[2:3], s[2:3], v3, s3, v[2:3]
.LBB125_30:
	s_and_b64 vcc, exec, s[0:1]
	v_add_u32_e32 v1, 0x80, v19
	s_cbranch_vccnz .LBB125_36
; %bb.31:
	s_cmp_lg_u32 s33, 0
	s_mov_b32 s28, 0
	s_cbranch_scc0 .LBB125_37
; %bb.32:
	s_min_u32 s29, s56, 15
	s_add_i32 s29, s29, 1
	s_cmp_eq_u32 s56, 2
	s_cbranch_scc1 .LBB125_38
; %bb.33:
	s_and_b32 s28, s29, 28
	s_add_u32 s2, s34, 0xc4
	s_addc_u32 s3, s35, 0
	v_mov_b32_e32 v5, 0
	s_mov_b32 s30, 0
	s_mov_b64 s[6:7], s[34:35]
	v_mov_b32_e32 v3, 0
	v_mov_b32_e32 v4, v1
.LBB125_34:                             ; =>This Inner Loop Header: Depth=1
	s_load_dwordx8 s[16:23], s[6:7], 0x4
	s_load_dwordx4 s[24:27], s[6:7], 0x24
	s_load_dwordx8 s[8:15], s[2:3], 0x0
	s_add_u32 s6, s6, 48
	s_addc_u32 s7, s7, 0
	s_waitcnt lgkmcnt(0)
	v_mul_hi_u32 v6, s17, v4
	s_add_i32 s30, s30, 4
	s_add_u32 s2, s2, 32
	s_addc_u32 s3, s3, 0
	v_add_u32_e32 v6, v4, v6
	v_lshrrev_b32_e32 v6, s18, v6
	v_mul_lo_u32 v7, v6, s16
	v_mul_hi_u32 v8, s20, v6
	s_cmp_lg_u32 s28, s30
	v_sub_u32_e32 v4, v4, v7
	v_add_u32_e32 v7, v6, v8
	v_mul_lo_u32 v8, v4, s8
	v_mul_lo_u32 v9, v4, s9
	v_lshrrev_b32_e32 v4, s21, v7
	v_mul_lo_u32 v7, v4, s19
	v_mul_hi_u32 v10, s23, v4
	v_sub_u32_e32 v6, v6, v7
	v_add_u32_e32 v7, v4, v10
	v_lshrrev_b32_e32 v7, s24, v7
	v_mul_hi_u32 v11, s26, v7
	v_mul_lo_u32 v12, v7, s22
	v_mul_lo_u32 v10, v6, s10
	;; [unrolled: 1-line block ×3, first 2 shown]
	v_sub_u32_e32 v12, v4, v12
	v_add_u32_e32 v4, v7, v11
	v_lshrrev_b32_e32 v4, s27, v4
	v_mul_lo_u32 v11, v4, s25
	v_mul_lo_u32 v13, v12, s12
	;; [unrolled: 1-line block ×3, first 2 shown]
	v_add3_u32 v3, v8, v3, v10
	v_sub_u32_e32 v7, v7, v11
	v_mul_lo_u32 v11, v7, s14
	v_mul_lo_u32 v7, v7, s15
	v_add3_u32 v5, v9, v5, v6
	v_add3_u32 v3, v13, v3, v11
	;; [unrolled: 1-line block ×3, first 2 shown]
	s_cbranch_scc1 .LBB125_34
; %bb.35:
	s_and_b32 s8, s29, 3
	s_cmp_eq_u32 s8, 0
	s_cbranch_scc0 .LBB125_39
	s_branch .LBB125_41
.LBB125_36:
                                        ; implicit-def: $vgpr3
                                        ; implicit-def: $vgpr5
	s_branch .LBB125_42
.LBB125_37:
	v_mov_b32_e32 v3, 0
	v_mov_b32_e32 v5, 0
	s_branch .LBB125_41
.LBB125_38:
	v_mov_b32_e32 v3, 0
	v_mov_b32_e32 v5, 0
	;; [unrolled: 1-line block ×3, first 2 shown]
	s_and_b32 s8, s29, 3
	s_cmp_eq_u32 s8, 0
	s_cbranch_scc1 .LBB125_41
.LBB125_39:
	s_lshl_b32 s2, s28, 3
	s_add_u32 s2, s34, s2
	s_addc_u32 s3, s35, 0
	s_add_u32 s2, s2, 0xc4
	s_addc_u32 s3, s3, 0
	s_mul_i32 s6, s28, 12
	s_add_u32 s6, s34, s6
	s_addc_u32 s7, s35, 0
.LBB125_40:                             ; =>This Inner Loop Header: Depth=1
	s_load_dwordx2 s[10:11], s[6:7], 0x4
	s_load_dword s9, s[6:7], 0xc
	s_load_dwordx2 s[12:13], s[2:3], 0x0
	s_add_u32 s6, s6, 12
	s_addc_u32 s7, s7, 0
	s_waitcnt lgkmcnt(0)
	v_mul_hi_u32 v7, s11, v4
	s_add_u32 s2, s2, 8
	s_addc_u32 s3, s3, 0
	s_add_i32 s8, s8, -1
	v_add_u32_e32 v7, v4, v7
	v_lshrrev_b32_e32 v7, s9, v7
	v_mul_lo_u32 v8, v7, s10
	s_cmp_lg_u32 s8, 0
	v_sub_u32_e32 v8, v4, v8
	v_mad_u64_u32 v[3:4], s[10:11], v8, s12, v[3:4]
	v_mad_u64_u32 v[5:6], s[10:11], v8, s13, v[5:6]
	v_mov_b32_e32 v4, v7
	s_cbranch_scc1 .LBB125_40
.LBB125_41:
	s_cbranch_execnz .LBB125_44
.LBB125_42:
	s_load_dwordx4 s[8:11], s[34:35], 0x4
	s_load_dwordx2 s[2:3], s[34:35], 0xc4
	s_cmp_lt_u32 s33, 2
	s_waitcnt lgkmcnt(0)
	v_mul_hi_u32 v3, s9, v1
	v_add_u32_e32 v3, v1, v3
	v_lshrrev_b32_e32 v4, s10, v3
	v_mul_lo_u32 v3, v4, s8
	v_sub_u32_e32 v1, v1, v3
	v_mul_lo_u32 v3, v1, s2
	v_mul_lo_u32 v5, v1, s3
	s_cbranch_scc1 .LBB125_44
; %bb.43:
	s_load_dwordx4 s[8:11], s[34:35], 0x10
	s_load_dwordx2 s[2:3], s[34:35], 0xcc
	s_waitcnt lgkmcnt(0)
	v_mul_hi_u32 v1, s9, v4
	v_add_u32_e32 v1, v4, v1
	v_lshrrev_b32_e32 v1, s10, v1
	v_mul_lo_u32 v1, v1, s8
	v_sub_u32_e32 v1, v4, v1
	v_mad_u64_u32 v[3:4], s[6:7], v1, s2, v[3:4]
	v_mad_u64_u32 v[5:6], s[2:3], v1, s3, v[5:6]
.LBB125_44:
	s_and_b64 vcc, exec, s[0:1]
	v_add_u32_e32 v1, 0x100, v19
	s_cbranch_vccnz .LBB125_50
; %bb.45:
	s_cmp_lg_u32 s33, 0
	s_mov_b32 s28, 0
	s_cbranch_scc0 .LBB125_51
; %bb.46:
	s_min_u32 s29, s56, 15
	s_add_i32 s29, s29, 1
	s_cmp_eq_u32 s56, 2
	s_cbranch_scc1 .LBB125_52
; %bb.47:
	s_and_b32 s28, s29, 28
	s_add_u32 s2, s34, 0xc4
	s_addc_u32 s3, s35, 0
	v_mov_b32_e32 v8, 0
	s_mov_b32 s30, 0
	s_mov_b64 s[6:7], s[34:35]
	v_mov_b32_e32 v6, 0
	v_mov_b32_e32 v4, v1
.LBB125_48:                             ; =>This Inner Loop Header: Depth=1
	s_load_dwordx8 s[16:23], s[6:7], 0x4
	s_load_dwordx4 s[24:27], s[6:7], 0x24
	s_load_dwordx8 s[8:15], s[2:3], 0x0
	s_add_u32 s6, s6, 48
	s_addc_u32 s7, s7, 0
	s_waitcnt lgkmcnt(0)
	v_mul_hi_u32 v7, s17, v4
	s_add_i32 s30, s30, 4
	s_add_u32 s2, s2, 32
	s_addc_u32 s3, s3, 0
	v_add_u32_e32 v7, v4, v7
	v_lshrrev_b32_e32 v7, s18, v7
	v_mul_lo_u32 v9, v7, s16
	v_mul_hi_u32 v10, s20, v7
	s_cmp_lg_u32 s28, s30
	v_sub_u32_e32 v4, v4, v9
	v_add_u32_e32 v9, v7, v10
	v_mul_lo_u32 v10, v4, s8
	v_mul_lo_u32 v11, v4, s9
	v_lshrrev_b32_e32 v4, s21, v9
	v_mul_lo_u32 v9, v4, s19
	v_mul_hi_u32 v12, s23, v4
	v_sub_u32_e32 v7, v7, v9
	v_add_u32_e32 v9, v4, v12
	v_lshrrev_b32_e32 v9, s24, v9
	v_mul_hi_u32 v13, s26, v9
	v_mul_lo_u32 v14, v9, s22
	v_mul_lo_u32 v12, v7, s10
	;; [unrolled: 1-line block ×3, first 2 shown]
	v_sub_u32_e32 v14, v4, v14
	v_add_u32_e32 v4, v9, v13
	v_lshrrev_b32_e32 v4, s27, v4
	v_mul_lo_u32 v13, v4, s25
	v_mul_lo_u32 v15, v14, s12
	v_mul_lo_u32 v14, v14, s13
	v_add3_u32 v6, v10, v6, v12
	v_sub_u32_e32 v9, v9, v13
	v_mul_lo_u32 v13, v9, s14
	v_mul_lo_u32 v9, v9, s15
	v_add3_u32 v7, v11, v8, v7
	v_add3_u32 v6, v15, v6, v13
	;; [unrolled: 1-line block ×3, first 2 shown]
	s_cbranch_scc1 .LBB125_48
; %bb.49:
	s_and_b32 s8, s29, 3
	s_cmp_eq_u32 s8, 0
	s_cbranch_scc0 .LBB125_53
	s_branch .LBB125_55
.LBB125_50:
                                        ; implicit-def: $vgpr6
                                        ; implicit-def: $vgpr8
	s_branch .LBB125_56
.LBB125_51:
	v_mov_b32_e32 v6, 0
	v_mov_b32_e32 v8, 0
	s_branch .LBB125_55
.LBB125_52:
	v_mov_b32_e32 v6, 0
	v_mov_b32_e32 v8, 0
	v_mov_b32_e32 v4, v1
	s_and_b32 s8, s29, 3
	s_cmp_eq_u32 s8, 0
	s_cbranch_scc1 .LBB125_55
.LBB125_53:
	s_lshl_b32 s2, s28, 3
	s_add_u32 s2, s34, s2
	s_addc_u32 s3, s35, 0
	s_add_u32 s2, s2, 0xc4
	s_addc_u32 s3, s3, 0
	s_mul_i32 s6, s28, 12
	s_add_u32 s6, s34, s6
	s_addc_u32 s7, s35, 0
.LBB125_54:                             ; =>This Inner Loop Header: Depth=1
	s_load_dwordx2 s[10:11], s[6:7], 0x4
	s_load_dword s9, s[6:7], 0xc
	s_load_dwordx2 s[12:13], s[2:3], 0x0
	s_add_u32 s6, s6, 12
	s_addc_u32 s7, s7, 0
	s_waitcnt lgkmcnt(0)
	v_mul_hi_u32 v7, s11, v4
	s_add_u32 s2, s2, 8
	s_addc_u32 s3, s3, 0
	s_add_i32 s8, s8, -1
	v_add_u32_e32 v7, v4, v7
	v_lshrrev_b32_e32 v10, s9, v7
	v_mul_lo_u32 v7, v10, s10
	s_cmp_lg_u32 s8, 0
	v_sub_u32_e32 v4, v4, v7
	v_mad_u64_u32 v[6:7], s[10:11], v4, s12, v[6:7]
	v_mad_u64_u32 v[8:9], s[10:11], v4, s13, v[8:9]
	v_mov_b32_e32 v4, v10
	s_cbranch_scc1 .LBB125_54
.LBB125_55:
	s_cbranch_execnz .LBB125_58
.LBB125_56:
	s_load_dwordx4 s[8:11], s[34:35], 0x4
	s_load_dwordx2 s[2:3], s[34:35], 0xc4
	s_cmp_lt_u32 s33, 2
	s_waitcnt lgkmcnt(0)
	v_mul_hi_u32 v4, s9, v1
	v_add_u32_e32 v4, v1, v4
	v_lshrrev_b32_e32 v4, s10, v4
	v_mul_lo_u32 v6, v4, s8
	v_sub_u32_e32 v1, v1, v6
	v_mul_lo_u32 v6, v1, s2
	v_mul_lo_u32 v8, v1, s3
	s_cbranch_scc1 .LBB125_58
; %bb.57:
	s_load_dwordx4 s[8:11], s[34:35], 0x10
	s_load_dwordx2 s[2:3], s[34:35], 0xcc
	s_waitcnt lgkmcnt(0)
	v_mul_hi_u32 v1, s9, v4
	v_add_u32_e32 v1, v4, v1
	v_lshrrev_b32_e32 v1, s10, v1
	v_mul_lo_u32 v1, v1, s8
	v_sub_u32_e32 v1, v4, v1
	v_mad_u64_u32 v[6:7], s[6:7], v1, s2, v[6:7]
	v_mad_u64_u32 v[8:9], s[2:3], v1, s3, v[8:9]
.LBB125_58:
	s_and_b64 vcc, exec, s[0:1]
	v_add_u32_e32 v1, 0x180, v19
	s_cbranch_vccnz .LBB125_64
; %bb.59:
	s_cmp_lg_u32 s33, 0
	s_mov_b32 s28, 0
	s_cbranch_scc0 .LBB125_65
; %bb.60:
	s_min_u32 s29, s56, 15
	s_add_i32 s29, s29, 1
	s_cmp_eq_u32 s56, 2
	s_cbranch_scc1 .LBB125_66
; %bb.61:
	s_and_b32 s28, s29, 28
	s_add_u32 s2, s34, 0xc4
	s_addc_u32 s3, s35, 0
	v_mov_b32_e32 v11, 0
	s_mov_b32 s30, 0
	s_mov_b64 s[6:7], s[34:35]
	v_mov_b32_e32 v9, 0
	v_mov_b32_e32 v4, v1
.LBB125_62:                             ; =>This Inner Loop Header: Depth=1
	s_load_dwordx8 s[16:23], s[6:7], 0x4
	s_load_dwordx4 s[24:27], s[6:7], 0x24
	s_load_dwordx8 s[8:15], s[2:3], 0x0
	s_add_u32 s6, s6, 48
	s_addc_u32 s7, s7, 0
	s_waitcnt lgkmcnt(0)
	v_mul_hi_u32 v7, s17, v4
	s_add_i32 s30, s30, 4
	s_add_u32 s2, s2, 32
	s_addc_u32 s3, s3, 0
	v_add_u32_e32 v7, v4, v7
	v_lshrrev_b32_e32 v7, s18, v7
	v_mul_lo_u32 v10, v7, s16
	v_mul_hi_u32 v12, s20, v7
	s_cmp_lg_u32 s28, s30
	v_sub_u32_e32 v4, v4, v10
	v_add_u32_e32 v10, v7, v12
	v_mul_lo_u32 v12, v4, s8
	v_mul_lo_u32 v13, v4, s9
	v_lshrrev_b32_e32 v4, s21, v10
	v_mul_lo_u32 v10, v4, s19
	v_mul_hi_u32 v14, s23, v4
	v_sub_u32_e32 v7, v7, v10
	v_add_u32_e32 v10, v4, v14
	v_lshrrev_b32_e32 v10, s24, v10
	v_mul_hi_u32 v15, s26, v10
	v_mul_lo_u32 v16, v10, s22
	v_mul_lo_u32 v14, v7, s10
	;; [unrolled: 1-line block ×3, first 2 shown]
	v_sub_u32_e32 v16, v4, v16
	v_add_u32_e32 v4, v10, v15
	v_lshrrev_b32_e32 v4, s27, v4
	v_mul_lo_u32 v15, v4, s25
	v_mul_lo_u32 v17, v16, s12
	;; [unrolled: 1-line block ×3, first 2 shown]
	v_add3_u32 v9, v12, v9, v14
	v_sub_u32_e32 v10, v10, v15
	v_mul_lo_u32 v15, v10, s14
	v_mul_lo_u32 v10, v10, s15
	v_add3_u32 v7, v13, v11, v7
	v_add3_u32 v9, v17, v9, v15
	;; [unrolled: 1-line block ×3, first 2 shown]
	s_cbranch_scc1 .LBB125_62
; %bb.63:
	s_and_b32 s8, s29, 3
	s_cmp_eq_u32 s8, 0
	s_cbranch_scc0 .LBB125_67
	s_branch .LBB125_69
.LBB125_64:
                                        ; implicit-def: $vgpr9
                                        ; implicit-def: $vgpr11
	s_branch .LBB125_70
.LBB125_65:
	v_mov_b32_e32 v9, 0
	v_mov_b32_e32 v11, 0
	s_branch .LBB125_69
.LBB125_66:
	v_mov_b32_e32 v9, 0
	v_mov_b32_e32 v11, 0
	;; [unrolled: 1-line block ×3, first 2 shown]
	s_and_b32 s8, s29, 3
	s_cmp_eq_u32 s8, 0
	s_cbranch_scc1 .LBB125_69
.LBB125_67:
	s_lshl_b32 s2, s28, 3
	s_add_u32 s2, s34, s2
	s_addc_u32 s3, s35, 0
	s_add_u32 s2, s2, 0xc4
	s_addc_u32 s3, s3, 0
	s_mul_i32 s6, s28, 12
	s_add_u32 s6, s34, s6
	s_addc_u32 s7, s35, 0
.LBB125_68:                             ; =>This Inner Loop Header: Depth=1
	s_load_dwordx2 s[10:11], s[6:7], 0x4
	s_load_dword s9, s[6:7], 0xc
	s_load_dwordx2 s[12:13], s[2:3], 0x0
	s_add_u32 s6, s6, 12
	s_addc_u32 s7, s7, 0
	s_waitcnt lgkmcnt(0)
	v_mul_hi_u32 v7, s11, v4
	s_add_u32 s2, s2, 8
	s_addc_u32 s3, s3, 0
	s_add_i32 s8, s8, -1
	v_add_u32_e32 v7, v4, v7
	v_lshrrev_b32_e32 v7, s9, v7
	v_mul_lo_u32 v10, v7, s10
	s_cmp_lg_u32 s8, 0
	v_sub_u32_e32 v4, v4, v10
	v_mad_u64_u32 v[9:10], s[10:11], v4, s12, v[9:10]
	v_mad_u64_u32 v[11:12], s[10:11], v4, s13, v[11:12]
	v_mov_b32_e32 v4, v7
	s_cbranch_scc1 .LBB125_68
.LBB125_69:
	s_cbranch_execnz .LBB125_72
.LBB125_70:
	s_load_dwordx4 s[8:11], s[34:35], 0x4
	s_load_dwordx2 s[2:3], s[34:35], 0xc4
	s_cmp_lt_u32 s33, 2
	s_waitcnt lgkmcnt(0)
	v_mul_hi_u32 v4, s9, v1
	v_add_u32_e32 v4, v1, v4
	v_lshrrev_b32_e32 v4, s10, v4
	v_mul_lo_u32 v7, v4, s8
	v_sub_u32_e32 v1, v1, v7
	v_mul_lo_u32 v9, v1, s2
	v_mul_lo_u32 v11, v1, s3
	s_cbranch_scc1 .LBB125_72
; %bb.71:
	s_load_dwordx4 s[8:11], s[34:35], 0x10
	s_load_dwordx2 s[2:3], s[34:35], 0xcc
	s_waitcnt lgkmcnt(0)
	v_mul_hi_u32 v1, s9, v4
	v_add_u32_e32 v1, v4, v1
	v_lshrrev_b32_e32 v1, s10, v1
	v_mul_lo_u32 v1, v1, s8
	v_sub_u32_e32 v1, v4, v1
	v_mad_u64_u32 v[9:10], s[6:7], v1, s2, v[9:10]
	v_mad_u64_u32 v[11:12], s[2:3], v1, s3, v[11:12]
.LBB125_72:
	s_and_b64 vcc, exec, s[0:1]
	v_add_u32_e32 v1, 0x200, v19
	s_cbranch_vccnz .LBB125_78
; %bb.73:
	s_cmp_lg_u32 s33, 0
	s_mov_b32 s28, 0
	s_cbranch_scc0 .LBB125_79
; %bb.74:
	s_min_u32 s29, s56, 15
	s_add_i32 s29, s29, 1
	s_cmp_eq_u32 s56, 2
	s_cbranch_scc1 .LBB125_80
; %bb.75:
	s_and_b32 s28, s29, 28
	s_add_u32 s2, s34, 0xc4
	s_addc_u32 s3, s35, 0
	v_mov_b32_e32 v14, 0
	s_mov_b32 s30, 0
	s_mov_b64 s[6:7], s[34:35]
	v_mov_b32_e32 v12, 0
	v_mov_b32_e32 v4, v1
.LBB125_76:                             ; =>This Inner Loop Header: Depth=1
	s_load_dwordx8 s[16:23], s[6:7], 0x4
	s_load_dwordx4 s[24:27], s[6:7], 0x24
	s_load_dwordx8 s[8:15], s[2:3], 0x0
	s_add_u32 s6, s6, 48
	s_addc_u32 s7, s7, 0
	s_waitcnt lgkmcnt(0)
	v_mul_hi_u32 v7, s17, v4
	s_add_i32 s30, s30, 4
	s_add_u32 s2, s2, 32
	s_addc_u32 s3, s3, 0
	v_add_u32_e32 v7, v4, v7
	v_lshrrev_b32_e32 v7, s18, v7
	v_mul_lo_u32 v10, v7, s16
	v_mul_hi_u32 v13, s20, v7
	s_cmp_lg_u32 s28, s30
	v_sub_u32_e32 v4, v4, v10
	v_add_u32_e32 v10, v7, v13
	v_mul_lo_u32 v13, v4, s8
	v_mul_lo_u32 v15, v4, s9
	v_lshrrev_b32_e32 v4, s21, v10
	v_mul_lo_u32 v10, v4, s19
	v_mul_hi_u32 v16, s23, v4
	v_sub_u32_e32 v7, v7, v10
	v_add_u32_e32 v10, v4, v16
	v_lshrrev_b32_e32 v10, s24, v10
	v_mul_hi_u32 v17, s26, v10
	v_mul_lo_u32 v18, v10, s22
	v_mul_lo_u32 v16, v7, s10
	;; [unrolled: 1-line block ×3, first 2 shown]
	v_sub_u32_e32 v18, v4, v18
	v_add_u32_e32 v4, v10, v17
	v_lshrrev_b32_e32 v4, s27, v4
	v_mul_lo_u32 v17, v4, s25
	v_mul_lo_u32 v20, v18, s12
	;; [unrolled: 1-line block ×3, first 2 shown]
	v_add3_u32 v12, v13, v12, v16
	v_sub_u32_e32 v10, v10, v17
	v_mul_lo_u32 v17, v10, s14
	v_mul_lo_u32 v10, v10, s15
	v_add3_u32 v7, v15, v14, v7
	v_add3_u32 v12, v20, v12, v17
	;; [unrolled: 1-line block ×3, first 2 shown]
	s_cbranch_scc1 .LBB125_76
; %bb.77:
	s_and_b32 s8, s29, 3
	s_cmp_eq_u32 s8, 0
	s_cbranch_scc0 .LBB125_81
	s_branch .LBB125_83
.LBB125_78:
                                        ; implicit-def: $vgpr12
                                        ; implicit-def: $vgpr14
	s_branch .LBB125_84
.LBB125_79:
	v_mov_b32_e32 v12, 0
	v_mov_b32_e32 v14, 0
	s_branch .LBB125_83
.LBB125_80:
	v_mov_b32_e32 v12, 0
	v_mov_b32_e32 v14, 0
	;; [unrolled: 1-line block ×3, first 2 shown]
	s_and_b32 s8, s29, 3
	s_cmp_eq_u32 s8, 0
	s_cbranch_scc1 .LBB125_83
.LBB125_81:
	s_lshl_b32 s2, s28, 3
	s_add_u32 s2, s34, s2
	s_addc_u32 s3, s35, 0
	s_add_u32 s2, s2, 0xc4
	s_addc_u32 s3, s3, 0
	s_mul_i32 s6, s28, 12
	s_add_u32 s6, s34, s6
	s_addc_u32 s7, s35, 0
.LBB125_82:                             ; =>This Inner Loop Header: Depth=1
	s_load_dwordx2 s[10:11], s[6:7], 0x4
	s_load_dword s9, s[6:7], 0xc
	s_load_dwordx2 s[12:13], s[2:3], 0x0
	s_add_u32 s6, s6, 12
	s_addc_u32 s7, s7, 0
	s_waitcnt lgkmcnt(0)
	v_mul_hi_u32 v7, s11, v4
	s_add_u32 s2, s2, 8
	s_addc_u32 s3, s3, 0
	s_add_i32 s8, s8, -1
	v_add_u32_e32 v7, v4, v7
	v_lshrrev_b32_e32 v7, s9, v7
	v_mul_lo_u32 v10, v7, s10
	s_cmp_lg_u32 s8, 0
	v_sub_u32_e32 v4, v4, v10
	v_mad_u64_u32 v[12:13], s[10:11], v4, s12, v[12:13]
	v_mad_u64_u32 v[14:15], s[10:11], v4, s13, v[14:15]
	v_mov_b32_e32 v4, v7
	s_cbranch_scc1 .LBB125_82
.LBB125_83:
	s_cbranch_execnz .LBB125_86
.LBB125_84:
	s_load_dwordx4 s[8:11], s[34:35], 0x4
	s_load_dwordx2 s[2:3], s[34:35], 0xc4
	s_cmp_lt_u32 s33, 2
	s_waitcnt lgkmcnt(0)
	v_mul_hi_u32 v4, s9, v1
	v_add_u32_e32 v4, v1, v4
	v_lshrrev_b32_e32 v4, s10, v4
	v_mul_lo_u32 v7, v4, s8
	v_sub_u32_e32 v1, v1, v7
	v_mul_lo_u32 v12, v1, s2
	v_mul_lo_u32 v14, v1, s3
	s_cbranch_scc1 .LBB125_86
; %bb.85:
	s_load_dwordx4 s[8:11], s[34:35], 0x10
	s_load_dwordx2 s[2:3], s[34:35], 0xcc
	s_waitcnt lgkmcnt(0)
	v_mul_hi_u32 v1, s9, v4
	v_add_u32_e32 v1, v4, v1
	v_lshrrev_b32_e32 v1, s10, v1
	v_mul_lo_u32 v1, v1, s8
	v_sub_u32_e32 v1, v4, v1
	v_mad_u64_u32 v[12:13], s[6:7], v1, s2, v[12:13]
	v_mad_u64_u32 v[14:15], s[2:3], v1, s3, v[14:15]
.LBB125_86:
	s_and_b64 vcc, exec, s[0:1]
	v_add_u32_e32 v1, 0x280, v19
	s_cbranch_vccnz .LBB125_92
; %bb.87:
	s_cmp_lg_u32 s33, 0
	s_mov_b32 s28, 0
	s_cbranch_scc0 .LBB125_93
; %bb.88:
	s_min_u32 s29, s56, 15
	s_add_i32 s29, s29, 1
	s_cmp_eq_u32 s56, 2
	s_cbranch_scc1 .LBB125_94
; %bb.89:
	s_and_b32 s28, s29, 28
	s_add_u32 s2, s34, 0xc4
	s_addc_u32 s3, s35, 0
	v_mov_b32_e32 v17, 0
	s_mov_b32 s30, 0
	s_mov_b64 s[6:7], s[34:35]
	v_mov_b32_e32 v15, 0
	v_mov_b32_e32 v4, v1
.LBB125_90:                             ; =>This Inner Loop Header: Depth=1
	s_load_dwordx8 s[16:23], s[6:7], 0x4
	s_load_dwordx4 s[24:27], s[6:7], 0x24
	s_load_dwordx8 s[8:15], s[2:3], 0x0
	s_add_u32 s6, s6, 48
	s_addc_u32 s7, s7, 0
	s_waitcnt lgkmcnt(0)
	v_mul_hi_u32 v7, s17, v4
	s_add_i32 s30, s30, 4
	s_add_u32 s2, s2, 32
	s_addc_u32 s3, s3, 0
	v_add_u32_e32 v7, v4, v7
	v_lshrrev_b32_e32 v7, s18, v7
	v_mul_lo_u32 v10, v7, s16
	v_mul_hi_u32 v13, s20, v7
	s_cmp_lg_u32 s28, s30
	v_sub_u32_e32 v4, v4, v10
	v_add_u32_e32 v10, v7, v13
	v_mul_lo_u32 v13, v4, s8
	v_mul_lo_u32 v16, v4, s9
	v_lshrrev_b32_e32 v4, s21, v10
	v_mul_lo_u32 v10, v4, s19
	v_mul_hi_u32 v18, s23, v4
	v_sub_u32_e32 v7, v7, v10
	v_add_u32_e32 v10, v4, v18
	v_lshrrev_b32_e32 v10, s24, v10
	v_mul_hi_u32 v20, s26, v10
	v_mul_lo_u32 v21, v10, s22
	v_mul_lo_u32 v18, v7, s10
	;; [unrolled: 1-line block ×3, first 2 shown]
	v_sub_u32_e32 v21, v4, v21
	v_add_u32_e32 v4, v10, v20
	v_lshrrev_b32_e32 v4, s27, v4
	v_mul_lo_u32 v20, v4, s25
	v_mul_lo_u32 v22, v21, s12
	;; [unrolled: 1-line block ×3, first 2 shown]
	v_add3_u32 v13, v13, v15, v18
	v_sub_u32_e32 v10, v10, v20
	v_mul_lo_u32 v20, v10, s14
	v_mul_lo_u32 v10, v10, s15
	v_add3_u32 v7, v16, v17, v7
	v_add3_u32 v15, v22, v13, v20
	;; [unrolled: 1-line block ×3, first 2 shown]
	s_cbranch_scc1 .LBB125_90
; %bb.91:
	s_and_b32 s8, s29, 3
	s_cmp_eq_u32 s8, 0
	s_cbranch_scc0 .LBB125_95
	s_branch .LBB125_97
.LBB125_92:
                                        ; implicit-def: $vgpr15
                                        ; implicit-def: $vgpr17
	s_branch .LBB125_98
.LBB125_93:
	v_mov_b32_e32 v15, 0
	v_mov_b32_e32 v17, 0
	s_branch .LBB125_97
.LBB125_94:
	v_mov_b32_e32 v15, 0
	v_mov_b32_e32 v17, 0
	;; [unrolled: 1-line block ×3, first 2 shown]
	s_and_b32 s8, s29, 3
	s_cmp_eq_u32 s8, 0
	s_cbranch_scc1 .LBB125_97
.LBB125_95:
	s_lshl_b32 s2, s28, 3
	s_add_u32 s2, s34, s2
	s_addc_u32 s3, s35, 0
	s_add_u32 s2, s2, 0xc4
	s_addc_u32 s3, s3, 0
	s_mul_i32 s6, s28, 12
	s_add_u32 s6, s34, s6
	s_addc_u32 s7, s35, 0
.LBB125_96:                             ; =>This Inner Loop Header: Depth=1
	s_load_dwordx2 s[10:11], s[6:7], 0x4
	s_load_dword s9, s[6:7], 0xc
	s_load_dwordx2 s[12:13], s[2:3], 0x0
	s_add_u32 s6, s6, 12
	s_addc_u32 s7, s7, 0
	s_waitcnt lgkmcnt(0)
	v_mul_hi_u32 v7, s11, v4
	s_add_u32 s2, s2, 8
	s_addc_u32 s3, s3, 0
	s_add_i32 s8, s8, -1
	v_add_u32_e32 v7, v4, v7
	v_lshrrev_b32_e32 v7, s9, v7
	v_mul_lo_u32 v10, v7, s10
	s_cmp_lg_u32 s8, 0
	v_sub_u32_e32 v4, v4, v10
	v_mad_u64_u32 v[15:16], s[10:11], v4, s12, v[15:16]
	v_mad_u64_u32 v[17:18], s[10:11], v4, s13, v[17:18]
	v_mov_b32_e32 v4, v7
	s_cbranch_scc1 .LBB125_96
.LBB125_97:
	s_cbranch_execnz .LBB125_100
.LBB125_98:
	s_load_dwordx4 s[8:11], s[34:35], 0x4
	s_load_dwordx2 s[2:3], s[34:35], 0xc4
	s_cmp_lt_u32 s33, 2
	s_waitcnt lgkmcnt(0)
	v_mul_hi_u32 v4, s9, v1
	v_add_u32_e32 v4, v1, v4
	v_lshrrev_b32_e32 v4, s10, v4
	v_mul_lo_u32 v7, v4, s8
	v_sub_u32_e32 v1, v1, v7
	v_mul_lo_u32 v15, v1, s2
	v_mul_lo_u32 v17, v1, s3
	s_cbranch_scc1 .LBB125_100
; %bb.99:
	s_load_dwordx4 s[8:11], s[34:35], 0x10
	s_load_dwordx2 s[2:3], s[34:35], 0xcc
	s_waitcnt lgkmcnt(0)
	v_mul_hi_u32 v1, s9, v4
	v_add_u32_e32 v1, v4, v1
	v_lshrrev_b32_e32 v1, s10, v1
	v_mul_lo_u32 v1, v1, s8
	v_sub_u32_e32 v1, v4, v1
	v_mad_u64_u32 v[15:16], s[6:7], v1, s2, v[15:16]
	v_mad_u64_u32 v[17:18], s[2:3], v1, s3, v[17:18]
.LBB125_100:
	s_and_b64 vcc, exec, s[0:1]
	v_add_u32_e32 v1, 0x300, v19
	s_cbranch_vccnz .LBB125_106
; %bb.101:
	s_cmp_lg_u32 s33, 0
	s_mov_b32 s28, 0
	s_cbranch_scc0 .LBB125_107
; %bb.102:
	s_min_u32 s29, s56, 15
	s_add_i32 s29, s29, 1
	s_cmp_eq_u32 s56, 2
	s_cbranch_scc1 .LBB125_108
; %bb.103:
	s_and_b32 s28, s29, 28
	s_add_u32 s2, s34, 0xc4
	s_addc_u32 s3, s35, 0
	v_mov_b32_e32 v20, 0
	s_mov_b32 s30, 0
	s_mov_b64 s[6:7], s[34:35]
	v_mov_b32_e32 v18, 0
	v_mov_b32_e32 v4, v1
.LBB125_104:                            ; =>This Inner Loop Header: Depth=1
	s_load_dwordx8 s[16:23], s[6:7], 0x4
	s_load_dwordx4 s[24:27], s[6:7], 0x24
	s_load_dwordx8 s[8:15], s[2:3], 0x0
	s_add_u32 s6, s6, 48
	s_addc_u32 s7, s7, 0
	s_waitcnt lgkmcnt(0)
	v_mul_hi_u32 v7, s17, v4
	s_add_i32 s30, s30, 4
	s_add_u32 s2, s2, 32
	s_addc_u32 s3, s3, 0
	v_add_u32_e32 v7, v4, v7
	v_lshrrev_b32_e32 v7, s18, v7
	v_mul_lo_u32 v10, v7, s16
	v_mul_hi_u32 v13, s20, v7
	s_cmp_lg_u32 s28, s30
	v_sub_u32_e32 v4, v4, v10
	v_add_u32_e32 v10, v7, v13
	v_mul_lo_u32 v13, v4, s8
	v_mul_lo_u32 v16, v4, s9
	v_lshrrev_b32_e32 v4, s21, v10
	v_mul_lo_u32 v10, v4, s19
	v_mul_hi_u32 v19, s23, v4
	v_sub_u32_e32 v7, v7, v10
	v_add_u32_e32 v10, v4, v19
	v_lshrrev_b32_e32 v10, s24, v10
	v_mul_hi_u32 v21, s26, v10
	v_mul_lo_u32 v22, v10, s22
	v_mul_lo_u32 v19, v7, s10
	;; [unrolled: 1-line block ×3, first 2 shown]
	v_sub_u32_e32 v22, v4, v22
	v_add_u32_e32 v4, v10, v21
	v_lshrrev_b32_e32 v4, s27, v4
	v_mul_lo_u32 v21, v4, s25
	v_mul_lo_u32 v23, v22, s12
	;; [unrolled: 1-line block ×3, first 2 shown]
	v_add3_u32 v13, v13, v18, v19
	v_sub_u32_e32 v10, v10, v21
	v_mul_lo_u32 v21, v10, s14
	v_mul_lo_u32 v10, v10, s15
	v_add3_u32 v7, v16, v20, v7
	v_add3_u32 v18, v23, v13, v21
	;; [unrolled: 1-line block ×3, first 2 shown]
	s_cbranch_scc1 .LBB125_104
; %bb.105:
	s_and_b32 s8, s29, 3
	s_cmp_eq_u32 s8, 0
	s_cbranch_scc0 .LBB125_109
	s_branch .LBB125_111
.LBB125_106:
                                        ; implicit-def: $vgpr18
                                        ; implicit-def: $vgpr20
	s_branch .LBB125_112
.LBB125_107:
	v_mov_b32_e32 v18, 0
	v_mov_b32_e32 v20, 0
	s_branch .LBB125_111
.LBB125_108:
	v_mov_b32_e32 v18, 0
	v_mov_b32_e32 v20, 0
	;; [unrolled: 1-line block ×3, first 2 shown]
	s_and_b32 s8, s29, 3
	s_cmp_eq_u32 s8, 0
	s_cbranch_scc1 .LBB125_111
.LBB125_109:
	s_lshl_b32 s2, s28, 3
	s_add_u32 s2, s34, s2
	s_addc_u32 s3, s35, 0
	s_add_u32 s2, s2, 0xc4
	s_addc_u32 s3, s3, 0
	s_mul_i32 s6, s28, 12
	s_add_u32 s6, s34, s6
	s_addc_u32 s7, s35, 0
.LBB125_110:                            ; =>This Inner Loop Header: Depth=1
	s_load_dwordx2 s[10:11], s[6:7], 0x4
	s_load_dword s9, s[6:7], 0xc
	s_load_dwordx2 s[12:13], s[2:3], 0x0
	s_add_u32 s6, s6, 12
	s_addc_u32 s7, s7, 0
	s_waitcnt lgkmcnt(0)
	v_mul_hi_u32 v7, s11, v4
	s_add_u32 s2, s2, 8
	s_addc_u32 s3, s3, 0
	s_add_i32 s8, s8, -1
	v_add_u32_e32 v7, v4, v7
	v_lshrrev_b32_e32 v7, s9, v7
	v_mul_lo_u32 v10, v7, s10
	s_cmp_lg_u32 s8, 0
	v_sub_u32_e32 v4, v4, v10
	v_mad_u64_u32 v[18:19], s[10:11], v4, s12, v[18:19]
	v_mad_u64_u32 v[20:21], s[10:11], v4, s13, v[20:21]
	v_mov_b32_e32 v4, v7
	s_cbranch_scc1 .LBB125_110
.LBB125_111:
	s_cbranch_execnz .LBB125_114
.LBB125_112:
	s_load_dwordx4 s[8:11], s[34:35], 0x4
	s_load_dwordx2 s[2:3], s[34:35], 0xc4
	s_cmp_lt_u32 s33, 2
	s_waitcnt lgkmcnt(0)
	v_mul_hi_u32 v4, s9, v1
	v_add_u32_e32 v4, v1, v4
	v_lshrrev_b32_e32 v4, s10, v4
	v_mul_lo_u32 v7, v4, s8
	v_sub_u32_e32 v1, v1, v7
	v_mul_lo_u32 v18, v1, s2
	v_mul_lo_u32 v20, v1, s3
	s_cbranch_scc1 .LBB125_114
; %bb.113:
	s_load_dwordx4 s[8:11], s[34:35], 0x10
	s_load_dwordx2 s[2:3], s[34:35], 0xcc
	s_waitcnt lgkmcnt(0)
	v_mul_hi_u32 v1, s9, v4
	v_add_u32_e32 v1, v4, v1
	v_lshrrev_b32_e32 v1, s10, v1
	v_mul_lo_u32 v1, v1, s8
	v_sub_u32_e32 v1, v4, v1
	v_mad_u64_u32 v[18:19], s[6:7], v1, s2, v[18:19]
	v_mad_u64_u32 v[20:21], s[2:3], v1, s3, v[20:21]
.LBB125_114:
	s_and_b64 vcc, exec, s[0:1]
	s_cbranch_vccnz .LBB125_120
; %bb.115:
	s_cmp_lg_u32 s33, 0
	s_mov_b32 s26, 0
	s_cbranch_scc0 .LBB125_121
; %bb.116:
	s_min_u32 s27, s56, 15
	s_add_i32 s27, s27, 1
	s_cmp_eq_u32 s56, 2
	s_cbranch_scc1 .LBB125_122
; %bb.117:
	s_and_b32 s26, s27, 28
	s_add_u32 s6, s34, 0xc4
	s_addc_u32 s7, s35, 0
	v_mov_b32_e32 v23, 0
	s_mov_b32 s28, 0
	s_mov_b64 s[24:25], s[34:35]
	v_mov_b32_e32 v21, 0
	v_mov_b32_e32 v1, v25
.LBB125_118:                            ; =>This Inner Loop Header: Depth=1
	s_load_dwordx8 s[16:23], s[24:25], 0x4
	s_load_dwordx4 s[0:3], s[24:25], 0x24
	s_load_dwordx8 s[8:15], s[6:7], 0x0
	s_add_u32 s24, s24, 48
	s_addc_u32 s25, s25, 0
	s_waitcnt lgkmcnt(0)
	v_mul_hi_u32 v4, s17, v1
	s_add_i32 s28, s28, 4
	s_add_u32 s6, s6, 32
	s_addc_u32 s7, s7, 0
	v_add_u32_e32 v4, v1, v4
	v_lshrrev_b32_e32 v4, s18, v4
	v_mul_lo_u32 v7, v4, s16
	v_mul_hi_u32 v10, s20, v4
	s_cmp_lg_u32 s26, s28
	v_sub_u32_e32 v1, v1, v7
	v_add_u32_e32 v7, v4, v10
	v_mul_lo_u32 v10, v1, s8
	v_mul_lo_u32 v13, v1, s9
	v_lshrrev_b32_e32 v1, s21, v7
	v_mul_lo_u32 v7, v1, s19
	v_mul_hi_u32 v16, s23, v1
	v_sub_u32_e32 v4, v4, v7
	v_add_u32_e32 v7, v1, v16
	v_lshrrev_b32_e32 v7, s0, v7
	v_mul_hi_u32 v19, s2, v7
	v_mul_lo_u32 v22, v7, s22
	v_mul_lo_u32 v16, v4, s10
	;; [unrolled: 1-line block ×3, first 2 shown]
	v_sub_u32_e32 v22, v1, v22
	v_add_u32_e32 v1, v7, v19
	v_lshrrev_b32_e32 v1, s3, v1
	v_mul_lo_u32 v19, v1, s1
	v_mul_lo_u32 v24, v22, s12
	;; [unrolled: 1-line block ×3, first 2 shown]
	v_add3_u32 v10, v10, v21, v16
	v_sub_u32_e32 v7, v7, v19
	v_mul_lo_u32 v19, v7, s14
	v_mul_lo_u32 v7, v7, s15
	v_add3_u32 v4, v13, v23, v4
	v_add3_u32 v21, v24, v10, v19
	v_add3_u32 v23, v22, v4, v7
	s_cbranch_scc1 .LBB125_118
; %bb.119:
	s_and_b32 s6, s27, 3
	s_cmp_eq_u32 s6, 0
	s_cbranch_scc0 .LBB125_123
	s_branch .LBB125_125
.LBB125_120:
                                        ; implicit-def: $vgpr21
                                        ; implicit-def: $vgpr23
	s_branch .LBB125_126
.LBB125_121:
	v_mov_b32_e32 v21, 0
	v_mov_b32_e32 v23, 0
	s_branch .LBB125_125
.LBB125_122:
	v_mov_b32_e32 v21, 0
	v_mov_b32_e32 v23, 0
	;; [unrolled: 1-line block ×3, first 2 shown]
	s_and_b32 s6, s27, 3
	s_cmp_eq_u32 s6, 0
	s_cbranch_scc1 .LBB125_125
.LBB125_123:
	s_lshl_b32 s0, s26, 3
	s_add_u32 s0, s34, s0
	s_addc_u32 s1, s35, 0
	s_add_u32 s0, s0, 0xc4
	s_addc_u32 s1, s1, 0
	s_mul_i32 s2, s26, 12
	s_add_u32 s2, s34, s2
	s_addc_u32 s3, s35, 0
.LBB125_124:                            ; =>This Inner Loop Header: Depth=1
	s_load_dwordx2 s[8:9], s[2:3], 0x4
	s_load_dword s7, s[2:3], 0xc
	s_load_dwordx2 s[10:11], s[0:1], 0x0
	s_add_u32 s2, s2, 12
	s_addc_u32 s3, s3, 0
	s_waitcnt lgkmcnt(0)
	v_mul_hi_u32 v4, s9, v1
	s_add_u32 s0, s0, 8
	s_addc_u32 s1, s1, 0
	s_add_i32 s6, s6, -1
	v_add_u32_e32 v4, v1, v4
	v_lshrrev_b32_e32 v4, s7, v4
	v_mul_lo_u32 v7, v4, s8
	s_cmp_lg_u32 s6, 0
	v_sub_u32_e32 v1, v1, v7
	v_mad_u64_u32 v[21:22], s[8:9], v1, s10, v[21:22]
	v_mad_u64_u32 v[23:24], s[8:9], v1, s11, v[23:24]
	v_mov_b32_e32 v1, v4
	s_cbranch_scc1 .LBB125_124
.LBB125_125:
	s_cbranch_execnz .LBB125_128
.LBB125_126:
	s_load_dwordx4 s[0:3], s[34:35], 0x4
	s_load_dwordx2 s[6:7], s[34:35], 0xc4
	s_cmp_lt_u32 s33, 2
	s_waitcnt lgkmcnt(0)
	v_mul_hi_u32 v1, s1, v25
	v_add_u32_e32 v1, v25, v1
	v_lshrrev_b32_e32 v1, s2, v1
	v_mul_lo_u32 v4, v1, s0
	v_sub_u32_e32 v4, v25, v4
	v_mul_lo_u32 v21, v4, s6
	v_mul_lo_u32 v23, v4, s7
	s_cbranch_scc1 .LBB125_128
; %bb.127:
	s_load_dwordx4 s[0:3], s[34:35], 0x10
	s_load_dwordx2 s[6:7], s[34:35], 0xcc
	s_waitcnt lgkmcnt(0)
	v_mul_hi_u32 v4, s1, v1
	v_add_u32_e32 v4, v1, v4
	v_lshrrev_b32_e32 v4, s2, v4
	v_mul_lo_u32 v4, v4, s0
	v_sub_u32_e32 v1, v1, v4
	v_mad_u64_u32 v[21:22], s[0:1], v1, s6, v[21:22]
	v_mad_u64_u32 v[23:24], s[0:1], v1, s7, v[23:24]
.LBB125_128:
	s_load_dwordx4 s[16:19], s[34:35], 0x148
	s_load_dword s0, s[4:5], 0x160
	s_waitcnt lgkmcnt(0)
	global_load_ubyte v1, v5, s[18:19]
	global_load_ubyte v4, v2, s[18:19]
	global_load_ubyte v7, v8, s[18:19]
	global_load_ubyte v10, v11, s[18:19]
	global_load_ubyte v13, v14, s[18:19]
	global_load_ubyte v16, v17, s[18:19]
	global_load_ubyte v19, v20, s[18:19]
	global_load_ubyte v22, v23, s[18:19]
	s_bfe_u32 s12, s0, 0x80008
	s_waitcnt vmcnt(7)
	v_lshrrev_b16_e64 v2, v1, s12
	v_cmp_gt_u32_e32 vcc, 8, v1
	s_waitcnt vmcnt(5)
	v_lshrrev_b16_e64 v1, v7, s12
	v_cmp_gt_u32_e64 s[0:1], 8, v7
	s_waitcnt vmcnt(4)
	v_lshrrev_b16_e64 v5, v10, s12
	v_cmp_gt_u32_e64 s[2:3], 8, v10
	;; [unrolled: 3-line block ×3, first 2 shown]
	s_waitcnt vmcnt(2)
	v_lshrrev_b16_e64 v8, v16, s12
	s_waitcnt vmcnt(1)
	v_lshrrev_b16_e64 v10, v19, s12
	;; [unrolled: 2-line block ×3, first 2 shown]
	v_lshrrev_b16_e64 v13, v4, s12
	v_cmp_gt_u32_e64 s[12:13], 8, v4
	v_cmp_gt_u32_e64 s[6:7], 8, v16
	;; [unrolled: 1-line block ×4, first 2 shown]
	v_cndmask_b32_e64 v4, 0, v13, s[12:13]
	v_cndmask_b32_e32 v2, 0, v2, vcc
	v_cndmask_b32_e64 v1, 0, v1, s[0:1]
	v_cndmask_b32_e64 v5, 0, v5, s[2:3]
	;; [unrolled: 1-line block ×6, first 2 shown]
	global_store_byte v0, v4, s[16:17]
	global_store_byte v3, v2, s[16:17]
	;; [unrolled: 1-line block ×8, first 2 shown]
	s_endpgm
.LBB125_129:
	v_mov_b32_e32 v0, 0
	v_mov_b32_e32 v2, 0
	s_branch .LBB125_135
.LBB125_130:
	v_mov_b32_e32 v0, 0
	v_mov_b32_e32 v2, 0
	s_branch .LBB125_151
.LBB125_131:
	s_mov_b32 s60, 0
	v_mov_b32_e32 v0, 0
	v_mov_b32_e32 v2, 0
	v_mov_b32_e32 v1, v19
.LBB125_132:
	s_and_b32 s12, s61, 3
	s_cmp_eq_u32 s12, 0
	s_cbranch_scc1 .LBB125_135
; %bb.133:
	s_lshl_b32 s8, s60, 3
	s_add_u32 s8, s34, s8
	s_addc_u32 s9, s35, 0
	s_add_u32 s8, s8, 0xc4
	s_addc_u32 s9, s9, 0
	s_mul_i32 s10, s60, 12
	s_add_u32 s10, s34, s10
	s_addc_u32 s11, s35, 0
.LBB125_134:                            ; =>This Inner Loop Header: Depth=1
	s_load_dwordx2 s[14:15], s[10:11], 0x4
	s_load_dword s13, s[10:11], 0xc
	s_load_dwordx2 s[16:17], s[8:9], 0x0
	s_add_u32 s10, s10, 12
	s_addc_u32 s11, s11, 0
	s_waitcnt lgkmcnt(0)
	v_mul_hi_u32 v3, s15, v1
	s_add_u32 s8, s8, 8
	s_addc_u32 s9, s9, 0
	s_add_i32 s12, s12, -1
	v_add_u32_e32 v3, v1, v3
	v_lshrrev_b32_e32 v4, s13, v3
	v_mul_lo_u32 v3, v4, s14
	s_cmp_lg_u32 s12, 0
	v_sub_u32_e32 v3, v1, v3
	v_mad_u64_u32 v[0:1], s[14:15], v3, s16, v[0:1]
	v_mad_u64_u32 v[2:3], s[14:15], v3, s17, v[2:3]
	v_mov_b32_e32 v1, v4
	s_cbranch_scc1 .LBB125_134
.LBB125_135:
	s_cbranch_execnz .LBB125_138
.LBB125_136:
	v_mul_hi_u32 v0, s25, v19
	s_andn2_b64 vcc, exec, s[44:45]
	v_add_u32_e32 v0, v19, v0
	v_lshrrev_b32_e32 v1, s26, v0
	v_mul_lo_u32 v0, v1, s24
	v_sub_u32_e32 v2, v19, v0
	v_mul_lo_u32 v0, v2, s28
	v_mul_lo_u32 v2, v2, s29
	s_cbranch_vccnz .LBB125_138
; %bb.137:
	v_mul_hi_u32 v3, s42, v1
	v_add_u32_e32 v3, v1, v3
	v_lshrrev_b32_e32 v3, s43, v3
	v_mul_lo_u32 v3, v3, s27
	v_sub_u32_e32 v3, v1, v3
	v_mad_u64_u32 v[0:1], s[8:9], v3, s30, v[0:1]
	v_mad_u64_u32 v[2:3], s[8:9], v3, s31, v[2:3]
.LBB125_138:
	global_load_ubyte v1, v2, s[2:3]
	s_and_b32 s8, s57, 0xff
	v_add_u32_e32 v19, 0x80, v19
	s_waitcnt vmcnt(0)
	v_lshrrev_b16_e64 v2, v1, s8
	v_cmp_gt_u32_e32 vcc, 8, v1
	v_cndmask_b32_e32 v1, 0, v2, vcc
	global_store_byte v0, v1, s[0:1]
	s_or_b64 exec, exec, s[50:51]
	v_cmp_gt_i32_e32 vcc, s58, v19
	s_and_saveexec_b64 s[50:51], vcc
	s_cbranch_execnz .LBB125_15
.LBB125_139:
	s_or_b64 exec, exec, s[50:51]
	v_cmp_gt_i32_e32 vcc, s58, v19
	s_and_saveexec_b64 s[50:51], vcc
	s_cbranch_execz .LBB125_155
.LBB125_140:
	s_andn2_b64 vcc, exec, s[6:7]
	s_cbranch_vccnz .LBB125_145
; %bb.141:
	s_andn2_b64 vcc, exec, s[48:49]
	s_cbranch_vccnz .LBB125_146
; %bb.142:
	s_add_i32 s61, s59, 1
	s_cmp_eq_u32 s56, 2
	s_cbranch_scc1 .LBB125_163
; %bb.143:
	s_and_b32 s60, s61, 28
	v_mov_b32_e32 v2, 0
	s_mov_b32 s62, 0
	s_mov_b64 s[52:53], s[34:35]
	s_mov_b64 s[54:55], s[46:47]
	v_mov_b32_e32 v0, 0
	v_mov_b32_e32 v1, v19
.LBB125_144:                            ; =>This Inner Loop Header: Depth=1
	s_load_dwordx8 s[16:23], s[52:53], 0x4
	s_load_dwordx4 s[36:39], s[52:53], 0x24
	s_load_dwordx8 s[8:15], s[54:55], 0x0
	s_add_u32 s52, s52, 48
	s_addc_u32 s53, s53, 0
	s_waitcnt lgkmcnt(0)
	v_mul_hi_u32 v3, s17, v1
	s_add_i32 s62, s62, 4
	s_add_u32 s54, s54, 32
	s_addc_u32 s55, s55, 0
	v_add_u32_e32 v3, v1, v3
	v_lshrrev_b32_e32 v3, s18, v3
	v_mul_lo_u32 v4, v3, s16
	v_mul_hi_u32 v5, s20, v3
	s_cmp_eq_u32 s60, s62
	v_sub_u32_e32 v1, v1, v4
	v_add_u32_e32 v4, v3, v5
	v_mul_lo_u32 v5, v1, s8
	v_mul_lo_u32 v6, v1, s9
	v_lshrrev_b32_e32 v1, s21, v4
	v_mul_lo_u32 v4, v1, s19
	v_mul_hi_u32 v7, s23, v1
	v_sub_u32_e32 v3, v3, v4
	v_add_u32_e32 v4, v1, v7
	v_lshrrev_b32_e32 v4, s36, v4
	v_mul_hi_u32 v8, s38, v4
	v_mul_lo_u32 v9, v4, s22
	v_mul_lo_u32 v7, v3, s10
	;; [unrolled: 1-line block ×3, first 2 shown]
	v_sub_u32_e32 v9, v1, v9
	v_add_u32_e32 v1, v4, v8
	v_lshrrev_b32_e32 v1, s39, v1
	v_mul_lo_u32 v8, v1, s37
	v_mul_lo_u32 v10, v9, s12
	;; [unrolled: 1-line block ×3, first 2 shown]
	v_add3_u32 v0, v5, v0, v7
	v_sub_u32_e32 v4, v4, v8
	v_mul_lo_u32 v8, v4, s14
	v_mul_lo_u32 v4, v4, s15
	v_add3_u32 v2, v6, v2, v3
	v_add3_u32 v0, v10, v0, v8
	;; [unrolled: 1-line block ×3, first 2 shown]
	s_cbranch_scc0 .LBB125_144
	s_branch .LBB125_164
.LBB125_145:
                                        ; implicit-def: $vgpr0
                                        ; implicit-def: $vgpr2
	s_branch .LBB125_168
.LBB125_146:
	v_mov_b32_e32 v0, 0
	v_mov_b32_e32 v2, 0
	s_branch .LBB125_167
.LBB125_147:
	s_mov_b32 s60, 0
	v_mov_b32_e32 v0, 0
	v_mov_b32_e32 v2, 0
	;; [unrolled: 1-line block ×3, first 2 shown]
.LBB125_148:
	s_and_b32 s12, s61, 3
	s_cmp_eq_u32 s12, 0
	s_cbranch_scc1 .LBB125_151
; %bb.149:
	s_lshl_b32 s8, s60, 3
	s_add_u32 s8, s34, s8
	s_addc_u32 s9, s35, 0
	s_add_u32 s8, s8, 0xc4
	s_addc_u32 s9, s9, 0
	s_mul_i32 s10, s60, 12
	s_add_u32 s10, s34, s10
	s_addc_u32 s11, s35, 0
.LBB125_150:                            ; =>This Inner Loop Header: Depth=1
	s_load_dwordx2 s[14:15], s[10:11], 0x4
	s_load_dword s13, s[10:11], 0xc
	s_load_dwordx2 s[16:17], s[8:9], 0x0
	s_add_u32 s10, s10, 12
	s_addc_u32 s11, s11, 0
	s_waitcnt lgkmcnt(0)
	v_mul_hi_u32 v3, s15, v1
	s_add_u32 s8, s8, 8
	s_addc_u32 s9, s9, 0
	s_add_i32 s12, s12, -1
	v_add_u32_e32 v3, v1, v3
	v_lshrrev_b32_e32 v4, s13, v3
	v_mul_lo_u32 v3, v4, s14
	s_cmp_lg_u32 s12, 0
	v_sub_u32_e32 v3, v1, v3
	v_mad_u64_u32 v[0:1], s[14:15], v3, s16, v[0:1]
	v_mad_u64_u32 v[2:3], s[14:15], v3, s17, v[2:3]
	v_mov_b32_e32 v1, v4
	s_cbranch_scc1 .LBB125_150
.LBB125_151:
	s_cbranch_execnz .LBB125_154
.LBB125_152:
	v_mul_hi_u32 v0, s25, v19
	s_andn2_b64 vcc, exec, s[44:45]
	v_add_u32_e32 v0, v19, v0
	v_lshrrev_b32_e32 v1, s26, v0
	v_mul_lo_u32 v0, v1, s24
	v_sub_u32_e32 v2, v19, v0
	v_mul_lo_u32 v0, v2, s28
	v_mul_lo_u32 v2, v2, s29
	s_cbranch_vccnz .LBB125_154
; %bb.153:
	v_mul_hi_u32 v3, s42, v1
	v_add_u32_e32 v3, v1, v3
	v_lshrrev_b32_e32 v3, s43, v3
	v_mul_lo_u32 v3, v3, s27
	v_sub_u32_e32 v3, v1, v3
	v_mad_u64_u32 v[0:1], s[8:9], v3, s30, v[0:1]
	v_mad_u64_u32 v[2:3], s[8:9], v3, s31, v[2:3]
.LBB125_154:
	global_load_ubyte v1, v2, s[2:3]
	s_and_b32 s8, s57, 0xff
	v_add_u32_e32 v19, 0x80, v19
	s_waitcnt vmcnt(0)
	v_lshrrev_b16_e64 v2, v1, s8
	v_cmp_gt_u32_e32 vcc, 8, v1
	v_cndmask_b32_e32 v1, 0, v2, vcc
	global_store_byte v0, v1, s[0:1]
	s_or_b64 exec, exec, s[50:51]
	v_cmp_gt_i32_e32 vcc, s58, v19
	s_and_saveexec_b64 s[50:51], vcc
	s_cbranch_execnz .LBB125_140
.LBB125_155:
	s_or_b64 exec, exec, s[50:51]
	v_cmp_gt_i32_e32 vcc, s58, v19
	s_and_saveexec_b64 s[50:51], vcc
	s_cbranch_execz .LBB125_171
.LBB125_156:
	s_andn2_b64 vcc, exec, s[6:7]
	s_cbranch_vccnz .LBB125_161
; %bb.157:
	s_andn2_b64 vcc, exec, s[48:49]
	s_cbranch_vccnz .LBB125_162
; %bb.158:
	s_add_i32 s61, s59, 1
	s_cmp_eq_u32 s56, 2
	s_cbranch_scc1 .LBB125_179
; %bb.159:
	s_and_b32 s60, s61, 28
	v_mov_b32_e32 v2, 0
	s_mov_b32 s62, 0
	s_mov_b64 s[52:53], s[34:35]
	s_mov_b64 s[54:55], s[46:47]
	v_mov_b32_e32 v0, 0
	v_mov_b32_e32 v1, v19
.LBB125_160:                            ; =>This Inner Loop Header: Depth=1
	s_load_dwordx8 s[16:23], s[52:53], 0x4
	s_load_dwordx4 s[36:39], s[52:53], 0x24
	s_load_dwordx8 s[8:15], s[54:55], 0x0
	s_add_u32 s52, s52, 48
	s_addc_u32 s53, s53, 0
	s_waitcnt lgkmcnt(0)
	v_mul_hi_u32 v3, s17, v1
	s_add_i32 s62, s62, 4
	s_add_u32 s54, s54, 32
	s_addc_u32 s55, s55, 0
	v_add_u32_e32 v3, v1, v3
	v_lshrrev_b32_e32 v3, s18, v3
	v_mul_lo_u32 v4, v3, s16
	v_mul_hi_u32 v5, s20, v3
	s_cmp_eq_u32 s60, s62
	v_sub_u32_e32 v1, v1, v4
	v_add_u32_e32 v4, v3, v5
	v_mul_lo_u32 v5, v1, s8
	v_mul_lo_u32 v6, v1, s9
	v_lshrrev_b32_e32 v1, s21, v4
	v_mul_lo_u32 v4, v1, s19
	v_mul_hi_u32 v7, s23, v1
	v_sub_u32_e32 v3, v3, v4
	v_add_u32_e32 v4, v1, v7
	v_lshrrev_b32_e32 v4, s36, v4
	v_mul_hi_u32 v8, s38, v4
	v_mul_lo_u32 v9, v4, s22
	v_mul_lo_u32 v7, v3, s10
	;; [unrolled: 1-line block ×3, first 2 shown]
	v_sub_u32_e32 v9, v1, v9
	v_add_u32_e32 v1, v4, v8
	v_lshrrev_b32_e32 v1, s39, v1
	v_mul_lo_u32 v8, v1, s37
	v_mul_lo_u32 v10, v9, s12
	;; [unrolled: 1-line block ×3, first 2 shown]
	v_add3_u32 v0, v5, v0, v7
	v_sub_u32_e32 v4, v4, v8
	v_mul_lo_u32 v8, v4, s14
	v_mul_lo_u32 v4, v4, s15
	v_add3_u32 v2, v6, v2, v3
	v_add3_u32 v0, v10, v0, v8
	;; [unrolled: 1-line block ×3, first 2 shown]
	s_cbranch_scc0 .LBB125_160
	s_branch .LBB125_180
.LBB125_161:
                                        ; implicit-def: $vgpr0
                                        ; implicit-def: $vgpr2
	s_branch .LBB125_184
.LBB125_162:
	v_mov_b32_e32 v0, 0
	v_mov_b32_e32 v2, 0
	s_branch .LBB125_183
.LBB125_163:
	s_mov_b32 s60, 0
	v_mov_b32_e32 v0, 0
	v_mov_b32_e32 v2, 0
	;; [unrolled: 1-line block ×3, first 2 shown]
.LBB125_164:
	s_and_b32 s12, s61, 3
	s_cmp_eq_u32 s12, 0
	s_cbranch_scc1 .LBB125_167
; %bb.165:
	s_lshl_b32 s8, s60, 3
	s_add_u32 s8, s34, s8
	s_addc_u32 s9, s35, 0
	s_add_u32 s8, s8, 0xc4
	s_addc_u32 s9, s9, 0
	s_mul_i32 s10, s60, 12
	s_add_u32 s10, s34, s10
	s_addc_u32 s11, s35, 0
.LBB125_166:                            ; =>This Inner Loop Header: Depth=1
	s_load_dwordx2 s[14:15], s[10:11], 0x4
	s_load_dword s13, s[10:11], 0xc
	s_load_dwordx2 s[16:17], s[8:9], 0x0
	s_add_u32 s10, s10, 12
	s_addc_u32 s11, s11, 0
	s_waitcnt lgkmcnt(0)
	v_mul_hi_u32 v3, s15, v1
	s_add_u32 s8, s8, 8
	s_addc_u32 s9, s9, 0
	s_add_i32 s12, s12, -1
	v_add_u32_e32 v3, v1, v3
	v_lshrrev_b32_e32 v4, s13, v3
	v_mul_lo_u32 v3, v4, s14
	s_cmp_lg_u32 s12, 0
	v_sub_u32_e32 v3, v1, v3
	v_mad_u64_u32 v[0:1], s[14:15], v3, s16, v[0:1]
	v_mad_u64_u32 v[2:3], s[14:15], v3, s17, v[2:3]
	v_mov_b32_e32 v1, v4
	s_cbranch_scc1 .LBB125_166
.LBB125_167:
	s_cbranch_execnz .LBB125_170
.LBB125_168:
	v_mul_hi_u32 v0, s25, v19
	s_andn2_b64 vcc, exec, s[44:45]
	v_add_u32_e32 v0, v19, v0
	v_lshrrev_b32_e32 v1, s26, v0
	v_mul_lo_u32 v0, v1, s24
	v_sub_u32_e32 v2, v19, v0
	v_mul_lo_u32 v0, v2, s28
	v_mul_lo_u32 v2, v2, s29
	s_cbranch_vccnz .LBB125_170
; %bb.169:
	v_mul_hi_u32 v3, s42, v1
	v_add_u32_e32 v3, v1, v3
	v_lshrrev_b32_e32 v3, s43, v3
	v_mul_lo_u32 v3, v3, s27
	v_sub_u32_e32 v3, v1, v3
	v_mad_u64_u32 v[0:1], s[8:9], v3, s30, v[0:1]
	v_mad_u64_u32 v[2:3], s[8:9], v3, s31, v[2:3]
.LBB125_170:
	global_load_ubyte v1, v2, s[2:3]
	s_and_b32 s8, s57, 0xff
	v_add_u32_e32 v19, 0x80, v19
	s_waitcnt vmcnt(0)
	v_lshrrev_b16_e64 v2, v1, s8
	v_cmp_gt_u32_e32 vcc, 8, v1
	v_cndmask_b32_e32 v1, 0, v2, vcc
	global_store_byte v0, v1, s[0:1]
	s_or_b64 exec, exec, s[50:51]
	v_cmp_gt_i32_e32 vcc, s58, v19
	s_and_saveexec_b64 s[50:51], vcc
	s_cbranch_execnz .LBB125_156
.LBB125_171:
	s_or_b64 exec, exec, s[50:51]
	v_cmp_gt_i32_e32 vcc, s58, v19
	s_and_saveexec_b64 s[50:51], vcc
	s_cbranch_execz .LBB125_187
.LBB125_172:
	s_andn2_b64 vcc, exec, s[6:7]
	s_cbranch_vccnz .LBB125_177
; %bb.173:
	s_andn2_b64 vcc, exec, s[48:49]
	s_cbranch_vccnz .LBB125_178
; %bb.174:
	s_add_i32 s61, s59, 1
	s_cmp_eq_u32 s56, 2
	s_cbranch_scc1 .LBB125_195
; %bb.175:
	s_and_b32 s60, s61, 28
	v_mov_b32_e32 v2, 0
	s_mov_b32 s62, 0
	s_mov_b64 s[52:53], s[34:35]
	s_mov_b64 s[54:55], s[46:47]
	v_mov_b32_e32 v0, 0
	v_mov_b32_e32 v1, v19
.LBB125_176:                            ; =>This Inner Loop Header: Depth=1
	s_load_dwordx8 s[16:23], s[52:53], 0x4
	s_load_dwordx4 s[36:39], s[52:53], 0x24
	s_load_dwordx8 s[8:15], s[54:55], 0x0
	s_add_u32 s52, s52, 48
	s_addc_u32 s53, s53, 0
	s_waitcnt lgkmcnt(0)
	v_mul_hi_u32 v3, s17, v1
	s_add_i32 s62, s62, 4
	s_add_u32 s54, s54, 32
	s_addc_u32 s55, s55, 0
	v_add_u32_e32 v3, v1, v3
	v_lshrrev_b32_e32 v3, s18, v3
	v_mul_lo_u32 v4, v3, s16
	v_mul_hi_u32 v5, s20, v3
	s_cmp_eq_u32 s60, s62
	v_sub_u32_e32 v1, v1, v4
	v_add_u32_e32 v4, v3, v5
	v_mul_lo_u32 v5, v1, s8
	v_mul_lo_u32 v6, v1, s9
	v_lshrrev_b32_e32 v1, s21, v4
	v_mul_lo_u32 v4, v1, s19
	v_mul_hi_u32 v7, s23, v1
	v_sub_u32_e32 v3, v3, v4
	v_add_u32_e32 v4, v1, v7
	v_lshrrev_b32_e32 v4, s36, v4
	v_mul_hi_u32 v8, s38, v4
	v_mul_lo_u32 v9, v4, s22
	v_mul_lo_u32 v7, v3, s10
	;; [unrolled: 1-line block ×3, first 2 shown]
	v_sub_u32_e32 v9, v1, v9
	v_add_u32_e32 v1, v4, v8
	v_lshrrev_b32_e32 v1, s39, v1
	v_mul_lo_u32 v8, v1, s37
	v_mul_lo_u32 v10, v9, s12
	;; [unrolled: 1-line block ×3, first 2 shown]
	v_add3_u32 v0, v5, v0, v7
	v_sub_u32_e32 v4, v4, v8
	v_mul_lo_u32 v8, v4, s14
	v_mul_lo_u32 v4, v4, s15
	v_add3_u32 v2, v6, v2, v3
	v_add3_u32 v0, v10, v0, v8
	;; [unrolled: 1-line block ×3, first 2 shown]
	s_cbranch_scc0 .LBB125_176
	s_branch .LBB125_196
.LBB125_177:
                                        ; implicit-def: $vgpr0
                                        ; implicit-def: $vgpr2
	s_branch .LBB125_200
.LBB125_178:
	v_mov_b32_e32 v0, 0
	v_mov_b32_e32 v2, 0
	s_branch .LBB125_199
.LBB125_179:
	s_mov_b32 s60, 0
	v_mov_b32_e32 v0, 0
	v_mov_b32_e32 v2, 0
	;; [unrolled: 1-line block ×3, first 2 shown]
.LBB125_180:
	s_and_b32 s12, s61, 3
	s_cmp_eq_u32 s12, 0
	s_cbranch_scc1 .LBB125_183
; %bb.181:
	s_lshl_b32 s8, s60, 3
	s_add_u32 s8, s34, s8
	s_addc_u32 s9, s35, 0
	s_add_u32 s8, s8, 0xc4
	s_addc_u32 s9, s9, 0
	s_mul_i32 s10, s60, 12
	s_add_u32 s10, s34, s10
	s_addc_u32 s11, s35, 0
.LBB125_182:                            ; =>This Inner Loop Header: Depth=1
	s_load_dwordx2 s[14:15], s[10:11], 0x4
	s_load_dword s13, s[10:11], 0xc
	s_load_dwordx2 s[16:17], s[8:9], 0x0
	s_add_u32 s10, s10, 12
	s_addc_u32 s11, s11, 0
	s_waitcnt lgkmcnt(0)
	v_mul_hi_u32 v3, s15, v1
	s_add_u32 s8, s8, 8
	s_addc_u32 s9, s9, 0
	s_add_i32 s12, s12, -1
	v_add_u32_e32 v3, v1, v3
	v_lshrrev_b32_e32 v4, s13, v3
	v_mul_lo_u32 v3, v4, s14
	s_cmp_lg_u32 s12, 0
	v_sub_u32_e32 v3, v1, v3
	v_mad_u64_u32 v[0:1], s[14:15], v3, s16, v[0:1]
	v_mad_u64_u32 v[2:3], s[14:15], v3, s17, v[2:3]
	v_mov_b32_e32 v1, v4
	s_cbranch_scc1 .LBB125_182
.LBB125_183:
	s_cbranch_execnz .LBB125_186
.LBB125_184:
	v_mul_hi_u32 v0, s25, v19
	s_andn2_b64 vcc, exec, s[44:45]
	v_add_u32_e32 v0, v19, v0
	v_lshrrev_b32_e32 v1, s26, v0
	v_mul_lo_u32 v0, v1, s24
	v_sub_u32_e32 v2, v19, v0
	v_mul_lo_u32 v0, v2, s28
	v_mul_lo_u32 v2, v2, s29
	s_cbranch_vccnz .LBB125_186
; %bb.185:
	v_mul_hi_u32 v3, s42, v1
	v_add_u32_e32 v3, v1, v3
	v_lshrrev_b32_e32 v3, s43, v3
	v_mul_lo_u32 v3, v3, s27
	v_sub_u32_e32 v3, v1, v3
	v_mad_u64_u32 v[0:1], s[8:9], v3, s30, v[0:1]
	v_mad_u64_u32 v[2:3], s[8:9], v3, s31, v[2:3]
.LBB125_186:
	global_load_ubyte v1, v2, s[2:3]
	s_and_b32 s8, s57, 0xff
	v_add_u32_e32 v19, 0x80, v19
	s_waitcnt vmcnt(0)
	v_lshrrev_b16_e64 v2, v1, s8
	v_cmp_gt_u32_e32 vcc, 8, v1
	v_cndmask_b32_e32 v1, 0, v2, vcc
	global_store_byte v0, v1, s[0:1]
	s_or_b64 exec, exec, s[50:51]
	v_cmp_gt_i32_e32 vcc, s58, v19
	s_and_saveexec_b64 s[50:51], vcc
	s_cbranch_execnz .LBB125_172
.LBB125_187:
	s_or_b64 exec, exec, s[50:51]
	v_cmp_gt_i32_e32 vcc, s58, v19
	s_and_saveexec_b64 s[50:51], vcc
	s_cbranch_execz .LBB125_203
.LBB125_188:
	s_andn2_b64 vcc, exec, s[6:7]
	s_cbranch_vccnz .LBB125_193
; %bb.189:
	s_andn2_b64 vcc, exec, s[48:49]
	s_cbranch_vccnz .LBB125_194
; %bb.190:
	s_add_i32 s61, s59, 1
	s_cmp_eq_u32 s56, 2
	s_cbranch_scc1 .LBB125_211
; %bb.191:
	s_and_b32 s60, s61, 28
	v_mov_b32_e32 v2, 0
	s_mov_b32 s62, 0
	s_mov_b64 s[52:53], s[34:35]
	s_mov_b64 s[54:55], s[46:47]
	v_mov_b32_e32 v0, 0
	v_mov_b32_e32 v1, v19
.LBB125_192:                            ; =>This Inner Loop Header: Depth=1
	s_load_dwordx8 s[16:23], s[52:53], 0x4
	s_load_dwordx4 s[36:39], s[52:53], 0x24
	s_load_dwordx8 s[8:15], s[54:55], 0x0
	s_add_u32 s52, s52, 48
	s_addc_u32 s53, s53, 0
	s_waitcnt lgkmcnt(0)
	v_mul_hi_u32 v3, s17, v1
	s_add_i32 s62, s62, 4
	s_add_u32 s54, s54, 32
	s_addc_u32 s55, s55, 0
	v_add_u32_e32 v3, v1, v3
	v_lshrrev_b32_e32 v3, s18, v3
	v_mul_lo_u32 v4, v3, s16
	v_mul_hi_u32 v5, s20, v3
	s_cmp_eq_u32 s60, s62
	v_sub_u32_e32 v1, v1, v4
	v_add_u32_e32 v4, v3, v5
	v_mul_lo_u32 v5, v1, s8
	v_mul_lo_u32 v6, v1, s9
	v_lshrrev_b32_e32 v1, s21, v4
	v_mul_lo_u32 v4, v1, s19
	v_mul_hi_u32 v7, s23, v1
	v_sub_u32_e32 v3, v3, v4
	v_add_u32_e32 v4, v1, v7
	v_lshrrev_b32_e32 v4, s36, v4
	v_mul_hi_u32 v8, s38, v4
	v_mul_lo_u32 v9, v4, s22
	v_mul_lo_u32 v7, v3, s10
	;; [unrolled: 1-line block ×3, first 2 shown]
	v_sub_u32_e32 v9, v1, v9
	v_add_u32_e32 v1, v4, v8
	v_lshrrev_b32_e32 v1, s39, v1
	v_mul_lo_u32 v8, v1, s37
	v_mul_lo_u32 v10, v9, s12
	;; [unrolled: 1-line block ×3, first 2 shown]
	v_add3_u32 v0, v5, v0, v7
	v_sub_u32_e32 v4, v4, v8
	v_mul_lo_u32 v8, v4, s14
	v_mul_lo_u32 v4, v4, s15
	v_add3_u32 v2, v6, v2, v3
	v_add3_u32 v0, v10, v0, v8
	;; [unrolled: 1-line block ×3, first 2 shown]
	s_cbranch_scc0 .LBB125_192
	s_branch .LBB125_212
.LBB125_193:
                                        ; implicit-def: $vgpr0
                                        ; implicit-def: $vgpr2
	s_branch .LBB125_216
.LBB125_194:
	v_mov_b32_e32 v0, 0
	v_mov_b32_e32 v2, 0
	s_branch .LBB125_215
.LBB125_195:
	s_mov_b32 s60, 0
	v_mov_b32_e32 v0, 0
	v_mov_b32_e32 v2, 0
	;; [unrolled: 1-line block ×3, first 2 shown]
.LBB125_196:
	s_and_b32 s12, s61, 3
	s_cmp_eq_u32 s12, 0
	s_cbranch_scc1 .LBB125_199
; %bb.197:
	s_lshl_b32 s8, s60, 3
	s_add_u32 s8, s34, s8
	s_addc_u32 s9, s35, 0
	s_add_u32 s8, s8, 0xc4
	s_addc_u32 s9, s9, 0
	s_mul_i32 s10, s60, 12
	s_add_u32 s10, s34, s10
	s_addc_u32 s11, s35, 0
.LBB125_198:                            ; =>This Inner Loop Header: Depth=1
	s_load_dwordx2 s[14:15], s[10:11], 0x4
	s_load_dword s13, s[10:11], 0xc
	s_load_dwordx2 s[16:17], s[8:9], 0x0
	s_add_u32 s10, s10, 12
	s_addc_u32 s11, s11, 0
	s_waitcnt lgkmcnt(0)
	v_mul_hi_u32 v3, s15, v1
	s_add_u32 s8, s8, 8
	s_addc_u32 s9, s9, 0
	s_add_i32 s12, s12, -1
	v_add_u32_e32 v3, v1, v3
	v_lshrrev_b32_e32 v4, s13, v3
	v_mul_lo_u32 v3, v4, s14
	s_cmp_lg_u32 s12, 0
	v_sub_u32_e32 v3, v1, v3
	v_mad_u64_u32 v[0:1], s[14:15], v3, s16, v[0:1]
	v_mad_u64_u32 v[2:3], s[14:15], v3, s17, v[2:3]
	v_mov_b32_e32 v1, v4
	s_cbranch_scc1 .LBB125_198
.LBB125_199:
	s_cbranch_execnz .LBB125_202
.LBB125_200:
	v_mul_hi_u32 v0, s25, v19
	s_andn2_b64 vcc, exec, s[44:45]
	v_add_u32_e32 v0, v19, v0
	v_lshrrev_b32_e32 v1, s26, v0
	v_mul_lo_u32 v0, v1, s24
	v_sub_u32_e32 v2, v19, v0
	v_mul_lo_u32 v0, v2, s28
	v_mul_lo_u32 v2, v2, s29
	s_cbranch_vccnz .LBB125_202
; %bb.201:
	v_mul_hi_u32 v3, s42, v1
	v_add_u32_e32 v3, v1, v3
	v_lshrrev_b32_e32 v3, s43, v3
	v_mul_lo_u32 v3, v3, s27
	v_sub_u32_e32 v3, v1, v3
	v_mad_u64_u32 v[0:1], s[8:9], v3, s30, v[0:1]
	v_mad_u64_u32 v[2:3], s[8:9], v3, s31, v[2:3]
.LBB125_202:
	global_load_ubyte v1, v2, s[2:3]
	s_and_b32 s8, s57, 0xff
	v_add_u32_e32 v19, 0x80, v19
	s_waitcnt vmcnt(0)
	v_lshrrev_b16_e64 v2, v1, s8
	v_cmp_gt_u32_e32 vcc, 8, v1
	v_cndmask_b32_e32 v1, 0, v2, vcc
	global_store_byte v0, v1, s[0:1]
	s_or_b64 exec, exec, s[50:51]
	v_cmp_gt_i32_e32 vcc, s58, v19
	s_and_saveexec_b64 s[50:51], vcc
	s_cbranch_execnz .LBB125_188
.LBB125_203:
	s_or_b64 exec, exec, s[50:51]
	v_cmp_gt_i32_e32 vcc, s58, v19
	s_and_saveexec_b64 s[50:51], vcc
	s_cbranch_execz .LBB125_219
.LBB125_204:
	s_andn2_b64 vcc, exec, s[6:7]
	s_cbranch_vccnz .LBB125_209
; %bb.205:
	s_andn2_b64 vcc, exec, s[48:49]
	s_cbranch_vccnz .LBB125_210
; %bb.206:
	s_add_i32 s61, s59, 1
	s_cmp_eq_u32 s56, 2
	s_cbranch_scc1 .LBB125_222
; %bb.207:
	s_and_b32 s60, s61, 28
	v_mov_b32_e32 v2, 0
	s_mov_b32 s62, 0
	s_mov_b64 s[52:53], s[34:35]
	s_mov_b64 s[54:55], s[46:47]
	v_mov_b32_e32 v0, 0
	v_mov_b32_e32 v1, v19
.LBB125_208:                            ; =>This Inner Loop Header: Depth=1
	s_load_dwordx8 s[16:23], s[52:53], 0x4
	s_load_dwordx4 s[36:39], s[52:53], 0x24
	s_load_dwordx8 s[8:15], s[54:55], 0x0
	s_add_u32 s52, s52, 48
	s_addc_u32 s53, s53, 0
	s_waitcnt lgkmcnt(0)
	v_mul_hi_u32 v3, s17, v1
	s_add_i32 s62, s62, 4
	s_add_u32 s54, s54, 32
	s_addc_u32 s55, s55, 0
	v_add_u32_e32 v3, v1, v3
	v_lshrrev_b32_e32 v3, s18, v3
	v_mul_lo_u32 v4, v3, s16
	v_mul_hi_u32 v5, s20, v3
	s_cmp_eq_u32 s60, s62
	v_sub_u32_e32 v1, v1, v4
	v_add_u32_e32 v4, v3, v5
	v_mul_lo_u32 v5, v1, s8
	v_mul_lo_u32 v6, v1, s9
	v_lshrrev_b32_e32 v1, s21, v4
	v_mul_lo_u32 v4, v1, s19
	v_mul_hi_u32 v7, s23, v1
	v_sub_u32_e32 v3, v3, v4
	v_add_u32_e32 v4, v1, v7
	v_lshrrev_b32_e32 v4, s36, v4
	v_mul_hi_u32 v8, s38, v4
	v_mul_lo_u32 v9, v4, s22
	v_mul_lo_u32 v7, v3, s10
	v_mul_lo_u32 v3, v3, s11
	v_sub_u32_e32 v9, v1, v9
	v_add_u32_e32 v1, v4, v8
	v_lshrrev_b32_e32 v1, s39, v1
	v_mul_lo_u32 v8, v1, s37
	v_mul_lo_u32 v10, v9, s12
	;; [unrolled: 1-line block ×3, first 2 shown]
	v_add3_u32 v0, v5, v0, v7
	v_sub_u32_e32 v4, v4, v8
	v_mul_lo_u32 v8, v4, s14
	v_mul_lo_u32 v4, v4, s15
	v_add3_u32 v2, v6, v2, v3
	v_add3_u32 v0, v10, v0, v8
	;; [unrolled: 1-line block ×3, first 2 shown]
	s_cbranch_scc0 .LBB125_208
	s_branch .LBB125_223
.LBB125_209:
                                        ; implicit-def: $vgpr0
                                        ; implicit-def: $vgpr2
	s_branch .LBB125_227
.LBB125_210:
	v_mov_b32_e32 v0, 0
	v_mov_b32_e32 v2, 0
	s_branch .LBB125_226
.LBB125_211:
	s_mov_b32 s60, 0
	v_mov_b32_e32 v0, 0
	v_mov_b32_e32 v2, 0
	;; [unrolled: 1-line block ×3, first 2 shown]
.LBB125_212:
	s_and_b32 s12, s61, 3
	s_cmp_eq_u32 s12, 0
	s_cbranch_scc1 .LBB125_215
; %bb.213:
	s_lshl_b32 s8, s60, 3
	s_add_u32 s8, s34, s8
	s_addc_u32 s9, s35, 0
	s_add_u32 s8, s8, 0xc4
	s_addc_u32 s9, s9, 0
	s_mul_i32 s10, s60, 12
	s_add_u32 s10, s34, s10
	s_addc_u32 s11, s35, 0
.LBB125_214:                            ; =>This Inner Loop Header: Depth=1
	s_load_dwordx2 s[14:15], s[10:11], 0x4
	s_load_dword s13, s[10:11], 0xc
	s_load_dwordx2 s[16:17], s[8:9], 0x0
	s_add_u32 s10, s10, 12
	s_addc_u32 s11, s11, 0
	s_waitcnt lgkmcnt(0)
	v_mul_hi_u32 v3, s15, v1
	s_add_u32 s8, s8, 8
	s_addc_u32 s9, s9, 0
	s_add_i32 s12, s12, -1
	v_add_u32_e32 v3, v1, v3
	v_lshrrev_b32_e32 v4, s13, v3
	v_mul_lo_u32 v3, v4, s14
	s_cmp_lg_u32 s12, 0
	v_sub_u32_e32 v3, v1, v3
	v_mad_u64_u32 v[0:1], s[14:15], v3, s16, v[0:1]
	v_mad_u64_u32 v[2:3], s[14:15], v3, s17, v[2:3]
	v_mov_b32_e32 v1, v4
	s_cbranch_scc1 .LBB125_214
.LBB125_215:
	s_cbranch_execnz .LBB125_218
.LBB125_216:
	v_mul_hi_u32 v0, s25, v19
	s_andn2_b64 vcc, exec, s[44:45]
	v_add_u32_e32 v0, v19, v0
	v_lshrrev_b32_e32 v1, s26, v0
	v_mul_lo_u32 v0, v1, s24
	v_sub_u32_e32 v2, v19, v0
	v_mul_lo_u32 v0, v2, s28
	v_mul_lo_u32 v2, v2, s29
	s_cbranch_vccnz .LBB125_218
; %bb.217:
	v_mul_hi_u32 v3, s42, v1
	v_add_u32_e32 v3, v1, v3
	v_lshrrev_b32_e32 v3, s43, v3
	v_mul_lo_u32 v3, v3, s27
	v_sub_u32_e32 v3, v1, v3
	v_mad_u64_u32 v[0:1], s[8:9], v3, s30, v[0:1]
	v_mad_u64_u32 v[2:3], s[8:9], v3, s31, v[2:3]
.LBB125_218:
	global_load_ubyte v1, v2, s[2:3]
	s_and_b32 s8, s57, 0xff
	v_add_u32_e32 v19, 0x80, v19
	s_waitcnt vmcnt(0)
	v_lshrrev_b16_e64 v2, v1, s8
	v_cmp_gt_u32_e32 vcc, 8, v1
	v_cndmask_b32_e32 v1, 0, v2, vcc
	global_store_byte v0, v1, s[0:1]
	s_or_b64 exec, exec, s[50:51]
	v_cmp_gt_i32_e32 vcc, s58, v19
	s_and_saveexec_b64 s[50:51], vcc
	s_cbranch_execnz .LBB125_204
.LBB125_219:
	s_or_b64 exec, exec, s[50:51]
	v_cmp_gt_i32_e32 vcc, s58, v19
	s_and_saveexec_b64 s[50:51], vcc
	s_cbranch_execnz .LBB125_230
.LBB125_220:
	s_or_b64 exec, exec, s[50:51]
                                        ; implicit-def: $vgpr25
                                        ; implicit-def: $vgpr19
	s_andn2_saveexec_b64 s[0:1], s[40:41]
	s_cbranch_execnz .LBB125_8
.LBB125_221:
	s_endpgm
.LBB125_222:
	s_mov_b32 s60, 0
	v_mov_b32_e32 v0, 0
	v_mov_b32_e32 v2, 0
	;; [unrolled: 1-line block ×3, first 2 shown]
.LBB125_223:
	s_and_b32 s12, s61, 3
	s_cmp_eq_u32 s12, 0
	s_cbranch_scc1 .LBB125_226
; %bb.224:
	s_lshl_b32 s8, s60, 3
	s_add_u32 s8, s34, s8
	s_addc_u32 s9, s35, 0
	s_add_u32 s8, s8, 0xc4
	s_addc_u32 s9, s9, 0
	s_mul_i32 s10, s60, 12
	s_add_u32 s10, s34, s10
	s_addc_u32 s11, s35, 0
.LBB125_225:                            ; =>This Inner Loop Header: Depth=1
	s_load_dwordx2 s[14:15], s[10:11], 0x4
	s_load_dword s13, s[10:11], 0xc
	s_load_dwordx2 s[16:17], s[8:9], 0x0
	s_add_u32 s10, s10, 12
	s_addc_u32 s11, s11, 0
	s_waitcnt lgkmcnt(0)
	v_mul_hi_u32 v3, s15, v1
	s_add_u32 s8, s8, 8
	s_addc_u32 s9, s9, 0
	s_add_i32 s12, s12, -1
	v_add_u32_e32 v3, v1, v3
	v_lshrrev_b32_e32 v4, s13, v3
	v_mul_lo_u32 v3, v4, s14
	s_cmp_lg_u32 s12, 0
	v_sub_u32_e32 v3, v1, v3
	v_mad_u64_u32 v[0:1], s[14:15], v3, s16, v[0:1]
	v_mad_u64_u32 v[2:3], s[14:15], v3, s17, v[2:3]
	v_mov_b32_e32 v1, v4
	s_cbranch_scc1 .LBB125_225
.LBB125_226:
	s_cbranch_execnz .LBB125_229
.LBB125_227:
	v_mul_hi_u32 v0, s25, v19
	s_andn2_b64 vcc, exec, s[44:45]
	v_add_u32_e32 v0, v19, v0
	v_lshrrev_b32_e32 v1, s26, v0
	v_mul_lo_u32 v0, v1, s24
	v_sub_u32_e32 v2, v19, v0
	v_mul_lo_u32 v0, v2, s28
	v_mul_lo_u32 v2, v2, s29
	s_cbranch_vccnz .LBB125_229
; %bb.228:
	v_mul_hi_u32 v3, s42, v1
	v_add_u32_e32 v3, v1, v3
	v_lshrrev_b32_e32 v3, s43, v3
	v_mul_lo_u32 v3, v3, s27
	v_sub_u32_e32 v3, v1, v3
	v_mad_u64_u32 v[0:1], s[8:9], v3, s30, v[0:1]
	v_mad_u64_u32 v[2:3], s[8:9], v3, s31, v[2:3]
.LBB125_229:
	global_load_ubyte v1, v2, s[2:3]
	s_and_b32 s8, s57, 0xff
	v_add_u32_e32 v19, 0x80, v19
	s_waitcnt vmcnt(0)
	v_lshrrev_b16_e64 v2, v1, s8
	v_cmp_gt_u32_e32 vcc, 8, v1
	v_cndmask_b32_e32 v1, 0, v2, vcc
	global_store_byte v0, v1, s[0:1]
	s_or_b64 exec, exec, s[50:51]
	v_cmp_gt_i32_e32 vcc, s58, v19
	s_and_saveexec_b64 s[50:51], vcc
	s_cbranch_execz .LBB125_220
.LBB125_230:
	s_andn2_b64 vcc, exec, s[6:7]
	s_cbranch_vccnz .LBB125_235
; %bb.231:
	s_andn2_b64 vcc, exec, s[48:49]
	s_cbranch_vccnz .LBB125_236
; %bb.232:
	s_add_i32 s59, s59, 1
	s_cmp_eq_u32 s56, 2
	s_cbranch_scc1 .LBB125_237
; %bb.233:
	s_and_b32 s52, s59, 28
	v_mov_b32_e32 v2, 0
	s_mov_b32 s53, 0
	s_mov_b64 s[48:49], s[34:35]
	v_mov_b32_e32 v0, 0
	v_mov_b32_e32 v1, v19
.LBB125_234:                            ; =>This Inner Loop Header: Depth=1
	s_load_dwordx8 s[16:23], s[48:49], 0x4
	s_load_dwordx4 s[36:39], s[48:49], 0x24
	s_load_dwordx8 s[8:15], s[46:47], 0x0
	s_add_u32 s48, s48, 48
	s_addc_u32 s49, s49, 0
	s_waitcnt lgkmcnt(0)
	v_mul_hi_u32 v3, s17, v1
	s_add_i32 s53, s53, 4
	s_add_u32 s46, s46, 32
	s_addc_u32 s47, s47, 0
	v_add_u32_e32 v3, v1, v3
	v_lshrrev_b32_e32 v3, s18, v3
	v_mul_lo_u32 v4, v3, s16
	v_mul_hi_u32 v5, s20, v3
	s_cmp_eq_u32 s52, s53
	v_sub_u32_e32 v1, v1, v4
	v_add_u32_e32 v4, v3, v5
	v_mul_lo_u32 v5, v1, s8
	v_mul_lo_u32 v6, v1, s9
	v_lshrrev_b32_e32 v1, s21, v4
	v_mul_lo_u32 v4, v1, s19
	v_mul_hi_u32 v7, s23, v1
	v_sub_u32_e32 v3, v3, v4
	v_add_u32_e32 v4, v1, v7
	v_lshrrev_b32_e32 v4, s36, v4
	v_mul_hi_u32 v8, s38, v4
	v_mul_lo_u32 v9, v4, s22
	v_mul_lo_u32 v7, v3, s10
	;; [unrolled: 1-line block ×3, first 2 shown]
	v_sub_u32_e32 v9, v1, v9
	v_add_u32_e32 v1, v4, v8
	v_lshrrev_b32_e32 v1, s39, v1
	v_mul_lo_u32 v8, v1, s37
	v_mul_lo_u32 v10, v9, s12
	;; [unrolled: 1-line block ×3, first 2 shown]
	v_add3_u32 v0, v5, v0, v7
	v_sub_u32_e32 v4, v4, v8
	v_mul_lo_u32 v8, v4, s14
	v_mul_lo_u32 v4, v4, s15
	v_add3_u32 v2, v6, v2, v3
	v_add3_u32 v0, v10, v0, v8
	;; [unrolled: 1-line block ×3, first 2 shown]
	s_cbranch_scc0 .LBB125_234
	s_branch .LBB125_238
.LBB125_235:
                                        ; implicit-def: $vgpr0
                                        ; implicit-def: $vgpr2
	s_branch .LBB125_242
.LBB125_236:
	v_mov_b32_e32 v0, 0
	v_mov_b32_e32 v2, 0
	s_branch .LBB125_241
.LBB125_237:
	s_mov_b32 s52, 0
	v_mov_b32_e32 v0, 0
	v_mov_b32_e32 v2, 0
	;; [unrolled: 1-line block ×3, first 2 shown]
.LBB125_238:
	s_and_b32 s12, s59, 3
	s_cmp_eq_u32 s12, 0
	s_cbranch_scc1 .LBB125_241
; %bb.239:
	s_lshl_b32 s8, s52, 3
	s_add_u32 s8, s34, s8
	s_addc_u32 s9, s35, 0
	s_add_u32 s8, s8, 0xc4
	s_addc_u32 s9, s9, 0
	s_mul_i32 s10, s52, 12
	s_add_u32 s10, s34, s10
	s_addc_u32 s11, s35, 0
.LBB125_240:                            ; =>This Inner Loop Header: Depth=1
	s_load_dwordx2 s[14:15], s[10:11], 0x4
	s_load_dword s13, s[10:11], 0xc
	s_load_dwordx2 s[16:17], s[8:9], 0x0
	s_add_u32 s10, s10, 12
	s_addc_u32 s11, s11, 0
	s_waitcnt lgkmcnt(0)
	v_mul_hi_u32 v3, s15, v1
	s_add_u32 s8, s8, 8
	s_addc_u32 s9, s9, 0
	s_add_i32 s12, s12, -1
	v_add_u32_e32 v3, v1, v3
	v_lshrrev_b32_e32 v4, s13, v3
	v_mul_lo_u32 v3, v4, s14
	s_cmp_lg_u32 s12, 0
	v_sub_u32_e32 v3, v1, v3
	v_mad_u64_u32 v[0:1], s[14:15], v3, s16, v[0:1]
	v_mad_u64_u32 v[2:3], s[14:15], v3, s17, v[2:3]
	v_mov_b32_e32 v1, v4
	s_cbranch_scc1 .LBB125_240
.LBB125_241:
	s_cbranch_execnz .LBB125_244
.LBB125_242:
	v_mul_hi_u32 v0, s25, v19
	s_andn2_b64 vcc, exec, s[44:45]
	v_add_u32_e32 v0, v19, v0
	v_lshrrev_b32_e32 v1, s26, v0
	v_mul_lo_u32 v0, v1, s24
	v_sub_u32_e32 v2, v19, v0
	v_mul_lo_u32 v0, v2, s28
	v_mul_lo_u32 v2, v2, s29
	s_cbranch_vccnz .LBB125_244
; %bb.243:
	v_mul_hi_u32 v3, s42, v1
	v_add_u32_e32 v3, v1, v3
	v_lshrrev_b32_e32 v3, s43, v3
	v_mul_lo_u32 v3, v3, s27
	v_sub_u32_e32 v3, v1, v3
	v_mad_u64_u32 v[0:1], s[8:9], v3, s30, v[0:1]
	v_mad_u64_u32 v[2:3], s[8:9], v3, s31, v[2:3]
.LBB125_244:
	global_load_ubyte v1, v2, s[2:3]
	s_and_b32 s2, s57, 0xff
	s_waitcnt vmcnt(0)
	v_lshrrev_b16_e64 v2, v1, s2
	v_cmp_gt_u32_e32 vcc, 8, v1
	v_cndmask_b32_e32 v1, 0, v2, vcc
	global_store_byte v0, v1, s[0:1]
	s_or_b64 exec, exec, s[50:51]
                                        ; implicit-def: $vgpr25
                                        ; implicit-def: $vgpr19
	s_andn2_saveexec_b64 s[0:1], s[40:41]
	s_cbranch_execz .LBB125_221
	s_branch .LBB125_8
	.section	.rodata,"a",@progbits
	.p2align	6, 0x0
	.amdhsa_kernel _ZN2at6native32elementwise_kernel_manual_unrollILi128ELi8EZNS0_22gpu_kernel_impl_nocastINS0_13AUnaryFunctorIhhhZZZNS0_18rshift_kernel_cudaERNS_18TensorIteratorBaseEENKUlvE_clEvENKUlvE_clEvEUlhhE_EEEEvS5_RKT_EUlibE_EEviT1_
		.amdhsa_group_segment_fixed_size 0
		.amdhsa_private_segment_fixed_size 0
		.amdhsa_kernarg_size 360
		.amdhsa_user_sgpr_count 6
		.amdhsa_user_sgpr_private_segment_buffer 1
		.amdhsa_user_sgpr_dispatch_ptr 0
		.amdhsa_user_sgpr_queue_ptr 0
		.amdhsa_user_sgpr_kernarg_segment_ptr 1
		.amdhsa_user_sgpr_dispatch_id 0
		.amdhsa_user_sgpr_flat_scratch_init 0
		.amdhsa_user_sgpr_private_segment_size 0
		.amdhsa_uses_dynamic_stack 0
		.amdhsa_system_sgpr_private_segment_wavefront_offset 0
		.amdhsa_system_sgpr_workgroup_id_x 1
		.amdhsa_system_sgpr_workgroup_id_y 0
		.amdhsa_system_sgpr_workgroup_id_z 0
		.amdhsa_system_sgpr_workgroup_info 0
		.amdhsa_system_vgpr_workitem_id 0
		.amdhsa_next_free_vgpr 26
		.amdhsa_next_free_sgpr 63
		.amdhsa_reserve_vcc 1
		.amdhsa_reserve_flat_scratch 0
		.amdhsa_float_round_mode_32 0
		.amdhsa_float_round_mode_16_64 0
		.amdhsa_float_denorm_mode_32 3
		.amdhsa_float_denorm_mode_16_64 3
		.amdhsa_dx10_clamp 1
		.amdhsa_ieee_mode 1
		.amdhsa_fp16_overflow 0
		.amdhsa_exception_fp_ieee_invalid_op 0
		.amdhsa_exception_fp_denorm_src 0
		.amdhsa_exception_fp_ieee_div_zero 0
		.amdhsa_exception_fp_ieee_overflow 0
		.amdhsa_exception_fp_ieee_underflow 0
		.amdhsa_exception_fp_ieee_inexact 0
		.amdhsa_exception_int_div_zero 0
	.end_amdhsa_kernel
	.section	.text._ZN2at6native32elementwise_kernel_manual_unrollILi128ELi8EZNS0_22gpu_kernel_impl_nocastINS0_13AUnaryFunctorIhhhZZZNS0_18rshift_kernel_cudaERNS_18TensorIteratorBaseEENKUlvE_clEvENKUlvE_clEvEUlhhE_EEEEvS5_RKT_EUlibE_EEviT1_,"axG",@progbits,_ZN2at6native32elementwise_kernel_manual_unrollILi128ELi8EZNS0_22gpu_kernel_impl_nocastINS0_13AUnaryFunctorIhhhZZZNS0_18rshift_kernel_cudaERNS_18TensorIteratorBaseEENKUlvE_clEvENKUlvE_clEvEUlhhE_EEEEvS5_RKT_EUlibE_EEviT1_,comdat
.Lfunc_end125:
	.size	_ZN2at6native32elementwise_kernel_manual_unrollILi128ELi8EZNS0_22gpu_kernel_impl_nocastINS0_13AUnaryFunctorIhhhZZZNS0_18rshift_kernel_cudaERNS_18TensorIteratorBaseEENKUlvE_clEvENKUlvE_clEvEUlhhE_EEEEvS5_RKT_EUlibE_EEviT1_, .Lfunc_end125-_ZN2at6native32elementwise_kernel_manual_unrollILi128ELi8EZNS0_22gpu_kernel_impl_nocastINS0_13AUnaryFunctorIhhhZZZNS0_18rshift_kernel_cudaERNS_18TensorIteratorBaseEENKUlvE_clEvENKUlvE_clEvEUlhhE_EEEEvS5_RKT_EUlibE_EEviT1_
                                        ; -- End function
	.set _ZN2at6native32elementwise_kernel_manual_unrollILi128ELi8EZNS0_22gpu_kernel_impl_nocastINS0_13AUnaryFunctorIhhhZZZNS0_18rshift_kernel_cudaERNS_18TensorIteratorBaseEENKUlvE_clEvENKUlvE_clEvEUlhhE_EEEEvS5_RKT_EUlibE_EEviT1_.num_vgpr, 26
	.set _ZN2at6native32elementwise_kernel_manual_unrollILi128ELi8EZNS0_22gpu_kernel_impl_nocastINS0_13AUnaryFunctorIhhhZZZNS0_18rshift_kernel_cudaERNS_18TensorIteratorBaseEENKUlvE_clEvENKUlvE_clEvEUlhhE_EEEEvS5_RKT_EUlibE_EEviT1_.num_agpr, 0
	.set _ZN2at6native32elementwise_kernel_manual_unrollILi128ELi8EZNS0_22gpu_kernel_impl_nocastINS0_13AUnaryFunctorIhhhZZZNS0_18rshift_kernel_cudaERNS_18TensorIteratorBaseEENKUlvE_clEvENKUlvE_clEvEUlhhE_EEEEvS5_RKT_EUlibE_EEviT1_.numbered_sgpr, 63
	.set _ZN2at6native32elementwise_kernel_manual_unrollILi128ELi8EZNS0_22gpu_kernel_impl_nocastINS0_13AUnaryFunctorIhhhZZZNS0_18rshift_kernel_cudaERNS_18TensorIteratorBaseEENKUlvE_clEvENKUlvE_clEvEUlhhE_EEEEvS5_RKT_EUlibE_EEviT1_.num_named_barrier, 0
	.set _ZN2at6native32elementwise_kernel_manual_unrollILi128ELi8EZNS0_22gpu_kernel_impl_nocastINS0_13AUnaryFunctorIhhhZZZNS0_18rshift_kernel_cudaERNS_18TensorIteratorBaseEENKUlvE_clEvENKUlvE_clEvEUlhhE_EEEEvS5_RKT_EUlibE_EEviT1_.private_seg_size, 0
	.set _ZN2at6native32elementwise_kernel_manual_unrollILi128ELi8EZNS0_22gpu_kernel_impl_nocastINS0_13AUnaryFunctorIhhhZZZNS0_18rshift_kernel_cudaERNS_18TensorIteratorBaseEENKUlvE_clEvENKUlvE_clEvEUlhhE_EEEEvS5_RKT_EUlibE_EEviT1_.uses_vcc, 1
	.set _ZN2at6native32elementwise_kernel_manual_unrollILi128ELi8EZNS0_22gpu_kernel_impl_nocastINS0_13AUnaryFunctorIhhhZZZNS0_18rshift_kernel_cudaERNS_18TensorIteratorBaseEENKUlvE_clEvENKUlvE_clEvEUlhhE_EEEEvS5_RKT_EUlibE_EEviT1_.uses_flat_scratch, 0
	.set _ZN2at6native32elementwise_kernel_manual_unrollILi128ELi8EZNS0_22gpu_kernel_impl_nocastINS0_13AUnaryFunctorIhhhZZZNS0_18rshift_kernel_cudaERNS_18TensorIteratorBaseEENKUlvE_clEvENKUlvE_clEvEUlhhE_EEEEvS5_RKT_EUlibE_EEviT1_.has_dyn_sized_stack, 0
	.set _ZN2at6native32elementwise_kernel_manual_unrollILi128ELi8EZNS0_22gpu_kernel_impl_nocastINS0_13AUnaryFunctorIhhhZZZNS0_18rshift_kernel_cudaERNS_18TensorIteratorBaseEENKUlvE_clEvENKUlvE_clEvEUlhhE_EEEEvS5_RKT_EUlibE_EEviT1_.has_recursion, 0
	.set _ZN2at6native32elementwise_kernel_manual_unrollILi128ELi8EZNS0_22gpu_kernel_impl_nocastINS0_13AUnaryFunctorIhhhZZZNS0_18rshift_kernel_cudaERNS_18TensorIteratorBaseEENKUlvE_clEvENKUlvE_clEvEUlhhE_EEEEvS5_RKT_EUlibE_EEviT1_.has_indirect_call, 0
	.section	.AMDGPU.csdata,"",@progbits
; Kernel info:
; codeLenInByte = 11508
; TotalNumSgprs: 67
; NumVgprs: 26
; ScratchSize: 0
; MemoryBound: 0
; FloatMode: 240
; IeeeMode: 1
; LDSByteSize: 0 bytes/workgroup (compile time only)
; SGPRBlocks: 8
; VGPRBlocks: 6
; NumSGPRsForWavesPerEU: 67
; NumVGPRsForWavesPerEU: 26
; Occupancy: 9
; WaveLimiterHint : 1
; COMPUTE_PGM_RSRC2:SCRATCH_EN: 0
; COMPUTE_PGM_RSRC2:USER_SGPR: 6
; COMPUTE_PGM_RSRC2:TRAP_HANDLER: 0
; COMPUTE_PGM_RSRC2:TGID_X_EN: 1
; COMPUTE_PGM_RSRC2:TGID_Y_EN: 0
; COMPUTE_PGM_RSRC2:TGID_Z_EN: 0
; COMPUTE_PGM_RSRC2:TIDIG_COMP_CNT: 0
	.section	.text._ZN2at6native32elementwise_kernel_manual_unrollILi128ELi4EZNS0_15gpu_kernel_implINS0_13AUnaryFunctorIhhhZZZNS0_18rshift_kernel_cudaERNS_18TensorIteratorBaseEENKUlvE_clEvENKUlvE_clEvEUlhhE_EEEEvS5_RKT_EUlibE_EEviT1_,"axG",@progbits,_ZN2at6native32elementwise_kernel_manual_unrollILi128ELi4EZNS0_15gpu_kernel_implINS0_13AUnaryFunctorIhhhZZZNS0_18rshift_kernel_cudaERNS_18TensorIteratorBaseEENKUlvE_clEvENKUlvE_clEvEUlhhE_EEEEvS5_RKT_EUlibE_EEviT1_,comdat
	.globl	_ZN2at6native32elementwise_kernel_manual_unrollILi128ELi4EZNS0_15gpu_kernel_implINS0_13AUnaryFunctorIhhhZZZNS0_18rshift_kernel_cudaERNS_18TensorIteratorBaseEENKUlvE_clEvENKUlvE_clEvEUlhhE_EEEEvS5_RKT_EUlibE_EEviT1_ ; -- Begin function _ZN2at6native32elementwise_kernel_manual_unrollILi128ELi4EZNS0_15gpu_kernel_implINS0_13AUnaryFunctorIhhhZZZNS0_18rshift_kernel_cudaERNS_18TensorIteratorBaseEENKUlvE_clEvENKUlvE_clEvEUlhhE_EEEEvS5_RKT_EUlibE_EEviT1_
	.p2align	8
	.type	_ZN2at6native32elementwise_kernel_manual_unrollILi128ELi4EZNS0_15gpu_kernel_implINS0_13AUnaryFunctorIhhhZZZNS0_18rshift_kernel_cudaERNS_18TensorIteratorBaseEENKUlvE_clEvENKUlvE_clEvEUlhhE_EEEEvS5_RKT_EUlibE_EEviT1_,@function
_ZN2at6native32elementwise_kernel_manual_unrollILi128ELi4EZNS0_15gpu_kernel_implINS0_13AUnaryFunctorIhhhZZZNS0_18rshift_kernel_cudaERNS_18TensorIteratorBaseEENKUlvE_clEvENKUlvE_clEvEUlhhE_EEEEvS5_RKT_EUlibE_EEviT1_: ; @_ZN2at6native32elementwise_kernel_manual_unrollILi128ELi4EZNS0_15gpu_kernel_implINS0_13AUnaryFunctorIhhhZZZNS0_18rshift_kernel_cudaERNS_18TensorIteratorBaseEENKUlvE_clEvENKUlvE_clEvEUlhhE_EEEEvS5_RKT_EUlibE_EEviT1_
; %bb.0:
	v_mov_b32_e32 v1, 0
	global_load_ushort v2, v1, s[4:5] offset:33
	global_load_sbyte v3, v1, s[4:5] offset:35
	s_load_dwordx2 s[2:3], s[4:5], 0x18
	s_load_dword s38, s[4:5], 0x0
	s_load_dwordx4 s[8:11], s[4:5], 0x8
	v_lshl_or_b32 v7, s6, 9, v0
	v_or_b32_e32 v0, 0x180, v7
	s_mov_b64 s[12:13], 0
	s_waitcnt lgkmcnt(0)
	v_cmp_le_i32_e32 vcc, s38, v0
	s_mov_b64 s[6:7], 0
	s_waitcnt vmcnt(1)
	v_readfirstlane_b32 s42, v2
	s_waitcnt vmcnt(0)
	v_readfirstlane_b32 s43, v3
	s_lshr_b32 s33, s42, 8
	s_and_saveexec_b64 s[0:1], vcc
	s_xor_b64 s[4:5], exec, s[0:1]
	s_cbranch_execz .LBB126_1011
; %bb.1:
	v_cmp_gt_i32_e32 vcc, s38, v7
	s_mov_b64 s[18:19], -1
	s_mov_b64 s[20:21], 0
	s_mov_b64 s[14:15], 0
	s_and_saveexec_b64 s[16:17], vcc
	s_cbranch_execz .LBB126_248
; %bb.2:
	v_mul_lo_u32 v0, v7, s3
	v_mov_b32_e32 v1, s11
	s_and_b32 s18, s43, 0xff
	s_cmp_lt_i32 s18, 11
	v_ashrrev_i32_e32 v2, 31, v0
	v_add_co_u32_e32 v0, vcc, s10, v0
	v_addc_co_u32_e32 v1, vcc, v1, v2, vcc
	s_cbranch_scc1 .LBB126_9
; %bb.3:
	s_and_b32 s19, 0xffff, s18
	s_cmp_gt_i32 s19, 25
	s_cbranch_scc0 .LBB126_18
; %bb.4:
	s_cmp_gt_i32 s19, 28
	s_cbranch_scc0 .LBB126_22
; %bb.5:
	;; [unrolled: 3-line block ×4, first 2 shown]
	s_cmp_eq_u32 s19, 46
	s_cbranch_scc0 .LBB126_28
; %bb.8:
	global_load_dword v2, v[0:1], off
	s_mov_b32 s0, 0x2f800000
	s_mov_b32 s1, 0xcf800000
	s_waitcnt vmcnt(0)
	v_lshlrev_b32_e32 v2, 16, v2
	v_trunc_f32_e32 v2, v2
	v_mul_f32_e64 v3, |v2|, s0
	v_floor_f32_e32 v3, v3
	v_fma_f32 v3, v3, s1, |v2|
	v_cvt_u32_f32_e32 v3, v3
	v_ashrrev_i32_e32 v2, 31, v2
	s_mov_b64 s[0:1], -1
	v_xor_b32_e32 v3, v3, v2
	v_sub_u32_e32 v2, v3, v2
	s_branch .LBB126_30
.LBB126_9:
                                        ; implicit-def: $vgpr2
	s_mov_b64 s[0:1], 0
	s_cbranch_execnz .LBB126_199
.LBB126_10:
	s_andn2_b64 vcc, exec, s[0:1]
	s_cbranch_vccnz .LBB126_246
.LBB126_11:
	v_mul_lo_u32 v1, v7, s2
	s_and_b32 s0, s42, 0xff
	s_waitcnt vmcnt(0)
	v_mov_b32_e32 v3, 8
	v_lshrrev_b16_sdwa v0, v2, s0 dst_sel:DWORD dst_unused:UNUSED_PAD src0_sel:BYTE_0 src1_sel:DWORD
	v_cmp_lt_u16_sdwa vcc, v2, v3 src0_sel:BYTE_0 src1_sel:DWORD
	v_cndmask_b32_e32 v2, 0, v0, vcc
	v_ashrrev_i32_e32 v3, 31, v1
	v_mov_b32_e32 v4, s9
	s_and_b32 s24, s33, 0xff
	v_add_co_u32_e32 v0, vcc, s8, v1
	s_cmp_lt_i32 s24, 11
	v_addc_co_u32_e32 v1, vcc, v4, v3, vcc
	s_cbranch_scc1 .LBB126_19
; %bb.12:
	s_and_b32 s25, 0xffff, s24
	s_cmp_gt_i32 s25, 25
	s_cbranch_scc0 .LBB126_23
; %bb.13:
	s_cmp_gt_i32 s25, 28
	s_cbranch_scc0 .LBB126_25
; %bb.14:
	s_cmp_gt_i32 s25, 43
	s_cbranch_scc0 .LBB126_27
; %bb.15:
	s_cmp_gt_i32 s25, 45
	s_cbranch_scc0 .LBB126_33
; %bb.16:
	s_mov_b64 s[18:19], 0
	s_mov_b64 s[0:1], -1
	s_cmp_eq_u32 s25, 46
	s_mov_b64 s[6:7], 0
	s_cbranch_scc0 .LBB126_34
; %bb.17:
	v_cvt_f32_ubyte0_e32 v3, v2
	v_bfe_u32 v4, v3, 16, 1
	s_movk_i32 s0, 0x7fff
	v_add3_u32 v3, v3, v4, s0
	v_lshrrev_b32_e32 v3, 16, v3
	global_store_dword v[0:1], v3, off
	s_mov_b64 s[6:7], -1
	s_mov_b64 s[0:1], 0
	s_branch .LBB126_34
.LBB126_18:
	s_mov_b64 s[0:1], 0
                                        ; implicit-def: $vgpr2
	s_cbranch_execnz .LBB126_166
	s_branch .LBB126_198
.LBB126_19:
	s_mov_b64 s[0:1], 0
	s_mov_b64 s[6:7], 0
	s_cbranch_execnz .LBB126_103
.LBB126_20:
	s_andn2_b64 vcc, exec, s[6:7]
	s_cbranch_vccnz .LBB126_141
.LBB126_21:
	v_add_u32_e32 v7, 0x80, v7
	s_mov_b64 s[18:19], -1
	s_branch .LBB126_247
.LBB126_22:
	s_mov_b64 s[6:7], -1
	s_mov_b64 s[0:1], 0
                                        ; implicit-def: $vgpr2
	s_branch .LBB126_149
.LBB126_23:
	s_mov_b64 s[18:19], -1
	s_mov_b64 s[0:1], 0
	s_mov_b64 s[6:7], 0
	s_branch .LBB126_61
.LBB126_24:
	s_mov_b64 s[6:7], -1
	s_mov_b64 s[0:1], 0
                                        ; implicit-def: $vgpr2
	s_branch .LBB126_144
.LBB126_25:
	s_mov_b64 s[18:19], -1
	s_mov_b64 s[0:1], 0
	s_mov_b64 s[6:7], 0
	s_branch .LBB126_44
.LBB126_26:
	s_mov_b64 s[6:7], -1
	s_branch .LBB126_29
.LBB126_27:
	s_mov_b64 s[18:19], -1
	s_mov_b64 s[0:1], 0
	s_mov_b64 s[6:7], 0
	s_branch .LBB126_40
.LBB126_28:
	s_mov_b64 s[14:15], -1
.LBB126_29:
	s_mov_b64 s[0:1], 0
                                        ; implicit-def: $vgpr2
.LBB126_30:
	s_and_b64 vcc, exec, s[6:7]
	s_cbranch_vccz .LBB126_143
; %bb.31:
	s_cmp_eq_u32 s19, 44
	s_cbranch_scc0 .LBB126_142
; %bb.32:
	global_load_ubyte v2, v[0:1], off
	s_mov_b32 s0, 0x2f800000
	s_mov_b32 s1, 0xcf800000
	s_mov_b64 s[14:15], 0
	s_waitcnt vmcnt(0)
	v_lshlrev_b32_e32 v3, 23, v2
	v_trunc_f32_e32 v3, v3
	v_mul_f32_e64 v4, |v3|, s0
	v_floor_f32_e32 v4, v4
	v_fma_f32 v4, v4, s1, |v3|
	v_cvt_u32_f32_e32 v4, v4
	v_ashrrev_i32_e32 v3, 31, v3
	v_cmp_ne_u32_e32 vcc, 0, v2
	s_mov_b64 s[0:1], -1
	v_xor_b32_e32 v4, v4, v3
	v_sub_u32_e32 v3, v4, v3
	v_cndmask_b32_e32 v2, 0, v3, vcc
	s_branch .LBB126_143
.LBB126_33:
	s_mov_b64 s[18:19], -1
	s_mov_b64 s[0:1], 0
	s_mov_b64 s[6:7], 0
.LBB126_34:
	s_and_b64 vcc, exec, s[18:19]
	s_cbranch_vccz .LBB126_39
; %bb.35:
	s_cmp_eq_u32 s25, 44
	s_mov_b64 s[0:1], -1
	s_cbranch_scc0 .LBB126_39
; %bb.36:
	v_cvt_f32_ubyte0_e32 v4, v2
	v_lshrrev_b32_e32 v3, 23, v4
	s_movk_i32 s0, 0xff
	v_cmp_ne_u32_e32 vcc, s0, v3
	v_mov_b32_e32 v5, 0xff
	s_and_saveexec_b64 s[6:7], vcc
; %bb.37:
	s_mov_b32 s0, 0x3fffff
	v_and_b32_e32 v5, 0x400000, v4
	v_and_or_b32 v4, v4, s0, v3
	v_cmp_ne_u32_e32 vcc, 0, v5
	v_cmp_ne_u32_e64 s[0:1], 0, v4
	s_and_b64 s[0:1], vcc, s[0:1]
	v_cndmask_b32_e64 v4, 0, 1, s[0:1]
	v_add_u32_e32 v5, v3, v4
; %bb.38:
	s_or_b64 exec, exec, s[6:7]
	s_mov_b64 s[6:7], -1
	s_mov_b64 s[0:1], 0
	global_store_byte v[0:1], v5, off
.LBB126_39:
	s_mov_b64 s[18:19], 0
.LBB126_40:
	s_and_b64 vcc, exec, s[18:19]
	s_cbranch_vccz .LBB126_43
; %bb.41:
	s_cmp_eq_u32 s25, 29
	s_mov_b64 s[0:1], -1
	s_cbranch_scc0 .LBB126_43
; %bb.42:
	s_mov_b32 s0, 0
	v_and_b32_e32 v3, 0xffff, v2
	v_mov_b32_e32 v4, s0
	global_store_dwordx2 v[0:1], v[3:4], off
	s_mov_b64 s[6:7], -1
	s_mov_b64 s[0:1], 0
.LBB126_43:
	s_mov_b64 s[18:19], 0
.LBB126_44:
	s_and_b64 vcc, exec, s[18:19]
	s_cbranch_vccz .LBB126_60
; %bb.45:
	s_cmp_lt_i32 s25, 27
	s_mov_b64 s[6:7], -1
	s_cbranch_scc1 .LBB126_51
; %bb.46:
	s_cmp_gt_i32 s25, 27
	s_cbranch_scc0 .LBB126_48
; %bb.47:
	v_and_b32_e32 v3, 0xffff, v2
	s_mov_b64 s[6:7], 0
	global_store_dword v[0:1], v3, off
.LBB126_48:
	s_andn2_b64 vcc, exec, s[6:7]
	s_cbranch_vccnz .LBB126_50
; %bb.49:
	global_store_short v[0:1], v2, off
.LBB126_50:
	s_mov_b64 s[6:7], 0
.LBB126_51:
	s_andn2_b64 vcc, exec, s[6:7]
	s_cbranch_vccnz .LBB126_59
; %bb.52:
	v_cvt_f32_ubyte0_e32 v4, v2
	s_mov_b32 s6, 0x43800000
	v_cmp_gt_u32_e32 vcc, s6, v4
	v_mov_b32_e32 v5, 0x80
	s_and_saveexec_b64 s[6:7], vcc
	s_cbranch_execz .LBB126_58
; %bb.53:
	s_mov_b32 s18, 0x3bffffff
	v_cmp_lt_u32_e32 vcc, s18, v4
	s_mov_b64 s[18:19], 0
                                        ; implicit-def: $vgpr3
	s_and_saveexec_b64 s[22:23], vcc
	s_xor_b64 s[22:23], exec, s[22:23]
	s_cbranch_execz .LBB126_275
; %bb.54:
	v_bfe_u32 v3, v4, 20, 1
	s_mov_b32 s26, 0x487ffff
	v_add3_u32 v3, v4, v3, s26
	s_mov_b64 s[18:19], exec
	v_lshrrev_b32_e32 v3, 20, v3
                                        ; implicit-def: $vgpr4
	s_andn2_saveexec_b64 s[22:23], s[22:23]
	s_cbranch_execnz .LBB126_276
.LBB126_55:
	s_or_b64 exec, exec, s[22:23]
	v_mov_b32_e32 v5, 0
	s_and_saveexec_b64 s[22:23], s[18:19]
.LBB126_56:
	v_mov_b32_e32 v5, v3
.LBB126_57:
	s_or_b64 exec, exec, s[22:23]
.LBB126_58:
	s_or_b64 exec, exec, s[6:7]
	global_store_byte v[0:1], v5, off
.LBB126_59:
	s_mov_b64 s[6:7], -1
.LBB126_60:
	s_mov_b64 s[18:19], 0
.LBB126_61:
	s_and_b64 vcc, exec, s[18:19]
	s_cbranch_vccz .LBB126_102
; %bb.62:
	s_cmp_gt_i32 s25, 22
	s_mov_b64 s[18:19], -1
	s_cbranch_scc0 .LBB126_94
; %bb.63:
	s_cmp_lt_i32 s25, 24
	s_mov_b64 s[6:7], -1
	s_cbranch_scc1 .LBB126_83
; %bb.64:
	s_cmp_gt_i32 s25, 24
	s_cbranch_scc0 .LBB126_72
; %bb.65:
	v_cvt_f32_ubyte0_e32 v4, v2
	s_mov_b32 s6, 0x47800000
	v_cmp_gt_u32_e32 vcc, s6, v4
	v_mov_b32_e32 v5, 0x80
	s_and_saveexec_b64 s[6:7], vcc
	s_cbranch_execz .LBB126_71
; %bb.66:
	s_mov_b32 s18, 0x37ffffff
	v_cmp_lt_u32_e32 vcc, s18, v4
	s_mov_b64 s[18:19], 0
                                        ; implicit-def: $vgpr3
	s_and_saveexec_b64 s[22:23], vcc
	s_xor_b64 s[22:23], exec, s[22:23]
	s_cbranch_execz .LBB126_279
; %bb.67:
	v_bfe_u32 v3, v4, 21, 1
	s_mov_b32 s26, 0x88fffff
	v_add3_u32 v3, v4, v3, s26
	s_mov_b64 s[18:19], exec
	v_lshrrev_b32_e32 v3, 21, v3
                                        ; implicit-def: $vgpr4
	s_andn2_saveexec_b64 s[22:23], s[22:23]
	s_cbranch_execnz .LBB126_280
.LBB126_68:
	s_or_b64 exec, exec, s[22:23]
	v_mov_b32_e32 v5, 0
	s_and_saveexec_b64 s[22:23], s[18:19]
.LBB126_69:
	v_mov_b32_e32 v5, v3
.LBB126_70:
	s_or_b64 exec, exec, s[22:23]
.LBB126_71:
	s_or_b64 exec, exec, s[6:7]
	s_mov_b64 s[6:7], 0
	global_store_byte v[0:1], v5, off
.LBB126_72:
	s_and_b64 vcc, exec, s[6:7]
	s_cbranch_vccz .LBB126_82
; %bb.73:
	v_cvt_f32_ubyte0_e32 v3, v2
	s_mov_b32 s6, 0x43f00000
	v_cmp_gt_u32_e32 vcc, s6, v3
                                        ; implicit-def: $vgpr4
	s_and_saveexec_b64 s[6:7], vcc
	s_xor_b64 s[6:7], exec, s[6:7]
	s_cbranch_execz .LBB126_79
; %bb.74:
	s_mov_b32 s18, 0x3c7fffff
	v_cmp_lt_u32_e32 vcc, s18, v3
                                        ; implicit-def: $vgpr4
	s_and_saveexec_b64 s[18:19], vcc
	s_xor_b64 s[18:19], exec, s[18:19]
; %bb.75:
	v_bfe_u32 v4, v3, 20, 1
	s_mov_b32 s22, 0x407ffff
	v_add3_u32 v3, v3, v4, s22
	v_lshrrev_b32_e32 v4, 20, v3
	v_and_b32_e32 v3, 0xff00000, v3
	s_mov_b32 s22, 0x7f00000
	v_mov_b32_e32 v5, 0x7e
	v_cmp_ne_u32_e32 vcc, s22, v3
	v_cndmask_b32_e32 v4, v5, v4, vcc
                                        ; implicit-def: $vgpr3
; %bb.76:
	s_andn2_saveexec_b64 s[18:19], s[18:19]
; %bb.77:
	v_add_f32_e32 v4, 0x46800000, v3
; %bb.78:
	s_or_b64 exec, exec, s[18:19]
                                        ; implicit-def: $vgpr3
.LBB126_79:
	s_andn2_saveexec_b64 s[6:7], s[6:7]
; %bb.80:
	s_mov_b32 s18, 0x7f800000
	v_mov_b32_e32 v4, 0x7e
	v_mov_b32_e32 v5, 0x7f
	v_cmp_lt_u32_e32 vcc, s18, v3
	v_cndmask_b32_e32 v4, v4, v5, vcc
; %bb.81:
	s_or_b64 exec, exec, s[6:7]
	global_store_byte v[0:1], v4, off
.LBB126_82:
	s_mov_b64 s[6:7], 0
.LBB126_83:
	s_andn2_b64 vcc, exec, s[6:7]
	s_cbranch_vccnz .LBB126_93
; %bb.84:
	v_cvt_f32_ubyte0_e32 v3, v2
	s_mov_b32 s6, 0x47800000
	v_cmp_gt_u32_e32 vcc, s6, v3
                                        ; implicit-def: $vgpr4
	s_and_saveexec_b64 s[6:7], vcc
	s_xor_b64 s[6:7], exec, s[6:7]
	s_cbranch_execz .LBB126_90
; %bb.85:
	s_mov_b32 s18, 0x387fffff
	v_cmp_lt_u32_e32 vcc, s18, v3
                                        ; implicit-def: $vgpr4
	s_and_saveexec_b64 s[18:19], vcc
	s_xor_b64 s[18:19], exec, s[18:19]
; %bb.86:
	v_bfe_u32 v4, v3, 21, 1
	s_mov_b32 s22, 0x80fffff
	v_add3_u32 v3, v3, v4, s22
	v_lshrrev_b32_e32 v4, 21, v3
                                        ; implicit-def: $vgpr3
; %bb.87:
	s_andn2_saveexec_b64 s[18:19], s[18:19]
; %bb.88:
	v_add_f32_e32 v4, 0x43000000, v3
; %bb.89:
	s_or_b64 exec, exec, s[18:19]
                                        ; implicit-def: $vgpr3
.LBB126_90:
	s_andn2_saveexec_b64 s[6:7], s[6:7]
; %bb.91:
	s_mov_b32 s18, 0x7f800000
	v_mov_b32_e32 v4, 0x7c
	v_mov_b32_e32 v5, 0x7f
	v_cmp_lt_u32_e32 vcc, s18, v3
	v_cndmask_b32_e32 v4, v4, v5, vcc
; %bb.92:
	s_or_b64 exec, exec, s[6:7]
	global_store_byte v[0:1], v4, off
.LBB126_93:
	s_mov_b64 s[18:19], 0
	s_mov_b64 s[6:7], -1
.LBB126_94:
	s_andn2_b64 vcc, exec, s[18:19]
	s_cbranch_vccnz .LBB126_102
; %bb.95:
	s_cmp_gt_i32 s25, 14
	s_mov_b64 s[18:19], -1
	s_cbranch_scc0 .LBB126_99
; %bb.96:
	s_cmp_eq_u32 s25, 15
	s_mov_b64 s[0:1], -1
	s_cbranch_scc0 .LBB126_98
; %bb.97:
	v_cvt_f32_ubyte0_e32 v3, v2
	v_bfe_u32 v4, v3, 16, 1
	s_movk_i32 s0, 0x7fff
	v_add3_u32 v3, v3, v4, s0
	global_store_short_d16_hi v[0:1], v3, off
	s_mov_b64 s[6:7], -1
	s_mov_b64 s[0:1], 0
.LBB126_98:
	s_mov_b64 s[18:19], 0
.LBB126_99:
	s_and_b64 vcc, exec, s[18:19]
	s_cbranch_vccz .LBB126_102
; %bb.100:
	s_cmp_eq_u32 s25, 11
	s_mov_b64 s[0:1], -1
	s_cbranch_scc0 .LBB126_102
; %bb.101:
	v_cmp_ne_u16_e32 vcc, 0, v2
	v_cndmask_b32_e64 v3, 0, 1, vcc
	s_mov_b64 s[6:7], -1
	s_mov_b64 s[0:1], 0
	global_store_byte v[0:1], v3, off
.LBB126_102:
	s_branch .LBB126_20
.LBB126_103:
	s_and_b32 s18, 0xffff, s24
	s_cmp_lt_i32 s18, 5
	s_mov_b64 s[6:7], -1
	s_cbranch_scc1 .LBB126_124
; %bb.104:
	s_cmp_lt_i32 s18, 8
	s_cbranch_scc1 .LBB126_114
; %bb.105:
	s_cmp_lt_i32 s18, 9
	s_cbranch_scc1 .LBB126_111
; %bb.106:
	s_cmp_gt_i32 s18, 9
	s_cbranch_scc0 .LBB126_108
; %bb.107:
	v_and_b32_e32 v3, 0xffff, v2
	v_cvt_f64_u32_e32 v[3:4], v3
	v_mov_b32_e32 v5, 0
	v_mov_b32_e32 v6, v5
	s_mov_b64 s[6:7], 0
	global_store_dwordx4 v[0:1], v[3:6], off
.LBB126_108:
	s_andn2_b64 vcc, exec, s[6:7]
	s_cbranch_vccnz .LBB126_110
; %bb.109:
	v_cvt_f32_ubyte0_e32 v3, v2
	v_mov_b32_e32 v4, 0
	global_store_dwordx2 v[0:1], v[3:4], off
.LBB126_110:
	s_mov_b64 s[6:7], 0
.LBB126_111:
	s_andn2_b64 vcc, exec, s[6:7]
	s_cbranch_vccnz .LBB126_113
; %bb.112:
	v_cvt_f16_u16_e32 v3, v2
	global_store_dword v[0:1], v3, off
.LBB126_113:
	s_mov_b64 s[6:7], 0
.LBB126_114:
	s_andn2_b64 vcc, exec, s[6:7]
	s_cbranch_vccnz .LBB126_123
; %bb.115:
	s_cmp_lt_i32 s18, 6
	s_mov_b64 s[6:7], -1
	s_cbranch_scc1 .LBB126_121
; %bb.116:
	s_cmp_gt_i32 s18, 6
	s_cbranch_scc0 .LBB126_118
; %bb.117:
	v_and_b32_e32 v3, 0xffff, v2
	v_cvt_f64_u32_e32 v[3:4], v3
	s_mov_b64 s[6:7], 0
	global_store_dwordx2 v[0:1], v[3:4], off
.LBB126_118:
	s_andn2_b64 vcc, exec, s[6:7]
	s_cbranch_vccnz .LBB126_120
; %bb.119:
	v_cvt_f32_ubyte0_e32 v3, v2
	global_store_dword v[0:1], v3, off
.LBB126_120:
	s_mov_b64 s[6:7], 0
.LBB126_121:
	s_andn2_b64 vcc, exec, s[6:7]
	s_cbranch_vccnz .LBB126_123
; %bb.122:
	v_cvt_f16_u16_e32 v3, v2
	global_store_short v[0:1], v3, off
.LBB126_123:
	s_mov_b64 s[6:7], 0
.LBB126_124:
	s_andn2_b64 vcc, exec, s[6:7]
	s_cbranch_vccnz .LBB126_140
; %bb.125:
	s_cmp_lt_i32 s18, 2
	s_mov_b64 s[6:7], -1
	s_cbranch_scc1 .LBB126_135
; %bb.126:
	s_cmp_lt_i32 s18, 3
	s_cbranch_scc1 .LBB126_132
; %bb.127:
	s_cmp_gt_i32 s18, 3
	s_cbranch_scc0 .LBB126_129
; %bb.128:
	s_mov_b32 s6, 0
	v_and_b32_e32 v3, 0xffff, v2
	v_mov_b32_e32 v4, s6
	global_store_dwordx2 v[0:1], v[3:4], off
	s_mov_b64 s[6:7], 0
.LBB126_129:
	s_andn2_b64 vcc, exec, s[6:7]
	s_cbranch_vccnz .LBB126_131
; %bb.130:
	v_and_b32_e32 v3, 0xffff, v2
	global_store_dword v[0:1], v3, off
.LBB126_131:
	s_mov_b64 s[6:7], 0
.LBB126_132:
	s_andn2_b64 vcc, exec, s[6:7]
	s_cbranch_vccnz .LBB126_134
; %bb.133:
	global_store_short v[0:1], v2, off
.LBB126_134:
	s_mov_b64 s[6:7], 0
.LBB126_135:
	s_andn2_b64 vcc, exec, s[6:7]
	s_cbranch_vccnz .LBB126_140
; %bb.136:
	s_cmp_gt_i32 s18, 0
	s_mov_b64 s[6:7], -1
	s_cbranch_scc0 .LBB126_138
; %bb.137:
	global_store_byte v[0:1], v2, off
	s_mov_b64 s[6:7], 0
.LBB126_138:
	s_andn2_b64 vcc, exec, s[6:7]
	s_cbranch_vccnz .LBB126_140
; %bb.139:
	global_store_byte v[0:1], v2, off
.LBB126_140:
	s_branch .LBB126_21
.LBB126_141:
	s_mov_b64 s[18:19], 0
                                        ; implicit-def: $vgpr7
	s_branch .LBB126_247
.LBB126_142:
	s_mov_b64 s[14:15], -1
                                        ; implicit-def: $vgpr2
.LBB126_143:
	s_mov_b64 s[6:7], 0
.LBB126_144:
	s_and_b64 vcc, exec, s[6:7]
	s_cbranch_vccz .LBB126_148
; %bb.145:
	s_cmp_eq_u32 s19, 29
	s_cbranch_scc0 .LBB126_147
; %bb.146:
	global_load_dwordx2 v[2:3], v[0:1], off
	s_mov_b64 s[0:1], -1
	s_mov_b64 s[14:15], 0
	s_branch .LBB126_148
.LBB126_147:
	s_mov_b64 s[14:15], -1
                                        ; implicit-def: $vgpr2
.LBB126_148:
	s_mov_b64 s[6:7], 0
.LBB126_149:
	s_and_b64 vcc, exec, s[6:7]
	s_cbranch_vccz .LBB126_165
; %bb.150:
	s_cmp_lt_i32 s19, 27
	s_cbranch_scc1 .LBB126_153
; %bb.151:
	s_cmp_gt_i32 s19, 27
	s_cbranch_scc0 .LBB126_154
; %bb.152:
	global_load_dword v2, v[0:1], off
	s_mov_b64 s[0:1], 0
	s_branch .LBB126_155
.LBB126_153:
	s_mov_b64 s[0:1], -1
                                        ; implicit-def: $vgpr2
	s_branch .LBB126_158
.LBB126_154:
	s_mov_b64 s[0:1], -1
                                        ; implicit-def: $vgpr2
.LBB126_155:
	s_andn2_b64 vcc, exec, s[0:1]
	s_cbranch_vccnz .LBB126_157
; %bb.156:
	global_load_ushort v2, v[0:1], off
.LBB126_157:
	s_mov_b64 s[0:1], 0
.LBB126_158:
	s_andn2_b64 vcc, exec, s[0:1]
	s_cbranch_vccnz .LBB126_164
; %bb.159:
	global_load_ubyte v3, v[0:1], off
	s_movk_i32 s0, 0x7f
	s_mov_b64 s[6:7], 0
	s_waitcnt vmcnt(0)
	v_cmp_lt_i16_e32 vcc, s0, v3
	s_and_saveexec_b64 s[0:1], vcc
	s_xor_b64 s[0:1], exec, s[0:1]
	s_cbranch_execz .LBB126_175
; %bb.160:
	s_movk_i32 s6, 0x80
	v_cmp_ne_u16_e32 vcc, s6, v3
	s_and_b64 s[6:7], vcc, exec
	s_andn2_saveexec_b64 s[0:1], s[0:1]
	s_cbranch_execnz .LBB126_176
.LBB126_161:
	s_or_b64 exec, exec, s[0:1]
	v_mov_b32_e32 v2, 0
	s_and_saveexec_b64 s[0:1], s[6:7]
	s_cbranch_execz .LBB126_163
.LBB126_162:
	v_lshlrev_b32_e32 v2, 24, v3
	v_and_b32_e32 v3, 0xffff, v3
	v_and_b32_e32 v4, 7, v3
	v_ffbh_u32_e32 v6, v4
	v_min_u32_e32 v6, 32, v6
	v_subrev_u32_e32 v8, 28, v6
	v_bfe_u32 v5, v3, 3, 4
	v_lshlrev_b32_e32 v3, v8, v3
	v_sub_u32_e32 v6, 29, v6
	v_and_b32_e32 v3, 7, v3
	v_cmp_eq_u32_e32 vcc, 0, v5
	v_cndmask_b32_e32 v5, v5, v6, vcc
	v_cndmask_b32_e32 v3, v4, v3, vcc
	v_mov_b32_e32 v4, 0x3b800000
	v_lshlrev_b32_e32 v3, 20, v3
	v_and_b32_e32 v2, 0x80000000, v2
	v_lshl_add_u32 v4, v5, 23, v4
	v_or3_b32 v2, v2, v4, v3
	v_trunc_f32_e32 v2, v2
	s_mov_b32 s6, 0x2f800000
	v_mul_f32_e64 v3, |v2|, s6
	v_floor_f32_e32 v3, v3
	s_mov_b32 s6, 0xcf800000
	v_fma_f32 v3, v3, s6, |v2|
	v_cvt_u32_f32_e32 v3, v3
	v_ashrrev_i32_e32 v2, 31, v2
	v_xor_b32_e32 v3, v3, v2
	v_sub_u32_e32 v2, v3, v2
.LBB126_163:
	s_or_b64 exec, exec, s[0:1]
.LBB126_164:
	s_mov_b64 s[0:1], -1
.LBB126_165:
	s_branch .LBB126_198
.LBB126_166:
	s_cmp_gt_i32 s19, 22
	s_cbranch_scc0 .LBB126_174
; %bb.167:
	s_cmp_lt_i32 s19, 24
	s_cbranch_scc1 .LBB126_177
; %bb.168:
	s_cmp_gt_i32 s19, 24
	s_cbranch_scc0 .LBB126_178
; %bb.169:
	global_load_ubyte v3, v[0:1], off
	s_movk_i32 s0, 0x7f
	s_mov_b64 s[6:7], 0
	s_waitcnt vmcnt(0)
	v_cmp_lt_i16_e32 vcc, s0, v3
	s_and_saveexec_b64 s[0:1], vcc
	s_xor_b64 s[0:1], exec, s[0:1]
	s_cbranch_execz .LBB126_190
; %bb.170:
	s_movk_i32 s6, 0x80
	v_cmp_ne_u16_e32 vcc, s6, v3
	s_and_b64 s[6:7], vcc, exec
	s_andn2_saveexec_b64 s[0:1], s[0:1]
	s_cbranch_execnz .LBB126_191
.LBB126_171:
	s_or_b64 exec, exec, s[0:1]
	v_mov_b32_e32 v2, 0
	s_and_saveexec_b64 s[0:1], s[6:7]
	s_cbranch_execz .LBB126_173
.LBB126_172:
	v_lshlrev_b32_e32 v2, 24, v3
	v_and_b32_e32 v3, 0xffff, v3
	v_and_b32_e32 v4, 3, v3
	v_ffbh_u32_e32 v6, v4
	v_min_u32_e32 v6, 32, v6
	v_subrev_u32_e32 v8, 29, v6
	v_bfe_u32 v5, v3, 2, 5
	v_lshlrev_b32_e32 v3, v8, v3
	v_sub_u32_e32 v6, 30, v6
	v_and_b32_e32 v3, 3, v3
	v_cmp_eq_u32_e32 vcc, 0, v5
	v_cndmask_b32_e32 v5, v5, v6, vcc
	v_cndmask_b32_e32 v3, v4, v3, vcc
	v_mov_b32_e32 v4, 0x37800000
	v_lshlrev_b32_e32 v3, 21, v3
	v_and_b32_e32 v2, 0x80000000, v2
	v_lshl_add_u32 v4, v5, 23, v4
	v_or3_b32 v2, v2, v4, v3
	v_trunc_f32_e32 v2, v2
	s_mov_b32 s6, 0x2f800000
	v_mul_f32_e64 v3, |v2|, s6
	v_floor_f32_e32 v3, v3
	s_mov_b32 s6, 0xcf800000
	v_fma_f32 v3, v3, s6, |v2|
	v_cvt_u32_f32_e32 v3, v3
	v_ashrrev_i32_e32 v2, 31, v2
	v_xor_b32_e32 v3, v3, v2
	v_sub_u32_e32 v2, v3, v2
.LBB126_173:
	s_or_b64 exec, exec, s[0:1]
	s_mov_b64 s[0:1], 0
	s_branch .LBB126_179
.LBB126_174:
	s_mov_b64 s[6:7], -1
                                        ; implicit-def: $vgpr2
	s_branch .LBB126_185
.LBB126_175:
	s_andn2_saveexec_b64 s[0:1], s[0:1]
	s_cbranch_execz .LBB126_161
.LBB126_176:
	v_cmp_ne_u16_e32 vcc, 0, v3
	s_andn2_b64 s[6:7], s[6:7], exec
	s_and_b64 s[22:23], vcc, exec
	s_or_b64 s[6:7], s[6:7], s[22:23]
	s_or_b64 exec, exec, s[0:1]
	v_mov_b32_e32 v2, 0
	s_and_saveexec_b64 s[0:1], s[6:7]
	s_cbranch_execnz .LBB126_162
	s_branch .LBB126_163
.LBB126_177:
	s_mov_b64 s[0:1], -1
                                        ; implicit-def: $vgpr2
	s_branch .LBB126_182
.LBB126_178:
	s_mov_b64 s[0:1], -1
                                        ; implicit-def: $vgpr2
.LBB126_179:
	s_and_b64 vcc, exec, s[0:1]
	s_cbranch_vccz .LBB126_181
; %bb.180:
	global_load_ubyte v2, v[0:1], off
	s_mov_b32 s0, 0x7f800000
	s_brev_b32 s1, 1
	s_mov_b32 s6, 0x2f800000
	s_waitcnt vmcnt(0)
	v_lshlrev_b32_e32 v2, 24, v2
	v_and_b32_e32 v3, 0x7f000000, v2
	v_ffbh_u32_e32 v4, v3
	v_min_u32_e32 v4, 32, v4
	v_sub_u32_e64 v4, v4, 4 clamp
	v_lshlrev_b32_e32 v6, v4, v3
	v_lshlrev_b32_e32 v4, 23, v4
	v_lshrrev_b32_e32 v6, 4, v6
	v_add_u32_e32 v5, 0x1000000, v3
	v_sub_u32_e32 v4, v6, v4
	v_ashrrev_i32_e32 v5, 8, v5
	v_add_u32_e32 v4, 0x3c000000, v4
	v_and_or_b32 v4, v5, s0, v4
	v_cmp_ne_u32_e32 vcc, 0, v3
	v_cndmask_b32_e32 v3, 0, v4, vcc
	v_and_or_b32 v2, v2, s1, v3
	v_trunc_f32_e32 v2, v2
	v_mul_f32_e64 v3, |v2|, s6
	v_floor_f32_e32 v3, v3
	s_mov_b32 s0, 0xcf800000
	v_fma_f32 v3, v3, s0, |v2|
	v_cvt_u32_f32_e32 v3, v3
	v_ashrrev_i32_e32 v2, 31, v2
	v_xor_b32_e32 v3, v3, v2
	v_sub_u32_e32 v2, v3, v2
.LBB126_181:
	s_mov_b64 s[0:1], 0
.LBB126_182:
	s_andn2_b64 vcc, exec, s[0:1]
	s_cbranch_vccnz .LBB126_184
; %bb.183:
	global_load_ubyte v2, v[0:1], off
	s_movk_i32 s0, 0x7f00
	s_brev_b32 s1, 16
	s_brev_b32 s6, 1
	s_mov_b32 s7, 0x2f800000
	s_waitcnt vmcnt(0)
	v_lshlrev_b16_e32 v3, 8, v2
	v_lshlrev_b32_e32 v2, 25, v2
	v_lshrrev_b32_e32 v4, 4, v2
	v_and_or_b32 v5, v3, s0, 0.5
	v_or_b32_e32 v4, 0x70000000, v4
	v_add_f32_e32 v5, -0.5, v5
	v_mul_f32_e32 v4, 0x7800000, v4
	v_cmp_gt_u32_e32 vcc, s1, v2
	v_bfe_i32 v3, v3, 0, 16
	v_cndmask_b32_e32 v2, v4, v5, vcc
	v_and_or_b32 v2, v3, s6, v2
	v_trunc_f32_e32 v2, v2
	v_mul_f32_e64 v3, |v2|, s7
	v_floor_f32_e32 v3, v3
	s_mov_b32 s0, 0xcf800000
	v_fma_f32 v3, v3, s0, |v2|
	v_cvt_u32_f32_e32 v3, v3
	v_ashrrev_i32_e32 v2, 31, v2
	v_xor_b32_e32 v3, v3, v2
	v_sub_u32_e32 v2, v3, v2
.LBB126_184:
	s_mov_b64 s[6:7], 0
	s_mov_b64 s[0:1], -1
.LBB126_185:
	s_andn2_b64 vcc, exec, s[6:7]
	s_cbranch_vccnz .LBB126_198
; %bb.186:
	s_cmp_gt_i32 s19, 14
	s_cbranch_scc0 .LBB126_189
; %bb.187:
	s_cmp_eq_u32 s19, 15
	s_cbranch_scc0 .LBB126_192
; %bb.188:
	global_load_ushort v2, v[0:1], off
	s_mov_b32 s0, 0x2f800000
	s_mov_b32 s1, 0xcf800000
	s_mov_b64 s[14:15], 0
	s_waitcnt vmcnt(0)
	v_lshlrev_b32_e32 v2, 16, v2
	v_trunc_f32_e32 v2, v2
	v_mul_f32_e64 v3, |v2|, s0
	v_floor_f32_e32 v3, v3
	v_fma_f32 v3, v3, s1, |v2|
	v_cvt_u32_f32_e32 v3, v3
	v_ashrrev_i32_e32 v2, 31, v2
	s_mov_b64 s[0:1], -1
	v_xor_b32_e32 v3, v3, v2
	v_sub_u32_e32 v2, v3, v2
	s_branch .LBB126_193
.LBB126_189:
	s_mov_b64 s[6:7], -1
                                        ; implicit-def: $vgpr2
	s_branch .LBB126_194
.LBB126_190:
	s_andn2_saveexec_b64 s[0:1], s[0:1]
	s_cbranch_execz .LBB126_171
.LBB126_191:
	v_cmp_ne_u16_e32 vcc, 0, v3
	s_andn2_b64 s[6:7], s[6:7], exec
	s_and_b64 s[22:23], vcc, exec
	s_or_b64 s[6:7], s[6:7], s[22:23]
	s_or_b64 exec, exec, s[0:1]
	v_mov_b32_e32 v2, 0
	s_and_saveexec_b64 s[0:1], s[6:7]
	s_cbranch_execnz .LBB126_172
	s_branch .LBB126_173
.LBB126_192:
	s_mov_b64 s[14:15], -1
                                        ; implicit-def: $vgpr2
.LBB126_193:
	s_mov_b64 s[6:7], 0
.LBB126_194:
	s_and_b64 vcc, exec, s[6:7]
	s_cbranch_vccz .LBB126_198
; %bb.195:
	s_cmp_eq_u32 s19, 11
	s_cbranch_scc0 .LBB126_197
; %bb.196:
	global_load_ubyte v2, v[0:1], off
	s_mov_b64 s[0:1], -1
	s_mov_b64 s[14:15], 0
	s_waitcnt vmcnt(0)
	v_cmp_ne_u16_e32 vcc, 0, v2
	v_cndmask_b32_e64 v2, 0, 1, vcc
	s_branch .LBB126_198
.LBB126_197:
	s_mov_b64 s[14:15], -1
                                        ; implicit-def: $vgpr2
.LBB126_198:
	s_branch .LBB126_10
.LBB126_199:
	s_and_b32 s6, 0xffff, s18
	s_cmp_lt_i32 s6, 5
	s_cbranch_scc1 .LBB126_204
; %bb.200:
	s_cmp_lt_i32 s6, 8
	s_cbranch_scc1 .LBB126_205
; %bb.201:
	;; [unrolled: 3-line block ×3, first 2 shown]
	s_cmp_gt_i32 s6, 9
	s_cbranch_scc0 .LBB126_207
; %bb.203:
	global_load_dwordx2 v[2:3], v[0:1], off
	s_movk_i32 s0, 0xffe0
	s_waitcnt vmcnt(0)
	v_trunc_f64_e32 v[2:3], v[2:3]
	v_ldexp_f64 v[4:5], v[2:3], s0
	s_mov_b32 s0, 0
	s_mov_b32 s1, 0xc1f00000
	v_floor_f64_e32 v[4:5], v[4:5]
	v_fma_f64 v[2:3], v[4:5], s[0:1], v[2:3]
	s_mov_b64 s[0:1], 0
	v_cvt_u32_f64_e32 v2, v[2:3]
	s_branch .LBB126_208
.LBB126_204:
                                        ; implicit-def: $vgpr2
	s_branch .LBB126_226
.LBB126_205:
	s_mov_b64 s[0:1], -1
                                        ; implicit-def: $vgpr2
	s_branch .LBB126_214
.LBB126_206:
	s_mov_b64 s[0:1], -1
                                        ; implicit-def: $vgpr2
	s_branch .LBB126_211
.LBB126_207:
	s_mov_b64 s[0:1], -1
                                        ; implicit-def: $vgpr2
.LBB126_208:
	s_andn2_b64 vcc, exec, s[0:1]
	s_cbranch_vccnz .LBB126_210
; %bb.209:
	global_load_dword v2, v[0:1], off
	s_mov_b32 s0, 0x2f800000
	s_waitcnt vmcnt(0)
	v_trunc_f32_e32 v2, v2
	v_mul_f32_e64 v3, |v2|, s0
	v_floor_f32_e32 v3, v3
	s_mov_b32 s0, 0xcf800000
	v_fma_f32 v3, v3, s0, |v2|
	v_cvt_u32_f32_e32 v3, v3
	v_ashrrev_i32_e32 v2, 31, v2
	v_xor_b32_e32 v3, v3, v2
	v_sub_u32_e32 v2, v3, v2
.LBB126_210:
	s_mov_b64 s[0:1], 0
.LBB126_211:
	s_andn2_b64 vcc, exec, s[0:1]
	s_cbranch_vccnz .LBB126_213
; %bb.212:
	global_load_dword v2, v[0:1], off
	s_waitcnt vmcnt(0)
	v_cvt_f32_f16_e32 v2, v2
	v_cvt_i32_f32_e32 v2, v2
.LBB126_213:
	s_mov_b64 s[0:1], 0
.LBB126_214:
	s_andn2_b64 vcc, exec, s[0:1]
	s_cbranch_vccnz .LBB126_225
; %bb.215:
	s_cmp_lt_i32 s6, 6
	s_cbranch_scc1 .LBB126_218
; %bb.216:
	s_cmp_gt_i32 s6, 6
	s_cbranch_scc0 .LBB126_219
; %bb.217:
	global_load_dwordx2 v[2:3], v[0:1], off
	s_movk_i32 s0, 0xffe0
	s_waitcnt vmcnt(0)
	v_trunc_f64_e32 v[2:3], v[2:3]
	v_ldexp_f64 v[4:5], v[2:3], s0
	s_mov_b32 s0, 0
	s_mov_b32 s1, 0xc1f00000
	v_floor_f64_e32 v[4:5], v[4:5]
	v_fma_f64 v[2:3], v[4:5], s[0:1], v[2:3]
	s_mov_b64 s[0:1], 0
	v_cvt_u32_f64_e32 v2, v[2:3]
	s_branch .LBB126_220
.LBB126_218:
	s_mov_b64 s[0:1], -1
                                        ; implicit-def: $vgpr2
	s_branch .LBB126_223
.LBB126_219:
	s_mov_b64 s[0:1], -1
                                        ; implicit-def: $vgpr2
.LBB126_220:
	s_andn2_b64 vcc, exec, s[0:1]
	s_cbranch_vccnz .LBB126_222
; %bb.221:
	global_load_dword v2, v[0:1], off
	s_mov_b32 s0, 0x2f800000
	s_waitcnt vmcnt(0)
	v_trunc_f32_e32 v2, v2
	v_mul_f32_e64 v3, |v2|, s0
	v_floor_f32_e32 v3, v3
	s_mov_b32 s0, 0xcf800000
	v_fma_f32 v3, v3, s0, |v2|
	v_cvt_u32_f32_e32 v3, v3
	v_ashrrev_i32_e32 v2, 31, v2
	v_xor_b32_e32 v3, v3, v2
	v_sub_u32_e32 v2, v3, v2
.LBB126_222:
	s_mov_b64 s[0:1], 0
.LBB126_223:
	s_andn2_b64 vcc, exec, s[0:1]
	s_cbranch_vccnz .LBB126_225
; %bb.224:
	global_load_ushort v2, v[0:1], off
	s_waitcnt vmcnt(0)
	v_cvt_f32_f16_e32 v2, v2
	v_cvt_i32_f32_e32 v2, v2
.LBB126_225:
	s_cbranch_execnz .LBB126_245
.LBB126_226:
	s_cmp_lt_i32 s6, 2
	s_cbranch_scc1 .LBB126_230
; %bb.227:
	s_cmp_lt_i32 s6, 3
	s_cbranch_scc1 .LBB126_231
; %bb.228:
	s_cmp_gt_i32 s6, 3
	s_cbranch_scc0 .LBB126_232
; %bb.229:
	global_load_dwordx2 v[2:3], v[0:1], off
	s_mov_b64 s[0:1], 0
	s_branch .LBB126_233
.LBB126_230:
	s_mov_b64 s[0:1], -1
                                        ; implicit-def: $vgpr2
	s_branch .LBB126_239
.LBB126_231:
	s_mov_b64 s[0:1], -1
                                        ; implicit-def: $vgpr2
	s_branch .LBB126_236
.LBB126_232:
	s_mov_b64 s[0:1], -1
                                        ; implicit-def: $vgpr2
.LBB126_233:
	s_andn2_b64 vcc, exec, s[0:1]
	s_cbranch_vccnz .LBB126_235
; %bb.234:
	global_load_dword v2, v[0:1], off
.LBB126_235:
	s_mov_b64 s[0:1], 0
.LBB126_236:
	s_andn2_b64 vcc, exec, s[0:1]
	s_cbranch_vccnz .LBB126_238
; %bb.237:
	global_load_ushort v2, v[0:1], off
.LBB126_238:
	s_mov_b64 s[0:1], 0
.LBB126_239:
	s_andn2_b64 vcc, exec, s[0:1]
	s_cbranch_vccnz .LBB126_245
; %bb.240:
	s_cmp_gt_i32 s6, 0
	s_cbranch_scc0 .LBB126_242
; %bb.241:
	global_load_ubyte v2, v[0:1], off
	s_mov_b64 s[0:1], 0
	s_branch .LBB126_243
.LBB126_242:
	s_mov_b64 s[0:1], -1
                                        ; implicit-def: $vgpr2
.LBB126_243:
	s_andn2_b64 vcc, exec, s[0:1]
	s_cbranch_vccnz .LBB126_245
; %bb.244:
	global_load_ubyte v2, v[0:1], off
.LBB126_245:
	s_branch .LBB126_11
.LBB126_246:
	s_mov_b64 s[0:1], 0
                                        ; implicit-def: $vgpr7
	s_mov_b64 s[18:19], 0
.LBB126_247:
	s_and_b64 s[6:7], s[0:1], exec
	s_and_b64 s[14:15], s[14:15], exec
	s_orn2_b64 s[18:19], s[18:19], exec
.LBB126_248:
	s_or_b64 exec, exec, s[16:17]
	s_mov_b64 s[22:23], 0
	s_mov_b64 s[0:1], 0
                                        ; implicit-def: $sgpr44
                                        ; implicit-def: $vgpr0_vgpr1
                                        ; implicit-def: $vgpr2
	s_and_saveexec_b64 s[16:17], s[18:19]
	s_cbranch_execz .LBB126_257
; %bb.249:
	v_cmp_gt_i32_e32 vcc, s38, v7
	s_mov_b64 s[0:1], -1
	s_mov_b64 s[18:19], s[14:15]
	s_mov_b64 s[20:21], s[6:7]
	s_and_saveexec_b64 s[22:23], vcc
	s_cbranch_execz .LBB126_505
; %bb.250:
	v_mul_lo_u32 v0, v7, s3
	v_mov_b32_e32 v1, s11
	s_and_b32 s24, s43, 0xff
	s_cmp_lt_i32 s24, 11
	s_waitcnt vmcnt(0)
	v_ashrrev_i32_e32 v2, 31, v0
	v_add_co_u32_e32 v0, vcc, s10, v0
	v_addc_co_u32_e32 v1, vcc, v1, v2, vcc
	s_cbranch_scc1 .LBB126_260
; %bb.251:
	s_and_b32 s25, 0xffff, s24
	s_cmp_gt_i32 s25, 25
	s_cbranch_scc0 .LBB126_269
; %bb.252:
	s_cmp_gt_i32 s25, 28
	s_cbranch_scc0 .LBB126_271
; %bb.253:
	;; [unrolled: 3-line block ×4, first 2 shown]
	s_cmp_eq_u32 s25, 46
	s_mov_b64 s[20:21], 0
	s_cbranch_scc0 .LBB126_281
; %bb.256:
	global_load_dword v2, v[0:1], off
	s_mov_b32 s0, 0x2f800000
	s_mov_b32 s1, 0xcf800000
	s_mov_b64 s[18:19], 0
	s_waitcnt vmcnt(0)
	v_lshlrev_b32_e32 v2, 16, v2
	v_trunc_f32_e32 v2, v2
	v_mul_f32_e64 v3, |v2|, s0
	v_floor_f32_e32 v3, v3
	v_fma_f32 v3, v3, s1, |v2|
	v_cvt_u32_f32_e32 v3, v3
	v_ashrrev_i32_e32 v2, 31, v2
	s_mov_b64 s[0:1], -1
	v_xor_b32_e32 v3, v3, v2
	v_sub_u32_e32 v2, v3, v2
	s_branch .LBB126_282
.LBB126_257:
	s_or_b64 exec, exec, s[16:17]
	s_mov_b64 s[16:17], 0
	s_and_saveexec_b64 s[18:19], s[14:15]
	s_cbranch_execnz .LBB126_843
.LBB126_258:
	s_or_b64 exec, exec, s[18:19]
	s_and_saveexec_b64 s[14:15], s[20:21]
	s_xor_b64 s[14:15], exec, s[14:15]
	s_cbranch_execz .LBB126_844
.LBB126_259:
	global_load_ubyte v2, v[0:1], off
	s_or_b64 s[0:1], s[0:1], exec
	s_waitcnt vmcnt(0)
	v_cmp_ne_u16_e32 vcc, 0, v2
	v_cndmask_b32_e64 v2, 0, 1, vcc
	s_or_b64 exec, exec, s[14:15]
	s_and_saveexec_b64 s[14:15], s[22:23]
	s_cbranch_execz .LBB126_890
	s_branch .LBB126_845
.LBB126_260:
	s_mov_b64 s[0:1], 0
                                        ; implicit-def: $vgpr2
	s_mov_b64 s[18:19], s[14:15]
	s_cbranch_execnz .LBB126_455
.LBB126_261:
	s_andn2_b64 vcc, exec, s[0:1]
	s_cbranch_vccnz .LBB126_503
.LBB126_262:
	v_mul_lo_u32 v1, v7, s2
	s_and_b32 s0, s42, 0xff
	s_waitcnt vmcnt(0)
	v_mov_b32_e32 v3, 8
	v_lshrrev_b16_sdwa v0, v2, s0 dst_sel:DWORD dst_unused:UNUSED_PAD src0_sel:BYTE_0 src1_sel:DWORD
	v_cmp_lt_u16_sdwa vcc, v2, v3 src0_sel:BYTE_0 src1_sel:DWORD
	v_cndmask_b32_e32 v2, 0, v0, vcc
	v_ashrrev_i32_e32 v3, 31, v1
	v_mov_b32_e32 v4, s9
	s_and_b32 s28, s33, 0xff
	v_add_co_u32_e32 v0, vcc, s8, v1
	s_cmp_lt_i32 s28, 11
	v_addc_co_u32_e32 v1, vcc, v4, v3, vcc
	s_cbranch_scc1 .LBB126_270
; %bb.263:
	s_and_b32 s29, 0xffff, s28
	s_cmp_gt_i32 s29, 25
	s_cbranch_scc0 .LBB126_272
; %bb.264:
	s_cmp_gt_i32 s29, 28
	s_cbranch_scc0 .LBB126_274
; %bb.265:
	;; [unrolled: 3-line block ×4, first 2 shown]
	s_mov_b64 s[24:25], 0
	s_mov_b64 s[0:1], -1
	s_cmp_eq_u32 s29, 46
	s_mov_b64 s[20:21], 0
	s_cbranch_scc0 .LBB126_286
; %bb.268:
	v_cvt_f32_ubyte0_e32 v3, v2
	v_bfe_u32 v4, v3, 16, 1
	s_movk_i32 s0, 0x7fff
	v_add3_u32 v3, v3, v4, s0
	v_lshrrev_b32_e32 v3, 16, v3
	global_store_dword v[0:1], v3, off
	s_mov_b64 s[20:21], -1
	s_mov_b64 s[0:1], 0
	s_branch .LBB126_286
.LBB126_269:
	s_mov_b64 s[20:21], -1
	s_mov_b64 s[0:1], 0
	s_mov_b64 s[18:19], s[14:15]
                                        ; implicit-def: $vgpr2
	s_branch .LBB126_421
.LBB126_270:
	s_mov_b64 s[24:25], -1
	s_mov_b64 s[20:21], 0
	s_mov_b64 s[0:1], s[6:7]
	s_branch .LBB126_355
.LBB126_271:
	s_mov_b64 s[20:21], -1
	s_mov_b64 s[0:1], 0
	s_mov_b64 s[18:19], s[14:15]
                                        ; implicit-def: $vgpr2
	s_branch .LBB126_404
.LBB126_272:
	s_mov_b64 s[24:25], -1
	s_mov_b64 s[20:21], 0
	s_mov_b64 s[0:1], s[6:7]
	s_branch .LBB126_313
.LBB126_273:
	s_mov_b64 s[20:21], -1
	s_mov_b64 s[0:1], 0
	s_mov_b64 s[18:19], s[14:15]
                                        ; implicit-def: $vgpr2
	s_branch .LBB126_399
.LBB126_274:
	s_mov_b64 s[24:25], -1
	s_mov_b64 s[20:21], 0
	s_mov_b64 s[0:1], s[6:7]
	s_branch .LBB126_296
.LBB126_275:
	s_andn2_saveexec_b64 s[22:23], s[22:23]
	s_cbranch_execz .LBB126_55
.LBB126_276:
	v_add_f32_e32 v3, 0x46000000, v4
	v_and_b32_e32 v3, 0xff, v3
	v_cmp_ne_u32_e32 vcc, 0, v3
	s_andn2_b64 s[18:19], s[18:19], exec
	s_and_b64 s[26:27], vcc, exec
	s_or_b64 s[18:19], s[18:19], s[26:27]
	s_or_b64 exec, exec, s[22:23]
	v_mov_b32_e32 v5, 0
	s_and_saveexec_b64 s[22:23], s[18:19]
	s_cbranch_execnz .LBB126_56
	s_branch .LBB126_57
.LBB126_277:
	s_mov_b64 s[20:21], -1
	s_mov_b64 s[0:1], 0
	s_mov_b64 s[18:19], s[14:15]
                                        ; implicit-def: $vgpr2
	s_branch .LBB126_282
.LBB126_278:
	s_mov_b64 s[24:25], -1
	s_mov_b64 s[20:21], 0
	s_mov_b64 s[0:1], s[6:7]
	s_branch .LBB126_292
.LBB126_279:
	s_andn2_saveexec_b64 s[22:23], s[22:23]
	s_cbranch_execz .LBB126_68
.LBB126_280:
	v_add_f32_e32 v3, 0x42800000, v4
	v_and_b32_e32 v3, 0xff, v3
	v_cmp_ne_u32_e32 vcc, 0, v3
	s_andn2_b64 s[18:19], s[18:19], exec
	s_and_b64 s[26:27], vcc, exec
	s_or_b64 s[18:19], s[18:19], s[26:27]
	s_or_b64 exec, exec, s[22:23]
	v_mov_b32_e32 v5, 0
	s_and_saveexec_b64 s[22:23], s[18:19]
	s_cbranch_execnz .LBB126_69
	s_branch .LBB126_70
.LBB126_281:
	s_mov_b64 s[18:19], -1
                                        ; implicit-def: $vgpr2
	s_mov_b64 s[0:1], 0
.LBB126_282:
	s_and_b64 vcc, exec, s[20:21]
	s_cbranch_vccz .LBB126_398
; %bb.283:
	s_cmp_eq_u32 s25, 44
	s_cbranch_scc0 .LBB126_397
; %bb.284:
	global_load_ubyte v2, v[0:1], off
	s_mov_b32 s0, 0x2f800000
	s_mov_b32 s1, 0xcf800000
	s_mov_b64 s[18:19], 0
	s_waitcnt vmcnt(0)
	v_lshlrev_b32_e32 v3, 23, v2
	v_trunc_f32_e32 v3, v3
	v_mul_f32_e64 v4, |v3|, s0
	v_floor_f32_e32 v4, v4
	v_fma_f32 v4, v4, s1, |v3|
	v_cvt_u32_f32_e32 v4, v4
	v_ashrrev_i32_e32 v3, 31, v3
	v_cmp_ne_u32_e32 vcc, 0, v2
	s_mov_b64 s[0:1], -1
	v_xor_b32_e32 v4, v4, v3
	v_sub_u32_e32 v3, v4, v3
	v_cndmask_b32_e32 v2, 0, v3, vcc
	s_branch .LBB126_398
.LBB126_285:
	s_mov_b64 s[24:25], -1
	s_mov_b64 s[20:21], 0
	s_mov_b64 s[0:1], s[6:7]
.LBB126_286:
	s_and_b64 vcc, exec, s[24:25]
	s_cbranch_vccz .LBB126_291
; %bb.287:
	s_cmp_eq_u32 s29, 44
	s_mov_b64 s[0:1], -1
	s_cbranch_scc0 .LBB126_291
; %bb.288:
	v_cvt_f32_ubyte0_e32 v4, v2
	v_lshrrev_b32_e32 v3, 23, v4
	s_movk_i32 s0, 0xff
	v_cmp_ne_u32_e32 vcc, s0, v3
	v_mov_b32_e32 v5, 0xff
	s_and_saveexec_b64 s[20:21], vcc
; %bb.289:
	s_mov_b32 s0, 0x3fffff
	v_and_b32_e32 v5, 0x400000, v4
	v_and_or_b32 v4, v4, s0, v3
	v_cmp_ne_u32_e32 vcc, 0, v5
	v_cmp_ne_u32_e64 s[0:1], 0, v4
	s_and_b64 s[0:1], vcc, s[0:1]
	v_cndmask_b32_e64 v4, 0, 1, s[0:1]
	v_add_u32_e32 v5, v3, v4
; %bb.290:
	s_or_b64 exec, exec, s[20:21]
	s_mov_b64 s[20:21], -1
	s_mov_b64 s[0:1], 0
	global_store_byte v[0:1], v5, off
.LBB126_291:
	s_mov_b64 s[24:25], 0
.LBB126_292:
	s_and_b64 vcc, exec, s[24:25]
	s_cbranch_vccz .LBB126_295
; %bb.293:
	s_cmp_eq_u32 s29, 29
	s_mov_b64 s[0:1], -1
	s_cbranch_scc0 .LBB126_295
; %bb.294:
	s_mov_b32 s0, 0
	v_and_b32_e32 v3, 0xffff, v2
	v_mov_b32_e32 v4, s0
	global_store_dwordx2 v[0:1], v[3:4], off
	s_mov_b64 s[20:21], -1
	s_mov_b64 s[0:1], 0
.LBB126_295:
	s_mov_b64 s[24:25], 0
.LBB126_296:
	s_and_b64 vcc, exec, s[24:25]
	s_cbranch_vccz .LBB126_312
; %bb.297:
	s_cmp_lt_i32 s29, 27
	s_mov_b64 s[20:21], -1
	s_cbranch_scc1 .LBB126_303
; %bb.298:
	s_cmp_gt_i32 s29, 27
	s_cbranch_scc0 .LBB126_300
; %bb.299:
	v_and_b32_e32 v3, 0xffff, v2
	s_mov_b64 s[20:21], 0
	global_store_dword v[0:1], v3, off
.LBB126_300:
	s_andn2_b64 vcc, exec, s[20:21]
	s_cbranch_vccnz .LBB126_302
; %bb.301:
	global_store_short v[0:1], v2, off
.LBB126_302:
	s_mov_b64 s[20:21], 0
.LBB126_303:
	s_andn2_b64 vcc, exec, s[20:21]
	s_cbranch_vccnz .LBB126_311
; %bb.304:
	v_cvt_f32_ubyte0_e32 v4, v2
	s_mov_b32 s20, 0x43800000
	v_cmp_gt_u32_e32 vcc, s20, v4
	v_mov_b32_e32 v5, 0x80
	s_and_saveexec_b64 s[20:21], vcc
	s_cbranch_execz .LBB126_310
; %bb.305:
	s_mov_b32 s24, 0x3bffffff
	v_cmp_lt_u32_e32 vcc, s24, v4
	s_mov_b64 s[24:25], 0
                                        ; implicit-def: $vgpr3
	s_and_saveexec_b64 s[26:27], vcc
	s_xor_b64 s[26:27], exec, s[26:27]
	s_cbranch_execz .LBB126_518
; %bb.306:
	v_bfe_u32 v3, v4, 20, 1
	s_mov_b32 s30, 0x487ffff
	v_add3_u32 v3, v4, v3, s30
	s_mov_b64 s[24:25], exec
	v_lshrrev_b32_e32 v3, 20, v3
                                        ; implicit-def: $vgpr4
	s_andn2_saveexec_b64 s[26:27], s[26:27]
	s_cbranch_execnz .LBB126_519
.LBB126_307:
	s_or_b64 exec, exec, s[26:27]
	v_mov_b32_e32 v5, 0
	s_and_saveexec_b64 s[26:27], s[24:25]
.LBB126_308:
	v_mov_b32_e32 v5, v3
.LBB126_309:
	s_or_b64 exec, exec, s[26:27]
.LBB126_310:
	s_or_b64 exec, exec, s[20:21]
	global_store_byte v[0:1], v5, off
.LBB126_311:
	s_mov_b64 s[20:21], -1
.LBB126_312:
	s_mov_b64 s[24:25], 0
.LBB126_313:
	s_and_b64 vcc, exec, s[24:25]
	s_cbranch_vccz .LBB126_354
; %bb.314:
	s_cmp_gt_i32 s29, 22
	s_mov_b64 s[24:25], -1
	s_cbranch_scc0 .LBB126_346
; %bb.315:
	s_cmp_lt_i32 s29, 24
	s_mov_b64 s[20:21], -1
	s_cbranch_scc1 .LBB126_335
; %bb.316:
	s_cmp_gt_i32 s29, 24
	s_cbranch_scc0 .LBB126_324
; %bb.317:
	v_cvt_f32_ubyte0_e32 v4, v2
	s_mov_b32 s20, 0x47800000
	v_cmp_gt_u32_e32 vcc, s20, v4
	v_mov_b32_e32 v5, 0x80
	s_and_saveexec_b64 s[20:21], vcc
	s_cbranch_execz .LBB126_323
; %bb.318:
	s_mov_b32 s24, 0x37ffffff
	v_cmp_lt_u32_e32 vcc, s24, v4
	s_mov_b64 s[24:25], 0
                                        ; implicit-def: $vgpr3
	s_and_saveexec_b64 s[26:27], vcc
	s_xor_b64 s[26:27], exec, s[26:27]
	s_cbranch_execz .LBB126_521
; %bb.319:
	v_bfe_u32 v3, v4, 21, 1
	s_mov_b32 s30, 0x88fffff
	v_add3_u32 v3, v4, v3, s30
	s_mov_b64 s[24:25], exec
	v_lshrrev_b32_e32 v3, 21, v3
                                        ; implicit-def: $vgpr4
	s_andn2_saveexec_b64 s[26:27], s[26:27]
	s_cbranch_execnz .LBB126_522
.LBB126_320:
	s_or_b64 exec, exec, s[26:27]
	v_mov_b32_e32 v5, 0
	s_and_saveexec_b64 s[26:27], s[24:25]
.LBB126_321:
	v_mov_b32_e32 v5, v3
.LBB126_322:
	s_or_b64 exec, exec, s[26:27]
.LBB126_323:
	s_or_b64 exec, exec, s[20:21]
	s_mov_b64 s[20:21], 0
	global_store_byte v[0:1], v5, off
.LBB126_324:
	s_and_b64 vcc, exec, s[20:21]
	s_cbranch_vccz .LBB126_334
; %bb.325:
	v_cvt_f32_ubyte0_e32 v3, v2
	s_mov_b32 s20, 0x43f00000
	v_cmp_gt_u32_e32 vcc, s20, v3
                                        ; implicit-def: $vgpr4
	s_and_saveexec_b64 s[20:21], vcc
	s_xor_b64 s[20:21], exec, s[20:21]
	s_cbranch_execz .LBB126_331
; %bb.326:
	s_mov_b32 s24, 0x3c7fffff
	v_cmp_lt_u32_e32 vcc, s24, v3
                                        ; implicit-def: $vgpr4
	s_and_saveexec_b64 s[24:25], vcc
	s_xor_b64 s[24:25], exec, s[24:25]
; %bb.327:
	v_bfe_u32 v4, v3, 20, 1
	s_mov_b32 s26, 0x407ffff
	v_add3_u32 v3, v3, v4, s26
	v_lshrrev_b32_e32 v4, 20, v3
	v_and_b32_e32 v3, 0xff00000, v3
	s_mov_b32 s26, 0x7f00000
	v_mov_b32_e32 v5, 0x7e
	v_cmp_ne_u32_e32 vcc, s26, v3
	v_cndmask_b32_e32 v4, v5, v4, vcc
                                        ; implicit-def: $vgpr3
; %bb.328:
	s_andn2_saveexec_b64 s[24:25], s[24:25]
; %bb.329:
	v_add_f32_e32 v4, 0x46800000, v3
; %bb.330:
	s_or_b64 exec, exec, s[24:25]
                                        ; implicit-def: $vgpr3
.LBB126_331:
	s_andn2_saveexec_b64 s[20:21], s[20:21]
; %bb.332:
	s_mov_b32 s24, 0x7f800000
	v_mov_b32_e32 v4, 0x7e
	v_mov_b32_e32 v5, 0x7f
	v_cmp_lt_u32_e32 vcc, s24, v3
	v_cndmask_b32_e32 v4, v4, v5, vcc
; %bb.333:
	s_or_b64 exec, exec, s[20:21]
	global_store_byte v[0:1], v4, off
.LBB126_334:
	s_mov_b64 s[20:21], 0
.LBB126_335:
	s_andn2_b64 vcc, exec, s[20:21]
	s_cbranch_vccnz .LBB126_345
; %bb.336:
	v_cvt_f32_ubyte0_e32 v3, v2
	s_mov_b32 s20, 0x47800000
	v_cmp_gt_u32_e32 vcc, s20, v3
                                        ; implicit-def: $vgpr4
	s_and_saveexec_b64 s[20:21], vcc
	s_xor_b64 s[20:21], exec, s[20:21]
	s_cbranch_execz .LBB126_342
; %bb.337:
	s_mov_b32 s24, 0x387fffff
	v_cmp_lt_u32_e32 vcc, s24, v3
                                        ; implicit-def: $vgpr4
	s_and_saveexec_b64 s[24:25], vcc
	s_xor_b64 s[24:25], exec, s[24:25]
; %bb.338:
	v_bfe_u32 v4, v3, 21, 1
	s_mov_b32 s26, 0x80fffff
	v_add3_u32 v3, v3, v4, s26
	v_lshrrev_b32_e32 v4, 21, v3
                                        ; implicit-def: $vgpr3
; %bb.339:
	s_andn2_saveexec_b64 s[24:25], s[24:25]
; %bb.340:
	v_add_f32_e32 v4, 0x43000000, v3
; %bb.341:
	s_or_b64 exec, exec, s[24:25]
                                        ; implicit-def: $vgpr3
.LBB126_342:
	s_andn2_saveexec_b64 s[20:21], s[20:21]
; %bb.343:
	s_mov_b32 s24, 0x7f800000
	v_mov_b32_e32 v4, 0x7c
	v_mov_b32_e32 v5, 0x7f
	v_cmp_lt_u32_e32 vcc, s24, v3
	v_cndmask_b32_e32 v4, v4, v5, vcc
; %bb.344:
	s_or_b64 exec, exec, s[20:21]
	global_store_byte v[0:1], v4, off
.LBB126_345:
	s_mov_b64 s[24:25], 0
	s_mov_b64 s[20:21], -1
.LBB126_346:
	s_andn2_b64 vcc, exec, s[24:25]
	s_cbranch_vccnz .LBB126_354
; %bb.347:
	s_cmp_gt_i32 s29, 14
	s_mov_b64 s[24:25], -1
	s_cbranch_scc0 .LBB126_351
; %bb.348:
	s_cmp_eq_u32 s29, 15
	s_mov_b64 s[0:1], -1
	s_cbranch_scc0 .LBB126_350
; %bb.349:
	v_cvt_f32_ubyte0_e32 v3, v2
	v_bfe_u32 v4, v3, 16, 1
	s_movk_i32 s0, 0x7fff
	v_add3_u32 v3, v3, v4, s0
	global_store_short_d16_hi v[0:1], v3, off
	s_mov_b64 s[20:21], -1
	s_mov_b64 s[0:1], 0
.LBB126_350:
	s_mov_b64 s[24:25], 0
.LBB126_351:
	s_and_b64 vcc, exec, s[24:25]
	s_cbranch_vccz .LBB126_354
; %bb.352:
	s_cmp_eq_u32 s29, 11
	s_mov_b64 s[0:1], -1
	s_cbranch_scc0 .LBB126_354
; %bb.353:
	v_cmp_ne_u16_e32 vcc, 0, v2
	v_cndmask_b32_e64 v3, 0, 1, vcc
	s_mov_b64 s[20:21], -1
	s_mov_b64 s[0:1], 0
	global_store_byte v[0:1], v3, off
.LBB126_354:
	s_mov_b64 s[24:25], 0
.LBB126_355:
	s_and_b64 vcc, exec, s[24:25]
	s_cbranch_vccz .LBB126_394
; %bb.356:
	s_and_b32 s24, 0xffff, s28
	s_cmp_lt_i32 s24, 5
	s_mov_b64 s[20:21], -1
	s_cbranch_scc1 .LBB126_377
; %bb.357:
	s_cmp_lt_i32 s24, 8
	s_cbranch_scc1 .LBB126_367
; %bb.358:
	s_cmp_lt_i32 s24, 9
	s_cbranch_scc1 .LBB126_364
; %bb.359:
	s_cmp_gt_i32 s24, 9
	s_cbranch_scc0 .LBB126_361
; %bb.360:
	v_and_b32_e32 v3, 0xffff, v2
	v_cvt_f64_u32_e32 v[3:4], v3
	v_mov_b32_e32 v5, 0
	v_mov_b32_e32 v6, v5
	s_mov_b64 s[20:21], 0
	global_store_dwordx4 v[0:1], v[3:6], off
.LBB126_361:
	s_andn2_b64 vcc, exec, s[20:21]
	s_cbranch_vccnz .LBB126_363
; %bb.362:
	v_cvt_f32_ubyte0_e32 v3, v2
	v_mov_b32_e32 v4, 0
	global_store_dwordx2 v[0:1], v[3:4], off
.LBB126_363:
	s_mov_b64 s[20:21], 0
.LBB126_364:
	s_andn2_b64 vcc, exec, s[20:21]
	s_cbranch_vccnz .LBB126_366
; %bb.365:
	v_cvt_f16_u16_e32 v3, v2
	global_store_dword v[0:1], v3, off
.LBB126_366:
	s_mov_b64 s[20:21], 0
.LBB126_367:
	s_andn2_b64 vcc, exec, s[20:21]
	s_cbranch_vccnz .LBB126_376
; %bb.368:
	s_cmp_lt_i32 s24, 6
	s_mov_b64 s[20:21], -1
	s_cbranch_scc1 .LBB126_374
; %bb.369:
	s_cmp_gt_i32 s24, 6
	s_cbranch_scc0 .LBB126_371
; %bb.370:
	v_and_b32_e32 v3, 0xffff, v2
	v_cvt_f64_u32_e32 v[3:4], v3
	s_mov_b64 s[20:21], 0
	global_store_dwordx2 v[0:1], v[3:4], off
.LBB126_371:
	s_andn2_b64 vcc, exec, s[20:21]
	s_cbranch_vccnz .LBB126_373
; %bb.372:
	v_cvt_f32_ubyte0_e32 v3, v2
	global_store_dword v[0:1], v3, off
.LBB126_373:
	s_mov_b64 s[20:21], 0
.LBB126_374:
	s_andn2_b64 vcc, exec, s[20:21]
	s_cbranch_vccnz .LBB126_376
; %bb.375:
	v_cvt_f16_u16_e32 v3, v2
	global_store_short v[0:1], v3, off
.LBB126_376:
	s_mov_b64 s[20:21], 0
.LBB126_377:
	s_andn2_b64 vcc, exec, s[20:21]
	s_cbranch_vccnz .LBB126_393
; %bb.378:
	s_cmp_lt_i32 s24, 2
	s_mov_b64 s[20:21], -1
	s_cbranch_scc1 .LBB126_388
; %bb.379:
	s_cmp_lt_i32 s24, 3
	s_cbranch_scc1 .LBB126_385
; %bb.380:
	s_cmp_gt_i32 s24, 3
	s_cbranch_scc0 .LBB126_382
; %bb.381:
	s_mov_b32 s20, 0
	v_and_b32_e32 v3, 0xffff, v2
	v_mov_b32_e32 v4, s20
	s_mov_b64 s[20:21], 0
	global_store_dwordx2 v[0:1], v[3:4], off
.LBB126_382:
	s_andn2_b64 vcc, exec, s[20:21]
	s_cbranch_vccnz .LBB126_384
; %bb.383:
	v_and_b32_e32 v3, 0xffff, v2
	global_store_dword v[0:1], v3, off
.LBB126_384:
	s_mov_b64 s[20:21], 0
.LBB126_385:
	s_andn2_b64 vcc, exec, s[20:21]
	s_cbranch_vccnz .LBB126_387
; %bb.386:
	global_store_short v[0:1], v2, off
.LBB126_387:
	s_mov_b64 s[20:21], 0
.LBB126_388:
	s_andn2_b64 vcc, exec, s[20:21]
	s_cbranch_vccnz .LBB126_393
; %bb.389:
	s_cmp_gt_i32 s24, 0
	s_mov_b64 s[20:21], -1
	s_cbranch_scc0 .LBB126_391
; %bb.390:
	s_mov_b64 s[20:21], 0
	global_store_byte v[0:1], v2, off
.LBB126_391:
	s_andn2_b64 vcc, exec, s[20:21]
	s_cbranch_vccnz .LBB126_393
; %bb.392:
	global_store_byte v[0:1], v2, off
.LBB126_393:
	s_mov_b64 s[20:21], -1
.LBB126_394:
	s_andn2_b64 vcc, exec, s[20:21]
	s_cbranch_vccnz .LBB126_396
; %bb.395:
	v_add_u32_e32 v7, 0x80, v7
	s_mov_b64 s[24:25], -1
	s_branch .LBB126_504
.LBB126_396:
	s_mov_b64 s[24:25], 0
                                        ; implicit-def: $vgpr7
	s_branch .LBB126_504
.LBB126_397:
	s_mov_b64 s[18:19], -1
                                        ; implicit-def: $vgpr2
.LBB126_398:
	s_mov_b64 s[20:21], 0
.LBB126_399:
	s_and_b64 vcc, exec, s[20:21]
	s_cbranch_vccz .LBB126_403
; %bb.400:
	s_cmp_eq_u32 s25, 29
	s_cbranch_scc0 .LBB126_402
; %bb.401:
	global_load_dwordx2 v[2:3], v[0:1], off
	s_mov_b64 s[0:1], -1
	s_mov_b64 s[18:19], 0
	s_branch .LBB126_403
.LBB126_402:
	s_mov_b64 s[18:19], -1
                                        ; implicit-def: $vgpr2
.LBB126_403:
	s_mov_b64 s[20:21], 0
.LBB126_404:
	s_and_b64 vcc, exec, s[20:21]
	s_cbranch_vccz .LBB126_420
; %bb.405:
	s_cmp_lt_i32 s25, 27
	s_cbranch_scc1 .LBB126_408
; %bb.406:
	s_cmp_gt_i32 s25, 27
	s_cbranch_scc0 .LBB126_409
; %bb.407:
	global_load_dword v2, v[0:1], off
	s_mov_b64 s[0:1], 0
	s_branch .LBB126_410
.LBB126_408:
	s_mov_b64 s[0:1], -1
                                        ; implicit-def: $vgpr2
	s_branch .LBB126_413
.LBB126_409:
	s_mov_b64 s[0:1], -1
                                        ; implicit-def: $vgpr2
.LBB126_410:
	s_andn2_b64 vcc, exec, s[0:1]
	s_cbranch_vccnz .LBB126_412
; %bb.411:
	global_load_ushort v2, v[0:1], off
.LBB126_412:
	s_mov_b64 s[0:1], 0
.LBB126_413:
	s_andn2_b64 vcc, exec, s[0:1]
	s_cbranch_vccnz .LBB126_419
; %bb.414:
	global_load_ubyte v3, v[0:1], off
	s_movk_i32 s0, 0x7f
	s_mov_b64 s[20:21], 0
	s_waitcnt vmcnt(0)
	v_cmp_lt_i16_e32 vcc, s0, v3
	s_and_saveexec_b64 s[0:1], vcc
	s_xor_b64 s[0:1], exec, s[0:1]
	s_cbranch_execz .LBB126_431
; %bb.415:
	s_movk_i32 s20, 0x80
	v_cmp_ne_u16_e32 vcc, s20, v3
	s_and_b64 s[20:21], vcc, exec
	s_andn2_saveexec_b64 s[0:1], s[0:1]
	s_cbranch_execnz .LBB126_432
.LBB126_416:
	s_or_b64 exec, exec, s[0:1]
	v_mov_b32_e32 v2, 0
	s_and_saveexec_b64 s[0:1], s[20:21]
	s_cbranch_execz .LBB126_418
.LBB126_417:
	v_lshlrev_b32_e32 v2, 24, v3
	v_and_b32_e32 v3, 0xffff, v3
	v_and_b32_e32 v4, 7, v3
	v_ffbh_u32_e32 v6, v4
	v_min_u32_e32 v6, 32, v6
	v_subrev_u32_e32 v8, 28, v6
	v_bfe_u32 v5, v3, 3, 4
	v_lshlrev_b32_e32 v3, v8, v3
	v_sub_u32_e32 v6, 29, v6
	v_and_b32_e32 v3, 7, v3
	v_cmp_eq_u32_e32 vcc, 0, v5
	v_cndmask_b32_e32 v5, v5, v6, vcc
	v_cndmask_b32_e32 v3, v4, v3, vcc
	v_mov_b32_e32 v4, 0x3b800000
	v_lshlrev_b32_e32 v3, 20, v3
	v_and_b32_e32 v2, 0x80000000, v2
	v_lshl_add_u32 v4, v5, 23, v4
	v_or3_b32 v2, v2, v4, v3
	v_trunc_f32_e32 v2, v2
	s_mov_b32 s20, 0x2f800000
	v_mul_f32_e64 v3, |v2|, s20
	v_floor_f32_e32 v3, v3
	s_mov_b32 s20, 0xcf800000
	v_fma_f32 v3, v3, s20, |v2|
	v_cvt_u32_f32_e32 v3, v3
	v_ashrrev_i32_e32 v2, 31, v2
	v_xor_b32_e32 v3, v3, v2
	v_sub_u32_e32 v2, v3, v2
.LBB126_418:
	s_or_b64 exec, exec, s[0:1]
.LBB126_419:
	s_mov_b64 s[0:1], -1
.LBB126_420:
	s_mov_b64 s[20:21], 0
.LBB126_421:
	s_and_b64 vcc, exec, s[20:21]
	s_cbranch_vccz .LBB126_454
; %bb.422:
	s_cmp_gt_i32 s25, 22
	s_cbranch_scc0 .LBB126_430
; %bb.423:
	s_cmp_lt_i32 s25, 24
	s_cbranch_scc1 .LBB126_433
; %bb.424:
	s_cmp_gt_i32 s25, 24
	s_cbranch_scc0 .LBB126_434
; %bb.425:
	global_load_ubyte v3, v[0:1], off
	s_movk_i32 s0, 0x7f
	s_mov_b64 s[20:21], 0
	s_waitcnt vmcnt(0)
	v_cmp_lt_i16_e32 vcc, s0, v3
	s_and_saveexec_b64 s[0:1], vcc
	s_xor_b64 s[0:1], exec, s[0:1]
	s_cbranch_execz .LBB126_446
; %bb.426:
	s_movk_i32 s20, 0x80
	v_cmp_ne_u16_e32 vcc, s20, v3
	s_and_b64 s[20:21], vcc, exec
	s_andn2_saveexec_b64 s[0:1], s[0:1]
	s_cbranch_execnz .LBB126_447
.LBB126_427:
	s_or_b64 exec, exec, s[0:1]
	v_mov_b32_e32 v2, 0
	s_and_saveexec_b64 s[0:1], s[20:21]
	s_cbranch_execz .LBB126_429
.LBB126_428:
	v_lshlrev_b32_e32 v2, 24, v3
	v_and_b32_e32 v3, 0xffff, v3
	v_and_b32_e32 v4, 3, v3
	v_ffbh_u32_e32 v6, v4
	v_min_u32_e32 v6, 32, v6
	v_subrev_u32_e32 v8, 29, v6
	v_bfe_u32 v5, v3, 2, 5
	v_lshlrev_b32_e32 v3, v8, v3
	v_sub_u32_e32 v6, 30, v6
	v_and_b32_e32 v3, 3, v3
	v_cmp_eq_u32_e32 vcc, 0, v5
	v_cndmask_b32_e32 v5, v5, v6, vcc
	v_cndmask_b32_e32 v3, v4, v3, vcc
	v_mov_b32_e32 v4, 0x37800000
	v_lshlrev_b32_e32 v3, 21, v3
	v_and_b32_e32 v2, 0x80000000, v2
	v_lshl_add_u32 v4, v5, 23, v4
	v_or3_b32 v2, v2, v4, v3
	v_trunc_f32_e32 v2, v2
	s_mov_b32 s20, 0x2f800000
	v_mul_f32_e64 v3, |v2|, s20
	v_floor_f32_e32 v3, v3
	s_mov_b32 s20, 0xcf800000
	v_fma_f32 v3, v3, s20, |v2|
	v_cvt_u32_f32_e32 v3, v3
	v_ashrrev_i32_e32 v2, 31, v2
	v_xor_b32_e32 v3, v3, v2
	v_sub_u32_e32 v2, v3, v2
.LBB126_429:
	s_or_b64 exec, exec, s[0:1]
	s_mov_b64 s[0:1], 0
	s_branch .LBB126_435
.LBB126_430:
	s_mov_b64 s[20:21], -1
                                        ; implicit-def: $vgpr2
	s_branch .LBB126_441
.LBB126_431:
	s_andn2_saveexec_b64 s[0:1], s[0:1]
	s_cbranch_execz .LBB126_416
.LBB126_432:
	v_cmp_ne_u16_e32 vcc, 0, v3
	s_andn2_b64 s[20:21], s[20:21], exec
	s_and_b64 s[26:27], vcc, exec
	s_or_b64 s[20:21], s[20:21], s[26:27]
	s_or_b64 exec, exec, s[0:1]
	v_mov_b32_e32 v2, 0
	s_and_saveexec_b64 s[0:1], s[20:21]
	s_cbranch_execnz .LBB126_417
	s_branch .LBB126_418
.LBB126_433:
	s_mov_b64 s[0:1], -1
                                        ; implicit-def: $vgpr2
	s_branch .LBB126_438
.LBB126_434:
	s_mov_b64 s[0:1], -1
                                        ; implicit-def: $vgpr2
.LBB126_435:
	s_and_b64 vcc, exec, s[0:1]
	s_cbranch_vccz .LBB126_437
; %bb.436:
	global_load_ubyte v2, v[0:1], off
	s_mov_b32 s0, 0x7f800000
	s_brev_b32 s1, 1
	s_mov_b32 s20, 0x2f800000
	s_waitcnt vmcnt(0)
	v_lshlrev_b32_e32 v2, 24, v2
	v_and_b32_e32 v3, 0x7f000000, v2
	v_ffbh_u32_e32 v4, v3
	v_min_u32_e32 v4, 32, v4
	v_sub_u32_e64 v4, v4, 4 clamp
	v_lshlrev_b32_e32 v6, v4, v3
	v_lshlrev_b32_e32 v4, 23, v4
	v_lshrrev_b32_e32 v6, 4, v6
	v_add_u32_e32 v5, 0x1000000, v3
	v_sub_u32_e32 v4, v6, v4
	v_ashrrev_i32_e32 v5, 8, v5
	v_add_u32_e32 v4, 0x3c000000, v4
	v_and_or_b32 v4, v5, s0, v4
	v_cmp_ne_u32_e32 vcc, 0, v3
	v_cndmask_b32_e32 v3, 0, v4, vcc
	v_and_or_b32 v2, v2, s1, v3
	v_trunc_f32_e32 v2, v2
	v_mul_f32_e64 v3, |v2|, s20
	v_floor_f32_e32 v3, v3
	s_mov_b32 s0, 0xcf800000
	v_fma_f32 v3, v3, s0, |v2|
	v_cvt_u32_f32_e32 v3, v3
	v_ashrrev_i32_e32 v2, 31, v2
	v_xor_b32_e32 v3, v3, v2
	v_sub_u32_e32 v2, v3, v2
.LBB126_437:
	s_mov_b64 s[0:1], 0
.LBB126_438:
	s_andn2_b64 vcc, exec, s[0:1]
	s_cbranch_vccnz .LBB126_440
; %bb.439:
	global_load_ubyte v2, v[0:1], off
	s_movk_i32 s0, 0x7f00
	s_brev_b32 s1, 16
	s_brev_b32 s20, 1
	s_mov_b32 s21, 0x2f800000
	s_waitcnt vmcnt(0)
	v_lshlrev_b16_e32 v3, 8, v2
	v_lshlrev_b32_e32 v2, 25, v2
	v_lshrrev_b32_e32 v4, 4, v2
	v_and_or_b32 v5, v3, s0, 0.5
	v_or_b32_e32 v4, 0x70000000, v4
	v_add_f32_e32 v5, -0.5, v5
	v_mul_f32_e32 v4, 0x7800000, v4
	v_cmp_gt_u32_e32 vcc, s1, v2
	v_bfe_i32 v3, v3, 0, 16
	v_cndmask_b32_e32 v2, v4, v5, vcc
	v_and_or_b32 v2, v3, s20, v2
	v_trunc_f32_e32 v2, v2
	v_mul_f32_e64 v3, |v2|, s21
	v_floor_f32_e32 v3, v3
	s_mov_b32 s0, 0xcf800000
	v_fma_f32 v3, v3, s0, |v2|
	v_cvt_u32_f32_e32 v3, v3
	v_ashrrev_i32_e32 v2, 31, v2
	v_xor_b32_e32 v3, v3, v2
	v_sub_u32_e32 v2, v3, v2
.LBB126_440:
	s_mov_b64 s[20:21], 0
	s_mov_b64 s[0:1], -1
.LBB126_441:
	s_andn2_b64 vcc, exec, s[20:21]
	s_cbranch_vccnz .LBB126_454
; %bb.442:
	s_cmp_gt_i32 s25, 14
	s_cbranch_scc0 .LBB126_445
; %bb.443:
	s_cmp_eq_u32 s25, 15
	s_cbranch_scc0 .LBB126_448
; %bb.444:
	global_load_ushort v2, v[0:1], off
	s_mov_b32 s0, 0x2f800000
	s_mov_b32 s1, 0xcf800000
	s_mov_b64 s[18:19], 0
	s_waitcnt vmcnt(0)
	v_lshlrev_b32_e32 v2, 16, v2
	v_trunc_f32_e32 v2, v2
	v_mul_f32_e64 v3, |v2|, s0
	v_floor_f32_e32 v3, v3
	v_fma_f32 v3, v3, s1, |v2|
	v_cvt_u32_f32_e32 v3, v3
	v_ashrrev_i32_e32 v2, 31, v2
	s_mov_b64 s[0:1], -1
	v_xor_b32_e32 v3, v3, v2
	v_sub_u32_e32 v2, v3, v2
	s_branch .LBB126_449
.LBB126_445:
	s_mov_b64 s[20:21], -1
                                        ; implicit-def: $vgpr2
	s_branch .LBB126_450
.LBB126_446:
	s_andn2_saveexec_b64 s[0:1], s[0:1]
	s_cbranch_execz .LBB126_427
.LBB126_447:
	v_cmp_ne_u16_e32 vcc, 0, v3
	s_andn2_b64 s[20:21], s[20:21], exec
	s_and_b64 s[26:27], vcc, exec
	s_or_b64 s[20:21], s[20:21], s[26:27]
	s_or_b64 exec, exec, s[0:1]
	v_mov_b32_e32 v2, 0
	s_and_saveexec_b64 s[0:1], s[20:21]
	s_cbranch_execnz .LBB126_428
	s_branch .LBB126_429
.LBB126_448:
	s_mov_b64 s[18:19], -1
                                        ; implicit-def: $vgpr2
.LBB126_449:
	s_mov_b64 s[20:21], 0
.LBB126_450:
	s_and_b64 vcc, exec, s[20:21]
	s_cbranch_vccz .LBB126_454
; %bb.451:
	s_cmp_eq_u32 s25, 11
	s_cbranch_scc0 .LBB126_453
; %bb.452:
	global_load_ubyte v2, v[0:1], off
	s_mov_b64 s[0:1], -1
	s_mov_b64 s[18:19], 0
	s_waitcnt vmcnt(0)
	v_cmp_ne_u16_e32 vcc, 0, v2
	v_cndmask_b32_e64 v2, 0, 1, vcc
	s_branch .LBB126_454
.LBB126_453:
	s_mov_b64 s[18:19], -1
                                        ; implicit-def: $vgpr2
.LBB126_454:
	s_branch .LBB126_261
.LBB126_455:
	s_and_b32 s20, 0xffff, s24
	s_cmp_lt_i32 s20, 5
	s_cbranch_scc1 .LBB126_460
; %bb.456:
	s_cmp_lt_i32 s20, 8
	s_cbranch_scc1 .LBB126_461
; %bb.457:
	;; [unrolled: 3-line block ×3, first 2 shown]
	s_cmp_gt_i32 s20, 9
	s_cbranch_scc0 .LBB126_463
; %bb.459:
	global_load_dwordx2 v[2:3], v[0:1], off
	s_movk_i32 s0, 0xffe0
	s_waitcnt vmcnt(0)
	v_trunc_f64_e32 v[2:3], v[2:3]
	v_ldexp_f64 v[4:5], v[2:3], s0
	s_mov_b32 s0, 0
	s_mov_b32 s1, 0xc1f00000
	v_floor_f64_e32 v[4:5], v[4:5]
	v_fma_f64 v[2:3], v[4:5], s[0:1], v[2:3]
	s_mov_b64 s[0:1], 0
	v_cvt_u32_f64_e32 v2, v[2:3]
	s_branch .LBB126_464
.LBB126_460:
	s_mov_b64 s[0:1], -1
                                        ; implicit-def: $vgpr2
	s_branch .LBB126_482
.LBB126_461:
	s_mov_b64 s[0:1], -1
                                        ; implicit-def: $vgpr2
	s_branch .LBB126_470
.LBB126_462:
	s_mov_b64 s[0:1], -1
                                        ; implicit-def: $vgpr2
	s_branch .LBB126_467
.LBB126_463:
	s_mov_b64 s[0:1], -1
                                        ; implicit-def: $vgpr2
.LBB126_464:
	s_andn2_b64 vcc, exec, s[0:1]
	s_cbranch_vccnz .LBB126_466
; %bb.465:
	global_load_dword v2, v[0:1], off
	s_mov_b32 s0, 0x2f800000
	s_waitcnt vmcnt(0)
	v_trunc_f32_e32 v2, v2
	v_mul_f32_e64 v3, |v2|, s0
	v_floor_f32_e32 v3, v3
	s_mov_b32 s0, 0xcf800000
	v_fma_f32 v3, v3, s0, |v2|
	v_cvt_u32_f32_e32 v3, v3
	v_ashrrev_i32_e32 v2, 31, v2
	v_xor_b32_e32 v3, v3, v2
	v_sub_u32_e32 v2, v3, v2
.LBB126_466:
	s_mov_b64 s[0:1], 0
.LBB126_467:
	s_andn2_b64 vcc, exec, s[0:1]
	s_cbranch_vccnz .LBB126_469
; %bb.468:
	global_load_dword v2, v[0:1], off
	s_waitcnt vmcnt(0)
	v_cvt_f32_f16_e32 v2, v2
	v_cvt_i32_f32_e32 v2, v2
.LBB126_469:
	s_mov_b64 s[0:1], 0
.LBB126_470:
	s_andn2_b64 vcc, exec, s[0:1]
	s_cbranch_vccnz .LBB126_481
; %bb.471:
	s_cmp_lt_i32 s20, 6
	s_cbranch_scc1 .LBB126_474
; %bb.472:
	s_cmp_gt_i32 s20, 6
	s_cbranch_scc0 .LBB126_475
; %bb.473:
	global_load_dwordx2 v[2:3], v[0:1], off
	s_movk_i32 s0, 0xffe0
	s_waitcnt vmcnt(0)
	v_trunc_f64_e32 v[2:3], v[2:3]
	v_ldexp_f64 v[4:5], v[2:3], s0
	s_mov_b32 s0, 0
	s_mov_b32 s1, 0xc1f00000
	v_floor_f64_e32 v[4:5], v[4:5]
	v_fma_f64 v[2:3], v[4:5], s[0:1], v[2:3]
	s_mov_b64 s[0:1], 0
	v_cvt_u32_f64_e32 v2, v[2:3]
	s_branch .LBB126_476
.LBB126_474:
	s_mov_b64 s[0:1], -1
                                        ; implicit-def: $vgpr2
	s_branch .LBB126_479
.LBB126_475:
	s_mov_b64 s[0:1], -1
                                        ; implicit-def: $vgpr2
.LBB126_476:
	s_andn2_b64 vcc, exec, s[0:1]
	s_cbranch_vccnz .LBB126_478
; %bb.477:
	global_load_dword v2, v[0:1], off
	s_mov_b32 s0, 0x2f800000
	s_waitcnt vmcnt(0)
	v_trunc_f32_e32 v2, v2
	v_mul_f32_e64 v3, |v2|, s0
	v_floor_f32_e32 v3, v3
	s_mov_b32 s0, 0xcf800000
	v_fma_f32 v3, v3, s0, |v2|
	v_cvt_u32_f32_e32 v3, v3
	v_ashrrev_i32_e32 v2, 31, v2
	v_xor_b32_e32 v3, v3, v2
	v_sub_u32_e32 v2, v3, v2
.LBB126_478:
	s_mov_b64 s[0:1], 0
.LBB126_479:
	s_andn2_b64 vcc, exec, s[0:1]
	s_cbranch_vccnz .LBB126_481
; %bb.480:
	global_load_ushort v2, v[0:1], off
	s_waitcnt vmcnt(0)
	v_cvt_f32_f16_e32 v2, v2
	v_cvt_i32_f32_e32 v2, v2
.LBB126_481:
	s_mov_b64 s[0:1], 0
.LBB126_482:
	s_andn2_b64 vcc, exec, s[0:1]
	s_cbranch_vccnz .LBB126_502
; %bb.483:
	s_cmp_lt_i32 s20, 2
	s_cbranch_scc1 .LBB126_487
; %bb.484:
	s_cmp_lt_i32 s20, 3
	s_cbranch_scc1 .LBB126_488
; %bb.485:
	s_cmp_gt_i32 s20, 3
	s_cbranch_scc0 .LBB126_489
; %bb.486:
	global_load_dwordx2 v[2:3], v[0:1], off
	s_mov_b64 s[0:1], 0
	s_branch .LBB126_490
.LBB126_487:
	s_mov_b64 s[0:1], -1
                                        ; implicit-def: $vgpr2
	s_branch .LBB126_496
.LBB126_488:
	s_mov_b64 s[0:1], -1
                                        ; implicit-def: $vgpr2
	s_branch .LBB126_493
.LBB126_489:
	s_mov_b64 s[0:1], -1
                                        ; implicit-def: $vgpr2
.LBB126_490:
	s_andn2_b64 vcc, exec, s[0:1]
	s_cbranch_vccnz .LBB126_492
; %bb.491:
	global_load_dword v2, v[0:1], off
.LBB126_492:
	s_mov_b64 s[0:1], 0
.LBB126_493:
	s_andn2_b64 vcc, exec, s[0:1]
	s_cbranch_vccnz .LBB126_495
; %bb.494:
	global_load_ushort v2, v[0:1], off
.LBB126_495:
	s_mov_b64 s[0:1], 0
.LBB126_496:
	s_andn2_b64 vcc, exec, s[0:1]
	s_cbranch_vccnz .LBB126_502
; %bb.497:
	s_cmp_gt_i32 s20, 0
	s_cbranch_scc0 .LBB126_499
; %bb.498:
	global_load_ubyte v2, v[0:1], off
	s_mov_b64 s[0:1], 0
	s_branch .LBB126_500
.LBB126_499:
	s_mov_b64 s[0:1], -1
                                        ; implicit-def: $vgpr2
.LBB126_500:
	s_andn2_b64 vcc, exec, s[0:1]
	s_cbranch_vccnz .LBB126_502
; %bb.501:
	global_load_ubyte v2, v[0:1], off
.LBB126_502:
	s_branch .LBB126_262
.LBB126_503:
	s_mov_b64 s[24:25], 0
                                        ; implicit-def: $vgpr7
	s_mov_b64 s[0:1], s[6:7]
.LBB126_504:
	s_andn2_b64 s[20:21], s[6:7], exec
	s_and_b64 s[0:1], s[0:1], exec
	s_or_b64 s[20:21], s[20:21], s[0:1]
	s_andn2_b64 s[0:1], s[14:15], exec
	s_and_b64 s[18:19], s[18:19], exec
	s_or_b64 s[18:19], s[0:1], s[18:19]
	s_orn2_b64 s[0:1], s[24:25], exec
.LBB126_505:
	s_or_b64 exec, exec, s[22:23]
	s_mov_b64 s[24:25], 0
	s_mov_b64 s[26:27], 0
	;; [unrolled: 1-line block ×3, first 2 shown]
                                        ; implicit-def: $sgpr44
                                        ; implicit-def: $vgpr0_vgpr1
                                        ; implicit-def: $vgpr2
	s_and_saveexec_b64 s[22:23], s[0:1]
	s_cbranch_execz .LBB126_842
; %bb.506:
	v_cmp_gt_i32_e32 vcc, s38, v7
	s_mov_b64 s[34:35], -1
	s_mov_b64 s[0:1], s[18:19]
	s_mov_b64 s[28:29], s[20:21]
	s_and_saveexec_b64 s[24:25], vcc
	s_cbranch_execz .LBB126_760
; %bb.507:
	v_mul_lo_u32 v0, v7, s3
	v_mov_b32_e32 v1, s11
	s_and_b32 s30, s43, 0xff
	s_cmp_lt_i32 s30, 11
	s_waitcnt vmcnt(0)
	v_ashrrev_i32_e32 v2, 31, v0
	v_add_co_u32_e32 v0, vcc, s10, v0
	v_addc_co_u32_e32 v1, vcc, v1, v2, vcc
	s_cbranch_scc1 .LBB126_514
; %bb.508:
	s_and_b32 s31, 0xffff, s30
	s_cmp_gt_i32 s31, 25
	s_cbranch_scc0 .LBB126_515
; %bb.509:
	s_cmp_gt_i32 s31, 28
	s_cbranch_scc0 .LBB126_516
; %bb.510:
	;; [unrolled: 3-line block ×4, first 2 shown]
	s_cmp_eq_u32 s31, 46
	s_mov_b64 s[28:29], 0
	s_cbranch_scc0 .LBB126_523
; %bb.513:
	global_load_dword v2, v[0:1], off
	s_mov_b32 s0, 0x2f800000
	s_mov_b32 s1, 0xcf800000
	s_waitcnt vmcnt(0)
	v_lshlrev_b32_e32 v2, 16, v2
	v_trunc_f32_e32 v2, v2
	v_mul_f32_e64 v3, |v2|, s0
	v_floor_f32_e32 v3, v3
	v_fma_f32 v3, v3, s1, |v2|
	v_cvt_u32_f32_e32 v3, v3
	v_ashrrev_i32_e32 v2, 31, v2
	s_mov_b64 s[0:1], -1
	v_xor_b32_e32 v3, v3, v2
	v_sub_u32_e32 v2, v3, v2
	s_branch .LBB126_524
.LBB126_514:
	s_mov_b64 s[28:29], -1
	s_mov_b64 s[0:1], 0
                                        ; implicit-def: $vgpr2
	s_mov_b64 s[26:27], s[18:19]
	s_branch .LBB126_585
.LBB126_515:
	s_mov_b64 s[28:29], -1
	s_mov_b64 s[0:1], 0
	s_mov_b64 s[26:27], s[18:19]
                                        ; implicit-def: $vgpr2
	s_branch .LBB126_551
.LBB126_516:
	s_mov_b64 s[28:29], -1
	s_mov_b64 s[0:1], 0
	s_mov_b64 s[26:27], s[18:19]
                                        ; implicit-def: $vgpr2
	s_branch .LBB126_534
.LBB126_517:
	s_mov_b64 s[28:29], -1
	s_mov_b64 s[0:1], 0
	s_mov_b64 s[26:27], s[18:19]
                                        ; implicit-def: $vgpr2
	s_branch .LBB126_529
.LBB126_518:
	s_andn2_saveexec_b64 s[26:27], s[26:27]
	s_cbranch_execz .LBB126_307
.LBB126_519:
	v_add_f32_e32 v3, 0x46000000, v4
	v_and_b32_e32 v3, 0xff, v3
	v_cmp_ne_u32_e32 vcc, 0, v3
	s_andn2_b64 s[24:25], s[24:25], exec
	s_and_b64 s[30:31], vcc, exec
	s_or_b64 s[24:25], s[24:25], s[30:31]
	s_or_b64 exec, exec, s[26:27]
	v_mov_b32_e32 v5, 0
	s_and_saveexec_b64 s[26:27], s[24:25]
	s_cbranch_execnz .LBB126_308
	s_branch .LBB126_309
.LBB126_520:
	s_mov_b64 s[28:29], -1
	s_mov_b64 s[0:1], 0
	s_mov_b64 s[26:27], s[18:19]
                                        ; implicit-def: $vgpr2
	s_branch .LBB126_524
.LBB126_521:
	s_andn2_saveexec_b64 s[26:27], s[26:27]
	s_cbranch_execz .LBB126_320
.LBB126_522:
	v_add_f32_e32 v3, 0x42800000, v4
	v_and_b32_e32 v3, 0xff, v3
	v_cmp_ne_u32_e32 vcc, 0, v3
	s_andn2_b64 s[24:25], s[24:25], exec
	s_and_b64 s[30:31], vcc, exec
	s_or_b64 s[24:25], s[24:25], s[30:31]
	s_or_b64 exec, exec, s[26:27]
	v_mov_b32_e32 v5, 0
	s_and_saveexec_b64 s[26:27], s[24:25]
	s_cbranch_execnz .LBB126_321
	s_branch .LBB126_322
.LBB126_523:
	s_mov_b64 s[26:27], -1
                                        ; implicit-def: $vgpr2
	s_mov_b64 s[0:1], 0
.LBB126_524:
	s_and_b64 vcc, exec, s[28:29]
	s_cbranch_vccz .LBB126_528
; %bb.525:
	s_cmp_eq_u32 s31, 44
	s_cbranch_scc0 .LBB126_527
; %bb.526:
	global_load_ubyte v2, v[0:1], off
	s_mov_b32 s0, 0x2f800000
	s_mov_b32 s1, 0xcf800000
	s_mov_b64 s[26:27], 0
	s_waitcnt vmcnt(0)
	v_lshlrev_b32_e32 v3, 23, v2
	v_trunc_f32_e32 v3, v3
	v_mul_f32_e64 v4, |v3|, s0
	v_floor_f32_e32 v4, v4
	v_fma_f32 v4, v4, s1, |v3|
	v_cvt_u32_f32_e32 v4, v4
	v_ashrrev_i32_e32 v3, 31, v3
	v_cmp_ne_u32_e32 vcc, 0, v2
	s_mov_b64 s[0:1], -1
	v_xor_b32_e32 v4, v4, v3
	v_sub_u32_e32 v3, v4, v3
	v_cndmask_b32_e32 v2, 0, v3, vcc
	s_branch .LBB126_528
.LBB126_527:
	s_mov_b64 s[26:27], -1
                                        ; implicit-def: $vgpr2
.LBB126_528:
	s_mov_b64 s[28:29], 0
.LBB126_529:
	s_and_b64 vcc, exec, s[28:29]
	s_cbranch_vccz .LBB126_533
; %bb.530:
	s_cmp_eq_u32 s31, 29
	s_cbranch_scc0 .LBB126_532
; %bb.531:
	global_load_dwordx2 v[2:3], v[0:1], off
	s_mov_b64 s[0:1], -1
	s_mov_b64 s[26:27], 0
	s_branch .LBB126_533
.LBB126_532:
	s_mov_b64 s[26:27], -1
                                        ; implicit-def: $vgpr2
.LBB126_533:
	s_mov_b64 s[28:29], 0
.LBB126_534:
	s_and_b64 vcc, exec, s[28:29]
	s_cbranch_vccz .LBB126_550
; %bb.535:
	s_cmp_lt_i32 s31, 27
	s_cbranch_scc1 .LBB126_538
; %bb.536:
	s_cmp_gt_i32 s31, 27
	s_cbranch_scc0 .LBB126_539
; %bb.537:
	global_load_dword v2, v[0:1], off
	s_mov_b64 s[0:1], 0
	s_branch .LBB126_540
.LBB126_538:
	s_mov_b64 s[0:1], -1
                                        ; implicit-def: $vgpr2
	s_branch .LBB126_543
.LBB126_539:
	s_mov_b64 s[0:1], -1
                                        ; implicit-def: $vgpr2
.LBB126_540:
	s_andn2_b64 vcc, exec, s[0:1]
	s_cbranch_vccnz .LBB126_542
; %bb.541:
	global_load_ushort v2, v[0:1], off
.LBB126_542:
	s_mov_b64 s[0:1], 0
.LBB126_543:
	s_andn2_b64 vcc, exec, s[0:1]
	s_cbranch_vccnz .LBB126_549
; %bb.544:
	global_load_ubyte v3, v[0:1], off
	s_movk_i32 s0, 0x7f
	s_mov_b64 s[28:29], 0
	s_waitcnt vmcnt(0)
	v_cmp_lt_i16_e32 vcc, s0, v3
	s_and_saveexec_b64 s[0:1], vcc
	s_xor_b64 s[0:1], exec, s[0:1]
	s_cbranch_execz .LBB126_561
; %bb.545:
	s_movk_i32 s28, 0x80
	v_cmp_ne_u16_e32 vcc, s28, v3
	s_and_b64 s[28:29], vcc, exec
	s_andn2_saveexec_b64 s[0:1], s[0:1]
	s_cbranch_execnz .LBB126_562
.LBB126_546:
	s_or_b64 exec, exec, s[0:1]
	v_mov_b32_e32 v2, 0
	s_and_saveexec_b64 s[0:1], s[28:29]
	s_cbranch_execz .LBB126_548
.LBB126_547:
	v_lshlrev_b32_e32 v2, 24, v3
	v_and_b32_e32 v3, 0xffff, v3
	v_and_b32_e32 v4, 7, v3
	v_ffbh_u32_e32 v6, v4
	v_min_u32_e32 v6, 32, v6
	v_subrev_u32_e32 v8, 28, v6
	v_bfe_u32 v5, v3, 3, 4
	v_lshlrev_b32_e32 v3, v8, v3
	v_sub_u32_e32 v6, 29, v6
	v_and_b32_e32 v3, 7, v3
	v_cmp_eq_u32_e32 vcc, 0, v5
	v_cndmask_b32_e32 v5, v5, v6, vcc
	v_cndmask_b32_e32 v3, v4, v3, vcc
	v_mov_b32_e32 v4, 0x3b800000
	v_lshlrev_b32_e32 v3, 20, v3
	v_and_b32_e32 v2, 0x80000000, v2
	v_lshl_add_u32 v4, v5, 23, v4
	v_or3_b32 v2, v2, v4, v3
	v_trunc_f32_e32 v2, v2
	s_mov_b32 s28, 0x2f800000
	v_mul_f32_e64 v3, |v2|, s28
	v_floor_f32_e32 v3, v3
	s_mov_b32 s28, 0xcf800000
	v_fma_f32 v3, v3, s28, |v2|
	v_cvt_u32_f32_e32 v3, v3
	v_ashrrev_i32_e32 v2, 31, v2
	v_xor_b32_e32 v3, v3, v2
	v_sub_u32_e32 v2, v3, v2
.LBB126_548:
	s_or_b64 exec, exec, s[0:1]
.LBB126_549:
	s_mov_b64 s[0:1], -1
.LBB126_550:
	s_mov_b64 s[28:29], 0
.LBB126_551:
	s_and_b64 vcc, exec, s[28:29]
	s_cbranch_vccz .LBB126_584
; %bb.552:
	s_cmp_gt_i32 s31, 22
	s_cbranch_scc0 .LBB126_560
; %bb.553:
	s_cmp_lt_i32 s31, 24
	s_cbranch_scc1 .LBB126_563
; %bb.554:
	s_cmp_gt_i32 s31, 24
	s_cbranch_scc0 .LBB126_564
; %bb.555:
	global_load_ubyte v3, v[0:1], off
	s_movk_i32 s0, 0x7f
	s_mov_b64 s[28:29], 0
	s_waitcnt vmcnt(0)
	v_cmp_lt_i16_e32 vcc, s0, v3
	s_and_saveexec_b64 s[0:1], vcc
	s_xor_b64 s[0:1], exec, s[0:1]
	s_cbranch_execz .LBB126_576
; %bb.556:
	s_movk_i32 s28, 0x80
	v_cmp_ne_u16_e32 vcc, s28, v3
	s_and_b64 s[28:29], vcc, exec
	s_andn2_saveexec_b64 s[0:1], s[0:1]
	s_cbranch_execnz .LBB126_577
.LBB126_557:
	s_or_b64 exec, exec, s[0:1]
	v_mov_b32_e32 v2, 0
	s_and_saveexec_b64 s[0:1], s[28:29]
	s_cbranch_execz .LBB126_559
.LBB126_558:
	v_lshlrev_b32_e32 v2, 24, v3
	v_and_b32_e32 v3, 0xffff, v3
	v_and_b32_e32 v4, 3, v3
	v_ffbh_u32_e32 v6, v4
	v_min_u32_e32 v6, 32, v6
	v_subrev_u32_e32 v8, 29, v6
	v_bfe_u32 v5, v3, 2, 5
	v_lshlrev_b32_e32 v3, v8, v3
	v_sub_u32_e32 v6, 30, v6
	v_and_b32_e32 v3, 3, v3
	v_cmp_eq_u32_e32 vcc, 0, v5
	v_cndmask_b32_e32 v5, v5, v6, vcc
	v_cndmask_b32_e32 v3, v4, v3, vcc
	v_mov_b32_e32 v4, 0x37800000
	v_lshlrev_b32_e32 v3, 21, v3
	v_and_b32_e32 v2, 0x80000000, v2
	v_lshl_add_u32 v4, v5, 23, v4
	v_or3_b32 v2, v2, v4, v3
	v_trunc_f32_e32 v2, v2
	s_mov_b32 s28, 0x2f800000
	v_mul_f32_e64 v3, |v2|, s28
	v_floor_f32_e32 v3, v3
	s_mov_b32 s28, 0xcf800000
	v_fma_f32 v3, v3, s28, |v2|
	v_cvt_u32_f32_e32 v3, v3
	v_ashrrev_i32_e32 v2, 31, v2
	v_xor_b32_e32 v3, v3, v2
	v_sub_u32_e32 v2, v3, v2
.LBB126_559:
	s_or_b64 exec, exec, s[0:1]
	s_mov_b64 s[0:1], 0
	s_branch .LBB126_565
.LBB126_560:
	s_mov_b64 s[28:29], -1
                                        ; implicit-def: $vgpr2
	s_branch .LBB126_571
.LBB126_561:
	s_andn2_saveexec_b64 s[0:1], s[0:1]
	s_cbranch_execz .LBB126_546
.LBB126_562:
	v_cmp_ne_u16_e32 vcc, 0, v3
	s_andn2_b64 s[28:29], s[28:29], exec
	s_and_b64 s[34:35], vcc, exec
	s_or_b64 s[28:29], s[28:29], s[34:35]
	s_or_b64 exec, exec, s[0:1]
	v_mov_b32_e32 v2, 0
	s_and_saveexec_b64 s[0:1], s[28:29]
	s_cbranch_execnz .LBB126_547
	s_branch .LBB126_548
.LBB126_563:
	s_mov_b64 s[0:1], -1
                                        ; implicit-def: $vgpr2
	s_branch .LBB126_568
.LBB126_564:
	s_mov_b64 s[0:1], -1
                                        ; implicit-def: $vgpr2
.LBB126_565:
	s_and_b64 vcc, exec, s[0:1]
	s_cbranch_vccz .LBB126_567
; %bb.566:
	global_load_ubyte v2, v[0:1], off
	s_mov_b32 s0, 0x7f800000
	s_brev_b32 s1, 1
	s_mov_b32 s28, 0x2f800000
	s_waitcnt vmcnt(0)
	v_lshlrev_b32_e32 v2, 24, v2
	v_and_b32_e32 v3, 0x7f000000, v2
	v_ffbh_u32_e32 v4, v3
	v_min_u32_e32 v4, 32, v4
	v_sub_u32_e64 v4, v4, 4 clamp
	v_lshlrev_b32_e32 v6, v4, v3
	v_lshlrev_b32_e32 v4, 23, v4
	v_lshrrev_b32_e32 v6, 4, v6
	v_add_u32_e32 v5, 0x1000000, v3
	v_sub_u32_e32 v4, v6, v4
	v_ashrrev_i32_e32 v5, 8, v5
	v_add_u32_e32 v4, 0x3c000000, v4
	v_and_or_b32 v4, v5, s0, v4
	v_cmp_ne_u32_e32 vcc, 0, v3
	v_cndmask_b32_e32 v3, 0, v4, vcc
	v_and_or_b32 v2, v2, s1, v3
	v_trunc_f32_e32 v2, v2
	v_mul_f32_e64 v3, |v2|, s28
	v_floor_f32_e32 v3, v3
	s_mov_b32 s0, 0xcf800000
	v_fma_f32 v3, v3, s0, |v2|
	v_cvt_u32_f32_e32 v3, v3
	v_ashrrev_i32_e32 v2, 31, v2
	v_xor_b32_e32 v3, v3, v2
	v_sub_u32_e32 v2, v3, v2
.LBB126_567:
	s_mov_b64 s[0:1], 0
.LBB126_568:
	s_andn2_b64 vcc, exec, s[0:1]
	s_cbranch_vccnz .LBB126_570
; %bb.569:
	global_load_ubyte v2, v[0:1], off
	s_movk_i32 s0, 0x7f00
	s_brev_b32 s1, 16
	s_brev_b32 s28, 1
	s_mov_b32 s29, 0x2f800000
	s_waitcnt vmcnt(0)
	v_lshlrev_b16_e32 v3, 8, v2
	v_lshlrev_b32_e32 v2, 25, v2
	v_lshrrev_b32_e32 v4, 4, v2
	v_and_or_b32 v5, v3, s0, 0.5
	v_or_b32_e32 v4, 0x70000000, v4
	v_add_f32_e32 v5, -0.5, v5
	v_mul_f32_e32 v4, 0x7800000, v4
	v_cmp_gt_u32_e32 vcc, s1, v2
	v_bfe_i32 v3, v3, 0, 16
	v_cndmask_b32_e32 v2, v4, v5, vcc
	v_and_or_b32 v2, v3, s28, v2
	v_trunc_f32_e32 v2, v2
	v_mul_f32_e64 v3, |v2|, s29
	v_floor_f32_e32 v3, v3
	s_mov_b32 s0, 0xcf800000
	v_fma_f32 v3, v3, s0, |v2|
	v_cvt_u32_f32_e32 v3, v3
	v_ashrrev_i32_e32 v2, 31, v2
	v_xor_b32_e32 v3, v3, v2
	v_sub_u32_e32 v2, v3, v2
.LBB126_570:
	s_mov_b64 s[28:29], 0
	s_mov_b64 s[0:1], -1
.LBB126_571:
	s_andn2_b64 vcc, exec, s[28:29]
	s_cbranch_vccnz .LBB126_584
; %bb.572:
	s_cmp_gt_i32 s31, 14
	s_cbranch_scc0 .LBB126_575
; %bb.573:
	s_cmp_eq_u32 s31, 15
	s_cbranch_scc0 .LBB126_578
; %bb.574:
	global_load_ushort v2, v[0:1], off
	s_mov_b32 s0, 0x2f800000
	s_mov_b32 s1, 0xcf800000
	s_mov_b64 s[26:27], 0
	s_waitcnt vmcnt(0)
	v_lshlrev_b32_e32 v2, 16, v2
	v_trunc_f32_e32 v2, v2
	v_mul_f32_e64 v3, |v2|, s0
	v_floor_f32_e32 v3, v3
	v_fma_f32 v3, v3, s1, |v2|
	v_cvt_u32_f32_e32 v3, v3
	v_ashrrev_i32_e32 v2, 31, v2
	s_mov_b64 s[0:1], -1
	v_xor_b32_e32 v3, v3, v2
	v_sub_u32_e32 v2, v3, v2
	s_branch .LBB126_579
.LBB126_575:
	s_mov_b64 s[28:29], -1
                                        ; implicit-def: $vgpr2
	s_branch .LBB126_580
.LBB126_576:
	s_andn2_saveexec_b64 s[0:1], s[0:1]
	s_cbranch_execz .LBB126_557
.LBB126_577:
	v_cmp_ne_u16_e32 vcc, 0, v3
	s_andn2_b64 s[28:29], s[28:29], exec
	s_and_b64 s[34:35], vcc, exec
	s_or_b64 s[28:29], s[28:29], s[34:35]
	s_or_b64 exec, exec, s[0:1]
	v_mov_b32_e32 v2, 0
	s_and_saveexec_b64 s[0:1], s[28:29]
	s_cbranch_execnz .LBB126_558
	s_branch .LBB126_559
.LBB126_578:
	s_mov_b64 s[26:27], -1
                                        ; implicit-def: $vgpr2
.LBB126_579:
	s_mov_b64 s[28:29], 0
.LBB126_580:
	s_and_b64 vcc, exec, s[28:29]
	s_cbranch_vccz .LBB126_584
; %bb.581:
	s_cmp_eq_u32 s31, 11
	s_cbranch_scc0 .LBB126_583
; %bb.582:
	global_load_ubyte v2, v[0:1], off
	s_mov_b64 s[0:1], -1
	s_mov_b64 s[26:27], 0
	s_waitcnt vmcnt(0)
	v_cmp_ne_u16_e32 vcc, 0, v2
	v_cndmask_b32_e64 v2, 0, 1, vcc
	s_branch .LBB126_584
.LBB126_583:
	s_mov_b64 s[26:27], -1
                                        ; implicit-def: $vgpr2
.LBB126_584:
	s_mov_b64 s[28:29], 0
.LBB126_585:
	s_and_b64 vcc, exec, s[28:29]
	s_cbranch_vccz .LBB126_634
; %bb.586:
	s_and_b32 s28, 0xffff, s30
	s_cmp_lt_i32 s28, 5
	s_cbranch_scc1 .LBB126_591
; %bb.587:
	s_cmp_lt_i32 s28, 8
	s_cbranch_scc1 .LBB126_592
; %bb.588:
	;; [unrolled: 3-line block ×3, first 2 shown]
	s_cmp_gt_i32 s28, 9
	s_cbranch_scc0 .LBB126_594
; %bb.590:
	global_load_dwordx2 v[2:3], v[0:1], off
	s_movk_i32 s0, 0xffe0
	s_waitcnt vmcnt(0)
	v_trunc_f64_e32 v[2:3], v[2:3]
	v_ldexp_f64 v[4:5], v[2:3], s0
	s_mov_b32 s0, 0
	s_mov_b32 s1, 0xc1f00000
	v_floor_f64_e32 v[4:5], v[4:5]
	v_fma_f64 v[2:3], v[4:5], s[0:1], v[2:3]
	s_mov_b64 s[0:1], 0
	v_cvt_u32_f64_e32 v2, v[2:3]
	s_branch .LBB126_595
.LBB126_591:
	s_mov_b64 s[0:1], -1
                                        ; implicit-def: $vgpr2
	s_branch .LBB126_613
.LBB126_592:
	s_mov_b64 s[0:1], -1
                                        ; implicit-def: $vgpr2
	s_branch .LBB126_601
.LBB126_593:
	s_mov_b64 s[0:1], -1
                                        ; implicit-def: $vgpr2
	s_branch .LBB126_598
.LBB126_594:
	s_mov_b64 s[0:1], -1
                                        ; implicit-def: $vgpr2
.LBB126_595:
	s_andn2_b64 vcc, exec, s[0:1]
	s_cbranch_vccnz .LBB126_597
; %bb.596:
	global_load_dword v2, v[0:1], off
	s_mov_b32 s0, 0x2f800000
	s_waitcnt vmcnt(0)
	v_trunc_f32_e32 v2, v2
	v_mul_f32_e64 v3, |v2|, s0
	v_floor_f32_e32 v3, v3
	s_mov_b32 s0, 0xcf800000
	v_fma_f32 v3, v3, s0, |v2|
	v_cvt_u32_f32_e32 v3, v3
	v_ashrrev_i32_e32 v2, 31, v2
	v_xor_b32_e32 v3, v3, v2
	v_sub_u32_e32 v2, v3, v2
.LBB126_597:
	s_mov_b64 s[0:1], 0
.LBB126_598:
	s_andn2_b64 vcc, exec, s[0:1]
	s_cbranch_vccnz .LBB126_600
; %bb.599:
	global_load_dword v2, v[0:1], off
	s_waitcnt vmcnt(0)
	v_cvt_f32_f16_e32 v2, v2
	v_cvt_i32_f32_e32 v2, v2
.LBB126_600:
	s_mov_b64 s[0:1], 0
.LBB126_601:
	s_andn2_b64 vcc, exec, s[0:1]
	s_cbranch_vccnz .LBB126_612
; %bb.602:
	s_cmp_lt_i32 s28, 6
	s_cbranch_scc1 .LBB126_605
; %bb.603:
	s_cmp_gt_i32 s28, 6
	s_cbranch_scc0 .LBB126_606
; %bb.604:
	global_load_dwordx2 v[2:3], v[0:1], off
	s_movk_i32 s0, 0xffe0
	s_waitcnt vmcnt(0)
	v_trunc_f64_e32 v[2:3], v[2:3]
	v_ldexp_f64 v[4:5], v[2:3], s0
	s_mov_b32 s0, 0
	s_mov_b32 s1, 0xc1f00000
	v_floor_f64_e32 v[4:5], v[4:5]
	v_fma_f64 v[2:3], v[4:5], s[0:1], v[2:3]
	s_mov_b64 s[0:1], 0
	v_cvt_u32_f64_e32 v2, v[2:3]
	s_branch .LBB126_607
.LBB126_605:
	s_mov_b64 s[0:1], -1
                                        ; implicit-def: $vgpr2
	s_branch .LBB126_610
.LBB126_606:
	s_mov_b64 s[0:1], -1
                                        ; implicit-def: $vgpr2
.LBB126_607:
	s_andn2_b64 vcc, exec, s[0:1]
	s_cbranch_vccnz .LBB126_609
; %bb.608:
	global_load_dword v2, v[0:1], off
	s_mov_b32 s0, 0x2f800000
	s_waitcnt vmcnt(0)
	v_trunc_f32_e32 v2, v2
	v_mul_f32_e64 v3, |v2|, s0
	v_floor_f32_e32 v3, v3
	s_mov_b32 s0, 0xcf800000
	v_fma_f32 v3, v3, s0, |v2|
	v_cvt_u32_f32_e32 v3, v3
	v_ashrrev_i32_e32 v2, 31, v2
	v_xor_b32_e32 v3, v3, v2
	v_sub_u32_e32 v2, v3, v2
.LBB126_609:
	s_mov_b64 s[0:1], 0
.LBB126_610:
	s_andn2_b64 vcc, exec, s[0:1]
	s_cbranch_vccnz .LBB126_612
; %bb.611:
	global_load_ushort v2, v[0:1], off
	s_waitcnt vmcnt(0)
	v_cvt_f32_f16_e32 v2, v2
	v_cvt_i32_f32_e32 v2, v2
.LBB126_612:
	s_mov_b64 s[0:1], 0
.LBB126_613:
	s_andn2_b64 vcc, exec, s[0:1]
	s_cbranch_vccnz .LBB126_633
; %bb.614:
	s_cmp_lt_i32 s28, 2
	s_cbranch_scc1 .LBB126_618
; %bb.615:
	s_cmp_lt_i32 s28, 3
	s_cbranch_scc1 .LBB126_619
; %bb.616:
	s_cmp_gt_i32 s28, 3
	s_cbranch_scc0 .LBB126_620
; %bb.617:
	global_load_dwordx2 v[2:3], v[0:1], off
	s_mov_b64 s[0:1], 0
	s_branch .LBB126_621
.LBB126_618:
	s_mov_b64 s[0:1], -1
                                        ; implicit-def: $vgpr2
	s_branch .LBB126_627
.LBB126_619:
	s_mov_b64 s[0:1], -1
                                        ; implicit-def: $vgpr2
	s_branch .LBB126_624
.LBB126_620:
	s_mov_b64 s[0:1], -1
                                        ; implicit-def: $vgpr2
.LBB126_621:
	s_andn2_b64 vcc, exec, s[0:1]
	s_cbranch_vccnz .LBB126_623
; %bb.622:
	global_load_dword v2, v[0:1], off
.LBB126_623:
	s_mov_b64 s[0:1], 0
.LBB126_624:
	s_andn2_b64 vcc, exec, s[0:1]
	s_cbranch_vccnz .LBB126_626
; %bb.625:
	global_load_ushort v2, v[0:1], off
.LBB126_626:
	s_mov_b64 s[0:1], 0
.LBB126_627:
	s_andn2_b64 vcc, exec, s[0:1]
	s_cbranch_vccnz .LBB126_633
; %bb.628:
	s_cmp_gt_i32 s28, 0
	s_cbranch_scc0 .LBB126_630
; %bb.629:
	global_load_ubyte v2, v[0:1], off
	s_mov_b64 s[0:1], 0
	s_branch .LBB126_631
.LBB126_630:
	s_mov_b64 s[0:1], -1
                                        ; implicit-def: $vgpr2
.LBB126_631:
	s_andn2_b64 vcc, exec, s[0:1]
	s_cbranch_vccnz .LBB126_633
; %bb.632:
	global_load_ubyte v2, v[0:1], off
.LBB126_633:
	s_mov_b64 s[0:1], -1
.LBB126_634:
	s_andn2_b64 vcc, exec, s[0:1]
	s_cbranch_vccnz .LBB126_642
; %bb.635:
	v_mul_lo_u32 v1, v7, s2
	s_and_b32 s0, s42, 0xff
	s_waitcnt vmcnt(0)
	v_mov_b32_e32 v3, 8
	v_lshrrev_b16_sdwa v0, v2, s0 dst_sel:DWORD dst_unused:UNUSED_PAD src0_sel:BYTE_0 src1_sel:DWORD
	v_cmp_lt_u16_sdwa vcc, v2, v3 src0_sel:BYTE_0 src1_sel:DWORD
	v_cndmask_b32_e32 v2, 0, v0, vcc
	v_ashrrev_i32_e32 v3, 31, v1
	v_mov_b32_e32 v4, s9
	s_and_b32 s36, s33, 0xff
	v_add_co_u32_e32 v0, vcc, s8, v1
	s_cmp_lt_i32 s36, 11
	v_addc_co_u32_e32 v1, vcc, v4, v3, vcc
	s_cbranch_scc1 .LBB126_643
; %bb.636:
	s_and_b32 s37, 0xffff, s36
	s_cmp_gt_i32 s37, 25
	s_cbranch_scc0 .LBB126_644
; %bb.637:
	s_cmp_gt_i32 s37, 28
	s_cbranch_scc0 .LBB126_645
; %bb.638:
	;; [unrolled: 3-line block ×4, first 2 shown]
	s_mov_b64 s[30:31], 0
	s_mov_b64 s[0:1], -1
	s_cmp_eq_u32 s37, 46
	s_mov_b64 s[28:29], 0
	s_cbranch_scc0 .LBB126_648
; %bb.641:
	v_cvt_f32_ubyte0_e32 v3, v2
	v_bfe_u32 v4, v3, 16, 1
	s_movk_i32 s0, 0x7fff
	v_add3_u32 v3, v3, v4, s0
	v_lshrrev_b32_e32 v3, 16, v3
	global_store_dword v[0:1], v3, off
	s_mov_b64 s[28:29], -1
	s_mov_b64 s[0:1], 0
	s_branch .LBB126_648
.LBB126_642:
	s_mov_b64 s[30:31], 0
                                        ; implicit-def: $vgpr7
	s_mov_b64 s[0:1], s[20:21]
	s_branch .LBB126_759
.LBB126_643:
	s_mov_b64 s[30:31], -1
	s_mov_b64 s[28:29], 0
	s_mov_b64 s[0:1], s[20:21]
	s_branch .LBB126_717
.LBB126_644:
	s_mov_b64 s[30:31], -1
	s_mov_b64 s[28:29], 0
	s_mov_b64 s[0:1], s[20:21]
	s_branch .LBB126_675
.LBB126_645:
	s_mov_b64 s[30:31], -1
	s_mov_b64 s[28:29], 0
	s_mov_b64 s[0:1], s[20:21]
	s_branch .LBB126_658
.LBB126_646:
	s_mov_b64 s[30:31], -1
	s_mov_b64 s[28:29], 0
	s_mov_b64 s[0:1], s[20:21]
	s_branch .LBB126_654
.LBB126_647:
	s_mov_b64 s[30:31], -1
	s_mov_b64 s[28:29], 0
	s_mov_b64 s[0:1], s[20:21]
.LBB126_648:
	s_and_b64 vcc, exec, s[30:31]
	s_cbranch_vccz .LBB126_653
; %bb.649:
	s_cmp_eq_u32 s37, 44
	s_mov_b64 s[0:1], -1
	s_cbranch_scc0 .LBB126_653
; %bb.650:
	v_cvt_f32_ubyte0_e32 v4, v2
	v_lshrrev_b32_e32 v3, 23, v4
	s_movk_i32 s0, 0xff
	v_cmp_ne_u32_e32 vcc, s0, v3
	v_mov_b32_e32 v5, 0xff
	s_and_saveexec_b64 s[28:29], vcc
; %bb.651:
	s_mov_b32 s0, 0x3fffff
	v_and_b32_e32 v5, 0x400000, v4
	v_and_or_b32 v4, v4, s0, v3
	v_cmp_ne_u32_e32 vcc, 0, v5
	v_cmp_ne_u32_e64 s[0:1], 0, v4
	s_and_b64 s[0:1], vcc, s[0:1]
	v_cndmask_b32_e64 v4, 0, 1, s[0:1]
	v_add_u32_e32 v5, v3, v4
; %bb.652:
	s_or_b64 exec, exec, s[28:29]
	s_mov_b64 s[28:29], -1
	s_mov_b64 s[0:1], 0
	global_store_byte v[0:1], v5, off
.LBB126_653:
	s_mov_b64 s[30:31], 0
.LBB126_654:
	s_and_b64 vcc, exec, s[30:31]
	s_cbranch_vccz .LBB126_657
; %bb.655:
	s_cmp_eq_u32 s37, 29
	s_mov_b64 s[0:1], -1
	s_cbranch_scc0 .LBB126_657
; %bb.656:
	s_mov_b32 s0, 0
	v_and_b32_e32 v3, 0xffff, v2
	v_mov_b32_e32 v4, s0
	global_store_dwordx2 v[0:1], v[3:4], off
	s_mov_b64 s[28:29], -1
	s_mov_b64 s[0:1], 0
.LBB126_657:
	s_mov_b64 s[30:31], 0
.LBB126_658:
	s_and_b64 vcc, exec, s[30:31]
	s_cbranch_vccz .LBB126_674
; %bb.659:
	s_cmp_lt_i32 s37, 27
	s_mov_b64 s[28:29], -1
	s_cbranch_scc1 .LBB126_665
; %bb.660:
	s_cmp_gt_i32 s37, 27
	s_cbranch_scc0 .LBB126_662
; %bb.661:
	v_and_b32_e32 v3, 0xffff, v2
	s_mov_b64 s[28:29], 0
	global_store_dword v[0:1], v3, off
.LBB126_662:
	s_andn2_b64 vcc, exec, s[28:29]
	s_cbranch_vccnz .LBB126_664
; %bb.663:
	global_store_short v[0:1], v2, off
.LBB126_664:
	s_mov_b64 s[28:29], 0
.LBB126_665:
	s_andn2_b64 vcc, exec, s[28:29]
	s_cbranch_vccnz .LBB126_673
; %bb.666:
	v_cvt_f32_ubyte0_e32 v4, v2
	s_mov_b32 s28, 0x43800000
	v_cmp_gt_u32_e32 vcc, s28, v4
	v_mov_b32_e32 v5, 0x80
	s_and_saveexec_b64 s[28:29], vcc
	s_cbranch_execz .LBB126_672
; %bb.667:
	s_mov_b32 s30, 0x3bffffff
	v_cmp_lt_u32_e32 vcc, s30, v4
	s_mov_b64 s[30:31], 0
                                        ; implicit-def: $vgpr3
	s_and_saveexec_b64 s[34:35], vcc
	s_xor_b64 s[34:35], exec, s[34:35]
	s_cbranch_execz .LBB126_773
; %bb.668:
	v_bfe_u32 v3, v4, 20, 1
	s_mov_b32 s39, 0x487ffff
	v_add3_u32 v3, v4, v3, s39
	s_mov_b64 s[30:31], exec
	v_lshrrev_b32_e32 v3, 20, v3
                                        ; implicit-def: $vgpr4
	s_andn2_saveexec_b64 s[34:35], s[34:35]
	s_cbranch_execnz .LBB126_774
.LBB126_669:
	s_or_b64 exec, exec, s[34:35]
	v_mov_b32_e32 v5, 0
	s_and_saveexec_b64 s[34:35], s[30:31]
.LBB126_670:
	v_mov_b32_e32 v5, v3
.LBB126_671:
	s_or_b64 exec, exec, s[34:35]
.LBB126_672:
	s_or_b64 exec, exec, s[28:29]
	global_store_byte v[0:1], v5, off
.LBB126_673:
	s_mov_b64 s[28:29], -1
.LBB126_674:
	s_mov_b64 s[30:31], 0
.LBB126_675:
	s_and_b64 vcc, exec, s[30:31]
	s_cbranch_vccz .LBB126_716
; %bb.676:
	s_cmp_gt_i32 s37, 22
	s_mov_b64 s[30:31], -1
	s_cbranch_scc0 .LBB126_708
; %bb.677:
	s_cmp_lt_i32 s37, 24
	s_mov_b64 s[28:29], -1
	s_cbranch_scc1 .LBB126_697
; %bb.678:
	s_cmp_gt_i32 s37, 24
	s_cbranch_scc0 .LBB126_686
; %bb.679:
	v_cvt_f32_ubyte0_e32 v4, v2
	s_mov_b32 s28, 0x47800000
	v_cmp_gt_u32_e32 vcc, s28, v4
	v_mov_b32_e32 v5, 0x80
	s_and_saveexec_b64 s[28:29], vcc
	s_cbranch_execz .LBB126_685
; %bb.680:
	s_mov_b32 s30, 0x37ffffff
	v_cmp_lt_u32_e32 vcc, s30, v4
	s_mov_b64 s[30:31], 0
                                        ; implicit-def: $vgpr3
	s_and_saveexec_b64 s[34:35], vcc
	s_xor_b64 s[34:35], exec, s[34:35]
	s_cbranch_execz .LBB126_776
; %bb.681:
	v_bfe_u32 v3, v4, 21, 1
	s_mov_b32 s39, 0x88fffff
	v_add3_u32 v3, v4, v3, s39
	s_mov_b64 s[30:31], exec
	v_lshrrev_b32_e32 v3, 21, v3
                                        ; implicit-def: $vgpr4
	s_andn2_saveexec_b64 s[34:35], s[34:35]
	s_cbranch_execnz .LBB126_777
.LBB126_682:
	s_or_b64 exec, exec, s[34:35]
	v_mov_b32_e32 v5, 0
	s_and_saveexec_b64 s[34:35], s[30:31]
.LBB126_683:
	v_mov_b32_e32 v5, v3
.LBB126_684:
	s_or_b64 exec, exec, s[34:35]
.LBB126_685:
	s_or_b64 exec, exec, s[28:29]
	s_mov_b64 s[28:29], 0
	global_store_byte v[0:1], v5, off
.LBB126_686:
	s_and_b64 vcc, exec, s[28:29]
	s_cbranch_vccz .LBB126_696
; %bb.687:
	v_cvt_f32_ubyte0_e32 v3, v2
	s_mov_b32 s28, 0x43f00000
	v_cmp_gt_u32_e32 vcc, s28, v3
                                        ; implicit-def: $vgpr4
	s_and_saveexec_b64 s[28:29], vcc
	s_xor_b64 s[28:29], exec, s[28:29]
	s_cbranch_execz .LBB126_693
; %bb.688:
	s_mov_b32 s30, 0x3c7fffff
	v_cmp_lt_u32_e32 vcc, s30, v3
                                        ; implicit-def: $vgpr4
	s_and_saveexec_b64 s[30:31], vcc
	s_xor_b64 s[30:31], exec, s[30:31]
; %bb.689:
	v_bfe_u32 v4, v3, 20, 1
	s_mov_b32 s34, 0x407ffff
	v_add3_u32 v3, v3, v4, s34
	v_lshrrev_b32_e32 v4, 20, v3
	v_and_b32_e32 v3, 0xff00000, v3
	s_mov_b32 s34, 0x7f00000
	v_mov_b32_e32 v5, 0x7e
	v_cmp_ne_u32_e32 vcc, s34, v3
	v_cndmask_b32_e32 v4, v5, v4, vcc
                                        ; implicit-def: $vgpr3
; %bb.690:
	s_andn2_saveexec_b64 s[30:31], s[30:31]
; %bb.691:
	v_add_f32_e32 v4, 0x46800000, v3
; %bb.692:
	s_or_b64 exec, exec, s[30:31]
                                        ; implicit-def: $vgpr3
.LBB126_693:
	s_andn2_saveexec_b64 s[28:29], s[28:29]
; %bb.694:
	s_mov_b32 s30, 0x7f800000
	v_mov_b32_e32 v4, 0x7e
	v_mov_b32_e32 v5, 0x7f
	v_cmp_lt_u32_e32 vcc, s30, v3
	v_cndmask_b32_e32 v4, v4, v5, vcc
; %bb.695:
	s_or_b64 exec, exec, s[28:29]
	global_store_byte v[0:1], v4, off
.LBB126_696:
	s_mov_b64 s[28:29], 0
.LBB126_697:
	s_andn2_b64 vcc, exec, s[28:29]
	s_cbranch_vccnz .LBB126_707
; %bb.698:
	v_cvt_f32_ubyte0_e32 v3, v2
	s_mov_b32 s28, 0x47800000
	v_cmp_gt_u32_e32 vcc, s28, v3
                                        ; implicit-def: $vgpr4
	s_and_saveexec_b64 s[28:29], vcc
	s_xor_b64 s[28:29], exec, s[28:29]
	s_cbranch_execz .LBB126_704
; %bb.699:
	s_mov_b32 s30, 0x387fffff
	v_cmp_lt_u32_e32 vcc, s30, v3
                                        ; implicit-def: $vgpr4
	s_and_saveexec_b64 s[30:31], vcc
	s_xor_b64 s[30:31], exec, s[30:31]
; %bb.700:
	v_bfe_u32 v4, v3, 21, 1
	s_mov_b32 s34, 0x80fffff
	v_add3_u32 v3, v3, v4, s34
	v_lshrrev_b32_e32 v4, 21, v3
                                        ; implicit-def: $vgpr3
; %bb.701:
	s_andn2_saveexec_b64 s[30:31], s[30:31]
; %bb.702:
	v_add_f32_e32 v4, 0x43000000, v3
; %bb.703:
	s_or_b64 exec, exec, s[30:31]
                                        ; implicit-def: $vgpr3
.LBB126_704:
	s_andn2_saveexec_b64 s[28:29], s[28:29]
; %bb.705:
	s_mov_b32 s30, 0x7f800000
	v_mov_b32_e32 v4, 0x7c
	v_mov_b32_e32 v5, 0x7f
	v_cmp_lt_u32_e32 vcc, s30, v3
	v_cndmask_b32_e32 v4, v4, v5, vcc
; %bb.706:
	s_or_b64 exec, exec, s[28:29]
	global_store_byte v[0:1], v4, off
.LBB126_707:
	s_mov_b64 s[30:31], 0
	s_mov_b64 s[28:29], -1
.LBB126_708:
	s_andn2_b64 vcc, exec, s[30:31]
	s_cbranch_vccnz .LBB126_716
; %bb.709:
	s_cmp_gt_i32 s37, 14
	s_mov_b64 s[30:31], -1
	s_cbranch_scc0 .LBB126_713
; %bb.710:
	s_cmp_eq_u32 s37, 15
	s_mov_b64 s[0:1], -1
	s_cbranch_scc0 .LBB126_712
; %bb.711:
	v_cvt_f32_ubyte0_e32 v3, v2
	v_bfe_u32 v4, v3, 16, 1
	s_movk_i32 s0, 0x7fff
	v_add3_u32 v3, v3, v4, s0
	global_store_short_d16_hi v[0:1], v3, off
	s_mov_b64 s[28:29], -1
	s_mov_b64 s[0:1], 0
.LBB126_712:
	s_mov_b64 s[30:31], 0
.LBB126_713:
	s_and_b64 vcc, exec, s[30:31]
	s_cbranch_vccz .LBB126_716
; %bb.714:
	s_cmp_eq_u32 s37, 11
	s_mov_b64 s[0:1], -1
	s_cbranch_scc0 .LBB126_716
; %bb.715:
	v_cmp_ne_u16_e32 vcc, 0, v2
	v_cndmask_b32_e64 v3, 0, 1, vcc
	s_mov_b64 s[28:29], -1
	s_mov_b64 s[0:1], 0
	global_store_byte v[0:1], v3, off
.LBB126_716:
	s_mov_b64 s[30:31], 0
.LBB126_717:
	s_and_b64 vcc, exec, s[30:31]
	s_cbranch_vccz .LBB126_756
; %bb.718:
	s_and_b32 s30, 0xffff, s36
	s_cmp_lt_i32 s30, 5
	s_mov_b64 s[28:29], -1
	s_cbranch_scc1 .LBB126_739
; %bb.719:
	s_cmp_lt_i32 s30, 8
	s_cbranch_scc1 .LBB126_729
; %bb.720:
	s_cmp_lt_i32 s30, 9
	s_cbranch_scc1 .LBB126_726
; %bb.721:
	s_cmp_gt_i32 s30, 9
	s_cbranch_scc0 .LBB126_723
; %bb.722:
	v_and_b32_e32 v3, 0xffff, v2
	v_cvt_f64_u32_e32 v[3:4], v3
	v_mov_b32_e32 v5, 0
	v_mov_b32_e32 v6, v5
	s_mov_b64 s[28:29], 0
	global_store_dwordx4 v[0:1], v[3:6], off
.LBB126_723:
	s_andn2_b64 vcc, exec, s[28:29]
	s_cbranch_vccnz .LBB126_725
; %bb.724:
	v_cvt_f32_ubyte0_e32 v3, v2
	v_mov_b32_e32 v4, 0
	global_store_dwordx2 v[0:1], v[3:4], off
.LBB126_725:
	s_mov_b64 s[28:29], 0
.LBB126_726:
	s_andn2_b64 vcc, exec, s[28:29]
	s_cbranch_vccnz .LBB126_728
; %bb.727:
	v_cvt_f16_u16_e32 v3, v2
	global_store_dword v[0:1], v3, off
.LBB126_728:
	s_mov_b64 s[28:29], 0
.LBB126_729:
	s_andn2_b64 vcc, exec, s[28:29]
	s_cbranch_vccnz .LBB126_738
; %bb.730:
	s_cmp_lt_i32 s30, 6
	s_mov_b64 s[28:29], -1
	s_cbranch_scc1 .LBB126_736
; %bb.731:
	s_cmp_gt_i32 s30, 6
	s_cbranch_scc0 .LBB126_733
; %bb.732:
	v_and_b32_e32 v3, 0xffff, v2
	v_cvt_f64_u32_e32 v[3:4], v3
	s_mov_b64 s[28:29], 0
	global_store_dwordx2 v[0:1], v[3:4], off
.LBB126_733:
	s_andn2_b64 vcc, exec, s[28:29]
	s_cbranch_vccnz .LBB126_735
; %bb.734:
	v_cvt_f32_ubyte0_e32 v3, v2
	global_store_dword v[0:1], v3, off
.LBB126_735:
	s_mov_b64 s[28:29], 0
.LBB126_736:
	s_andn2_b64 vcc, exec, s[28:29]
	s_cbranch_vccnz .LBB126_738
; %bb.737:
	v_cvt_f16_u16_e32 v3, v2
	global_store_short v[0:1], v3, off
.LBB126_738:
	s_mov_b64 s[28:29], 0
.LBB126_739:
	s_andn2_b64 vcc, exec, s[28:29]
	s_cbranch_vccnz .LBB126_755
; %bb.740:
	s_cmp_lt_i32 s30, 2
	s_mov_b64 s[28:29], -1
	s_cbranch_scc1 .LBB126_750
; %bb.741:
	s_cmp_lt_i32 s30, 3
	s_cbranch_scc1 .LBB126_747
; %bb.742:
	s_cmp_gt_i32 s30, 3
	s_cbranch_scc0 .LBB126_744
; %bb.743:
	s_mov_b32 s28, 0
	v_and_b32_e32 v3, 0xffff, v2
	v_mov_b32_e32 v4, s28
	s_mov_b64 s[28:29], 0
	global_store_dwordx2 v[0:1], v[3:4], off
.LBB126_744:
	s_andn2_b64 vcc, exec, s[28:29]
	s_cbranch_vccnz .LBB126_746
; %bb.745:
	v_and_b32_e32 v3, 0xffff, v2
	global_store_dword v[0:1], v3, off
.LBB126_746:
	s_mov_b64 s[28:29], 0
.LBB126_747:
	s_andn2_b64 vcc, exec, s[28:29]
	s_cbranch_vccnz .LBB126_749
; %bb.748:
	global_store_short v[0:1], v2, off
.LBB126_749:
	s_mov_b64 s[28:29], 0
.LBB126_750:
	s_andn2_b64 vcc, exec, s[28:29]
	s_cbranch_vccnz .LBB126_755
; %bb.751:
	s_cmp_gt_i32 s30, 0
	s_mov_b64 s[28:29], -1
	s_cbranch_scc0 .LBB126_753
; %bb.752:
	s_mov_b64 s[28:29], 0
	global_store_byte v[0:1], v2, off
.LBB126_753:
	s_andn2_b64 vcc, exec, s[28:29]
	s_cbranch_vccnz .LBB126_755
; %bb.754:
	global_store_byte v[0:1], v2, off
.LBB126_755:
	s_mov_b64 s[28:29], -1
.LBB126_756:
	s_andn2_b64 vcc, exec, s[28:29]
	s_cbranch_vccnz .LBB126_758
; %bb.757:
	v_add_u32_e32 v7, 0x80, v7
	s_mov_b64 s[30:31], -1
	s_branch .LBB126_759
.LBB126_758:
	s_mov_b64 s[30:31], 0
                                        ; implicit-def: $vgpr7
.LBB126_759:
	s_andn2_b64 s[28:29], s[20:21], exec
	s_and_b64 s[0:1], s[0:1], exec
	s_or_b64 s[28:29], s[28:29], s[0:1]
	s_andn2_b64 s[0:1], s[18:19], exec
	s_and_b64 s[26:27], s[26:27], exec
	s_or_b64 s[0:1], s[0:1], s[26:27]
	s_orn2_b64 s[34:35], s[30:31], exec
.LBB126_760:
	s_or_b64 exec, exec, s[24:25]
	s_mov_b64 s[30:31], 0
	s_mov_b64 s[26:27], 0
	;; [unrolled: 1-line block ×3, first 2 shown]
                                        ; implicit-def: $sgpr44
                                        ; implicit-def: $vgpr0_vgpr1
                                        ; implicit-def: $vgpr2
	s_and_saveexec_b64 s[24:25], s[34:35]
	s_cbranch_execz .LBB126_841
; %bb.761:
	v_cmp_gt_i32_e32 vcc, s38, v7
	s_mov_b64 s[34:35], 0
	s_mov_b64 s[38:39], s[0:1]
	;; [unrolled: 1-line block ×3, first 2 shown]
                                        ; implicit-def: $sgpr44
                                        ; implicit-def: $vgpr0_vgpr1
                                        ; implicit-def: $vgpr2
	s_and_saveexec_b64 s[26:27], vcc
	s_cbranch_execz .LBB126_840
; %bb.762:
	v_mul_lo_u32 v0, v7, s3
	v_mov_b32_e32 v1, s11
	s_and_b32 s44, s43, 0xff
	s_cmp_lt_i32 s44, 11
	s_waitcnt vmcnt(0)
	v_ashrrev_i32_e32 v2, 31, v0
	v_add_co_u32_e32 v0, vcc, s10, v0
	v_addc_co_u32_e32 v1, vcc, v1, v2, vcc
	s_cbranch_scc1 .LBB126_769
; %bb.763:
	s_and_b32 s40, 0xffff, s44
	s_cmp_gt_i32 s40, 25
	s_cbranch_scc0 .LBB126_770
; %bb.764:
	s_cmp_gt_i32 s40, 28
	s_cbranch_scc0 .LBB126_771
; %bb.765:
	;; [unrolled: 3-line block ×4, first 2 shown]
	s_cmp_eq_u32 s40, 46
	s_mov_b64 s[38:39], 0
	s_cbranch_scc0 .LBB126_778
; %bb.768:
	global_load_dword v2, v[0:1], off
	s_mov_b32 s30, 0x2f800000
	s_mov_b32 s31, 0xcf800000
	s_mov_b64 s[36:37], -1
	s_waitcnt vmcnt(0)
	v_lshlrev_b32_e32 v2, 16, v2
	v_trunc_f32_e32 v2, v2
	v_mul_f32_e64 v3, |v2|, s30
	v_floor_f32_e32 v3, v3
	v_fma_f32 v3, v3, s31, |v2|
	v_cvt_u32_f32_e32 v3, v3
	v_ashrrev_i32_e32 v2, 31, v2
	s_mov_b64 s[30:31], 0
	v_xor_b32_e32 v3, v3, v2
	v_sub_u32_e32 v2, v3, v2
	s_branch .LBB126_780
.LBB126_769:
	s_mov_b64 s[38:39], -1
                                        ; implicit-def: $vgpr2
	s_mov_b64 s[30:31], s[0:1]
	s_branch .LBB126_839
.LBB126_770:
	s_mov_b64 s[38:39], -1
	s_mov_b64 s[30:31], s[0:1]
                                        ; implicit-def: $vgpr2
	s_branch .LBB126_807
.LBB126_771:
	s_mov_b64 s[38:39], -1
	s_mov_b64 s[30:31], s[0:1]
                                        ; implicit-def: $vgpr2
	s_branch .LBB126_790
.LBB126_772:
	s_mov_b64 s[38:39], -1
	s_mov_b64 s[30:31], s[0:1]
                                        ; implicit-def: $vgpr2
	s_branch .LBB126_785
.LBB126_773:
	s_andn2_saveexec_b64 s[34:35], s[34:35]
	s_cbranch_execz .LBB126_669
.LBB126_774:
	v_add_f32_e32 v3, 0x46000000, v4
	v_and_b32_e32 v3, 0xff, v3
	v_cmp_ne_u32_e32 vcc, 0, v3
	s_andn2_b64 s[30:31], s[30:31], exec
	s_and_b64 s[40:41], vcc, exec
	s_or_b64 s[30:31], s[30:31], s[40:41]
	s_or_b64 exec, exec, s[34:35]
	v_mov_b32_e32 v5, 0
	s_and_saveexec_b64 s[34:35], s[30:31]
	s_cbranch_execnz .LBB126_670
	s_branch .LBB126_671
.LBB126_775:
	s_mov_b64 s[38:39], -1
	s_mov_b64 s[30:31], s[0:1]
	s_branch .LBB126_779
.LBB126_776:
	s_andn2_saveexec_b64 s[34:35], s[34:35]
	s_cbranch_execz .LBB126_682
.LBB126_777:
	v_add_f32_e32 v3, 0x42800000, v4
	v_and_b32_e32 v3, 0xff, v3
	v_cmp_ne_u32_e32 vcc, 0, v3
	s_andn2_b64 s[30:31], s[30:31], exec
	s_and_b64 s[40:41], vcc, exec
	s_or_b64 s[30:31], s[30:31], s[40:41]
	s_or_b64 exec, exec, s[34:35]
	v_mov_b32_e32 v5, 0
	s_and_saveexec_b64 s[34:35], s[30:31]
	s_cbranch_execnz .LBB126_683
	s_branch .LBB126_684
.LBB126_778:
	s_mov_b64 s[30:31], -1
.LBB126_779:
                                        ; implicit-def: $vgpr2
.LBB126_780:
	s_and_b64 vcc, exec, s[38:39]
	s_cbranch_vccz .LBB126_784
; %bb.781:
	s_cmp_eq_u32 s40, 44
	s_cbranch_scc0 .LBB126_783
; %bb.782:
	global_load_ubyte v2, v[0:1], off
	s_mov_b32 s30, 0x2f800000
	s_mov_b32 s31, 0xcf800000
	s_mov_b64 s[36:37], -1
	s_waitcnt vmcnt(0)
	v_lshlrev_b32_e32 v3, 23, v2
	v_trunc_f32_e32 v3, v3
	v_mul_f32_e64 v4, |v3|, s30
	v_floor_f32_e32 v4, v4
	v_fma_f32 v4, v4, s31, |v3|
	v_cvt_u32_f32_e32 v4, v4
	v_ashrrev_i32_e32 v3, 31, v3
	v_cmp_ne_u32_e32 vcc, 0, v2
	s_mov_b64 s[30:31], 0
	v_xor_b32_e32 v4, v4, v3
	v_sub_u32_e32 v3, v4, v3
	v_cndmask_b32_e32 v2, 0, v3, vcc
	s_branch .LBB126_784
.LBB126_783:
	s_mov_b64 s[30:31], -1
                                        ; implicit-def: $vgpr2
.LBB126_784:
	s_mov_b64 s[38:39], 0
.LBB126_785:
	s_and_b64 vcc, exec, s[38:39]
	s_cbranch_vccz .LBB126_789
; %bb.786:
	s_cmp_eq_u32 s40, 29
	s_cbranch_scc0 .LBB126_788
; %bb.787:
	global_load_dwordx2 v[2:3], v[0:1], off
	s_mov_b64 s[30:31], 0
	s_mov_b64 s[36:37], -1
	s_branch .LBB126_789
.LBB126_788:
	s_mov_b64 s[30:31], -1
                                        ; implicit-def: $vgpr2
.LBB126_789:
	s_mov_b64 s[38:39], 0
.LBB126_790:
	s_and_b64 vcc, exec, s[38:39]
	s_cbranch_vccz .LBB126_806
; %bb.791:
	s_cmp_lt_i32 s40, 27
	s_cbranch_scc1 .LBB126_794
; %bb.792:
	s_cmp_gt_i32 s40, 27
	s_cbranch_scc0 .LBB126_795
; %bb.793:
	global_load_dword v2, v[0:1], off
	s_mov_b64 s[36:37], 0
	s_branch .LBB126_796
.LBB126_794:
	s_mov_b64 s[36:37], -1
                                        ; implicit-def: $vgpr2
	s_branch .LBB126_799
.LBB126_795:
	s_mov_b64 s[36:37], -1
                                        ; implicit-def: $vgpr2
.LBB126_796:
	s_andn2_b64 vcc, exec, s[36:37]
	s_cbranch_vccnz .LBB126_798
; %bb.797:
	global_load_ushort v2, v[0:1], off
.LBB126_798:
	s_mov_b64 s[36:37], 0
.LBB126_799:
	s_andn2_b64 vcc, exec, s[36:37]
	s_cbranch_vccnz .LBB126_805
; %bb.800:
	global_load_ubyte v3, v[0:1], off
	s_movk_i32 s36, 0x7f
	s_mov_b64 s[38:39], 0
	s_waitcnt vmcnt(0)
	v_cmp_lt_i16_e32 vcc, s36, v3
	s_and_saveexec_b64 s[36:37], vcc
	s_xor_b64 s[36:37], exec, s[36:37]
	s_cbranch_execz .LBB126_817
; %bb.801:
	s_movk_i32 s38, 0x80
	v_cmp_ne_u16_e32 vcc, s38, v3
	s_and_b64 s[38:39], vcc, exec
	s_andn2_saveexec_b64 s[36:37], s[36:37]
	s_cbranch_execnz .LBB126_818
.LBB126_802:
	s_or_b64 exec, exec, s[36:37]
	v_mov_b32_e32 v2, 0
	s_and_saveexec_b64 s[36:37], s[38:39]
	s_cbranch_execz .LBB126_804
.LBB126_803:
	v_lshlrev_b32_e32 v2, 24, v3
	v_and_b32_e32 v3, 0xffff, v3
	v_and_b32_e32 v4, 7, v3
	v_ffbh_u32_e32 v6, v4
	v_min_u32_e32 v6, 32, v6
	v_subrev_u32_e32 v8, 28, v6
	v_bfe_u32 v5, v3, 3, 4
	v_lshlrev_b32_e32 v3, v8, v3
	v_sub_u32_e32 v6, 29, v6
	v_and_b32_e32 v3, 7, v3
	v_cmp_eq_u32_e32 vcc, 0, v5
	v_cndmask_b32_e32 v5, v5, v6, vcc
	v_cndmask_b32_e32 v3, v4, v3, vcc
	v_mov_b32_e32 v4, 0x3b800000
	v_lshlrev_b32_e32 v3, 20, v3
	v_and_b32_e32 v2, 0x80000000, v2
	v_lshl_add_u32 v4, v5, 23, v4
	v_or3_b32 v2, v2, v4, v3
	v_trunc_f32_e32 v2, v2
	s_mov_b32 s38, 0x2f800000
	v_mul_f32_e64 v3, |v2|, s38
	v_floor_f32_e32 v3, v3
	s_mov_b32 s38, 0xcf800000
	v_fma_f32 v3, v3, s38, |v2|
	v_cvt_u32_f32_e32 v3, v3
	v_ashrrev_i32_e32 v2, 31, v2
	v_xor_b32_e32 v3, v3, v2
	v_sub_u32_e32 v2, v3, v2
.LBB126_804:
	s_or_b64 exec, exec, s[36:37]
.LBB126_805:
	s_mov_b64 s[36:37], -1
.LBB126_806:
	s_mov_b64 s[38:39], 0
.LBB126_807:
	s_and_b64 vcc, exec, s[38:39]
	s_cbranch_vccz .LBB126_838
; %bb.808:
	s_cmp_gt_i32 s40, 22
	s_cbranch_scc0 .LBB126_816
; %bb.809:
	s_cmp_lt_i32 s40, 24
	s_cbranch_scc1 .LBB126_819
; %bb.810:
	s_cmp_gt_i32 s40, 24
	s_cbranch_scc0 .LBB126_820
; %bb.811:
	global_load_ubyte v3, v[0:1], off
	s_movk_i32 s34, 0x7f
	s_mov_b64 s[36:37], 0
	s_waitcnt vmcnt(0)
	v_cmp_lt_i16_e32 vcc, s34, v3
	s_and_saveexec_b64 s[34:35], vcc
	s_xor_b64 s[34:35], exec, s[34:35]
	s_cbranch_execz .LBB126_832
; %bb.812:
	s_movk_i32 s36, 0x80
	v_cmp_ne_u16_e32 vcc, s36, v3
	s_and_b64 s[36:37], vcc, exec
	s_andn2_saveexec_b64 s[34:35], s[34:35]
	s_cbranch_execnz .LBB126_833
.LBB126_813:
	s_or_b64 exec, exec, s[34:35]
	v_mov_b32_e32 v2, 0
	s_and_saveexec_b64 s[34:35], s[36:37]
	s_cbranch_execz .LBB126_815
.LBB126_814:
	v_lshlrev_b32_e32 v2, 24, v3
	v_and_b32_e32 v3, 0xffff, v3
	v_and_b32_e32 v4, 3, v3
	v_ffbh_u32_e32 v6, v4
	v_min_u32_e32 v6, 32, v6
	v_subrev_u32_e32 v8, 29, v6
	v_bfe_u32 v5, v3, 2, 5
	v_lshlrev_b32_e32 v3, v8, v3
	v_sub_u32_e32 v6, 30, v6
	v_and_b32_e32 v3, 3, v3
	v_cmp_eq_u32_e32 vcc, 0, v5
	v_cndmask_b32_e32 v5, v5, v6, vcc
	v_cndmask_b32_e32 v3, v4, v3, vcc
	v_mov_b32_e32 v4, 0x37800000
	v_lshlrev_b32_e32 v3, 21, v3
	v_and_b32_e32 v2, 0x80000000, v2
	v_lshl_add_u32 v4, v5, 23, v4
	v_or3_b32 v2, v2, v4, v3
	v_trunc_f32_e32 v2, v2
	s_mov_b32 s36, 0x2f800000
	v_mul_f32_e64 v3, |v2|, s36
	v_floor_f32_e32 v3, v3
	s_mov_b32 s36, 0xcf800000
	v_fma_f32 v3, v3, s36, |v2|
	v_cvt_u32_f32_e32 v3, v3
	v_ashrrev_i32_e32 v2, 31, v2
	v_xor_b32_e32 v3, v3, v2
	v_sub_u32_e32 v2, v3, v2
.LBB126_815:
	s_or_b64 exec, exec, s[34:35]
	s_mov_b64 s[34:35], 0
	s_branch .LBB126_821
.LBB126_816:
	s_mov_b64 s[34:35], -1
                                        ; implicit-def: $vgpr2
	s_branch .LBB126_827
.LBB126_817:
	s_andn2_saveexec_b64 s[36:37], s[36:37]
	s_cbranch_execz .LBB126_802
.LBB126_818:
	v_cmp_ne_u16_e32 vcc, 0, v3
	s_andn2_b64 s[38:39], s[38:39], exec
	s_and_b64 s[46:47], vcc, exec
	s_or_b64 s[38:39], s[38:39], s[46:47]
	s_or_b64 exec, exec, s[36:37]
	v_mov_b32_e32 v2, 0
	s_and_saveexec_b64 s[36:37], s[38:39]
	s_cbranch_execnz .LBB126_803
	s_branch .LBB126_804
.LBB126_819:
	s_mov_b64 s[34:35], -1
                                        ; implicit-def: $vgpr2
	s_branch .LBB126_824
.LBB126_820:
	s_mov_b64 s[34:35], -1
                                        ; implicit-def: $vgpr2
.LBB126_821:
	s_and_b64 vcc, exec, s[34:35]
	s_cbranch_vccz .LBB126_823
; %bb.822:
	global_load_ubyte v2, v[0:1], off
	s_mov_b32 s34, 0x7f800000
	s_brev_b32 s35, 1
	s_mov_b32 s36, 0x2f800000
	s_waitcnt vmcnt(0)
	v_lshlrev_b32_e32 v2, 24, v2
	v_and_b32_e32 v3, 0x7f000000, v2
	v_ffbh_u32_e32 v4, v3
	v_min_u32_e32 v4, 32, v4
	v_sub_u32_e64 v4, v4, 4 clamp
	v_lshlrev_b32_e32 v6, v4, v3
	v_lshlrev_b32_e32 v4, 23, v4
	v_lshrrev_b32_e32 v6, 4, v6
	v_add_u32_e32 v5, 0x1000000, v3
	v_sub_u32_e32 v4, v6, v4
	v_ashrrev_i32_e32 v5, 8, v5
	v_add_u32_e32 v4, 0x3c000000, v4
	v_and_or_b32 v4, v5, s34, v4
	v_cmp_ne_u32_e32 vcc, 0, v3
	v_cndmask_b32_e32 v3, 0, v4, vcc
	v_and_or_b32 v2, v2, s35, v3
	v_trunc_f32_e32 v2, v2
	v_mul_f32_e64 v3, |v2|, s36
	v_floor_f32_e32 v3, v3
	s_mov_b32 s34, 0xcf800000
	v_fma_f32 v3, v3, s34, |v2|
	v_cvt_u32_f32_e32 v3, v3
	v_ashrrev_i32_e32 v2, 31, v2
	v_xor_b32_e32 v3, v3, v2
	v_sub_u32_e32 v2, v3, v2
.LBB126_823:
	s_mov_b64 s[34:35], 0
.LBB126_824:
	s_andn2_b64 vcc, exec, s[34:35]
	s_cbranch_vccnz .LBB126_826
; %bb.825:
	global_load_ubyte v2, v[0:1], off
	s_movk_i32 s34, 0x7f00
	s_brev_b32 s35, 16
	s_brev_b32 s36, 1
	s_mov_b32 s37, 0x2f800000
	s_waitcnt vmcnt(0)
	v_lshlrev_b16_e32 v3, 8, v2
	v_lshlrev_b32_e32 v2, 25, v2
	v_lshrrev_b32_e32 v4, 4, v2
	v_and_or_b32 v5, v3, s34, 0.5
	v_or_b32_e32 v4, 0x70000000, v4
	v_add_f32_e32 v5, -0.5, v5
	v_mul_f32_e32 v4, 0x7800000, v4
	v_cmp_gt_u32_e32 vcc, s35, v2
	v_bfe_i32 v3, v3, 0, 16
	v_cndmask_b32_e32 v2, v4, v5, vcc
	v_and_or_b32 v2, v3, s36, v2
	v_trunc_f32_e32 v2, v2
	v_mul_f32_e64 v3, |v2|, s37
	v_floor_f32_e32 v3, v3
	s_mov_b32 s34, 0xcf800000
	v_fma_f32 v3, v3, s34, |v2|
	v_cvt_u32_f32_e32 v3, v3
	v_ashrrev_i32_e32 v2, 31, v2
	v_xor_b32_e32 v3, v3, v2
	v_sub_u32_e32 v2, v3, v2
.LBB126_826:
	s_mov_b64 s[34:35], 0
	s_mov_b64 s[36:37], -1
.LBB126_827:
	s_andn2_b64 vcc, exec, s[34:35]
	s_mov_b64 s[34:35], 0
	s_cbranch_vccnz .LBB126_838
; %bb.828:
	s_cmp_gt_i32 s40, 14
	s_cbranch_scc0 .LBB126_831
; %bb.829:
	s_cmp_eq_u32 s40, 15
	s_cbranch_scc0 .LBB126_834
; %bb.830:
	global_load_ushort v2, v[0:1], off
	s_mov_b32 s30, 0x2f800000
	s_mov_b32 s31, 0xcf800000
	s_mov_b64 s[36:37], -1
	s_waitcnt vmcnt(0)
	v_lshlrev_b32_e32 v2, 16, v2
	v_trunc_f32_e32 v2, v2
	v_mul_f32_e64 v3, |v2|, s30
	v_floor_f32_e32 v3, v3
	v_fma_f32 v3, v3, s31, |v2|
	v_cvt_u32_f32_e32 v3, v3
	v_ashrrev_i32_e32 v2, 31, v2
	s_mov_b64 s[30:31], 0
	v_xor_b32_e32 v3, v3, v2
	v_sub_u32_e32 v2, v3, v2
	s_branch .LBB126_835
.LBB126_831:
	s_mov_b64 s[38:39], -1
                                        ; implicit-def: $vgpr2
	s_branch .LBB126_836
.LBB126_832:
	s_andn2_saveexec_b64 s[34:35], s[34:35]
	s_cbranch_execz .LBB126_813
.LBB126_833:
	v_cmp_ne_u16_e32 vcc, 0, v3
	s_andn2_b64 s[36:37], s[36:37], exec
	s_and_b64 s[38:39], vcc, exec
	s_or_b64 s[36:37], s[36:37], s[38:39]
	s_or_b64 exec, exec, s[34:35]
	v_mov_b32_e32 v2, 0
	s_and_saveexec_b64 s[34:35], s[36:37]
	s_cbranch_execnz .LBB126_814
	s_branch .LBB126_815
.LBB126_834:
	s_mov_b64 s[30:31], -1
                                        ; implicit-def: $vgpr2
.LBB126_835:
	s_mov_b64 s[38:39], 0
.LBB126_836:
	s_and_b64 vcc, exec, s[38:39]
	s_cbranch_vccz .LBB126_838
; %bb.837:
	s_cmp_lg_u32 s40, 11
	s_cselect_b64 s[38:39], -1, 0
	s_andn2_b64 s[30:31], s[30:31], exec
	s_and_b64 s[38:39], s[38:39], exec
	s_mov_b64 s[34:35], -1
	s_or_b64 s[30:31], s[30:31], s[38:39]
.LBB126_838:
	s_mov_b64 s[38:39], 0
.LBB126_839:
	s_and_b64 s[40:41], s[38:39], exec
	s_andn2_b64 s[38:39], s[0:1], exec
	s_and_b64 s[30:31], s[30:31], exec
	s_and_b64 s[36:37], s[36:37], exec
	;; [unrolled: 1-line block ×3, first 2 shown]
	s_or_b64 s[38:39], s[38:39], s[30:31]
.LBB126_840:
	s_or_b64 exec, exec, s[26:27]
	s_and_b64 s[30:31], s[34:35], exec
	s_andn2_b64 s[0:1], s[0:1], exec
	s_and_b64 s[34:35], s[38:39], exec
	s_and_b64 s[36:37], s[36:37], exec
	;; [unrolled: 1-line block ×3, first 2 shown]
	s_or_b64 s[0:1], s[0:1], s[34:35]
.LBB126_841:
	s_or_b64 exec, exec, s[24:25]
	s_andn2_b64 s[20:21], s[20:21], exec
	s_and_b64 s[24:25], s[28:29], exec
	s_andn2_b64 s[18:19], s[18:19], exec
	s_and_b64 s[0:1], s[0:1], exec
	s_or_b64 s[20:21], s[20:21], s[24:25]
	s_and_b64 s[28:29], s[36:37], exec
	s_and_b64 s[26:27], s[26:27], exec
	;; [unrolled: 1-line block ×3, first 2 shown]
	s_or_b64 s[18:19], s[18:19], s[0:1]
.LBB126_842:
	s_or_b64 exec, exec, s[22:23]
	s_andn2_b64 s[0:1], s[6:7], exec
	s_and_b64 s[6:7], s[20:21], exec
	s_andn2_b64 s[14:15], s[14:15], exec
	s_and_b64 s[18:19], s[18:19], exec
	s_or_b64 s[6:7], s[0:1], s[6:7]
	s_and_b64 s[0:1], s[28:29], exec
	s_and_b64 s[22:23], s[26:27], exec
	;; [unrolled: 1-line block ×3, first 2 shown]
	s_or_b64 s[14:15], s[14:15], s[18:19]
	s_or_b64 exec, exec, s[16:17]
	s_mov_b64 s[16:17], 0
	s_and_saveexec_b64 s[18:19], s[14:15]
	s_cbranch_execz .LBB126_258
.LBB126_843:
	s_mov_b64 s[16:17], exec
	s_andn2_b64 s[20:21], s[20:21], exec
	s_trap 2
	s_or_b64 exec, exec, s[18:19]
	s_and_saveexec_b64 s[14:15], s[20:21]
	s_xor_b64 s[14:15], exec, s[14:15]
	s_cbranch_execnz .LBB126_259
.LBB126_844:
	s_or_b64 exec, exec, s[14:15]
	s_and_saveexec_b64 s[14:15], s[22:23]
	s_cbranch_execz .LBB126_890
.LBB126_845:
	s_sext_i32_i16 s18, s44
	s_cmp_lt_i32 s18, 5
	s_cbranch_scc1 .LBB126_850
; %bb.846:
	s_cmp_lt_i32 s18, 8
	s_cbranch_scc1 .LBB126_851
; %bb.847:
	;; [unrolled: 3-line block ×3, first 2 shown]
	s_cmp_gt_i32 s18, 9
	s_cbranch_scc0 .LBB126_853
; %bb.849:
	global_load_dwordx2 v[2:3], v[0:1], off
	s_movk_i32 s18, 0xffe0
	s_waitcnt vmcnt(0)
	v_trunc_f64_e32 v[2:3], v[2:3]
	v_ldexp_f64 v[4:5], v[2:3], s18
	s_mov_b32 s18, 0
	s_mov_b32 s19, 0xc1f00000
	v_floor_f64_e32 v[4:5], v[4:5]
	v_fma_f64 v[2:3], v[4:5], s[18:19], v[2:3]
	s_mov_b64 s[18:19], 0
	v_cvt_u32_f64_e32 v2, v[2:3]
	s_branch .LBB126_854
.LBB126_850:
                                        ; implicit-def: $vgpr2
	s_branch .LBB126_871
.LBB126_851:
                                        ; implicit-def: $vgpr2
	s_branch .LBB126_860
.LBB126_852:
	s_mov_b64 s[18:19], -1
                                        ; implicit-def: $vgpr2
	s_branch .LBB126_857
.LBB126_853:
	s_mov_b64 s[18:19], -1
                                        ; implicit-def: $vgpr2
.LBB126_854:
	s_andn2_b64 vcc, exec, s[18:19]
	s_cbranch_vccnz .LBB126_856
; %bb.855:
	global_load_dword v2, v[0:1], off
	s_mov_b32 s18, 0x2f800000
	s_waitcnt vmcnt(0)
	v_trunc_f32_e32 v2, v2
	v_mul_f32_e64 v3, |v2|, s18
	v_floor_f32_e32 v3, v3
	s_mov_b32 s18, 0xcf800000
	v_fma_f32 v3, v3, s18, |v2|
	v_cvt_u32_f32_e32 v3, v3
	v_ashrrev_i32_e32 v2, 31, v2
	v_xor_b32_e32 v3, v3, v2
	v_sub_u32_e32 v2, v3, v2
.LBB126_856:
	s_mov_b64 s[18:19], 0
.LBB126_857:
	s_andn2_b64 vcc, exec, s[18:19]
	s_cbranch_vccnz .LBB126_859
; %bb.858:
	global_load_dword v2, v[0:1], off
	s_waitcnt vmcnt(0)
	v_cvt_f32_f16_e32 v2, v2
	v_cvt_i32_f32_e32 v2, v2
.LBB126_859:
	s_cbranch_execnz .LBB126_870
.LBB126_860:
	s_sext_i32_i16 s18, s44
	s_cmp_lt_i32 s18, 6
	s_cbranch_scc1 .LBB126_863
; %bb.861:
	s_cmp_gt_i32 s18, 6
	s_cbranch_scc0 .LBB126_864
; %bb.862:
	global_load_dwordx2 v[2:3], v[0:1], off
	s_movk_i32 s18, 0xffe0
	s_waitcnt vmcnt(0)
	v_trunc_f64_e32 v[2:3], v[2:3]
	v_ldexp_f64 v[4:5], v[2:3], s18
	s_mov_b32 s18, 0
	s_mov_b32 s19, 0xc1f00000
	v_floor_f64_e32 v[4:5], v[4:5]
	v_fma_f64 v[2:3], v[4:5], s[18:19], v[2:3]
	s_mov_b64 s[18:19], 0
	v_cvt_u32_f64_e32 v2, v[2:3]
	s_branch .LBB126_865
.LBB126_863:
	s_mov_b64 s[18:19], -1
                                        ; implicit-def: $vgpr2
	s_branch .LBB126_868
.LBB126_864:
	s_mov_b64 s[18:19], -1
                                        ; implicit-def: $vgpr2
.LBB126_865:
	s_andn2_b64 vcc, exec, s[18:19]
	s_cbranch_vccnz .LBB126_867
; %bb.866:
	global_load_dword v2, v[0:1], off
	s_mov_b32 s18, 0x2f800000
	s_waitcnt vmcnt(0)
	v_trunc_f32_e32 v2, v2
	v_mul_f32_e64 v3, |v2|, s18
	v_floor_f32_e32 v3, v3
	s_mov_b32 s18, 0xcf800000
	v_fma_f32 v3, v3, s18, |v2|
	v_cvt_u32_f32_e32 v3, v3
	v_ashrrev_i32_e32 v2, 31, v2
	v_xor_b32_e32 v3, v3, v2
	v_sub_u32_e32 v2, v3, v2
.LBB126_867:
	s_mov_b64 s[18:19], 0
.LBB126_868:
	s_andn2_b64 vcc, exec, s[18:19]
	s_cbranch_vccnz .LBB126_870
; %bb.869:
	global_load_ushort v2, v[0:1], off
	s_waitcnt vmcnt(0)
	v_cvt_f32_f16_e32 v2, v2
	v_cvt_i32_f32_e32 v2, v2
.LBB126_870:
	s_cbranch_execnz .LBB126_889
.LBB126_871:
	s_sext_i32_i16 s18, s44
	s_cmp_lt_i32 s18, 2
	s_cbranch_scc1 .LBB126_875
; %bb.872:
	s_cmp_lt_i32 s18, 3
	s_cbranch_scc1 .LBB126_876
; %bb.873:
	s_cmp_gt_i32 s18, 3
	s_cbranch_scc0 .LBB126_877
; %bb.874:
	global_load_dwordx2 v[2:3], v[0:1], off
	s_mov_b64 s[18:19], 0
	s_branch .LBB126_878
.LBB126_875:
                                        ; implicit-def: $vgpr2
	s_branch .LBB126_884
.LBB126_876:
	s_mov_b64 s[18:19], -1
                                        ; implicit-def: $vgpr2
	s_branch .LBB126_881
.LBB126_877:
	s_mov_b64 s[18:19], -1
                                        ; implicit-def: $vgpr2
.LBB126_878:
	s_andn2_b64 vcc, exec, s[18:19]
	s_cbranch_vccnz .LBB126_880
; %bb.879:
	global_load_dword v2, v[0:1], off
.LBB126_880:
	s_mov_b64 s[18:19], 0
.LBB126_881:
	s_andn2_b64 vcc, exec, s[18:19]
	s_cbranch_vccnz .LBB126_883
; %bb.882:
	global_load_ushort v2, v[0:1], off
.LBB126_883:
	s_cbranch_execnz .LBB126_889
.LBB126_884:
	s_sext_i32_i16 s18, s44
	s_cmp_gt_i32 s18, 0
	s_cbranch_scc0 .LBB126_886
; %bb.885:
	global_load_ubyte v2, v[0:1], off
	s_mov_b64 s[18:19], 0
	s_branch .LBB126_887
.LBB126_886:
	s_mov_b64 s[18:19], -1
                                        ; implicit-def: $vgpr2
.LBB126_887:
	s_andn2_b64 vcc, exec, s[18:19]
	s_cbranch_vccnz .LBB126_889
; %bb.888:
	global_load_ubyte v2, v[0:1], off
.LBB126_889:
	s_or_b64 s[0:1], s[0:1], exec
.LBB126_890:
	s_or_b64 exec, exec, s[14:15]
	s_mov_b64 s[20:21], 0
	s_mov_b64 s[18:19], 0
                                        ; implicit-def: $sgpr26
                                        ; implicit-def: $vgpr0_vgpr1
                                        ; implicit-def: $vgpr3
	s_and_saveexec_b64 s[14:15], s[0:1]
	s_cbranch_execz .LBB126_965
; %bb.891:
	v_mul_lo_u32 v1, v7, s2
	s_and_b32 s0, s42, 0xff
	s_waitcnt vmcnt(0)
	v_mov_b32_e32 v3, 8
	v_lshrrev_b16_sdwa v0, v2, s0 dst_sel:DWORD dst_unused:UNUSED_PAD src0_sel:BYTE_0 src1_sel:DWORD
	v_cmp_lt_u16_sdwa vcc, v2, v3 src0_sel:BYTE_0 src1_sel:DWORD
	v_cndmask_b32_e32 v3, 0, v0, vcc
	v_ashrrev_i32_e32 v2, 31, v1
	v_mov_b32_e32 v4, s9
	s_and_b32 s26, s33, 0xff
	v_add_co_u32_e32 v0, vcc, s8, v1
	s_cmp_lt_i32 s26, 11
	v_addc_co_u32_e32 v1, vcc, v4, v2, vcc
	s_cbranch_scc1 .LBB126_968
; %bb.892:
	s_and_b32 s27, 0xffff, s26
	s_mov_b64 s[20:21], -1
	s_cmp_gt_i32 s27, 25
	s_mov_b64 s[0:1], s[6:7]
	s_cbranch_scc0 .LBB126_925
; %bb.893:
	s_mov_b64 s[18:19], -1
	s_cmp_gt_i32 s27, 28
	s_mov_b64 s[0:1], s[6:7]
	s_cbranch_scc0 .LBB126_909
; %bb.894:
	s_cmp_gt_i32 s27, 43
	s_mov_b64 s[0:1], s[6:7]
	s_cbranch_scc0 .LBB126_905
; %bb.895:
	;; [unrolled: 4-line block ×3, first 2 shown]
	s_cmp_eq_u32 s27, 46
	s_mov_b64 s[0:1], -1
	s_cbranch_scc0 .LBB126_898
; %bb.897:
	v_cvt_f32_ubyte0_e32 v2, v3
	v_bfe_u32 v4, v2, 16, 1
	s_movk_i32 s0, 0x7fff
	v_add3_u32 v2, v2, v4, s0
	v_lshrrev_b32_e32 v2, 16, v2
	global_store_dword v[0:1], v2, off
	s_mov_b64 s[0:1], 0
.LBB126_898:
	s_mov_b64 s[18:19], 0
.LBB126_899:
	s_and_b64 vcc, exec, s[18:19]
	s_cbranch_vccz .LBB126_904
; %bb.900:
	s_cmp_eq_u32 s27, 44
	s_mov_b64 s[0:1], -1
	s_cbranch_scc0 .LBB126_904
; %bb.901:
	v_cvt_f32_ubyte0_e32 v4, v3
	v_lshrrev_b32_e32 v2, 23, v4
	s_movk_i32 s0, 0xff
	v_cmp_ne_u32_e32 vcc, s0, v2
	v_mov_b32_e32 v5, 0xff
	s_and_saveexec_b64 s[18:19], vcc
; %bb.902:
	s_mov_b32 s0, 0x3fffff
	v_and_b32_e32 v5, 0x400000, v4
	v_and_or_b32 v4, v4, s0, v2
	v_cmp_ne_u32_e32 vcc, 0, v5
	v_cmp_ne_u32_e64 s[0:1], 0, v4
	s_and_b64 s[0:1], vcc, s[0:1]
	v_cndmask_b32_e64 v4, 0, 1, s[0:1]
	v_add_u32_e32 v5, v2, v4
; %bb.903:
	s_or_b64 exec, exec, s[18:19]
	s_mov_b64 s[0:1], 0
	global_store_byte v[0:1], v5, off
.LBB126_904:
	s_mov_b64 s[18:19], 0
.LBB126_905:
	s_and_b64 vcc, exec, s[18:19]
	s_cbranch_vccz .LBB126_908
; %bb.906:
	s_cmp_eq_u32 s27, 29
	s_mov_b64 s[0:1], -1
	s_cbranch_scc0 .LBB126_908
; %bb.907:
	s_mov_b32 s0, 0
	v_and_b32_e32 v4, 0xffff, v3
	v_mov_b32_e32 v5, s0
	global_store_dwordx2 v[0:1], v[4:5], off
	s_mov_b64 s[0:1], 0
.LBB126_908:
	s_mov_b64 s[18:19], 0
.LBB126_909:
	s_and_b64 vcc, exec, s[18:19]
	s_cbranch_vccz .LBB126_924
; %bb.910:
	s_cmp_lt_i32 s27, 27
	s_mov_b64 s[18:19], -1
	s_cbranch_scc1 .LBB126_916
; %bb.911:
	s_cmp_gt_i32 s27, 27
	s_cbranch_scc0 .LBB126_913
; %bb.912:
	v_and_b32_e32 v2, 0xffff, v3
	s_mov_b64 s[18:19], 0
	global_store_dword v[0:1], v2, off
.LBB126_913:
	s_andn2_b64 vcc, exec, s[18:19]
	s_cbranch_vccnz .LBB126_915
; %bb.914:
	global_store_short v[0:1], v3, off
.LBB126_915:
	s_mov_b64 s[18:19], 0
.LBB126_916:
	s_andn2_b64 vcc, exec, s[18:19]
	s_cbranch_vccnz .LBB126_924
; %bb.917:
	v_cvt_f32_ubyte0_e32 v4, v3
	s_mov_b32 s18, 0x43800000
	v_cmp_gt_u32_e32 vcc, s18, v4
	v_mov_b32_e32 v5, 0x80
	s_and_saveexec_b64 s[18:19], vcc
	s_cbranch_execz .LBB126_923
; %bb.918:
	s_mov_b32 s20, 0x3bffffff
	v_cmp_lt_u32_e32 vcc, s20, v4
	s_mov_b64 s[20:21], 0
                                        ; implicit-def: $vgpr2
	s_and_saveexec_b64 s[22:23], vcc
	s_xor_b64 s[22:23], exec, s[22:23]
	s_cbranch_execz .LBB126_1025
; %bb.919:
	v_bfe_u32 v2, v4, 20, 1
	s_mov_b32 s24, 0x487ffff
	v_add3_u32 v2, v4, v2, s24
	s_mov_b64 s[20:21], exec
	v_lshrrev_b32_e32 v2, 20, v2
                                        ; implicit-def: $vgpr4
	s_andn2_saveexec_b64 s[22:23], s[22:23]
	s_cbranch_execnz .LBB126_1026
.LBB126_920:
	s_or_b64 exec, exec, s[22:23]
	v_mov_b32_e32 v5, 0
	s_and_saveexec_b64 s[22:23], s[20:21]
.LBB126_921:
	v_mov_b32_e32 v5, v2
.LBB126_922:
	s_or_b64 exec, exec, s[22:23]
.LBB126_923:
	s_or_b64 exec, exec, s[18:19]
	global_store_byte v[0:1], v5, off
.LBB126_924:
	s_mov_b64 s[20:21], 0
.LBB126_925:
	s_mov_b64 s[18:19], 0
	s_and_b64 vcc, exec, s[20:21]
	s_cbranch_vccz .LBB126_969
; %bb.926:
	s_cmp_gt_i32 s27, 22
	s_mov_b64 s[20:21], -1
	s_cbranch_scc0 .LBB126_958
; %bb.927:
	s_cmp_lt_i32 s27, 24
	s_cbranch_scc1 .LBB126_947
; %bb.928:
	s_cmp_gt_i32 s27, 24
	s_cbranch_scc0 .LBB126_936
; %bb.929:
	v_cvt_f32_ubyte0_e32 v4, v3
	s_mov_b32 s20, 0x47800000
	v_cmp_gt_u32_e32 vcc, s20, v4
	v_mov_b32_e32 v5, 0x80
	s_and_saveexec_b64 s[20:21], vcc
	s_cbranch_execz .LBB126_935
; %bb.930:
	s_mov_b32 s22, 0x37ffffff
	v_cmp_lt_u32_e32 vcc, s22, v4
	s_mov_b64 s[22:23], 0
                                        ; implicit-def: $vgpr2
	s_and_saveexec_b64 s[24:25], vcc
	s_xor_b64 s[24:25], exec, s[24:25]
	s_cbranch_execz .LBB126_1145
; %bb.931:
	v_bfe_u32 v2, v4, 21, 1
	s_mov_b32 s28, 0x88fffff
	v_add3_u32 v2, v4, v2, s28
	s_mov_b64 s[22:23], exec
	v_lshrrev_b32_e32 v2, 21, v2
                                        ; implicit-def: $vgpr4
	s_andn2_saveexec_b64 s[24:25], s[24:25]
	s_cbranch_execnz .LBB126_1146
.LBB126_932:
	s_or_b64 exec, exec, s[24:25]
	v_mov_b32_e32 v5, 0
	s_and_saveexec_b64 s[24:25], s[22:23]
.LBB126_933:
	v_mov_b32_e32 v5, v2
.LBB126_934:
	s_or_b64 exec, exec, s[24:25]
.LBB126_935:
	s_or_b64 exec, exec, s[20:21]
	s_mov_b64 s[20:21], 0
	global_store_byte v[0:1], v5, off
.LBB126_936:
	s_and_b64 vcc, exec, s[20:21]
	s_cbranch_vccz .LBB126_946
; %bb.937:
	v_cvt_f32_ubyte0_e32 v2, v3
	s_mov_b32 s20, 0x43f00000
	v_cmp_gt_u32_e32 vcc, s20, v2
                                        ; implicit-def: $vgpr4
	s_and_saveexec_b64 s[20:21], vcc
	s_xor_b64 s[20:21], exec, s[20:21]
	s_cbranch_execz .LBB126_943
; %bb.938:
	s_mov_b32 s22, 0x3c7fffff
	v_cmp_lt_u32_e32 vcc, s22, v2
                                        ; implicit-def: $vgpr4
	s_and_saveexec_b64 s[22:23], vcc
	s_xor_b64 s[22:23], exec, s[22:23]
; %bb.939:
	v_bfe_u32 v4, v2, 20, 1
	s_mov_b32 s24, 0x407ffff
	v_add3_u32 v2, v2, v4, s24
	v_lshrrev_b32_e32 v4, 20, v2
	v_and_b32_e32 v2, 0xff00000, v2
	s_mov_b32 s24, 0x7f00000
	v_mov_b32_e32 v5, 0x7e
	v_cmp_ne_u32_e32 vcc, s24, v2
	v_cndmask_b32_e32 v4, v5, v4, vcc
                                        ; implicit-def: $vgpr2
; %bb.940:
	s_andn2_saveexec_b64 s[22:23], s[22:23]
; %bb.941:
	v_add_f32_e32 v4, 0x46800000, v2
; %bb.942:
	s_or_b64 exec, exec, s[22:23]
                                        ; implicit-def: $vgpr2
.LBB126_943:
	s_andn2_saveexec_b64 s[20:21], s[20:21]
; %bb.944:
	s_mov_b32 s22, 0x7f800000
	v_mov_b32_e32 v4, 0x7e
	v_mov_b32_e32 v5, 0x7f
	v_cmp_lt_u32_e32 vcc, s22, v2
	v_cndmask_b32_e32 v4, v4, v5, vcc
; %bb.945:
	s_or_b64 exec, exec, s[20:21]
	global_store_byte v[0:1], v4, off
.LBB126_946:
	s_mov_b64 s[20:21], 0
.LBB126_947:
	s_andn2_b64 vcc, exec, s[20:21]
	s_cbranch_vccnz .LBB126_957
; %bb.948:
	v_cvt_f32_ubyte0_e32 v2, v3
	s_mov_b32 s20, 0x47800000
	v_cmp_gt_u32_e32 vcc, s20, v2
                                        ; implicit-def: $vgpr4
	s_and_saveexec_b64 s[20:21], vcc
	s_xor_b64 s[20:21], exec, s[20:21]
	s_cbranch_execz .LBB126_954
; %bb.949:
	s_mov_b32 s22, 0x387fffff
	v_cmp_lt_u32_e32 vcc, s22, v2
                                        ; implicit-def: $vgpr4
	s_and_saveexec_b64 s[22:23], vcc
	s_xor_b64 s[22:23], exec, s[22:23]
; %bb.950:
	v_bfe_u32 v4, v2, 21, 1
	s_mov_b32 s24, 0x80fffff
	v_add3_u32 v2, v2, v4, s24
	v_lshrrev_b32_e32 v4, 21, v2
                                        ; implicit-def: $vgpr2
; %bb.951:
	s_andn2_saveexec_b64 s[22:23], s[22:23]
; %bb.952:
	v_add_f32_e32 v4, 0x43000000, v2
; %bb.953:
	s_or_b64 exec, exec, s[22:23]
                                        ; implicit-def: $vgpr2
.LBB126_954:
	s_andn2_saveexec_b64 s[20:21], s[20:21]
; %bb.955:
	s_mov_b32 s22, 0x7f800000
	v_mov_b32_e32 v4, 0x7c
	v_mov_b32_e32 v5, 0x7f
	v_cmp_lt_u32_e32 vcc, s22, v2
	v_cndmask_b32_e32 v4, v4, v5, vcc
; %bb.956:
	s_or_b64 exec, exec, s[20:21]
	global_store_byte v[0:1], v4, off
.LBB126_957:
	s_mov_b64 s[20:21], 0
.LBB126_958:
	s_andn2_b64 vcc, exec, s[20:21]
	s_mov_b64 s[20:21], 0
	s_cbranch_vccnz .LBB126_970
; %bb.959:
	s_cmp_gt_i32 s27, 14
	s_mov_b64 s[22:23], -1
	s_cbranch_scc0 .LBB126_963
; %bb.960:
	s_cmp_eq_u32 s27, 15
	s_mov_b64 s[0:1], -1
	s_cbranch_scc0 .LBB126_962
; %bb.961:
	v_cvt_f32_ubyte0_e32 v2, v3
	v_bfe_u32 v4, v2, 16, 1
	s_movk_i32 s0, 0x7fff
	v_add3_u32 v2, v2, v4, s0
	global_store_short_d16_hi v[0:1], v2, off
	s_mov_b64 s[0:1], 0
.LBB126_962:
	s_mov_b64 s[22:23], 0
.LBB126_963:
	s_and_b64 vcc, exec, s[22:23]
	s_cbranch_vccz .LBB126_970
; %bb.964:
	s_cmp_lg_u32 s27, 11
	s_cselect_b64 s[22:23], -1, 0
	s_andn2_b64 s[0:1], s[0:1], exec
	s_and_b64 s[22:23], s[22:23], exec
	s_mov_b64 s[20:21], -1
	s_or_b64 s[0:1], s[0:1], s[22:23]
	s_branch .LBB126_970
.LBB126_965:
	s_or_b64 exec, exec, s[14:15]
	s_and_saveexec_b64 s[0:1], s[6:7]
	s_cbranch_execnz .LBB126_971
.LBB126_966:
	s_or_b64 exec, exec, s[0:1]
	s_and_saveexec_b64 s[0:1], s[20:21]
	s_xor_b64 s[0:1], exec, s[0:1]
	s_cbranch_execz .LBB126_972
.LBB126_967:
	s_waitcnt vmcnt(0)
	v_mov_b32_e32 v2, 0
	v_cmp_ne_u16_sdwa s[6:7], v3, v2 src0_sel:BYTE_0 src1_sel:DWORD
	v_cndmask_b32_e64 v2, 0, 1, s[6:7]
	global_store_byte v[0:1], v2, off
	s_or_b64 exec, exec, s[0:1]
	s_and_saveexec_b64 s[0:1], s[18:19]
	s_xor_b64 s[0:1], exec, s[0:1]
	s_cbranch_execz .LBB126_1010
	s_branch .LBB126_973
.LBB126_968:
	s_mov_b64 s[18:19], -1
	s_mov_b64 s[0:1], s[6:7]
	s_branch .LBB126_970
.LBB126_969:
	s_mov_b64 s[20:21], 0
.LBB126_970:
	s_andn2_b64 s[6:7], s[6:7], exec
	s_and_b64 s[0:1], s[0:1], exec
	s_and_b64 s[18:19], s[18:19], exec
	;; [unrolled: 1-line block ×3, first 2 shown]
	s_or_b64 s[6:7], s[6:7], s[0:1]
	s_or_b64 exec, exec, s[14:15]
	s_and_saveexec_b64 s[0:1], s[6:7]
	s_cbranch_execz .LBB126_966
.LBB126_971:
	s_or_b64 s[16:17], s[16:17], exec
	s_andn2_b64 s[20:21], s[20:21], exec
	s_trap 2
	s_or_b64 exec, exec, s[0:1]
	s_and_saveexec_b64 s[0:1], s[20:21]
	s_xor_b64 s[0:1], exec, s[0:1]
	s_cbranch_execnz .LBB126_967
.LBB126_972:
	s_or_b64 exec, exec, s[0:1]
	s_and_saveexec_b64 s[0:1], s[18:19]
	s_xor_b64 s[0:1], exec, s[0:1]
	s_cbranch_execz .LBB126_1010
.LBB126_973:
	s_sext_i32_i16 s14, s26
	s_cmp_lt_i32 s14, 5
	s_mov_b64 s[6:7], -1
	s_cbranch_scc1 .LBB126_994
; %bb.974:
	s_cmp_lt_i32 s14, 8
	s_cbranch_scc1 .LBB126_984
; %bb.975:
	s_cmp_lt_i32 s14, 9
	s_cbranch_scc1 .LBB126_981
; %bb.976:
	s_cmp_gt_i32 s14, 9
	s_cbranch_scc0 .LBB126_978
; %bb.977:
	s_mov_b32 s6, 0xffff
	s_waitcnt vmcnt(0)
	v_and_b32_sdwa v2, s6, v3 dst_sel:DWORD dst_unused:UNUSED_PAD src0_sel:DWORD src1_sel:BYTE_0
	v_cvt_f64_u32_e32 v[4:5], v2
	v_mov_b32_e32 v6, 0
	v_mov_b32_e32 v7, v6
	s_mov_b64 s[6:7], 0
	global_store_dwordx4 v[0:1], v[4:7], off
.LBB126_978:
	s_andn2_b64 vcc, exec, s[6:7]
	s_cbranch_vccnz .LBB126_980
; %bb.979:
	s_waitcnt vmcnt(0)
	v_cvt_f32_ubyte0_e32 v4, v3
	v_mov_b32_e32 v5, 0
	global_store_dwordx2 v[0:1], v[4:5], off
.LBB126_980:
	s_mov_b64 s[6:7], 0
.LBB126_981:
	s_andn2_b64 vcc, exec, s[6:7]
	s_cbranch_vccnz .LBB126_983
; %bb.982:
	s_waitcnt vmcnt(0)
	v_cvt_f16_u16_sdwa v2, v3 dst_sel:DWORD dst_unused:UNUSED_PAD src0_sel:BYTE_0
	global_store_dword v[0:1], v2, off
.LBB126_983:
	s_mov_b64 s[6:7], 0
.LBB126_984:
	s_andn2_b64 vcc, exec, s[6:7]
	s_cbranch_vccnz .LBB126_993
; %bb.985:
	s_sext_i32_i16 s14, s26
	s_cmp_lt_i32 s14, 6
	s_mov_b64 s[6:7], -1
	s_cbranch_scc1 .LBB126_991
; %bb.986:
	s_cmp_gt_i32 s14, 6
	s_cbranch_scc0 .LBB126_988
; %bb.987:
	s_mov_b32 s6, 0xffff
	s_waitcnt vmcnt(0)
	v_and_b32_sdwa v2, s6, v3 dst_sel:DWORD dst_unused:UNUSED_PAD src0_sel:DWORD src1_sel:BYTE_0
	v_cvt_f64_u32_e32 v[4:5], v2
	s_mov_b64 s[6:7], 0
	global_store_dwordx2 v[0:1], v[4:5], off
.LBB126_988:
	s_andn2_b64 vcc, exec, s[6:7]
	s_cbranch_vccnz .LBB126_990
; %bb.989:
	s_waitcnt vmcnt(0)
	v_cvt_f32_ubyte0_e32 v2, v3
	global_store_dword v[0:1], v2, off
.LBB126_990:
	s_mov_b64 s[6:7], 0
.LBB126_991:
	s_andn2_b64 vcc, exec, s[6:7]
	s_cbranch_vccnz .LBB126_993
; %bb.992:
	s_waitcnt vmcnt(0)
	v_cvt_f16_u16_sdwa v2, v3 dst_sel:DWORD dst_unused:UNUSED_PAD src0_sel:BYTE_0
	global_store_short v[0:1], v2, off
.LBB126_993:
	s_mov_b64 s[6:7], 0
.LBB126_994:
	s_andn2_b64 vcc, exec, s[6:7]
	s_cbranch_vccnz .LBB126_1010
; %bb.995:
	s_sext_i32_i16 s14, s26
	s_cmp_lt_i32 s14, 2
	s_mov_b64 s[6:7], -1
	s_cbranch_scc1 .LBB126_1005
; %bb.996:
	s_cmp_lt_i32 s14, 3
	s_cbranch_scc1 .LBB126_1002
; %bb.997:
	s_cmp_gt_i32 s14, 3
	s_cbranch_scc0 .LBB126_999
; %bb.998:
	s_waitcnt vmcnt(0)
	v_and_b32_e32 v4, 0xff, v3
	v_mov_b32_e32 v5, 0
	s_mov_b64 s[6:7], 0
	global_store_dwordx2 v[0:1], v[4:5], off
.LBB126_999:
	s_andn2_b64 vcc, exec, s[6:7]
	s_cbranch_vccnz .LBB126_1001
; %bb.1000:
	s_waitcnt vmcnt(0)
	v_and_b32_e32 v2, 0xff, v3
	global_store_dword v[0:1], v2, off
.LBB126_1001:
	s_mov_b64 s[6:7], 0
.LBB126_1002:
	s_andn2_b64 vcc, exec, s[6:7]
	s_cbranch_vccnz .LBB126_1004
; %bb.1003:
	s_waitcnt vmcnt(0)
	v_and_b32_e32 v2, 0xff, v3
	global_store_short v[0:1], v2, off
.LBB126_1004:
	s_mov_b64 s[6:7], 0
.LBB126_1005:
	s_andn2_b64 vcc, exec, s[6:7]
	s_cbranch_vccnz .LBB126_1010
; %bb.1006:
	s_sext_i32_i16 s6, s26
	s_cmp_gt_i32 s6, 0
	s_mov_b64 s[6:7], -1
	s_cbranch_scc0 .LBB126_1008
; %bb.1007:
	s_mov_b64 s[6:7], 0
	s_waitcnt vmcnt(0)
	global_store_byte v[0:1], v3, off
.LBB126_1008:
	s_andn2_b64 vcc, exec, s[6:7]
	s_cbranch_vccnz .LBB126_1010
; %bb.1009:
	s_waitcnt vmcnt(0)
	global_store_byte v[0:1], v3, off
.LBB126_1010:
	s_or_b64 exec, exec, s[0:1]
	s_and_b64 s[6:7], s[16:17], exec
                                        ; implicit-def: $vgpr7
.LBB126_1011:
	s_or_saveexec_b64 s[4:5], s[4:5]
	s_mov_b64 s[0:1], 0
                                        ; implicit-def: $sgpr20
                                        ; implicit-def: $vgpr0_vgpr1
                                        ; implicit-def: $vgpr2
	s_xor_b64 exec, exec, s[4:5]
	s_cbranch_execz .LBB126_1942
; %bb.1012:
	v_mul_lo_u32 v4, s3, v7
	v_mov_b32_e32 v0, s11
	s_and_b32 s20, s43, 0xff
	s_cmp_lt_i32 s20, 11
	v_ashrrev_i32_e32 v1, 31, v4
	s_waitcnt vmcnt(0)
	v_add_co_u32_e32 v2, vcc, s10, v4
	v_addc_co_u32_e32 v3, vcc, v0, v1, vcc
	s_cbranch_scc1 .LBB126_1019
; %bb.1013:
	s_and_b32 s18, 0xffff, s20
	s_cmp_gt_i32 s18, 25
	s_cbranch_scc0 .LBB126_1021
; %bb.1014:
	s_cmp_gt_i32 s18, 28
	s_cbranch_scc0 .LBB126_1022
; %bb.1015:
	;; [unrolled: 3-line block ×4, first 2 shown]
	s_cmp_eq_u32 s18, 46
	s_mov_b64 s[14:15], 0
	s_cbranch_scc0 .LBB126_1027
; %bb.1018:
	global_load_dword v0, v[2:3], off
	s_mov_b32 s0, 0x2f800000
	s_mov_b32 s1, 0xcf800000
	s_mov_b64 s[16:17], -1
	s_waitcnt vmcnt(0)
	v_lshlrev_b32_e32 v0, 16, v0
	v_trunc_f32_e32 v0, v0
	v_mul_f32_e64 v1, |v0|, s0
	v_floor_f32_e32 v1, v1
	v_fma_f32 v1, v1, s1, |v0|
	v_cvt_u32_f32_e32 v1, v1
	v_ashrrev_i32_e32 v0, 31, v0
	s_mov_b64 s[0:1], 0
	v_xor_b32_e32 v1, v1, v0
	v_sub_u32_e32 v0, v1, v0
	s_branch .LBB126_1028
.LBB126_1019:
	s_mov_b64 s[16:17], 0
                                        ; implicit-def: $vgpr0
	s_mov_b64 s[14:15], s[6:7]
	s_cbranch_execnz .LBB126_1086
.LBB126_1020:
	s_andn2_b64 vcc, exec, s[16:17]
	s_cbranch_vccz .LBB126_1131
	s_branch .LBB126_1940
.LBB126_1021:
	s_mov_b64 s[16:17], 0
                                        ; implicit-def: $vgpr0
	s_cbranch_execnz .LBB126_1053
	s_branch .LBB126_1082
.LBB126_1022:
	s_mov_b64 s[16:17], 0
                                        ; implicit-def: $vgpr0
	s_cbranch_execz .LBB126_1052
	s_branch .LBB126_1037
.LBB126_1023:
	s_mov_b64 s[16:17], 0
                                        ; implicit-def: $vgpr0
	s_cbranch_execnz .LBB126_1033
	s_branch .LBB126_1036
.LBB126_1024:
	s_mov_b64 s[14:15], -1
	s_mov_b64 s[16:17], 0
                                        ; implicit-def: $vgpr0
	s_branch .LBB126_1028
.LBB126_1025:
	s_andn2_saveexec_b64 s[22:23], s[22:23]
	s_cbranch_execz .LBB126_920
.LBB126_1026:
	v_add_f32_e32 v2, 0x46000000, v4
	v_and_b32_e32 v2, 0xff, v2
	v_cmp_ne_u32_e32 vcc, 0, v2
	s_andn2_b64 s[20:21], s[20:21], exec
	s_and_b64 s[24:25], vcc, exec
	s_or_b64 s[20:21], s[20:21], s[24:25]
	s_or_b64 exec, exec, s[22:23]
	v_mov_b32_e32 v5, 0
	s_and_saveexec_b64 s[22:23], s[20:21]
	s_cbranch_execnz .LBB126_921
	s_branch .LBB126_922
.LBB126_1027:
	s_mov_b64 s[0:1], -1
                                        ; implicit-def: $vgpr0
	s_mov_b64 s[16:17], 0
.LBB126_1028:
	s_and_b64 vcc, exec, s[14:15]
	s_cbranch_vccz .LBB126_1031
; %bb.1029:
	s_cmp_eq_u32 s18, 44
	s_cbranch_scc0 .LBB126_1032
; %bb.1030:
	global_load_ubyte v0, v[2:3], off
	s_mov_b32 s0, 0x2f800000
	s_mov_b32 s1, 0xcf800000
	s_mov_b64 s[16:17], -1
	s_waitcnt vmcnt(0)
	v_lshlrev_b32_e32 v1, 23, v0
	v_trunc_f32_e32 v1, v1
	v_mul_f32_e64 v5, |v1|, s0
	v_floor_f32_e32 v5, v5
	v_fma_f32 v5, v5, s1, |v1|
	v_cvt_u32_f32_e32 v5, v5
	v_ashrrev_i32_e32 v1, 31, v1
	v_cmp_ne_u32_e32 vcc, 0, v0
	s_mov_b64 s[0:1], 0
	v_xor_b32_e32 v5, v5, v1
	v_sub_u32_e32 v1, v5, v1
	v_cndmask_b32_e32 v0, 0, v1, vcc
.LBB126_1031:
	s_branch .LBB126_1036
.LBB126_1032:
	s_mov_b64 s[0:1], -1
                                        ; implicit-def: $vgpr0
	s_branch .LBB126_1036
.LBB126_1033:
	s_cmp_eq_u32 s18, 29
	s_cbranch_scc0 .LBB126_1035
; %bb.1034:
	global_load_dwordx2 v[0:1], v[2:3], off
	s_mov_b64 s[0:1], 0
	s_mov_b64 s[16:17], -1
	s_branch .LBB126_1036
.LBB126_1035:
	s_mov_b64 s[0:1], -1
                                        ; implicit-def: $vgpr0
.LBB126_1036:
	s_branch .LBB126_1052
.LBB126_1037:
	s_cmp_lt_i32 s18, 27
	s_cbranch_scc1 .LBB126_1040
; %bb.1038:
	s_cmp_gt_i32 s18, 27
	s_cbranch_scc0 .LBB126_1041
; %bb.1039:
	global_load_dword v0, v[2:3], off
	s_mov_b64 s[14:15], 0
	s_branch .LBB126_1042
.LBB126_1040:
	s_mov_b64 s[14:15], -1
                                        ; implicit-def: $vgpr0
	s_branch .LBB126_1045
.LBB126_1041:
	s_mov_b64 s[14:15], -1
                                        ; implicit-def: $vgpr0
.LBB126_1042:
	s_andn2_b64 vcc, exec, s[14:15]
	s_cbranch_vccnz .LBB126_1044
; %bb.1043:
	global_load_ushort v0, v[2:3], off
.LBB126_1044:
	s_mov_b64 s[14:15], 0
.LBB126_1045:
	s_andn2_b64 vcc, exec, s[14:15]
	s_cbranch_vccnz .LBB126_1051
; %bb.1046:
	global_load_ubyte v1, v[2:3], off
	s_movk_i32 s14, 0x7f
	s_mov_b64 s[16:17], 0
	s_waitcnt vmcnt(0)
	v_cmp_lt_i16_e32 vcc, s14, v1
	s_and_saveexec_b64 s[14:15], vcc
	s_xor_b64 s[14:15], exec, s[14:15]
	s_cbranch_execz .LBB126_1062
; %bb.1047:
	s_movk_i32 s16, 0x80
	v_cmp_ne_u16_e32 vcc, s16, v1
	s_and_b64 s[16:17], vcc, exec
	s_andn2_saveexec_b64 s[14:15], s[14:15]
	s_cbranch_execnz .LBB126_1063
.LBB126_1048:
	s_or_b64 exec, exec, s[14:15]
	v_mov_b32_e32 v0, 0
	s_and_saveexec_b64 s[14:15], s[16:17]
	s_cbranch_execz .LBB126_1050
.LBB126_1049:
	v_lshlrev_b32_e32 v0, 24, v1
	v_and_b32_e32 v1, 0xffff, v1
	v_and_b32_e32 v5, 7, v1
	v_ffbh_u32_e32 v8, v5
	v_min_u32_e32 v8, 32, v8
	v_subrev_u32_e32 v9, 28, v8
	v_bfe_u32 v6, v1, 3, 4
	v_lshlrev_b32_e32 v1, v9, v1
	v_sub_u32_e32 v8, 29, v8
	v_and_b32_e32 v1, 7, v1
	v_cmp_eq_u32_e32 vcc, 0, v6
	v_cndmask_b32_e32 v6, v6, v8, vcc
	v_cndmask_b32_e32 v1, v5, v1, vcc
	v_mov_b32_e32 v5, 0x3b800000
	v_lshlrev_b32_e32 v1, 20, v1
	v_and_b32_e32 v0, 0x80000000, v0
	v_lshl_add_u32 v5, v6, 23, v5
	v_or3_b32 v0, v0, v5, v1
	v_trunc_f32_e32 v0, v0
	s_mov_b32 s16, 0x2f800000
	v_mul_f32_e64 v1, |v0|, s16
	v_floor_f32_e32 v1, v1
	s_mov_b32 s16, 0xcf800000
	v_fma_f32 v1, v1, s16, |v0|
	v_cvt_u32_f32_e32 v1, v1
	v_ashrrev_i32_e32 v0, 31, v0
	v_xor_b32_e32 v1, v1, v0
	v_sub_u32_e32 v0, v1, v0
.LBB126_1050:
	s_or_b64 exec, exec, s[14:15]
.LBB126_1051:
	s_mov_b64 s[16:17], -1
.LBB126_1052:
	s_branch .LBB126_1082
.LBB126_1053:
	s_cmp_gt_i32 s18, 22
	s_cbranch_scc0 .LBB126_1061
; %bb.1054:
	s_cmp_lt_i32 s18, 24
	s_cbranch_scc1 .LBB126_1064
; %bb.1055:
	s_cmp_gt_i32 s18, 24
	s_cbranch_scc0 .LBB126_1065
; %bb.1056:
	global_load_ubyte v1, v[2:3], off
	s_movk_i32 s12, 0x7f
	s_mov_b64 s[14:15], 0
	s_waitcnt vmcnt(0)
	v_cmp_lt_i16_e32 vcc, s12, v1
	s_and_saveexec_b64 s[12:13], vcc
	s_xor_b64 s[12:13], exec, s[12:13]
	s_cbranch_execz .LBB126_1076
; %bb.1057:
	s_movk_i32 s14, 0x80
	v_cmp_ne_u16_e32 vcc, s14, v1
	s_and_b64 s[14:15], vcc, exec
	s_andn2_saveexec_b64 s[12:13], s[12:13]
	s_cbranch_execnz .LBB126_1077
.LBB126_1058:
	s_or_b64 exec, exec, s[12:13]
	v_mov_b32_e32 v0, 0
	s_and_saveexec_b64 s[12:13], s[14:15]
	s_cbranch_execz .LBB126_1060
.LBB126_1059:
	v_lshlrev_b32_e32 v0, 24, v1
	v_and_b32_e32 v1, 0xffff, v1
	v_and_b32_e32 v5, 3, v1
	v_ffbh_u32_e32 v8, v5
	v_min_u32_e32 v8, 32, v8
	v_subrev_u32_e32 v9, 29, v8
	v_bfe_u32 v6, v1, 2, 5
	v_lshlrev_b32_e32 v1, v9, v1
	v_sub_u32_e32 v8, 30, v8
	v_and_b32_e32 v1, 3, v1
	v_cmp_eq_u32_e32 vcc, 0, v6
	v_cndmask_b32_e32 v6, v6, v8, vcc
	v_cndmask_b32_e32 v1, v5, v1, vcc
	v_mov_b32_e32 v5, 0x37800000
	v_lshlrev_b32_e32 v1, 21, v1
	v_and_b32_e32 v0, 0x80000000, v0
	v_lshl_add_u32 v5, v6, 23, v5
	v_or3_b32 v0, v0, v5, v1
	v_trunc_f32_e32 v0, v0
	s_mov_b32 s14, 0x2f800000
	v_mul_f32_e64 v1, |v0|, s14
	v_floor_f32_e32 v1, v1
	s_mov_b32 s14, 0xcf800000
	v_fma_f32 v1, v1, s14, |v0|
	v_cvt_u32_f32_e32 v1, v1
	v_ashrrev_i32_e32 v0, 31, v0
	v_xor_b32_e32 v1, v1, v0
	v_sub_u32_e32 v0, v1, v0
.LBB126_1060:
	s_or_b64 exec, exec, s[12:13]
	s_mov_b64 s[12:13], 0
	s_branch .LBB126_1066
.LBB126_1061:
                                        ; implicit-def: $vgpr0
	s_mov_b64 s[12:13], 0
	s_branch .LBB126_1072
.LBB126_1062:
	s_andn2_saveexec_b64 s[14:15], s[14:15]
	s_cbranch_execz .LBB126_1048
.LBB126_1063:
	v_cmp_ne_u16_e32 vcc, 0, v1
	s_andn2_b64 s[16:17], s[16:17], exec
	s_and_b64 s[22:23], vcc, exec
	s_or_b64 s[16:17], s[16:17], s[22:23]
	s_or_b64 exec, exec, s[14:15]
	v_mov_b32_e32 v0, 0
	s_and_saveexec_b64 s[14:15], s[16:17]
	s_cbranch_execnz .LBB126_1049
	s_branch .LBB126_1050
.LBB126_1064:
	s_mov_b64 s[12:13], -1
                                        ; implicit-def: $vgpr0
	s_branch .LBB126_1069
.LBB126_1065:
	s_mov_b64 s[12:13], -1
                                        ; implicit-def: $vgpr0
.LBB126_1066:
	s_and_b64 vcc, exec, s[12:13]
	s_cbranch_vccz .LBB126_1068
; %bb.1067:
	global_load_ubyte v0, v[2:3], off
	s_mov_b32 s12, 0x7f800000
	s_brev_b32 s13, 1
	s_mov_b32 s14, 0x2f800000
	s_waitcnt vmcnt(0)
	v_lshlrev_b32_e32 v0, 24, v0
	v_and_b32_e32 v1, 0x7f000000, v0
	v_ffbh_u32_e32 v5, v1
	v_min_u32_e32 v5, 32, v5
	v_sub_u32_e64 v5, v5, 4 clamp
	v_lshlrev_b32_e32 v8, v5, v1
	v_lshlrev_b32_e32 v5, 23, v5
	v_lshrrev_b32_e32 v8, 4, v8
	v_add_u32_e32 v6, 0x1000000, v1
	v_sub_u32_e32 v5, v8, v5
	v_ashrrev_i32_e32 v6, 8, v6
	v_add_u32_e32 v5, 0x3c000000, v5
	v_and_or_b32 v5, v6, s12, v5
	v_cmp_ne_u32_e32 vcc, 0, v1
	v_cndmask_b32_e32 v1, 0, v5, vcc
	v_and_or_b32 v0, v0, s13, v1
	v_trunc_f32_e32 v0, v0
	v_mul_f32_e64 v1, |v0|, s14
	v_floor_f32_e32 v1, v1
	s_mov_b32 s12, 0xcf800000
	v_fma_f32 v1, v1, s12, |v0|
	v_cvt_u32_f32_e32 v1, v1
	v_ashrrev_i32_e32 v0, 31, v0
	v_xor_b32_e32 v1, v1, v0
	v_sub_u32_e32 v0, v1, v0
.LBB126_1068:
	s_mov_b64 s[12:13], 0
.LBB126_1069:
	s_andn2_b64 vcc, exec, s[12:13]
	s_cbranch_vccnz .LBB126_1071
; %bb.1070:
	global_load_ubyte v0, v[2:3], off
	s_movk_i32 s12, 0x7f00
	s_brev_b32 s13, 16
	s_brev_b32 s14, 1
	s_mov_b32 s15, 0x2f800000
	s_waitcnt vmcnt(0)
	v_lshlrev_b16_e32 v1, 8, v0
	v_lshlrev_b32_e32 v0, 25, v0
	v_lshrrev_b32_e32 v5, 4, v0
	v_and_or_b32 v6, v1, s12, 0.5
	v_or_b32_e32 v5, 0x70000000, v5
	v_add_f32_e32 v6, -0.5, v6
	v_mul_f32_e32 v5, 0x7800000, v5
	v_cmp_gt_u32_e32 vcc, s13, v0
	v_bfe_i32 v1, v1, 0, 16
	v_cndmask_b32_e32 v0, v5, v6, vcc
	v_and_or_b32 v0, v1, s14, v0
	v_trunc_f32_e32 v0, v0
	v_mul_f32_e64 v1, |v0|, s15
	v_floor_f32_e32 v1, v1
	s_mov_b32 s12, 0xcf800000
	v_fma_f32 v1, v1, s12, |v0|
	v_cvt_u32_f32_e32 v1, v1
	v_ashrrev_i32_e32 v0, 31, v0
	v_xor_b32_e32 v1, v1, v0
	v_sub_u32_e32 v0, v1, v0
.LBB126_1071:
	s_mov_b64 s[16:17], -1
	s_mov_b64 s[12:13], 0
	s_cbranch_execnz .LBB126_1082
.LBB126_1072:
	s_cmp_gt_i32 s18, 14
	s_cbranch_scc0 .LBB126_1075
; %bb.1073:
	s_cmp_eq_u32 s18, 15
	s_cbranch_scc0 .LBB126_1078
; %bb.1074:
	global_load_ushort v0, v[2:3], off
	s_mov_b32 s0, 0x2f800000
	s_mov_b32 s1, 0xcf800000
	s_mov_b64 s[16:17], -1
	s_waitcnt vmcnt(0)
	v_lshlrev_b32_e32 v0, 16, v0
	v_trunc_f32_e32 v0, v0
	v_mul_f32_e64 v1, |v0|, s0
	v_floor_f32_e32 v1, v1
	v_fma_f32 v1, v1, s1, |v0|
	v_cvt_u32_f32_e32 v1, v1
	v_ashrrev_i32_e32 v0, 31, v0
	s_mov_b64 s[0:1], 0
	v_xor_b32_e32 v1, v1, v0
	v_sub_u32_e32 v0, v1, v0
	s_branch .LBB126_1079
.LBB126_1075:
	s_mov_b64 s[14:15], -1
                                        ; implicit-def: $vgpr0
	s_branch .LBB126_1080
.LBB126_1076:
	s_andn2_saveexec_b64 s[12:13], s[12:13]
	s_cbranch_execz .LBB126_1058
.LBB126_1077:
	v_cmp_ne_u16_e32 vcc, 0, v1
	s_andn2_b64 s[14:15], s[14:15], exec
	s_and_b64 s[16:17], vcc, exec
	s_or_b64 s[14:15], s[14:15], s[16:17]
	s_or_b64 exec, exec, s[12:13]
	v_mov_b32_e32 v0, 0
	s_and_saveexec_b64 s[12:13], s[14:15]
	s_cbranch_execnz .LBB126_1059
	s_branch .LBB126_1060
.LBB126_1078:
	s_mov_b64 s[0:1], -1
                                        ; implicit-def: $vgpr0
.LBB126_1079:
	s_mov_b64 s[14:15], 0
.LBB126_1080:
	s_and_b64 vcc, exec, s[14:15]
	s_cbranch_vccz .LBB126_1082
; %bb.1081:
	s_cmp_lg_u32 s18, 11
	s_mov_b64 s[12:13], -1
	s_cselect_b64 s[0:1], -1, 0
.LBB126_1082:
	s_and_b64 vcc, exec, s[0:1]
	s_mov_b64 s[14:15], s[6:7]
	s_cbranch_vccnz .LBB126_1143
; %bb.1083:
	s_andn2_b64 vcc, exec, s[12:13]
	s_cbranch_vccnz .LBB126_1085
.LBB126_1084:
	global_load_ubyte v0, v[2:3], off
	s_mov_b64 s[16:17], -1
	s_waitcnt vmcnt(0)
	v_cmp_ne_u16_e32 vcc, 0, v0
	v_cndmask_b32_e64 v0, 0, 1, vcc
.LBB126_1085:
	s_branch .LBB126_1020
.LBB126_1086:
	s_and_b32 s12, 0xffff, s20
	s_cmp_lt_i32 s12, 5
	s_cbranch_scc1 .LBB126_1091
; %bb.1087:
	s_cmp_lt_i32 s12, 8
	s_cbranch_scc1 .LBB126_1092
; %bb.1088:
	;; [unrolled: 3-line block ×3, first 2 shown]
	s_cmp_gt_i32 s12, 9
	s_cbranch_scc0 .LBB126_1094
; %bb.1090:
	global_load_dwordx2 v[0:1], v[2:3], off
	s_movk_i32 s0, 0xffe0
	s_waitcnt vmcnt(0)
	v_trunc_f64_e32 v[0:1], v[0:1]
	v_ldexp_f64 v[5:6], v[0:1], s0
	s_mov_b32 s0, 0
	s_mov_b32 s1, 0xc1f00000
	v_floor_f64_e32 v[5:6], v[5:6]
	v_fma_f64 v[0:1], v[5:6], s[0:1], v[0:1]
	s_mov_b64 s[0:1], 0
	v_cvt_u32_f64_e32 v0, v[0:1]
	s_branch .LBB126_1095
.LBB126_1091:
                                        ; implicit-def: $vgpr0
	s_branch .LBB126_1112
.LBB126_1092:
                                        ; implicit-def: $vgpr0
	s_branch .LBB126_1101
.LBB126_1093:
	s_mov_b64 s[0:1], -1
                                        ; implicit-def: $vgpr0
	s_branch .LBB126_1098
.LBB126_1094:
	s_mov_b64 s[0:1], -1
                                        ; implicit-def: $vgpr0
.LBB126_1095:
	s_andn2_b64 vcc, exec, s[0:1]
	s_cbranch_vccnz .LBB126_1097
; %bb.1096:
	global_load_dword v0, v[2:3], off
	s_mov_b32 s0, 0x2f800000
	s_waitcnt vmcnt(0)
	v_trunc_f32_e32 v0, v0
	v_mul_f32_e64 v1, |v0|, s0
	v_floor_f32_e32 v1, v1
	s_mov_b32 s0, 0xcf800000
	v_fma_f32 v1, v1, s0, |v0|
	v_cvt_u32_f32_e32 v1, v1
	v_ashrrev_i32_e32 v0, 31, v0
	v_xor_b32_e32 v1, v1, v0
	v_sub_u32_e32 v0, v1, v0
.LBB126_1097:
	s_mov_b64 s[0:1], 0
.LBB126_1098:
	s_andn2_b64 vcc, exec, s[0:1]
	s_cbranch_vccnz .LBB126_1100
; %bb.1099:
	global_load_dword v0, v[2:3], off
	s_waitcnt vmcnt(0)
	v_cvt_f32_f16_e32 v0, v0
	v_cvt_i32_f32_e32 v0, v0
.LBB126_1100:
	s_cbranch_execnz .LBB126_1111
.LBB126_1101:
	s_cmp_lt_i32 s12, 6
	s_cbranch_scc1 .LBB126_1104
; %bb.1102:
	s_cmp_gt_i32 s12, 6
	s_cbranch_scc0 .LBB126_1105
; %bb.1103:
	global_load_dwordx2 v[0:1], v[2:3], off
	s_movk_i32 s0, 0xffe0
	s_waitcnt vmcnt(0)
	v_trunc_f64_e32 v[0:1], v[0:1]
	v_ldexp_f64 v[5:6], v[0:1], s0
	s_mov_b32 s0, 0
	s_mov_b32 s1, 0xc1f00000
	v_floor_f64_e32 v[5:6], v[5:6]
	v_fma_f64 v[0:1], v[5:6], s[0:1], v[0:1]
	s_mov_b64 s[0:1], 0
	v_cvt_u32_f64_e32 v0, v[0:1]
	s_branch .LBB126_1106
.LBB126_1104:
	s_mov_b64 s[0:1], -1
                                        ; implicit-def: $vgpr0
	s_branch .LBB126_1109
.LBB126_1105:
	s_mov_b64 s[0:1], -1
                                        ; implicit-def: $vgpr0
.LBB126_1106:
	s_andn2_b64 vcc, exec, s[0:1]
	s_cbranch_vccnz .LBB126_1108
; %bb.1107:
	global_load_dword v0, v[2:3], off
	s_mov_b32 s0, 0x2f800000
	s_waitcnt vmcnt(0)
	v_trunc_f32_e32 v0, v0
	v_mul_f32_e64 v1, |v0|, s0
	v_floor_f32_e32 v1, v1
	s_mov_b32 s0, 0xcf800000
	v_fma_f32 v1, v1, s0, |v0|
	v_cvt_u32_f32_e32 v1, v1
	v_ashrrev_i32_e32 v0, 31, v0
	v_xor_b32_e32 v1, v1, v0
	v_sub_u32_e32 v0, v1, v0
.LBB126_1108:
	s_mov_b64 s[0:1], 0
.LBB126_1109:
	s_andn2_b64 vcc, exec, s[0:1]
	s_cbranch_vccnz .LBB126_1111
; %bb.1110:
	global_load_ushort v0, v[2:3], off
	s_waitcnt vmcnt(0)
	v_cvt_f32_f16_e32 v0, v0
	v_cvt_i32_f32_e32 v0, v0
.LBB126_1111:
	s_cbranch_execnz .LBB126_1130
.LBB126_1112:
	s_cmp_lt_i32 s12, 2
	s_cbranch_scc1 .LBB126_1116
; %bb.1113:
	s_cmp_lt_i32 s12, 3
	s_cbranch_scc1 .LBB126_1117
; %bb.1114:
	s_cmp_gt_i32 s12, 3
	s_cbranch_scc0 .LBB126_1118
; %bb.1115:
	global_load_dwordx2 v[0:1], v[2:3], off
	s_mov_b64 s[0:1], 0
	s_branch .LBB126_1119
.LBB126_1116:
                                        ; implicit-def: $vgpr0
	s_branch .LBB126_1125
.LBB126_1117:
	s_mov_b64 s[0:1], -1
                                        ; implicit-def: $vgpr0
	s_branch .LBB126_1122
.LBB126_1118:
	s_mov_b64 s[0:1], -1
                                        ; implicit-def: $vgpr0
.LBB126_1119:
	s_andn2_b64 vcc, exec, s[0:1]
	s_cbranch_vccnz .LBB126_1121
; %bb.1120:
	global_load_dword v0, v[2:3], off
.LBB126_1121:
	s_mov_b64 s[0:1], 0
.LBB126_1122:
	s_andn2_b64 vcc, exec, s[0:1]
	s_cbranch_vccnz .LBB126_1124
; %bb.1123:
	global_load_ushort v0, v[2:3], off
.LBB126_1124:
	s_cbranch_execnz .LBB126_1130
.LBB126_1125:
	s_cmp_gt_i32 s12, 0
	s_cbranch_scc0 .LBB126_1127
; %bb.1126:
	global_load_ubyte v0, v[2:3], off
	s_mov_b64 s[0:1], 0
	s_branch .LBB126_1128
.LBB126_1127:
	s_mov_b64 s[0:1], -1
                                        ; implicit-def: $vgpr0
.LBB126_1128:
	s_andn2_b64 vcc, exec, s[0:1]
	s_cbranch_vccnz .LBB126_1130
; %bb.1129:
	global_load_ubyte v0, v[2:3], off
.LBB126_1130:
.LBB126_1131:
	s_lshl_b32 s3, s3, 7
	v_add_u32_e32 v5, s3, v4
	s_waitcnt vmcnt(0)
	v_ashrrev_i32_e32 v1, 31, v5
	v_mov_b32_e32 v2, s11
	v_add_co_u32_e32 v3, vcc, s10, v5
	s_cmp_lt_i32 s20, 11
	v_addc_co_u32_e32 v4, vcc, v2, v1, vcc
	s_cbranch_scc1 .LBB126_1138
; %bb.1132:
	s_and_b32 s21, 0xffff, s20
	s_cmp_gt_i32 s21, 25
	s_mov_b64 s[12:13], 0
	s_cbranch_scc0 .LBB126_1140
; %bb.1133:
	s_cmp_gt_i32 s21, 28
	s_cbranch_scc0 .LBB126_1141
; %bb.1134:
	s_cmp_gt_i32 s21, 43
	s_cbranch_scc0 .LBB126_1142
; %bb.1135:
	s_cmp_gt_i32 s21, 45
	s_cbranch_scc0 .LBB126_1144
; %bb.1136:
	s_cmp_eq_u32 s21, 46
	s_mov_b64 s[18:19], 0
	s_cbranch_scc0 .LBB126_1147
; %bb.1137:
	global_load_dword v1, v[3:4], off
	s_mov_b32 s0, 0x2f800000
	s_mov_b32 s1, 0xcf800000
	s_mov_b64 s[16:17], -1
	s_waitcnt vmcnt(0)
	v_lshlrev_b32_e32 v1, 16, v1
	v_trunc_f32_e32 v1, v1
	v_mul_f32_e64 v2, |v1|, s0
	v_floor_f32_e32 v2, v2
	v_fma_f32 v2, v2, s1, |v1|
	v_cvt_u32_f32_e32 v2, v2
	v_ashrrev_i32_e32 v1, 31, v1
	s_mov_b64 s[0:1], 0
	v_xor_b32_e32 v2, v2, v1
	v_sub_u32_e32 v1, v2, v1
	s_branch .LBB126_1148
.LBB126_1138:
	s_mov_b64 s[16:17], 0
                                        ; implicit-def: $vgpr1
	s_cbranch_execnz .LBB126_1209
.LBB126_1139:
	s_andn2_b64 vcc, exec, s[16:17]
	s_cbranch_vccnz .LBB126_1940
	s_branch .LBB126_1256
.LBB126_1140:
	s_mov_b64 s[16:17], 0
	s_mov_b64 s[0:1], 0
                                        ; implicit-def: $vgpr1
	s_cbranch_execnz .LBB126_1175
	s_branch .LBB126_1205
.LBB126_1141:
	s_mov_b64 s[18:19], -1
	s_mov_b64 s[16:17], 0
	s_mov_b64 s[0:1], 0
                                        ; implicit-def: $vgpr1
	s_branch .LBB126_1158
.LBB126_1142:
	s_mov_b64 s[18:19], -1
	s_mov_b64 s[16:17], 0
	s_mov_b64 s[0:1], 0
                                        ; implicit-def: $vgpr1
	s_branch .LBB126_1153
.LBB126_1143:
	s_or_b64 s[14:15], s[6:7], exec
	s_trap 2
	s_cbranch_execz .LBB126_1084
	s_branch .LBB126_1085
.LBB126_1144:
	s_mov_b64 s[18:19], -1
	s_mov_b64 s[16:17], 0
	s_mov_b64 s[0:1], 0
                                        ; implicit-def: $vgpr1
	s_branch .LBB126_1148
.LBB126_1145:
	s_andn2_saveexec_b64 s[24:25], s[24:25]
	s_cbranch_execz .LBB126_932
.LBB126_1146:
	v_add_f32_e32 v2, 0x42800000, v4
	v_and_b32_e32 v2, 0xff, v2
	v_cmp_ne_u32_e32 vcc, 0, v2
	s_andn2_b64 s[22:23], s[22:23], exec
	s_and_b64 s[28:29], vcc, exec
	s_or_b64 s[22:23], s[22:23], s[28:29]
	s_or_b64 exec, exec, s[24:25]
	v_mov_b32_e32 v5, 0
	s_and_saveexec_b64 s[24:25], s[22:23]
	s_cbranch_execnz .LBB126_933
	s_branch .LBB126_934
.LBB126_1147:
	s_mov_b64 s[0:1], -1
                                        ; implicit-def: $vgpr1
	s_mov_b64 s[16:17], 0
.LBB126_1148:
	s_and_b64 vcc, exec, s[18:19]
	s_cbranch_vccz .LBB126_1152
; %bb.1149:
	s_cmp_eq_u32 s21, 44
	s_cbranch_scc0 .LBB126_1151
; %bb.1150:
	global_load_ubyte v1, v[3:4], off
	s_mov_b32 s0, 0x2f800000
	s_mov_b32 s1, 0xcf800000
	s_mov_b64 s[16:17], -1
	s_waitcnt vmcnt(0)
	v_lshlrev_b32_e32 v2, 23, v1
	v_trunc_f32_e32 v2, v2
	v_mul_f32_e64 v6, |v2|, s0
	v_floor_f32_e32 v6, v6
	v_fma_f32 v6, v6, s1, |v2|
	v_cvt_u32_f32_e32 v6, v6
	v_ashrrev_i32_e32 v2, 31, v2
	v_cmp_ne_u32_e32 vcc, 0, v1
	s_mov_b64 s[0:1], 0
	v_xor_b32_e32 v6, v6, v2
	v_sub_u32_e32 v2, v6, v2
	v_cndmask_b32_e32 v1, 0, v2, vcc
	s_branch .LBB126_1152
.LBB126_1151:
	s_mov_b64 s[0:1], -1
                                        ; implicit-def: $vgpr1
.LBB126_1152:
	s_mov_b64 s[18:19], 0
.LBB126_1153:
	s_and_b64 vcc, exec, s[18:19]
	s_cbranch_vccz .LBB126_1157
; %bb.1154:
	s_cmp_eq_u32 s21, 29
	s_cbranch_scc0 .LBB126_1156
; %bb.1155:
	global_load_dwordx2 v[1:2], v[3:4], off
	s_mov_b64 s[0:1], 0
	s_mov_b64 s[16:17], -1
	s_branch .LBB126_1157
.LBB126_1156:
	s_mov_b64 s[0:1], -1
                                        ; implicit-def: $vgpr1
.LBB126_1157:
	s_mov_b64 s[18:19], 0
.LBB126_1158:
	s_and_b64 vcc, exec, s[18:19]
	s_cbranch_vccz .LBB126_1174
; %bb.1159:
	s_cmp_lt_i32 s21, 27
	s_cbranch_scc1 .LBB126_1162
; %bb.1160:
	s_cmp_gt_i32 s21, 27
	s_cbranch_scc0 .LBB126_1163
; %bb.1161:
	global_load_dword v1, v[3:4], off
	s_mov_b64 s[16:17], 0
	s_branch .LBB126_1164
.LBB126_1162:
	s_mov_b64 s[16:17], -1
                                        ; implicit-def: $vgpr1
	s_branch .LBB126_1167
.LBB126_1163:
	s_mov_b64 s[16:17], -1
                                        ; implicit-def: $vgpr1
.LBB126_1164:
	s_andn2_b64 vcc, exec, s[16:17]
	s_cbranch_vccnz .LBB126_1166
; %bb.1165:
	global_load_ushort v1, v[3:4], off
.LBB126_1166:
	s_mov_b64 s[16:17], 0
.LBB126_1167:
	s_andn2_b64 vcc, exec, s[16:17]
	s_cbranch_vccnz .LBB126_1173
; %bb.1168:
	global_load_ubyte v2, v[3:4], off
	s_movk_i32 s16, 0x7f
	s_mov_b64 s[18:19], 0
	s_waitcnt vmcnt(0)
	v_cmp_lt_i16_e32 vcc, s16, v2
	s_and_saveexec_b64 s[16:17], vcc
	s_xor_b64 s[16:17], exec, s[16:17]
	s_cbranch_execz .LBB126_1184
; %bb.1169:
	s_movk_i32 s18, 0x80
	v_cmp_ne_u16_e32 vcc, s18, v2
	s_and_b64 s[18:19], vcc, exec
	s_andn2_saveexec_b64 s[16:17], s[16:17]
	s_cbranch_execnz .LBB126_1185
.LBB126_1170:
	s_or_b64 exec, exec, s[16:17]
	v_mov_b32_e32 v1, 0
	s_and_saveexec_b64 s[16:17], s[18:19]
	s_cbranch_execz .LBB126_1172
.LBB126_1171:
	v_lshlrev_b32_e32 v1, 24, v2
	v_and_b32_e32 v2, 0xffff, v2
	v_and_b32_e32 v6, 7, v2
	v_ffbh_u32_e32 v9, v6
	v_min_u32_e32 v9, 32, v9
	v_subrev_u32_e32 v10, 28, v9
	v_bfe_u32 v8, v2, 3, 4
	v_lshlrev_b32_e32 v2, v10, v2
	v_sub_u32_e32 v9, 29, v9
	v_and_b32_e32 v2, 7, v2
	v_cmp_eq_u32_e32 vcc, 0, v8
	v_cndmask_b32_e32 v8, v8, v9, vcc
	v_cndmask_b32_e32 v2, v6, v2, vcc
	v_mov_b32_e32 v6, 0x3b800000
	v_lshlrev_b32_e32 v2, 20, v2
	v_and_b32_e32 v1, 0x80000000, v1
	v_lshl_add_u32 v6, v8, 23, v6
	v_or3_b32 v1, v1, v6, v2
	v_trunc_f32_e32 v1, v1
	s_mov_b32 s18, 0x2f800000
	v_mul_f32_e64 v2, |v1|, s18
	v_floor_f32_e32 v2, v2
	s_mov_b32 s18, 0xcf800000
	v_fma_f32 v2, v2, s18, |v1|
	v_cvt_u32_f32_e32 v2, v2
	v_ashrrev_i32_e32 v1, 31, v1
	v_xor_b32_e32 v2, v2, v1
	v_sub_u32_e32 v1, v2, v1
.LBB126_1172:
	s_or_b64 exec, exec, s[16:17]
.LBB126_1173:
	s_mov_b64 s[16:17], -1
.LBB126_1174:
	s_branch .LBB126_1205
.LBB126_1175:
	s_cmp_gt_i32 s21, 22
	s_cbranch_scc0 .LBB126_1183
; %bb.1176:
	s_cmp_lt_i32 s21, 24
	s_cbranch_scc1 .LBB126_1186
; %bb.1177:
	s_cmp_gt_i32 s21, 24
	s_cbranch_scc0 .LBB126_1187
; %bb.1178:
	global_load_ubyte v2, v[3:4], off
	s_movk_i32 s12, 0x7f
	s_mov_b64 s[16:17], 0
	s_waitcnt vmcnt(0)
	v_cmp_lt_i16_e32 vcc, s12, v2
	s_and_saveexec_b64 s[12:13], vcc
	s_xor_b64 s[12:13], exec, s[12:13]
	s_cbranch_execz .LBB126_1199
; %bb.1179:
	s_movk_i32 s16, 0x80
	v_cmp_ne_u16_e32 vcc, s16, v2
	s_and_b64 s[16:17], vcc, exec
	s_andn2_saveexec_b64 s[12:13], s[12:13]
	s_cbranch_execnz .LBB126_1200
.LBB126_1180:
	s_or_b64 exec, exec, s[12:13]
	v_mov_b32_e32 v1, 0
	s_and_saveexec_b64 s[12:13], s[16:17]
	s_cbranch_execz .LBB126_1182
.LBB126_1181:
	v_lshlrev_b32_e32 v1, 24, v2
	v_and_b32_e32 v2, 0xffff, v2
	v_and_b32_e32 v6, 3, v2
	v_ffbh_u32_e32 v9, v6
	v_min_u32_e32 v9, 32, v9
	v_subrev_u32_e32 v10, 29, v9
	v_bfe_u32 v8, v2, 2, 5
	v_lshlrev_b32_e32 v2, v10, v2
	v_sub_u32_e32 v9, 30, v9
	v_and_b32_e32 v2, 3, v2
	v_cmp_eq_u32_e32 vcc, 0, v8
	v_cndmask_b32_e32 v8, v8, v9, vcc
	v_cndmask_b32_e32 v2, v6, v2, vcc
	v_mov_b32_e32 v6, 0x37800000
	v_lshlrev_b32_e32 v2, 21, v2
	v_and_b32_e32 v1, 0x80000000, v1
	v_lshl_add_u32 v6, v8, 23, v6
	v_or3_b32 v1, v1, v6, v2
	v_trunc_f32_e32 v1, v1
	s_mov_b32 s16, 0x2f800000
	v_mul_f32_e64 v2, |v1|, s16
	v_floor_f32_e32 v2, v2
	s_mov_b32 s16, 0xcf800000
	v_fma_f32 v2, v2, s16, |v1|
	v_cvt_u32_f32_e32 v2, v2
	v_ashrrev_i32_e32 v1, 31, v1
	v_xor_b32_e32 v2, v2, v1
	v_sub_u32_e32 v1, v2, v1
.LBB126_1182:
	s_or_b64 exec, exec, s[12:13]
	s_mov_b64 s[12:13], 0
	s_branch .LBB126_1188
.LBB126_1183:
	s_mov_b64 s[12:13], -1
                                        ; implicit-def: $vgpr1
	s_branch .LBB126_1194
.LBB126_1184:
	s_andn2_saveexec_b64 s[16:17], s[16:17]
	s_cbranch_execz .LBB126_1170
.LBB126_1185:
	v_cmp_ne_u16_e32 vcc, 0, v2
	s_andn2_b64 s[18:19], s[18:19], exec
	s_and_b64 s[22:23], vcc, exec
	s_or_b64 s[18:19], s[18:19], s[22:23]
	s_or_b64 exec, exec, s[16:17]
	v_mov_b32_e32 v1, 0
	s_and_saveexec_b64 s[16:17], s[18:19]
	s_cbranch_execnz .LBB126_1171
	s_branch .LBB126_1172
.LBB126_1186:
	s_mov_b64 s[12:13], -1
                                        ; implicit-def: $vgpr1
	s_branch .LBB126_1191
.LBB126_1187:
	s_mov_b64 s[12:13], -1
                                        ; implicit-def: $vgpr1
.LBB126_1188:
	s_and_b64 vcc, exec, s[12:13]
	s_cbranch_vccz .LBB126_1190
; %bb.1189:
	global_load_ubyte v1, v[3:4], off
	s_mov_b32 s12, 0x7f800000
	s_brev_b32 s13, 1
	s_mov_b32 s16, 0x2f800000
	s_waitcnt vmcnt(0)
	v_lshlrev_b32_e32 v1, 24, v1
	v_and_b32_e32 v2, 0x7f000000, v1
	v_ffbh_u32_e32 v6, v2
	v_min_u32_e32 v6, 32, v6
	v_sub_u32_e64 v6, v6, 4 clamp
	v_lshlrev_b32_e32 v9, v6, v2
	v_lshlrev_b32_e32 v6, 23, v6
	v_lshrrev_b32_e32 v9, 4, v9
	v_add_u32_e32 v8, 0x1000000, v2
	v_sub_u32_e32 v6, v9, v6
	v_ashrrev_i32_e32 v8, 8, v8
	v_add_u32_e32 v6, 0x3c000000, v6
	v_and_or_b32 v6, v8, s12, v6
	v_cmp_ne_u32_e32 vcc, 0, v2
	v_cndmask_b32_e32 v2, 0, v6, vcc
	v_and_or_b32 v1, v1, s13, v2
	v_trunc_f32_e32 v1, v1
	v_mul_f32_e64 v2, |v1|, s16
	v_floor_f32_e32 v2, v2
	s_mov_b32 s12, 0xcf800000
	v_fma_f32 v2, v2, s12, |v1|
	v_cvt_u32_f32_e32 v2, v2
	v_ashrrev_i32_e32 v1, 31, v1
	v_xor_b32_e32 v2, v2, v1
	v_sub_u32_e32 v1, v2, v1
.LBB126_1190:
	s_mov_b64 s[12:13], 0
.LBB126_1191:
	s_andn2_b64 vcc, exec, s[12:13]
	s_cbranch_vccnz .LBB126_1193
; %bb.1192:
	global_load_ubyte v1, v[3:4], off
	s_movk_i32 s12, 0x7f00
	s_brev_b32 s13, 16
	s_brev_b32 s16, 1
	s_mov_b32 s17, 0x2f800000
	s_waitcnt vmcnt(0)
	v_lshlrev_b16_e32 v2, 8, v1
	v_lshlrev_b32_e32 v1, 25, v1
	v_lshrrev_b32_e32 v6, 4, v1
	v_and_or_b32 v8, v2, s12, 0.5
	v_or_b32_e32 v6, 0x70000000, v6
	v_add_f32_e32 v8, -0.5, v8
	v_mul_f32_e32 v6, 0x7800000, v6
	v_cmp_gt_u32_e32 vcc, s13, v1
	v_bfe_i32 v2, v2, 0, 16
	v_cndmask_b32_e32 v1, v6, v8, vcc
	v_and_or_b32 v1, v2, s16, v1
	v_trunc_f32_e32 v1, v1
	v_mul_f32_e64 v2, |v1|, s17
	v_floor_f32_e32 v2, v2
	s_mov_b32 s12, 0xcf800000
	v_fma_f32 v2, v2, s12, |v1|
	v_cvt_u32_f32_e32 v2, v2
	v_ashrrev_i32_e32 v1, 31, v1
	v_xor_b32_e32 v2, v2, v1
	v_sub_u32_e32 v1, v2, v1
.LBB126_1193:
	s_mov_b64 s[12:13], 0
	s_mov_b64 s[16:17], -1
.LBB126_1194:
	s_andn2_b64 vcc, exec, s[12:13]
	s_mov_b64 s[12:13], 0
	s_cbranch_vccnz .LBB126_1205
; %bb.1195:
	s_cmp_gt_i32 s21, 14
	s_cbranch_scc0 .LBB126_1198
; %bb.1196:
	s_cmp_eq_u32 s21, 15
	s_cbranch_scc0 .LBB126_1201
; %bb.1197:
	global_load_ushort v1, v[3:4], off
	s_mov_b32 s0, 0x2f800000
	s_mov_b32 s1, 0xcf800000
	s_mov_b64 s[16:17], -1
	s_waitcnt vmcnt(0)
	v_lshlrev_b32_e32 v1, 16, v1
	v_trunc_f32_e32 v1, v1
	v_mul_f32_e64 v2, |v1|, s0
	v_floor_f32_e32 v2, v2
	v_fma_f32 v2, v2, s1, |v1|
	v_cvt_u32_f32_e32 v2, v2
	v_ashrrev_i32_e32 v1, 31, v1
	s_mov_b64 s[0:1], 0
	v_xor_b32_e32 v2, v2, v1
	v_sub_u32_e32 v1, v2, v1
	s_branch .LBB126_1202
.LBB126_1198:
	s_mov_b64 s[18:19], -1
                                        ; implicit-def: $vgpr1
	s_branch .LBB126_1203
.LBB126_1199:
	s_andn2_saveexec_b64 s[12:13], s[12:13]
	s_cbranch_execz .LBB126_1180
.LBB126_1200:
	v_cmp_ne_u16_e32 vcc, 0, v2
	s_andn2_b64 s[16:17], s[16:17], exec
	s_and_b64 s[18:19], vcc, exec
	s_or_b64 s[16:17], s[16:17], s[18:19]
	s_or_b64 exec, exec, s[12:13]
	v_mov_b32_e32 v1, 0
	s_and_saveexec_b64 s[12:13], s[16:17]
	s_cbranch_execnz .LBB126_1181
	s_branch .LBB126_1182
.LBB126_1201:
	s_mov_b64 s[0:1], -1
                                        ; implicit-def: $vgpr1
.LBB126_1202:
	s_mov_b64 s[18:19], 0
.LBB126_1203:
	s_and_b64 vcc, exec, s[18:19]
	s_cbranch_vccz .LBB126_1205
; %bb.1204:
	s_cmp_lg_u32 s21, 11
	s_mov_b64 s[12:13], -1
	s_cselect_b64 s[0:1], -1, 0
.LBB126_1205:
	s_and_b64 vcc, exec, s[0:1]
	s_cbranch_vccnz .LBB126_1268
; %bb.1206:
	s_andn2_b64 vcc, exec, s[12:13]
	s_cbranch_vccnz .LBB126_1208
.LBB126_1207:
	global_load_ubyte v1, v[3:4], off
	s_mov_b64 s[16:17], -1
	s_waitcnt vmcnt(0)
	v_cmp_ne_u16_e32 vcc, 0, v1
	v_cndmask_b32_e64 v1, 0, 1, vcc
.LBB126_1208:
	s_branch .LBB126_1139
.LBB126_1209:
	s_and_b32 s12, 0xffff, s20
	s_cmp_lt_i32 s12, 5
	s_cbranch_scc1 .LBB126_1214
; %bb.1210:
	s_cmp_lt_i32 s12, 8
	s_cbranch_scc1 .LBB126_1215
; %bb.1211:
	;; [unrolled: 3-line block ×3, first 2 shown]
	s_cmp_gt_i32 s12, 9
	s_cbranch_scc0 .LBB126_1217
; %bb.1213:
	global_load_dwordx2 v[1:2], v[3:4], off
	s_movk_i32 s0, 0xffe0
	s_waitcnt vmcnt(0)
	v_trunc_f64_e32 v[1:2], v[1:2]
	v_ldexp_f64 v[8:9], v[1:2], s0
	s_mov_b32 s0, 0
	s_mov_b32 s1, 0xc1f00000
	v_floor_f64_e32 v[8:9], v[8:9]
	v_fma_f64 v[1:2], v[8:9], s[0:1], v[1:2]
	s_mov_b64 s[0:1], 0
	v_cvt_u32_f64_e32 v1, v[1:2]
	s_branch .LBB126_1218
.LBB126_1214:
                                        ; implicit-def: $vgpr1
	s_branch .LBB126_1236
.LBB126_1215:
	s_mov_b64 s[0:1], -1
                                        ; implicit-def: $vgpr1
	s_branch .LBB126_1224
.LBB126_1216:
	s_mov_b64 s[0:1], -1
                                        ; implicit-def: $vgpr1
	s_branch .LBB126_1221
.LBB126_1217:
	s_mov_b64 s[0:1], -1
                                        ; implicit-def: $vgpr1
.LBB126_1218:
	s_andn2_b64 vcc, exec, s[0:1]
	s_cbranch_vccnz .LBB126_1220
; %bb.1219:
	global_load_dword v1, v[3:4], off
	s_mov_b32 s0, 0x2f800000
	s_waitcnt vmcnt(0)
	v_trunc_f32_e32 v1, v1
	v_mul_f32_e64 v2, |v1|, s0
	v_floor_f32_e32 v2, v2
	s_mov_b32 s0, 0xcf800000
	v_fma_f32 v2, v2, s0, |v1|
	v_cvt_u32_f32_e32 v2, v2
	v_ashrrev_i32_e32 v1, 31, v1
	v_xor_b32_e32 v2, v2, v1
	v_sub_u32_e32 v1, v2, v1
.LBB126_1220:
	s_mov_b64 s[0:1], 0
.LBB126_1221:
	s_andn2_b64 vcc, exec, s[0:1]
	s_cbranch_vccnz .LBB126_1223
; %bb.1222:
	global_load_dword v1, v[3:4], off
	s_waitcnt vmcnt(0)
	v_cvt_f32_f16_e32 v1, v1
	v_cvt_i32_f32_e32 v1, v1
.LBB126_1223:
	s_mov_b64 s[0:1], 0
.LBB126_1224:
	s_andn2_b64 vcc, exec, s[0:1]
	s_cbranch_vccnz .LBB126_1235
; %bb.1225:
	s_cmp_lt_i32 s12, 6
	s_cbranch_scc1 .LBB126_1228
; %bb.1226:
	s_cmp_gt_i32 s12, 6
	s_cbranch_scc0 .LBB126_1229
; %bb.1227:
	global_load_dwordx2 v[1:2], v[3:4], off
	s_movk_i32 s0, 0xffe0
	s_waitcnt vmcnt(0)
	v_trunc_f64_e32 v[1:2], v[1:2]
	v_ldexp_f64 v[8:9], v[1:2], s0
	s_mov_b32 s0, 0
	s_mov_b32 s1, 0xc1f00000
	v_floor_f64_e32 v[8:9], v[8:9]
	v_fma_f64 v[1:2], v[8:9], s[0:1], v[1:2]
	s_mov_b64 s[0:1], 0
	v_cvt_u32_f64_e32 v1, v[1:2]
	s_branch .LBB126_1230
.LBB126_1228:
	s_mov_b64 s[0:1], -1
                                        ; implicit-def: $vgpr1
	s_branch .LBB126_1233
.LBB126_1229:
	s_mov_b64 s[0:1], -1
                                        ; implicit-def: $vgpr1
.LBB126_1230:
	s_andn2_b64 vcc, exec, s[0:1]
	s_cbranch_vccnz .LBB126_1232
; %bb.1231:
	global_load_dword v1, v[3:4], off
	s_mov_b32 s0, 0x2f800000
	s_waitcnt vmcnt(0)
	v_trunc_f32_e32 v1, v1
	v_mul_f32_e64 v2, |v1|, s0
	v_floor_f32_e32 v2, v2
	s_mov_b32 s0, 0xcf800000
	v_fma_f32 v2, v2, s0, |v1|
	v_cvt_u32_f32_e32 v2, v2
	v_ashrrev_i32_e32 v1, 31, v1
	v_xor_b32_e32 v2, v2, v1
	v_sub_u32_e32 v1, v2, v1
.LBB126_1232:
	s_mov_b64 s[0:1], 0
.LBB126_1233:
	s_andn2_b64 vcc, exec, s[0:1]
	s_cbranch_vccnz .LBB126_1235
; %bb.1234:
	global_load_ushort v1, v[3:4], off
	s_waitcnt vmcnt(0)
	v_cvt_f32_f16_e32 v1, v1
	v_cvt_i32_f32_e32 v1, v1
.LBB126_1235:
	s_cbranch_execnz .LBB126_1255
.LBB126_1236:
	s_cmp_lt_i32 s12, 2
	s_cbranch_scc1 .LBB126_1240
; %bb.1237:
	s_cmp_lt_i32 s12, 3
	s_cbranch_scc1 .LBB126_1241
; %bb.1238:
	s_cmp_gt_i32 s12, 3
	s_cbranch_scc0 .LBB126_1242
; %bb.1239:
	global_load_dwordx2 v[1:2], v[3:4], off
	s_mov_b64 s[0:1], 0
	s_branch .LBB126_1243
.LBB126_1240:
	s_mov_b64 s[0:1], -1
                                        ; implicit-def: $vgpr1
	s_branch .LBB126_1249
.LBB126_1241:
	s_mov_b64 s[0:1], -1
                                        ; implicit-def: $vgpr1
	s_branch .LBB126_1246
.LBB126_1242:
	s_mov_b64 s[0:1], -1
                                        ; implicit-def: $vgpr1
.LBB126_1243:
	s_andn2_b64 vcc, exec, s[0:1]
	s_cbranch_vccnz .LBB126_1245
; %bb.1244:
	global_load_dword v1, v[3:4], off
.LBB126_1245:
	s_mov_b64 s[0:1], 0
.LBB126_1246:
	s_andn2_b64 vcc, exec, s[0:1]
	s_cbranch_vccnz .LBB126_1248
; %bb.1247:
	global_load_ushort v1, v[3:4], off
.LBB126_1248:
	s_mov_b64 s[0:1], 0
.LBB126_1249:
	s_andn2_b64 vcc, exec, s[0:1]
	s_cbranch_vccnz .LBB126_1255
; %bb.1250:
	s_cmp_gt_i32 s12, 0
	s_cbranch_scc0 .LBB126_1252
; %bb.1251:
	global_load_ubyte v1, v[3:4], off
	s_mov_b64 s[0:1], 0
	s_branch .LBB126_1253
.LBB126_1252:
	s_mov_b64 s[0:1], -1
                                        ; implicit-def: $vgpr1
.LBB126_1253:
	s_andn2_b64 vcc, exec, s[0:1]
	s_cbranch_vccnz .LBB126_1255
; %bb.1254:
	global_load_ubyte v1, v[3:4], off
.LBB126_1255:
.LBB126_1256:
	v_add_u32_e32 v6, s3, v5
	s_waitcnt vmcnt(0)
	v_ashrrev_i32_e32 v2, 31, v6
	v_mov_b32_e32 v3, s11
	v_add_co_u32_e32 v4, vcc, s10, v6
	s_cmp_lt_i32 s20, 11
	v_addc_co_u32_e32 v5, vcc, v3, v2, vcc
	s_cbranch_scc1 .LBB126_1263
; %bb.1257:
	s_and_b32 s21, 0xffff, s20
	s_cmp_gt_i32 s21, 25
	s_mov_b64 s[12:13], 0
	s_cbranch_scc0 .LBB126_1265
; %bb.1258:
	s_cmp_gt_i32 s21, 28
	s_cbranch_scc0 .LBB126_1266
; %bb.1259:
	s_cmp_gt_i32 s21, 43
	;; [unrolled: 3-line block ×3, first 2 shown]
	s_cbranch_scc0 .LBB126_1269
; %bb.1261:
	s_cmp_eq_u32 s21, 46
	s_mov_b64 s[18:19], 0
	s_cbranch_scc0 .LBB126_1270
; %bb.1262:
	global_load_dword v2, v[4:5], off
	s_mov_b32 s0, 0x2f800000
	s_mov_b32 s1, 0xcf800000
	s_mov_b64 s[16:17], -1
	s_waitcnt vmcnt(0)
	v_lshlrev_b32_e32 v2, 16, v2
	v_trunc_f32_e32 v2, v2
	v_mul_f32_e64 v3, |v2|, s0
	v_floor_f32_e32 v3, v3
	v_fma_f32 v3, v3, s1, |v2|
	v_cvt_u32_f32_e32 v3, v3
	v_ashrrev_i32_e32 v2, 31, v2
	s_mov_b64 s[0:1], 0
	v_xor_b32_e32 v3, v3, v2
	v_sub_u32_e32 v2, v3, v2
	s_branch .LBB126_1271
.LBB126_1263:
	s_mov_b64 s[16:17], 0
                                        ; implicit-def: $vgpr2
	s_cbranch_execnz .LBB126_1333
.LBB126_1264:
	s_andn2_b64 vcc, exec, s[16:17]
	s_cbranch_vccnz .LBB126_1940
	s_branch .LBB126_1381
.LBB126_1265:
	s_mov_b64 s[18:19], -1
	s_mov_b64 s[16:17], 0
	s_mov_b64 s[0:1], 0
                                        ; implicit-def: $vgpr2
	s_branch .LBB126_1298
.LBB126_1266:
	s_mov_b64 s[18:19], -1
	s_mov_b64 s[16:17], 0
	s_mov_b64 s[0:1], 0
                                        ; implicit-def: $vgpr2
	s_branch .LBB126_1281
.LBB126_1267:
	s_mov_b64 s[18:19], -1
	s_mov_b64 s[16:17], 0
	s_mov_b64 s[0:1], 0
                                        ; implicit-def: $vgpr2
	s_branch .LBB126_1276
.LBB126_1268:
	s_trap 2
	s_or_b64 s[14:15], s[14:15], exec
	s_cbranch_execz .LBB126_1207
	s_branch .LBB126_1208
.LBB126_1269:
	s_mov_b64 s[18:19], -1
	s_mov_b64 s[16:17], 0
	s_mov_b64 s[0:1], 0
                                        ; implicit-def: $vgpr2
	s_branch .LBB126_1271
.LBB126_1270:
	s_mov_b64 s[0:1], -1
                                        ; implicit-def: $vgpr2
	s_mov_b64 s[16:17], 0
.LBB126_1271:
	s_and_b64 vcc, exec, s[18:19]
	s_cbranch_vccz .LBB126_1275
; %bb.1272:
	s_cmp_eq_u32 s21, 44
	s_cbranch_scc0 .LBB126_1274
; %bb.1273:
	global_load_ubyte v2, v[4:5], off
	s_mov_b32 s0, 0x2f800000
	s_mov_b32 s1, 0xcf800000
	s_mov_b64 s[16:17], -1
	s_waitcnt vmcnt(0)
	v_lshlrev_b32_e32 v3, 23, v2
	v_trunc_f32_e32 v3, v3
	v_mul_f32_e64 v8, |v3|, s0
	v_floor_f32_e32 v8, v8
	v_fma_f32 v8, v8, s1, |v3|
	v_cvt_u32_f32_e32 v8, v8
	v_ashrrev_i32_e32 v3, 31, v3
	v_cmp_ne_u32_e32 vcc, 0, v2
	s_mov_b64 s[0:1], 0
	v_xor_b32_e32 v8, v8, v3
	v_sub_u32_e32 v3, v8, v3
	v_cndmask_b32_e32 v2, 0, v3, vcc
	s_branch .LBB126_1275
.LBB126_1274:
	s_mov_b64 s[0:1], -1
                                        ; implicit-def: $vgpr2
.LBB126_1275:
	s_mov_b64 s[18:19], 0
.LBB126_1276:
	s_and_b64 vcc, exec, s[18:19]
	s_cbranch_vccz .LBB126_1280
; %bb.1277:
	s_cmp_eq_u32 s21, 29
	s_cbranch_scc0 .LBB126_1279
; %bb.1278:
	global_load_dwordx2 v[2:3], v[4:5], off
	s_mov_b64 s[0:1], 0
	s_mov_b64 s[16:17], -1
	s_branch .LBB126_1280
.LBB126_1279:
	s_mov_b64 s[0:1], -1
                                        ; implicit-def: $vgpr2
.LBB126_1280:
	s_mov_b64 s[18:19], 0
.LBB126_1281:
	s_and_b64 vcc, exec, s[18:19]
	s_cbranch_vccz .LBB126_1297
; %bb.1282:
	s_cmp_lt_i32 s21, 27
	s_cbranch_scc1 .LBB126_1285
; %bb.1283:
	s_cmp_gt_i32 s21, 27
	s_cbranch_scc0 .LBB126_1286
; %bb.1284:
	global_load_dword v2, v[4:5], off
	s_mov_b64 s[16:17], 0
	s_branch .LBB126_1287
.LBB126_1285:
	s_mov_b64 s[16:17], -1
                                        ; implicit-def: $vgpr2
	s_branch .LBB126_1290
.LBB126_1286:
	s_mov_b64 s[16:17], -1
                                        ; implicit-def: $vgpr2
.LBB126_1287:
	s_andn2_b64 vcc, exec, s[16:17]
	s_cbranch_vccnz .LBB126_1289
; %bb.1288:
	global_load_ushort v2, v[4:5], off
.LBB126_1289:
	s_mov_b64 s[16:17], 0
.LBB126_1290:
	s_andn2_b64 vcc, exec, s[16:17]
	s_cbranch_vccnz .LBB126_1296
; %bb.1291:
	global_load_ubyte v3, v[4:5], off
	s_movk_i32 s16, 0x7f
	s_mov_b64 s[18:19], 0
	s_waitcnt vmcnt(0)
	v_cmp_lt_i16_e32 vcc, s16, v3
	s_and_saveexec_b64 s[16:17], vcc
	s_xor_b64 s[16:17], exec, s[16:17]
	s_cbranch_execz .LBB126_1308
; %bb.1292:
	s_movk_i32 s18, 0x80
	v_cmp_ne_u16_e32 vcc, s18, v3
	s_and_b64 s[18:19], vcc, exec
	s_andn2_saveexec_b64 s[16:17], s[16:17]
	s_cbranch_execnz .LBB126_1309
.LBB126_1293:
	s_or_b64 exec, exec, s[16:17]
	v_mov_b32_e32 v2, 0
	s_and_saveexec_b64 s[16:17], s[18:19]
	s_cbranch_execz .LBB126_1295
.LBB126_1294:
	v_lshlrev_b32_e32 v2, 24, v3
	v_and_b32_e32 v3, 0xffff, v3
	v_and_b32_e32 v8, 7, v3
	v_ffbh_u32_e32 v10, v8
	v_min_u32_e32 v10, 32, v10
	v_subrev_u32_e32 v11, 28, v10
	v_bfe_u32 v9, v3, 3, 4
	v_lshlrev_b32_e32 v3, v11, v3
	v_sub_u32_e32 v10, 29, v10
	v_and_b32_e32 v3, 7, v3
	v_cmp_eq_u32_e32 vcc, 0, v9
	v_cndmask_b32_e32 v9, v9, v10, vcc
	v_cndmask_b32_e32 v3, v8, v3, vcc
	v_mov_b32_e32 v8, 0x3b800000
	v_lshlrev_b32_e32 v3, 20, v3
	v_and_b32_e32 v2, 0x80000000, v2
	v_lshl_add_u32 v8, v9, 23, v8
	v_or3_b32 v2, v2, v8, v3
	v_trunc_f32_e32 v2, v2
	s_mov_b32 s18, 0x2f800000
	v_mul_f32_e64 v3, |v2|, s18
	v_floor_f32_e32 v3, v3
	s_mov_b32 s18, 0xcf800000
	v_fma_f32 v3, v3, s18, |v2|
	v_cvt_u32_f32_e32 v3, v3
	v_ashrrev_i32_e32 v2, 31, v2
	v_xor_b32_e32 v3, v3, v2
	v_sub_u32_e32 v2, v3, v2
.LBB126_1295:
	s_or_b64 exec, exec, s[16:17]
.LBB126_1296:
	s_mov_b64 s[16:17], -1
.LBB126_1297:
	s_mov_b64 s[18:19], 0
.LBB126_1298:
	s_and_b64 vcc, exec, s[18:19]
	s_cbranch_vccz .LBB126_1329
; %bb.1299:
	s_cmp_gt_i32 s21, 22
	s_cbranch_scc0 .LBB126_1307
; %bb.1300:
	s_cmp_lt_i32 s21, 24
	s_cbranch_scc1 .LBB126_1310
; %bb.1301:
	s_cmp_gt_i32 s21, 24
	s_cbranch_scc0 .LBB126_1311
; %bb.1302:
	global_load_ubyte v3, v[4:5], off
	s_movk_i32 s12, 0x7f
	s_mov_b64 s[16:17], 0
	s_waitcnt vmcnt(0)
	v_cmp_lt_i16_e32 vcc, s12, v3
	s_and_saveexec_b64 s[12:13], vcc
	s_xor_b64 s[12:13], exec, s[12:13]
	s_cbranch_execz .LBB126_1323
; %bb.1303:
	s_movk_i32 s16, 0x80
	v_cmp_ne_u16_e32 vcc, s16, v3
	s_and_b64 s[16:17], vcc, exec
	s_andn2_saveexec_b64 s[12:13], s[12:13]
	s_cbranch_execnz .LBB126_1324
.LBB126_1304:
	s_or_b64 exec, exec, s[12:13]
	v_mov_b32_e32 v2, 0
	s_and_saveexec_b64 s[12:13], s[16:17]
	s_cbranch_execz .LBB126_1306
.LBB126_1305:
	v_lshlrev_b32_e32 v2, 24, v3
	v_and_b32_e32 v3, 0xffff, v3
	v_and_b32_e32 v8, 3, v3
	v_ffbh_u32_e32 v10, v8
	v_min_u32_e32 v10, 32, v10
	v_subrev_u32_e32 v11, 29, v10
	v_bfe_u32 v9, v3, 2, 5
	v_lshlrev_b32_e32 v3, v11, v3
	v_sub_u32_e32 v10, 30, v10
	v_and_b32_e32 v3, 3, v3
	v_cmp_eq_u32_e32 vcc, 0, v9
	v_cndmask_b32_e32 v9, v9, v10, vcc
	v_cndmask_b32_e32 v3, v8, v3, vcc
	v_mov_b32_e32 v8, 0x37800000
	v_lshlrev_b32_e32 v3, 21, v3
	v_and_b32_e32 v2, 0x80000000, v2
	v_lshl_add_u32 v8, v9, 23, v8
	v_or3_b32 v2, v2, v8, v3
	v_trunc_f32_e32 v2, v2
	s_mov_b32 s16, 0x2f800000
	v_mul_f32_e64 v3, |v2|, s16
	v_floor_f32_e32 v3, v3
	s_mov_b32 s16, 0xcf800000
	v_fma_f32 v3, v3, s16, |v2|
	v_cvt_u32_f32_e32 v3, v3
	v_ashrrev_i32_e32 v2, 31, v2
	v_xor_b32_e32 v3, v3, v2
	v_sub_u32_e32 v2, v3, v2
.LBB126_1306:
	s_or_b64 exec, exec, s[12:13]
	s_mov_b64 s[12:13], 0
	s_branch .LBB126_1312
.LBB126_1307:
	s_mov_b64 s[12:13], -1
                                        ; implicit-def: $vgpr2
	s_branch .LBB126_1318
.LBB126_1308:
	s_andn2_saveexec_b64 s[16:17], s[16:17]
	s_cbranch_execz .LBB126_1293
.LBB126_1309:
	v_cmp_ne_u16_e32 vcc, 0, v3
	s_andn2_b64 s[18:19], s[18:19], exec
	s_and_b64 s[22:23], vcc, exec
	s_or_b64 s[18:19], s[18:19], s[22:23]
	s_or_b64 exec, exec, s[16:17]
	v_mov_b32_e32 v2, 0
	s_and_saveexec_b64 s[16:17], s[18:19]
	s_cbranch_execnz .LBB126_1294
	s_branch .LBB126_1295
.LBB126_1310:
	s_mov_b64 s[12:13], -1
                                        ; implicit-def: $vgpr2
	s_branch .LBB126_1315
.LBB126_1311:
	s_mov_b64 s[12:13], -1
                                        ; implicit-def: $vgpr2
.LBB126_1312:
	s_and_b64 vcc, exec, s[12:13]
	s_cbranch_vccz .LBB126_1314
; %bb.1313:
	global_load_ubyte v2, v[4:5], off
	s_mov_b32 s12, 0x7f800000
	s_brev_b32 s13, 1
	s_mov_b32 s16, 0x2f800000
	s_waitcnt vmcnt(0)
	v_lshlrev_b32_e32 v2, 24, v2
	v_and_b32_e32 v3, 0x7f000000, v2
	v_ffbh_u32_e32 v8, v3
	v_min_u32_e32 v8, 32, v8
	v_sub_u32_e64 v8, v8, 4 clamp
	v_lshlrev_b32_e32 v10, v8, v3
	v_lshlrev_b32_e32 v8, 23, v8
	v_lshrrev_b32_e32 v10, 4, v10
	v_add_u32_e32 v9, 0x1000000, v3
	v_sub_u32_e32 v8, v10, v8
	v_ashrrev_i32_e32 v9, 8, v9
	v_add_u32_e32 v8, 0x3c000000, v8
	v_and_or_b32 v8, v9, s12, v8
	v_cmp_ne_u32_e32 vcc, 0, v3
	v_cndmask_b32_e32 v3, 0, v8, vcc
	v_and_or_b32 v2, v2, s13, v3
	v_trunc_f32_e32 v2, v2
	v_mul_f32_e64 v3, |v2|, s16
	v_floor_f32_e32 v3, v3
	s_mov_b32 s12, 0xcf800000
	v_fma_f32 v3, v3, s12, |v2|
	v_cvt_u32_f32_e32 v3, v3
	v_ashrrev_i32_e32 v2, 31, v2
	v_xor_b32_e32 v3, v3, v2
	v_sub_u32_e32 v2, v3, v2
.LBB126_1314:
	s_mov_b64 s[12:13], 0
.LBB126_1315:
	s_andn2_b64 vcc, exec, s[12:13]
	s_cbranch_vccnz .LBB126_1317
; %bb.1316:
	global_load_ubyte v2, v[4:5], off
	s_movk_i32 s12, 0x7f00
	s_brev_b32 s13, 16
	s_brev_b32 s16, 1
	s_mov_b32 s17, 0x2f800000
	s_waitcnt vmcnt(0)
	v_lshlrev_b16_e32 v3, 8, v2
	v_lshlrev_b32_e32 v2, 25, v2
	v_lshrrev_b32_e32 v8, 4, v2
	v_and_or_b32 v9, v3, s12, 0.5
	v_or_b32_e32 v8, 0x70000000, v8
	v_add_f32_e32 v9, -0.5, v9
	v_mul_f32_e32 v8, 0x7800000, v8
	v_cmp_gt_u32_e32 vcc, s13, v2
	v_bfe_i32 v3, v3, 0, 16
	v_cndmask_b32_e32 v2, v8, v9, vcc
	v_and_or_b32 v2, v3, s16, v2
	v_trunc_f32_e32 v2, v2
	v_mul_f32_e64 v3, |v2|, s17
	v_floor_f32_e32 v3, v3
	s_mov_b32 s12, 0xcf800000
	v_fma_f32 v3, v3, s12, |v2|
	v_cvt_u32_f32_e32 v3, v3
	v_ashrrev_i32_e32 v2, 31, v2
	v_xor_b32_e32 v3, v3, v2
	v_sub_u32_e32 v2, v3, v2
.LBB126_1317:
	s_mov_b64 s[12:13], 0
	s_mov_b64 s[16:17], -1
.LBB126_1318:
	s_andn2_b64 vcc, exec, s[12:13]
	s_mov_b64 s[12:13], 0
	s_cbranch_vccnz .LBB126_1329
; %bb.1319:
	s_cmp_gt_i32 s21, 14
	s_cbranch_scc0 .LBB126_1322
; %bb.1320:
	s_cmp_eq_u32 s21, 15
	s_cbranch_scc0 .LBB126_1325
; %bb.1321:
	global_load_ushort v2, v[4:5], off
	s_mov_b32 s0, 0x2f800000
	s_mov_b32 s1, 0xcf800000
	s_mov_b64 s[16:17], -1
	s_waitcnt vmcnt(0)
	v_lshlrev_b32_e32 v2, 16, v2
	v_trunc_f32_e32 v2, v2
	v_mul_f32_e64 v3, |v2|, s0
	v_floor_f32_e32 v3, v3
	v_fma_f32 v3, v3, s1, |v2|
	v_cvt_u32_f32_e32 v3, v3
	v_ashrrev_i32_e32 v2, 31, v2
	s_mov_b64 s[0:1], 0
	v_xor_b32_e32 v3, v3, v2
	v_sub_u32_e32 v2, v3, v2
	s_branch .LBB126_1326
.LBB126_1322:
	s_mov_b64 s[18:19], -1
                                        ; implicit-def: $vgpr2
	s_branch .LBB126_1327
.LBB126_1323:
	s_andn2_saveexec_b64 s[12:13], s[12:13]
	s_cbranch_execz .LBB126_1304
.LBB126_1324:
	v_cmp_ne_u16_e32 vcc, 0, v3
	s_andn2_b64 s[16:17], s[16:17], exec
	s_and_b64 s[18:19], vcc, exec
	s_or_b64 s[16:17], s[16:17], s[18:19]
	s_or_b64 exec, exec, s[12:13]
	v_mov_b32_e32 v2, 0
	s_and_saveexec_b64 s[12:13], s[16:17]
	s_cbranch_execnz .LBB126_1305
	s_branch .LBB126_1306
.LBB126_1325:
	s_mov_b64 s[0:1], -1
                                        ; implicit-def: $vgpr2
.LBB126_1326:
	s_mov_b64 s[18:19], 0
.LBB126_1327:
	s_and_b64 vcc, exec, s[18:19]
	s_cbranch_vccz .LBB126_1329
; %bb.1328:
	s_cmp_lg_u32 s21, 11
	s_mov_b64 s[12:13], -1
	s_cselect_b64 s[0:1], -1, 0
.LBB126_1329:
	s_and_b64 vcc, exec, s[0:1]
	s_cbranch_vccnz .LBB126_1392
; %bb.1330:
	s_andn2_b64 vcc, exec, s[12:13]
	s_cbranch_vccnz .LBB126_1332
.LBB126_1331:
	global_load_ubyte v2, v[4:5], off
	s_mov_b64 s[16:17], -1
	s_waitcnt vmcnt(0)
	v_cmp_ne_u16_e32 vcc, 0, v2
	v_cndmask_b32_e64 v2, 0, 1, vcc
.LBB126_1332:
	s_branch .LBB126_1264
.LBB126_1333:
	s_and_b32 s12, 0xffff, s20
	s_cmp_lt_i32 s12, 5
	s_cbranch_scc1 .LBB126_1338
; %bb.1334:
	s_cmp_lt_i32 s12, 8
	s_cbranch_scc1 .LBB126_1339
; %bb.1335:
	;; [unrolled: 3-line block ×3, first 2 shown]
	s_cmp_gt_i32 s12, 9
	s_cbranch_scc0 .LBB126_1341
; %bb.1337:
	global_load_dwordx2 v[2:3], v[4:5], off
	s_movk_i32 s0, 0xffe0
	s_waitcnt vmcnt(0)
	v_trunc_f64_e32 v[2:3], v[2:3]
	v_ldexp_f64 v[8:9], v[2:3], s0
	s_mov_b32 s0, 0
	s_mov_b32 s1, 0xc1f00000
	v_floor_f64_e32 v[8:9], v[8:9]
	v_fma_f64 v[2:3], v[8:9], s[0:1], v[2:3]
	s_mov_b64 s[0:1], 0
	v_cvt_u32_f64_e32 v2, v[2:3]
	s_branch .LBB126_1342
.LBB126_1338:
	s_mov_b64 s[0:1], -1
                                        ; implicit-def: $vgpr2
	s_branch .LBB126_1360
.LBB126_1339:
	s_mov_b64 s[0:1], -1
                                        ; implicit-def: $vgpr2
	s_branch .LBB126_1348
.LBB126_1340:
	s_mov_b64 s[0:1], -1
                                        ; implicit-def: $vgpr2
	s_branch .LBB126_1345
.LBB126_1341:
	s_mov_b64 s[0:1], -1
                                        ; implicit-def: $vgpr2
.LBB126_1342:
	s_andn2_b64 vcc, exec, s[0:1]
	s_cbranch_vccnz .LBB126_1344
; %bb.1343:
	global_load_dword v2, v[4:5], off
	s_mov_b32 s0, 0x2f800000
	s_waitcnt vmcnt(0)
	v_trunc_f32_e32 v2, v2
	v_mul_f32_e64 v3, |v2|, s0
	v_floor_f32_e32 v3, v3
	s_mov_b32 s0, 0xcf800000
	v_fma_f32 v3, v3, s0, |v2|
	v_cvt_u32_f32_e32 v3, v3
	v_ashrrev_i32_e32 v2, 31, v2
	v_xor_b32_e32 v3, v3, v2
	v_sub_u32_e32 v2, v3, v2
.LBB126_1344:
	s_mov_b64 s[0:1], 0
.LBB126_1345:
	s_andn2_b64 vcc, exec, s[0:1]
	s_cbranch_vccnz .LBB126_1347
; %bb.1346:
	global_load_dword v2, v[4:5], off
	s_waitcnt vmcnt(0)
	v_cvt_f32_f16_e32 v2, v2
	v_cvt_i32_f32_e32 v2, v2
.LBB126_1347:
	s_mov_b64 s[0:1], 0
.LBB126_1348:
	s_andn2_b64 vcc, exec, s[0:1]
	s_cbranch_vccnz .LBB126_1359
; %bb.1349:
	s_cmp_lt_i32 s12, 6
	s_cbranch_scc1 .LBB126_1352
; %bb.1350:
	s_cmp_gt_i32 s12, 6
	s_cbranch_scc0 .LBB126_1353
; %bb.1351:
	global_load_dwordx2 v[2:3], v[4:5], off
	s_movk_i32 s0, 0xffe0
	s_waitcnt vmcnt(0)
	v_trunc_f64_e32 v[2:3], v[2:3]
	v_ldexp_f64 v[8:9], v[2:3], s0
	s_mov_b32 s0, 0
	s_mov_b32 s1, 0xc1f00000
	v_floor_f64_e32 v[8:9], v[8:9]
	v_fma_f64 v[2:3], v[8:9], s[0:1], v[2:3]
	s_mov_b64 s[0:1], 0
	v_cvt_u32_f64_e32 v2, v[2:3]
	s_branch .LBB126_1354
.LBB126_1352:
	s_mov_b64 s[0:1], -1
                                        ; implicit-def: $vgpr2
	s_branch .LBB126_1357
.LBB126_1353:
	s_mov_b64 s[0:1], -1
                                        ; implicit-def: $vgpr2
.LBB126_1354:
	s_andn2_b64 vcc, exec, s[0:1]
	s_cbranch_vccnz .LBB126_1356
; %bb.1355:
	global_load_dword v2, v[4:5], off
	s_mov_b32 s0, 0x2f800000
	s_waitcnt vmcnt(0)
	v_trunc_f32_e32 v2, v2
	v_mul_f32_e64 v3, |v2|, s0
	v_floor_f32_e32 v3, v3
	s_mov_b32 s0, 0xcf800000
	v_fma_f32 v3, v3, s0, |v2|
	v_cvt_u32_f32_e32 v3, v3
	v_ashrrev_i32_e32 v2, 31, v2
	v_xor_b32_e32 v3, v3, v2
	v_sub_u32_e32 v2, v3, v2
.LBB126_1356:
	s_mov_b64 s[0:1], 0
.LBB126_1357:
	s_andn2_b64 vcc, exec, s[0:1]
	s_cbranch_vccnz .LBB126_1359
; %bb.1358:
	global_load_ushort v2, v[4:5], off
	s_waitcnt vmcnt(0)
	v_cvt_f32_f16_e32 v2, v2
	v_cvt_i32_f32_e32 v2, v2
.LBB126_1359:
	s_mov_b64 s[0:1], 0
.LBB126_1360:
	s_andn2_b64 vcc, exec, s[0:1]
	s_cbranch_vccnz .LBB126_1380
; %bb.1361:
	s_cmp_lt_i32 s12, 2
	s_cbranch_scc1 .LBB126_1365
; %bb.1362:
	s_cmp_lt_i32 s12, 3
	s_cbranch_scc1 .LBB126_1366
; %bb.1363:
	s_cmp_gt_i32 s12, 3
	s_cbranch_scc0 .LBB126_1367
; %bb.1364:
	global_load_dwordx2 v[2:3], v[4:5], off
	s_mov_b64 s[0:1], 0
	s_branch .LBB126_1368
.LBB126_1365:
	s_mov_b64 s[0:1], -1
                                        ; implicit-def: $vgpr2
	s_branch .LBB126_1374
.LBB126_1366:
	s_mov_b64 s[0:1], -1
                                        ; implicit-def: $vgpr2
	s_branch .LBB126_1371
.LBB126_1367:
	s_mov_b64 s[0:1], -1
                                        ; implicit-def: $vgpr2
.LBB126_1368:
	s_andn2_b64 vcc, exec, s[0:1]
	s_cbranch_vccnz .LBB126_1370
; %bb.1369:
	global_load_dword v2, v[4:5], off
.LBB126_1370:
	s_mov_b64 s[0:1], 0
.LBB126_1371:
	s_andn2_b64 vcc, exec, s[0:1]
	s_cbranch_vccnz .LBB126_1373
; %bb.1372:
	global_load_ushort v2, v[4:5], off
.LBB126_1373:
	s_mov_b64 s[0:1], 0
.LBB126_1374:
	s_andn2_b64 vcc, exec, s[0:1]
	s_cbranch_vccnz .LBB126_1380
; %bb.1375:
	s_cmp_gt_i32 s12, 0
	s_cbranch_scc0 .LBB126_1377
; %bb.1376:
	global_load_ubyte v2, v[4:5], off
	s_mov_b64 s[0:1], 0
	s_branch .LBB126_1378
.LBB126_1377:
	s_mov_b64 s[0:1], -1
                                        ; implicit-def: $vgpr2
.LBB126_1378:
	s_andn2_b64 vcc, exec, s[0:1]
	s_cbranch_vccnz .LBB126_1380
; %bb.1379:
	global_load_ubyte v2, v[4:5], off
.LBB126_1380:
.LBB126_1381:
	s_waitcnt vmcnt(0)
	v_add_u32_e32 v3, s3, v6
	v_ashrrev_i32_e32 v4, 31, v3
	v_mov_b32_e32 v6, s11
	v_add_co_u32_e32 v5, vcc, s10, v3
	s_cmp_lt_i32 s20, 11
	v_addc_co_u32_e32 v6, vcc, v6, v4, vcc
	s_cbranch_scc1 .LBB126_1388
; %bb.1382:
	s_and_b32 s3, 0xffff, s20
	s_cmp_gt_i32 s3, 25
	s_mov_b64 s[10:11], 0
	s_cbranch_scc0 .LBB126_1389
; %bb.1383:
	s_cmp_gt_i32 s3, 28
	s_cbranch_scc0 .LBB126_1390
; %bb.1384:
	s_cmp_gt_i32 s3, 43
	;; [unrolled: 3-line block ×3, first 2 shown]
	s_cbranch_scc0 .LBB126_1393
; %bb.1386:
	s_cmp_eq_u32 s3, 46
	s_mov_b64 s[16:17], 0
	s_cbranch_scc0 .LBB126_1394
; %bb.1387:
	global_load_dword v3, v[5:6], off
	s_mov_b32 s0, 0x2f800000
	s_mov_b32 s1, 0xcf800000
	s_mov_b64 s[12:13], -1
	s_waitcnt vmcnt(0)
	v_lshlrev_b32_e32 v3, 16, v3
	v_trunc_f32_e32 v3, v3
	v_mul_f32_e64 v4, |v3|, s0
	v_floor_f32_e32 v4, v4
	v_fma_f32 v4, v4, s1, |v3|
	v_cvt_u32_f32_e32 v4, v4
	v_ashrrev_i32_e32 v3, 31, v3
	s_mov_b64 s[0:1], 0
	v_xor_b32_e32 v4, v4, v3
	v_sub_u32_e32 v3, v4, v3
	s_branch .LBB126_1395
.LBB126_1388:
	s_mov_b64 s[0:1], -1
	s_mov_b64 s[12:13], 0
                                        ; implicit-def: $vgpr3
	s_branch .LBB126_1457
.LBB126_1389:
	s_mov_b64 s[16:17], -1
	s_mov_b64 s[12:13], 0
	s_mov_b64 s[0:1], 0
                                        ; implicit-def: $vgpr3
	s_branch .LBB126_1422
.LBB126_1390:
	s_mov_b64 s[16:17], -1
	s_mov_b64 s[12:13], 0
	s_mov_b64 s[0:1], 0
                                        ; implicit-def: $vgpr3
	s_branch .LBB126_1405
.LBB126_1391:
	s_mov_b64 s[16:17], -1
	s_mov_b64 s[12:13], 0
	s_mov_b64 s[0:1], 0
                                        ; implicit-def: $vgpr3
	s_branch .LBB126_1400
.LBB126_1392:
	s_trap 2
	s_or_b64 s[14:15], s[14:15], exec
	s_cbranch_execz .LBB126_1331
	s_branch .LBB126_1332
.LBB126_1393:
	s_mov_b64 s[16:17], -1
	s_mov_b64 s[12:13], 0
	s_mov_b64 s[0:1], 0
                                        ; implicit-def: $vgpr3
	s_branch .LBB126_1395
.LBB126_1394:
	s_mov_b64 s[0:1], -1
                                        ; implicit-def: $vgpr3
	s_mov_b64 s[12:13], 0
.LBB126_1395:
	s_and_b64 vcc, exec, s[16:17]
	s_cbranch_vccz .LBB126_1399
; %bb.1396:
	s_cmp_eq_u32 s3, 44
	s_cbranch_scc0 .LBB126_1398
; %bb.1397:
	global_load_ubyte v3, v[5:6], off
	s_mov_b32 s0, 0x2f800000
	s_mov_b32 s1, 0xcf800000
	s_mov_b64 s[12:13], -1
	s_waitcnt vmcnt(0)
	v_lshlrev_b32_e32 v4, 23, v3
	v_trunc_f32_e32 v4, v4
	v_mul_f32_e64 v8, |v4|, s0
	v_floor_f32_e32 v8, v8
	v_fma_f32 v8, v8, s1, |v4|
	v_cvt_u32_f32_e32 v8, v8
	v_ashrrev_i32_e32 v4, 31, v4
	v_cmp_ne_u32_e32 vcc, 0, v3
	s_mov_b64 s[0:1], 0
	v_xor_b32_e32 v8, v8, v4
	v_sub_u32_e32 v4, v8, v4
	v_cndmask_b32_e32 v3, 0, v4, vcc
	s_branch .LBB126_1399
.LBB126_1398:
	s_mov_b64 s[0:1], -1
                                        ; implicit-def: $vgpr3
.LBB126_1399:
	s_mov_b64 s[16:17], 0
.LBB126_1400:
	s_and_b64 vcc, exec, s[16:17]
	s_cbranch_vccz .LBB126_1404
; %bb.1401:
	s_cmp_eq_u32 s3, 29
	s_cbranch_scc0 .LBB126_1403
; %bb.1402:
	global_load_dwordx2 v[3:4], v[5:6], off
	s_mov_b64 s[0:1], 0
	s_mov_b64 s[12:13], -1
	s_branch .LBB126_1404
.LBB126_1403:
	s_mov_b64 s[0:1], -1
                                        ; implicit-def: $vgpr3
.LBB126_1404:
	s_mov_b64 s[16:17], 0
.LBB126_1405:
	s_and_b64 vcc, exec, s[16:17]
	s_cbranch_vccz .LBB126_1421
; %bb.1406:
	s_cmp_lt_i32 s3, 27
	s_cbranch_scc1 .LBB126_1409
; %bb.1407:
	s_cmp_gt_i32 s3, 27
	s_cbranch_scc0 .LBB126_1410
; %bb.1408:
	global_load_dword v3, v[5:6], off
	s_mov_b64 s[12:13], 0
	s_branch .LBB126_1411
.LBB126_1409:
	s_mov_b64 s[12:13], -1
                                        ; implicit-def: $vgpr3
	s_branch .LBB126_1414
.LBB126_1410:
	s_mov_b64 s[12:13], -1
                                        ; implicit-def: $vgpr3
.LBB126_1411:
	s_andn2_b64 vcc, exec, s[12:13]
	s_cbranch_vccnz .LBB126_1413
; %bb.1412:
	global_load_ushort v3, v[5:6], off
.LBB126_1413:
	s_mov_b64 s[12:13], 0
.LBB126_1414:
	s_andn2_b64 vcc, exec, s[12:13]
	s_cbranch_vccnz .LBB126_1420
; %bb.1415:
	global_load_ubyte v4, v[5:6], off
	s_movk_i32 s12, 0x7f
	s_mov_b64 s[16:17], 0
	s_waitcnt vmcnt(0)
	v_cmp_lt_i16_e32 vcc, s12, v4
	s_and_saveexec_b64 s[12:13], vcc
	s_xor_b64 s[12:13], exec, s[12:13]
	s_cbranch_execz .LBB126_1432
; %bb.1416:
	s_movk_i32 s16, 0x80
	v_cmp_ne_u16_e32 vcc, s16, v4
	s_and_b64 s[16:17], vcc, exec
	s_andn2_saveexec_b64 s[12:13], s[12:13]
	s_cbranch_execnz .LBB126_1433
.LBB126_1417:
	s_or_b64 exec, exec, s[12:13]
	v_mov_b32_e32 v3, 0
	s_and_saveexec_b64 s[12:13], s[16:17]
	s_cbranch_execz .LBB126_1419
.LBB126_1418:
	v_lshlrev_b32_e32 v3, 24, v4
	v_and_b32_e32 v4, 0xffff, v4
	v_and_b32_e32 v8, 7, v4
	v_ffbh_u32_e32 v10, v8
	v_min_u32_e32 v10, 32, v10
	v_subrev_u32_e32 v11, 28, v10
	v_bfe_u32 v9, v4, 3, 4
	v_lshlrev_b32_e32 v4, v11, v4
	v_sub_u32_e32 v10, 29, v10
	v_and_b32_e32 v4, 7, v4
	v_cmp_eq_u32_e32 vcc, 0, v9
	v_cndmask_b32_e32 v9, v9, v10, vcc
	v_cndmask_b32_e32 v4, v8, v4, vcc
	v_mov_b32_e32 v8, 0x3b800000
	v_lshlrev_b32_e32 v4, 20, v4
	v_and_b32_e32 v3, 0x80000000, v3
	v_lshl_add_u32 v8, v9, 23, v8
	v_or3_b32 v3, v3, v8, v4
	v_trunc_f32_e32 v3, v3
	s_mov_b32 s16, 0x2f800000
	v_mul_f32_e64 v4, |v3|, s16
	v_floor_f32_e32 v4, v4
	s_mov_b32 s16, 0xcf800000
	v_fma_f32 v4, v4, s16, |v3|
	v_cvt_u32_f32_e32 v4, v4
	v_ashrrev_i32_e32 v3, 31, v3
	v_xor_b32_e32 v4, v4, v3
	v_sub_u32_e32 v3, v4, v3
.LBB126_1419:
	s_or_b64 exec, exec, s[12:13]
.LBB126_1420:
	s_mov_b64 s[12:13], -1
.LBB126_1421:
	s_mov_b64 s[16:17], 0
.LBB126_1422:
	s_and_b64 vcc, exec, s[16:17]
	s_cbranch_vccz .LBB126_1453
; %bb.1423:
	s_cmp_gt_i32 s3, 22
	s_cbranch_scc0 .LBB126_1431
; %bb.1424:
	s_cmp_lt_i32 s3, 24
	s_cbranch_scc1 .LBB126_1434
; %bb.1425:
	s_cmp_gt_i32 s3, 24
	s_cbranch_scc0 .LBB126_1435
; %bb.1426:
	global_load_ubyte v4, v[5:6], off
	s_movk_i32 s10, 0x7f
	s_mov_b64 s[12:13], 0
	s_waitcnt vmcnt(0)
	v_cmp_lt_i16_e32 vcc, s10, v4
	s_and_saveexec_b64 s[10:11], vcc
	s_xor_b64 s[10:11], exec, s[10:11]
	s_cbranch_execz .LBB126_1447
; %bb.1427:
	s_movk_i32 s12, 0x80
	v_cmp_ne_u16_e32 vcc, s12, v4
	s_and_b64 s[12:13], vcc, exec
	s_andn2_saveexec_b64 s[10:11], s[10:11]
	s_cbranch_execnz .LBB126_1448
.LBB126_1428:
	s_or_b64 exec, exec, s[10:11]
	v_mov_b32_e32 v3, 0
	s_and_saveexec_b64 s[10:11], s[12:13]
	s_cbranch_execz .LBB126_1430
.LBB126_1429:
	v_lshlrev_b32_e32 v3, 24, v4
	v_and_b32_e32 v4, 0xffff, v4
	v_and_b32_e32 v8, 3, v4
	v_ffbh_u32_e32 v10, v8
	v_min_u32_e32 v10, 32, v10
	v_subrev_u32_e32 v11, 29, v10
	v_bfe_u32 v9, v4, 2, 5
	v_lshlrev_b32_e32 v4, v11, v4
	v_sub_u32_e32 v10, 30, v10
	v_and_b32_e32 v4, 3, v4
	v_cmp_eq_u32_e32 vcc, 0, v9
	v_cndmask_b32_e32 v9, v9, v10, vcc
	v_cndmask_b32_e32 v4, v8, v4, vcc
	v_mov_b32_e32 v8, 0x37800000
	v_lshlrev_b32_e32 v4, 21, v4
	v_and_b32_e32 v3, 0x80000000, v3
	v_lshl_add_u32 v8, v9, 23, v8
	v_or3_b32 v3, v3, v8, v4
	v_trunc_f32_e32 v3, v3
	s_mov_b32 s12, 0x2f800000
	v_mul_f32_e64 v4, |v3|, s12
	v_floor_f32_e32 v4, v4
	s_mov_b32 s12, 0xcf800000
	v_fma_f32 v4, v4, s12, |v3|
	v_cvt_u32_f32_e32 v4, v4
	v_ashrrev_i32_e32 v3, 31, v3
	v_xor_b32_e32 v4, v4, v3
	v_sub_u32_e32 v3, v4, v3
.LBB126_1430:
	s_or_b64 exec, exec, s[10:11]
	s_mov_b64 s[10:11], 0
	s_branch .LBB126_1436
.LBB126_1431:
	s_mov_b64 s[10:11], -1
                                        ; implicit-def: $vgpr3
	s_branch .LBB126_1442
.LBB126_1432:
	s_andn2_saveexec_b64 s[12:13], s[12:13]
	s_cbranch_execz .LBB126_1417
.LBB126_1433:
	v_cmp_ne_u16_e32 vcc, 0, v4
	s_andn2_b64 s[16:17], s[16:17], exec
	s_and_b64 s[18:19], vcc, exec
	s_or_b64 s[16:17], s[16:17], s[18:19]
	s_or_b64 exec, exec, s[12:13]
	v_mov_b32_e32 v3, 0
	s_and_saveexec_b64 s[12:13], s[16:17]
	s_cbranch_execnz .LBB126_1418
	s_branch .LBB126_1419
.LBB126_1434:
	s_mov_b64 s[10:11], -1
                                        ; implicit-def: $vgpr3
	s_branch .LBB126_1439
.LBB126_1435:
	s_mov_b64 s[10:11], -1
                                        ; implicit-def: $vgpr3
.LBB126_1436:
	s_and_b64 vcc, exec, s[10:11]
	s_cbranch_vccz .LBB126_1438
; %bb.1437:
	global_load_ubyte v3, v[5:6], off
	s_mov_b32 s10, 0x7f800000
	s_brev_b32 s11, 1
	s_mov_b32 s12, 0x2f800000
	s_waitcnt vmcnt(0)
	v_lshlrev_b32_e32 v3, 24, v3
	v_and_b32_e32 v4, 0x7f000000, v3
	v_ffbh_u32_e32 v8, v4
	v_min_u32_e32 v8, 32, v8
	v_sub_u32_e64 v8, v8, 4 clamp
	v_lshlrev_b32_e32 v10, v8, v4
	v_lshlrev_b32_e32 v8, 23, v8
	v_lshrrev_b32_e32 v10, 4, v10
	v_add_u32_e32 v9, 0x1000000, v4
	v_sub_u32_e32 v8, v10, v8
	v_ashrrev_i32_e32 v9, 8, v9
	v_add_u32_e32 v8, 0x3c000000, v8
	v_and_or_b32 v8, v9, s10, v8
	v_cmp_ne_u32_e32 vcc, 0, v4
	v_cndmask_b32_e32 v4, 0, v8, vcc
	v_and_or_b32 v3, v3, s11, v4
	v_trunc_f32_e32 v3, v3
	v_mul_f32_e64 v4, |v3|, s12
	v_floor_f32_e32 v4, v4
	s_mov_b32 s10, 0xcf800000
	v_fma_f32 v4, v4, s10, |v3|
	v_cvt_u32_f32_e32 v4, v4
	v_ashrrev_i32_e32 v3, 31, v3
	v_xor_b32_e32 v4, v4, v3
	v_sub_u32_e32 v3, v4, v3
.LBB126_1438:
	s_mov_b64 s[10:11], 0
.LBB126_1439:
	s_andn2_b64 vcc, exec, s[10:11]
	s_cbranch_vccnz .LBB126_1441
; %bb.1440:
	global_load_ubyte v3, v[5:6], off
	s_movk_i32 s10, 0x7f00
	s_brev_b32 s11, 16
	s_brev_b32 s12, 1
	s_mov_b32 s13, 0x2f800000
	s_waitcnt vmcnt(0)
	v_lshlrev_b16_e32 v4, 8, v3
	v_lshlrev_b32_e32 v3, 25, v3
	v_lshrrev_b32_e32 v8, 4, v3
	v_and_or_b32 v9, v4, s10, 0.5
	v_or_b32_e32 v8, 0x70000000, v8
	v_add_f32_e32 v9, -0.5, v9
	v_mul_f32_e32 v8, 0x7800000, v8
	v_cmp_gt_u32_e32 vcc, s11, v3
	v_bfe_i32 v4, v4, 0, 16
	v_cndmask_b32_e32 v3, v8, v9, vcc
	v_and_or_b32 v3, v4, s12, v3
	v_trunc_f32_e32 v3, v3
	v_mul_f32_e64 v4, |v3|, s13
	v_floor_f32_e32 v4, v4
	s_mov_b32 s10, 0xcf800000
	v_fma_f32 v4, v4, s10, |v3|
	v_cvt_u32_f32_e32 v4, v4
	v_ashrrev_i32_e32 v3, 31, v3
	v_xor_b32_e32 v4, v4, v3
	v_sub_u32_e32 v3, v4, v3
.LBB126_1441:
	s_mov_b64 s[10:11], 0
	s_mov_b64 s[12:13], -1
.LBB126_1442:
	s_andn2_b64 vcc, exec, s[10:11]
	s_mov_b64 s[10:11], 0
	s_cbranch_vccnz .LBB126_1453
; %bb.1443:
	s_cmp_gt_i32 s3, 14
	s_cbranch_scc0 .LBB126_1446
; %bb.1444:
	s_cmp_eq_u32 s3, 15
	s_cbranch_scc0 .LBB126_1449
; %bb.1445:
	global_load_ushort v3, v[5:6], off
	s_mov_b32 s0, 0x2f800000
	s_mov_b32 s1, 0xcf800000
	s_mov_b64 s[12:13], -1
	s_waitcnt vmcnt(0)
	v_lshlrev_b32_e32 v3, 16, v3
	v_trunc_f32_e32 v3, v3
	v_mul_f32_e64 v4, |v3|, s0
	v_floor_f32_e32 v4, v4
	v_fma_f32 v4, v4, s1, |v3|
	v_cvt_u32_f32_e32 v4, v4
	v_ashrrev_i32_e32 v3, 31, v3
	s_mov_b64 s[0:1], 0
	v_xor_b32_e32 v4, v4, v3
	v_sub_u32_e32 v3, v4, v3
	s_branch .LBB126_1450
.LBB126_1446:
	s_mov_b64 s[16:17], -1
                                        ; implicit-def: $vgpr3
	s_branch .LBB126_1451
.LBB126_1447:
	s_andn2_saveexec_b64 s[10:11], s[10:11]
	s_cbranch_execz .LBB126_1428
.LBB126_1448:
	v_cmp_ne_u16_e32 vcc, 0, v4
	s_andn2_b64 s[12:13], s[12:13], exec
	s_and_b64 s[16:17], vcc, exec
	s_or_b64 s[12:13], s[12:13], s[16:17]
	s_or_b64 exec, exec, s[10:11]
	v_mov_b32_e32 v3, 0
	s_and_saveexec_b64 s[10:11], s[12:13]
	s_cbranch_execnz .LBB126_1429
	s_branch .LBB126_1430
.LBB126_1449:
	s_mov_b64 s[0:1], -1
                                        ; implicit-def: $vgpr3
.LBB126_1450:
	s_mov_b64 s[16:17], 0
.LBB126_1451:
	s_and_b64 vcc, exec, s[16:17]
	s_cbranch_vccz .LBB126_1453
; %bb.1452:
	s_cmp_lg_u32 s3, 11
	s_mov_b64 s[10:11], -1
	s_cselect_b64 s[0:1], -1, 0
.LBB126_1453:
	s_and_b64 vcc, exec, s[0:1]
	s_cbranch_vccnz .LBB126_1986
; %bb.1454:
	s_andn2_b64 vcc, exec, s[10:11]
	s_cbranch_vccnz .LBB126_1456
.LBB126_1455:
	global_load_ubyte v3, v[5:6], off
	s_mov_b64 s[12:13], -1
	s_waitcnt vmcnt(0)
	v_cmp_ne_u16_e32 vcc, 0, v3
	v_cndmask_b32_e64 v3, 0, 1, vcc
.LBB126_1456:
	s_mov_b64 s[0:1], 0
.LBB126_1457:
	s_and_b64 vcc, exec, s[0:1]
	s_cbranch_vccz .LBB126_1506
; %bb.1458:
	s_and_b32 s3, 0xffff, s20
	s_cmp_lt_i32 s3, 5
	s_cbranch_scc1 .LBB126_1463
; %bb.1459:
	s_cmp_lt_i32 s3, 8
	s_cbranch_scc1 .LBB126_1464
; %bb.1460:
	;; [unrolled: 3-line block ×3, first 2 shown]
	s_cmp_gt_i32 s3, 9
	s_cbranch_scc0 .LBB126_1466
; %bb.1462:
	global_load_dwordx2 v[3:4], v[5:6], off
	s_movk_i32 s0, 0xffe0
	s_waitcnt vmcnt(0)
	v_trunc_f64_e32 v[3:4], v[3:4]
	v_ldexp_f64 v[8:9], v[3:4], s0
	s_mov_b32 s0, 0
	s_mov_b32 s1, 0xc1f00000
	v_floor_f64_e32 v[8:9], v[8:9]
	v_fma_f64 v[3:4], v[8:9], s[0:1], v[3:4]
	s_mov_b64 s[0:1], 0
	v_cvt_u32_f64_e32 v3, v[3:4]
	s_branch .LBB126_1467
.LBB126_1463:
	s_mov_b64 s[0:1], -1
                                        ; implicit-def: $vgpr3
	s_branch .LBB126_1485
.LBB126_1464:
	s_mov_b64 s[0:1], -1
                                        ; implicit-def: $vgpr3
	s_branch .LBB126_1473
.LBB126_1465:
	s_mov_b64 s[0:1], -1
                                        ; implicit-def: $vgpr3
	s_branch .LBB126_1470
.LBB126_1466:
	s_mov_b64 s[0:1], -1
                                        ; implicit-def: $vgpr3
.LBB126_1467:
	s_andn2_b64 vcc, exec, s[0:1]
	s_cbranch_vccnz .LBB126_1469
; %bb.1468:
	global_load_dword v3, v[5:6], off
	s_mov_b32 s0, 0x2f800000
	s_waitcnt vmcnt(0)
	v_trunc_f32_e32 v3, v3
	v_mul_f32_e64 v4, |v3|, s0
	v_floor_f32_e32 v4, v4
	s_mov_b32 s0, 0xcf800000
	v_fma_f32 v4, v4, s0, |v3|
	v_cvt_u32_f32_e32 v4, v4
	v_ashrrev_i32_e32 v3, 31, v3
	v_xor_b32_e32 v4, v4, v3
	v_sub_u32_e32 v3, v4, v3
.LBB126_1469:
	s_mov_b64 s[0:1], 0
.LBB126_1470:
	s_andn2_b64 vcc, exec, s[0:1]
	s_cbranch_vccnz .LBB126_1472
; %bb.1471:
	global_load_dword v3, v[5:6], off
	s_waitcnt vmcnt(0)
	v_cvt_f32_f16_e32 v3, v3
	v_cvt_i32_f32_e32 v3, v3
.LBB126_1472:
	s_mov_b64 s[0:1], 0
.LBB126_1473:
	s_andn2_b64 vcc, exec, s[0:1]
	s_cbranch_vccnz .LBB126_1484
; %bb.1474:
	s_cmp_lt_i32 s3, 6
	s_cbranch_scc1 .LBB126_1477
; %bb.1475:
	s_cmp_gt_i32 s3, 6
	s_cbranch_scc0 .LBB126_1478
; %bb.1476:
	global_load_dwordx2 v[3:4], v[5:6], off
	s_movk_i32 s0, 0xffe0
	s_waitcnt vmcnt(0)
	v_trunc_f64_e32 v[3:4], v[3:4]
	v_ldexp_f64 v[8:9], v[3:4], s0
	s_mov_b32 s0, 0
	s_mov_b32 s1, 0xc1f00000
	v_floor_f64_e32 v[8:9], v[8:9]
	v_fma_f64 v[3:4], v[8:9], s[0:1], v[3:4]
	s_mov_b64 s[0:1], 0
	v_cvt_u32_f64_e32 v3, v[3:4]
	s_branch .LBB126_1479
.LBB126_1477:
	s_mov_b64 s[0:1], -1
                                        ; implicit-def: $vgpr3
	s_branch .LBB126_1482
.LBB126_1478:
	s_mov_b64 s[0:1], -1
                                        ; implicit-def: $vgpr3
.LBB126_1479:
	s_andn2_b64 vcc, exec, s[0:1]
	s_cbranch_vccnz .LBB126_1481
; %bb.1480:
	global_load_dword v3, v[5:6], off
	s_mov_b32 s0, 0x2f800000
	s_waitcnt vmcnt(0)
	v_trunc_f32_e32 v3, v3
	v_mul_f32_e64 v4, |v3|, s0
	v_floor_f32_e32 v4, v4
	s_mov_b32 s0, 0xcf800000
	v_fma_f32 v4, v4, s0, |v3|
	v_cvt_u32_f32_e32 v4, v4
	v_ashrrev_i32_e32 v3, 31, v3
	v_xor_b32_e32 v4, v4, v3
	v_sub_u32_e32 v3, v4, v3
.LBB126_1481:
	s_mov_b64 s[0:1], 0
.LBB126_1482:
	s_andn2_b64 vcc, exec, s[0:1]
	s_cbranch_vccnz .LBB126_1484
; %bb.1483:
	global_load_ushort v3, v[5:6], off
	s_waitcnt vmcnt(0)
	v_cvt_f32_f16_e32 v3, v3
	v_cvt_i32_f32_e32 v3, v3
.LBB126_1484:
	s_mov_b64 s[0:1], 0
.LBB126_1485:
	s_andn2_b64 vcc, exec, s[0:1]
	s_cbranch_vccnz .LBB126_1505
; %bb.1486:
	s_cmp_lt_i32 s3, 2
	s_cbranch_scc1 .LBB126_1490
; %bb.1487:
	s_cmp_lt_i32 s3, 3
	s_cbranch_scc1 .LBB126_1491
; %bb.1488:
	s_cmp_gt_i32 s3, 3
	s_cbranch_scc0 .LBB126_1492
; %bb.1489:
	global_load_dwordx2 v[3:4], v[5:6], off
	s_mov_b64 s[0:1], 0
	s_branch .LBB126_1493
.LBB126_1490:
	s_mov_b64 s[0:1], -1
                                        ; implicit-def: $vgpr3
	s_branch .LBB126_1499
.LBB126_1491:
	s_mov_b64 s[0:1], -1
                                        ; implicit-def: $vgpr3
	s_branch .LBB126_1496
.LBB126_1492:
	s_mov_b64 s[0:1], -1
                                        ; implicit-def: $vgpr3
.LBB126_1493:
	s_andn2_b64 vcc, exec, s[0:1]
	s_cbranch_vccnz .LBB126_1495
; %bb.1494:
	global_load_dword v3, v[5:6], off
.LBB126_1495:
	s_mov_b64 s[0:1], 0
.LBB126_1496:
	s_andn2_b64 vcc, exec, s[0:1]
	s_cbranch_vccnz .LBB126_1498
; %bb.1497:
	global_load_ushort v3, v[5:6], off
.LBB126_1498:
	s_mov_b64 s[0:1], 0
.LBB126_1499:
	s_andn2_b64 vcc, exec, s[0:1]
	s_cbranch_vccnz .LBB126_1505
; %bb.1500:
	s_cmp_gt_i32 s3, 0
	s_cbranch_scc0 .LBB126_1502
; %bb.1501:
	global_load_ubyte v3, v[5:6], off
	s_mov_b64 s[0:1], 0
	s_branch .LBB126_1503
.LBB126_1502:
	s_mov_b64 s[0:1], -1
                                        ; implicit-def: $vgpr3
.LBB126_1503:
	s_andn2_b64 vcc, exec, s[0:1]
	s_cbranch_vccnz .LBB126_1505
; %bb.1504:
	global_load_ubyte v3, v[5:6], off
.LBB126_1505:
	s_mov_b64 s[12:13], -1
.LBB126_1506:
	s_andn2_b64 vcc, exec, s[12:13]
	s_cbranch_vccnz .LBB126_1940
; %bb.1507:
	v_mul_lo_u32 v6, s2, v7
	s_and_b32 s21, s42, 0xff
	v_mov_b32_e32 v5, 8
	s_waitcnt vmcnt(0)
	v_lshrrev_b16_sdwa v4, v0, s21 dst_sel:DWORD dst_unused:UNUSED_PAD src0_sel:BYTE_0 src1_sel:DWORD
	v_cmp_lt_u16_sdwa vcc, v0, v5 src0_sel:BYTE_0 src1_sel:DWORD
	v_cndmask_b32_e32 v0, 0, v4, vcc
	v_ashrrev_i32_e32 v5, 31, v6
	v_mov_b32_e32 v7, s9
	s_and_b32 s20, s33, 0xff
	v_add_co_u32_e32 v4, vcc, s8, v6
	s_cmp_lt_i32 s20, 11
	v_addc_co_u32_e32 v5, vcc, v7, v5, vcc
	s_cbranch_scc1 .LBB126_1585
; %bb.1508:
	s_and_b32 s3, 0xffff, s20
	s_mov_b64 s[16:17], -1
	s_mov_b64 s[10:11], 0
	s_cmp_gt_i32 s3, 25
	s_mov_b64 s[12:13], 0
	s_mov_b64 s[0:1], 0
	s_cbranch_scc0 .LBB126_1541
; %bb.1509:
	s_cmp_gt_i32 s3, 28
	s_cbranch_scc0 .LBB126_1524
; %bb.1510:
	s_cmp_gt_i32 s3, 43
	;; [unrolled: 3-line block ×3, first 2 shown]
	s_cbranch_scc0 .LBB126_1514
; %bb.1512:
	s_mov_b64 s[0:1], -1
	s_mov_b64 s[16:17], 0
	s_cmp_eq_u32 s3, 46
	s_cbranch_scc0 .LBB126_1514
; %bb.1513:
	v_cvt_f32_ubyte0_e32 v7, v0
	v_bfe_u32 v8, v7, 16, 1
	s_movk_i32 s0, 0x7fff
	v_add3_u32 v7, v7, v8, s0
	v_lshrrev_b32_e32 v7, 16, v7
	global_store_dword v[4:5], v7, off
	s_mov_b64 s[0:1], 0
	s_mov_b64 s[12:13], -1
.LBB126_1514:
	s_and_b64 vcc, exec, s[16:17]
	s_cbranch_vccz .LBB126_1519
; %bb.1515:
	s_cmp_eq_u32 s3, 44
	s_mov_b64 s[0:1], -1
	s_cbranch_scc0 .LBB126_1519
; %bb.1516:
	v_cvt_f32_ubyte0_e32 v8, v0
	v_lshrrev_b32_e32 v7, 23, v8
	s_movk_i32 s0, 0xff
	v_cmp_ne_u32_e32 vcc, s0, v7
	v_mov_b32_e32 v9, 0xff
	s_and_saveexec_b64 s[12:13], vcc
; %bb.1517:
	s_mov_b32 s0, 0x3fffff
	v_and_b32_e32 v9, 0x400000, v8
	v_and_or_b32 v8, v8, s0, v7
	v_cmp_ne_u32_e32 vcc, 0, v9
	v_cmp_ne_u32_e64 s[0:1], 0, v8
	s_and_b64 s[0:1], vcc, s[0:1]
	v_cndmask_b32_e64 v8, 0, 1, s[0:1]
	v_add_u32_e32 v9, v7, v8
; %bb.1518:
	s_or_b64 exec, exec, s[12:13]
	s_mov_b64 s[0:1], 0
	s_mov_b64 s[12:13], -1
	global_store_byte v[4:5], v9, off
.LBB126_1519:
	s_mov_b64 s[16:17], 0
.LBB126_1520:
	s_and_b64 vcc, exec, s[16:17]
	s_cbranch_vccz .LBB126_1523
; %bb.1521:
	s_cmp_eq_u32 s3, 29
	s_mov_b64 s[0:1], -1
	s_cbranch_scc0 .LBB126_1523
; %bb.1522:
	s_mov_b32 s0, 0
	v_and_b32_e32 v7, 0xffff, v0
	v_mov_b32_e32 v8, s0
	global_store_dwordx2 v[4:5], v[7:8], off
	s_mov_b64 s[0:1], 0
	s_mov_b64 s[12:13], -1
.LBB126_1523:
	s_mov_b64 s[16:17], 0
.LBB126_1524:
	s_and_b64 vcc, exec, s[16:17]
	s_cbranch_vccz .LBB126_1540
; %bb.1525:
	s_cmp_lt_i32 s3, 27
	s_mov_b64 s[12:13], -1
	s_cbranch_scc1 .LBB126_1531
; %bb.1526:
	s_cmp_gt_i32 s3, 27
	s_cbranch_scc0 .LBB126_1528
; %bb.1527:
	v_and_b32_e32 v7, 0xffff, v0
	s_mov_b64 s[12:13], 0
	global_store_dword v[4:5], v7, off
.LBB126_1528:
	s_andn2_b64 vcc, exec, s[12:13]
	s_cbranch_vccnz .LBB126_1530
; %bb.1529:
	global_store_short v[4:5], v0, off
.LBB126_1530:
	s_mov_b64 s[12:13], 0
.LBB126_1531:
	s_andn2_b64 vcc, exec, s[12:13]
	s_cbranch_vccnz .LBB126_1539
; %bb.1532:
	v_cvt_f32_ubyte0_e32 v8, v0
	s_mov_b32 s12, 0x43800000
	v_cmp_gt_u32_e32 vcc, s12, v8
	v_mov_b32_e32 v9, 0x80
	s_and_saveexec_b64 s[12:13], vcc
	s_cbranch_execz .LBB126_1538
; %bb.1533:
	s_mov_b32 s16, 0x3bffffff
	v_cmp_lt_u32_e32 vcc, s16, v8
	s_mov_b64 s[16:17], 0
                                        ; implicit-def: $vgpr7
	s_and_saveexec_b64 s[18:19], vcc
	s_xor_b64 s[18:19], exec, s[18:19]
	s_cbranch_execz .LBB126_1987
; %bb.1534:
	v_bfe_u32 v7, v8, 20, 1
	s_mov_b32 s22, 0x487ffff
	v_add3_u32 v7, v8, v7, s22
	s_mov_b64 s[16:17], exec
	v_lshrrev_b32_e32 v7, 20, v7
                                        ; implicit-def: $vgpr8
	s_andn2_saveexec_b64 s[18:19], s[18:19]
	s_cbranch_execnz .LBB126_1988
.LBB126_1535:
	s_or_b64 exec, exec, s[18:19]
	v_mov_b32_e32 v9, 0
	s_and_saveexec_b64 s[18:19], s[16:17]
.LBB126_1536:
	v_mov_b32_e32 v9, v7
.LBB126_1537:
	s_or_b64 exec, exec, s[18:19]
.LBB126_1538:
	s_or_b64 exec, exec, s[12:13]
	global_store_byte v[4:5], v9, off
.LBB126_1539:
	s_mov_b64 s[12:13], -1
.LBB126_1540:
	s_mov_b64 s[16:17], 0
.LBB126_1541:
	s_and_b64 vcc, exec, s[16:17]
	s_cbranch_vccz .LBB126_1581
; %bb.1542:
	s_cmp_gt_i32 s3, 22
	s_mov_b64 s[10:11], -1
	s_cbranch_scc0 .LBB126_1574
; %bb.1543:
	s_cmp_lt_i32 s3, 24
	s_cbranch_scc1 .LBB126_1563
; %bb.1544:
	s_cmp_gt_i32 s3, 24
	s_cbranch_scc0 .LBB126_1552
; %bb.1545:
	v_cvt_f32_ubyte0_e32 v8, v0
	s_mov_b32 s10, 0x47800000
	v_cmp_gt_u32_e32 vcc, s10, v8
	v_mov_b32_e32 v9, 0x80
	s_and_saveexec_b64 s[10:11], vcc
	s_cbranch_execz .LBB126_1551
; %bb.1546:
	s_mov_b32 s12, 0x37ffffff
	v_cmp_lt_u32_e32 vcc, s12, v8
	s_mov_b64 s[12:13], 0
                                        ; implicit-def: $vgpr7
	s_and_saveexec_b64 s[16:17], vcc
	s_xor_b64 s[16:17], exec, s[16:17]
	s_cbranch_execz .LBB126_1990
; %bb.1547:
	v_bfe_u32 v7, v8, 21, 1
	s_mov_b32 s18, 0x88fffff
	v_add3_u32 v7, v8, v7, s18
	s_mov_b64 s[12:13], exec
	v_lshrrev_b32_e32 v7, 21, v7
                                        ; implicit-def: $vgpr8
	s_andn2_saveexec_b64 s[16:17], s[16:17]
	s_cbranch_execnz .LBB126_1991
.LBB126_1548:
	s_or_b64 exec, exec, s[16:17]
	v_mov_b32_e32 v9, 0
	s_and_saveexec_b64 s[16:17], s[12:13]
.LBB126_1549:
	v_mov_b32_e32 v9, v7
.LBB126_1550:
	s_or_b64 exec, exec, s[16:17]
.LBB126_1551:
	s_or_b64 exec, exec, s[10:11]
	s_mov_b64 s[10:11], 0
	global_store_byte v[4:5], v9, off
.LBB126_1552:
	s_and_b64 vcc, exec, s[10:11]
	s_cbranch_vccz .LBB126_1562
; %bb.1553:
	v_cvt_f32_ubyte0_e32 v7, v0
	s_mov_b32 s10, 0x43f00000
	v_cmp_gt_u32_e32 vcc, s10, v7
                                        ; implicit-def: $vgpr8
	s_and_saveexec_b64 s[10:11], vcc
	s_xor_b64 s[10:11], exec, s[10:11]
	s_cbranch_execz .LBB126_1559
; %bb.1554:
	s_mov_b32 s12, 0x3c7fffff
	v_cmp_lt_u32_e32 vcc, s12, v7
                                        ; implicit-def: $vgpr8
	s_and_saveexec_b64 s[12:13], vcc
	s_xor_b64 s[12:13], exec, s[12:13]
; %bb.1555:
	v_bfe_u32 v8, v7, 20, 1
	s_mov_b32 s16, 0x407ffff
	v_add3_u32 v7, v7, v8, s16
	v_lshrrev_b32_e32 v8, 20, v7
	v_and_b32_e32 v7, 0xff00000, v7
	s_mov_b32 s16, 0x7f00000
	v_mov_b32_e32 v9, 0x7e
	v_cmp_ne_u32_e32 vcc, s16, v7
	v_cndmask_b32_e32 v8, v9, v8, vcc
                                        ; implicit-def: $vgpr7
; %bb.1556:
	s_andn2_saveexec_b64 s[12:13], s[12:13]
; %bb.1557:
	v_add_f32_e32 v8, 0x46800000, v7
; %bb.1558:
	s_or_b64 exec, exec, s[12:13]
                                        ; implicit-def: $vgpr7
.LBB126_1559:
	s_andn2_saveexec_b64 s[10:11], s[10:11]
; %bb.1560:
	s_mov_b32 s12, 0x7f800000
	v_mov_b32_e32 v8, 0x7e
	v_mov_b32_e32 v9, 0x7f
	v_cmp_lt_u32_e32 vcc, s12, v7
	v_cndmask_b32_e32 v8, v8, v9, vcc
; %bb.1561:
	s_or_b64 exec, exec, s[10:11]
	global_store_byte v[4:5], v8, off
.LBB126_1562:
	s_mov_b64 s[10:11], 0
.LBB126_1563:
	s_andn2_b64 vcc, exec, s[10:11]
	s_cbranch_vccnz .LBB126_1573
; %bb.1564:
	v_cvt_f32_ubyte0_e32 v7, v0
	s_mov_b32 s10, 0x47800000
	v_cmp_gt_u32_e32 vcc, s10, v7
                                        ; implicit-def: $vgpr8
	s_and_saveexec_b64 s[10:11], vcc
	s_xor_b64 s[10:11], exec, s[10:11]
	s_cbranch_execz .LBB126_1570
; %bb.1565:
	s_mov_b32 s12, 0x387fffff
	v_cmp_lt_u32_e32 vcc, s12, v7
                                        ; implicit-def: $vgpr8
	s_and_saveexec_b64 s[12:13], vcc
	s_xor_b64 s[12:13], exec, s[12:13]
; %bb.1566:
	v_bfe_u32 v8, v7, 21, 1
	s_mov_b32 s16, 0x80fffff
	v_add3_u32 v7, v7, v8, s16
	v_lshrrev_b32_e32 v8, 21, v7
                                        ; implicit-def: $vgpr7
; %bb.1567:
	s_andn2_saveexec_b64 s[12:13], s[12:13]
; %bb.1568:
	v_add_f32_e32 v8, 0x43000000, v7
; %bb.1569:
	s_or_b64 exec, exec, s[12:13]
                                        ; implicit-def: $vgpr7
.LBB126_1570:
	s_andn2_saveexec_b64 s[10:11], s[10:11]
; %bb.1571:
	s_mov_b32 s12, 0x7f800000
	v_mov_b32_e32 v8, 0x7c
	v_mov_b32_e32 v9, 0x7f
	v_cmp_lt_u32_e32 vcc, s12, v7
	v_cndmask_b32_e32 v8, v8, v9, vcc
; %bb.1572:
	s_or_b64 exec, exec, s[10:11]
	global_store_byte v[4:5], v8, off
.LBB126_1573:
	s_mov_b64 s[10:11], 0
	s_mov_b64 s[12:13], -1
.LBB126_1574:
	s_andn2_b64 vcc, exec, s[10:11]
	s_mov_b64 s[10:11], 0
	s_cbranch_vccnz .LBB126_1581
; %bb.1575:
	s_cmp_gt_i32 s3, 14
	s_mov_b64 s[16:17], -1
	s_cbranch_scc0 .LBB126_1579
; %bb.1576:
	s_cmp_eq_u32 s3, 15
	s_mov_b64 s[0:1], -1
	s_cbranch_scc0 .LBB126_1578
; %bb.1577:
	v_cvt_f32_ubyte0_e32 v7, v0
	v_bfe_u32 v8, v7, 16, 1
	s_movk_i32 s0, 0x7fff
	v_add3_u32 v7, v7, v8, s0
	global_store_short_d16_hi v[4:5], v7, off
	s_mov_b64 s[0:1], 0
	s_mov_b64 s[12:13], -1
.LBB126_1578:
	s_mov_b64 s[16:17], 0
.LBB126_1579:
	s_and_b64 vcc, exec, s[16:17]
	s_cbranch_vccz .LBB126_1581
; %bb.1580:
	s_cmp_lg_u32 s3, 11
	s_mov_b64 s[10:11], -1
	s_cselect_b64 s[0:1], -1, 0
.LBB126_1581:
	s_and_b64 vcc, exec, s[0:1]
	s_cbranch_vccnz .LBB126_1989
; %bb.1582:
	s_andn2_b64 vcc, exec, s[10:11]
	s_cbranch_vccnz .LBB126_1584
.LBB126_1583:
	v_cmp_ne_u16_e32 vcc, 0, v0
	v_cndmask_b32_e64 v7, 0, 1, vcc
	s_mov_b64 s[12:13], -1
	global_store_byte v[4:5], v7, off
.LBB126_1584:
	s_mov_b64 s[0:1], 0
	s_branch .LBB126_1586
.LBB126_1585:
	s_mov_b64 s[0:1], -1
	s_mov_b64 s[12:13], 0
.LBB126_1586:
	s_and_b64 vcc, exec, s[0:1]
	s_cbranch_vccz .LBB126_1625
; %bb.1587:
	s_and_b32 s3, 0xffff, s20
	s_cmp_lt_i32 s3, 5
	s_mov_b64 s[0:1], -1
	s_cbranch_scc1 .LBB126_1608
; %bb.1588:
	s_cmp_lt_i32 s3, 8
	s_cbranch_scc1 .LBB126_1598
; %bb.1589:
	s_cmp_lt_i32 s3, 9
	s_cbranch_scc1 .LBB126_1595
; %bb.1590:
	s_cmp_gt_i32 s3, 9
	s_cbranch_scc0 .LBB126_1592
; %bb.1591:
	v_and_b32_e32 v7, 0xffff, v0
	v_cvt_f64_u32_e32 v[7:8], v7
	v_mov_b32_e32 v9, 0
	v_mov_b32_e32 v10, v9
	s_mov_b64 s[0:1], 0
	global_store_dwordx4 v[4:5], v[7:10], off
.LBB126_1592:
	s_andn2_b64 vcc, exec, s[0:1]
	s_cbranch_vccnz .LBB126_1594
; %bb.1593:
	v_cvt_f32_ubyte0_e32 v7, v0
	v_mov_b32_e32 v8, 0
	global_store_dwordx2 v[4:5], v[7:8], off
.LBB126_1594:
	s_mov_b64 s[0:1], 0
.LBB126_1595:
	s_andn2_b64 vcc, exec, s[0:1]
	s_cbranch_vccnz .LBB126_1597
; %bb.1596:
	v_cvt_f16_u16_e32 v7, v0
	global_store_dword v[4:5], v7, off
.LBB126_1597:
	s_mov_b64 s[0:1], 0
.LBB126_1598:
	s_andn2_b64 vcc, exec, s[0:1]
	s_cbranch_vccnz .LBB126_1607
; %bb.1599:
	s_cmp_lt_i32 s3, 6
	s_mov_b64 s[0:1], -1
	s_cbranch_scc1 .LBB126_1605
; %bb.1600:
	s_cmp_gt_i32 s3, 6
	s_cbranch_scc0 .LBB126_1602
; %bb.1601:
	v_and_b32_e32 v7, 0xffff, v0
	v_cvt_f64_u32_e32 v[7:8], v7
	s_mov_b64 s[0:1], 0
	global_store_dwordx2 v[4:5], v[7:8], off
.LBB126_1602:
	s_andn2_b64 vcc, exec, s[0:1]
	s_cbranch_vccnz .LBB126_1604
; %bb.1603:
	v_cvt_f32_ubyte0_e32 v7, v0
	global_store_dword v[4:5], v7, off
.LBB126_1604:
	s_mov_b64 s[0:1], 0
.LBB126_1605:
	s_andn2_b64 vcc, exec, s[0:1]
	s_cbranch_vccnz .LBB126_1607
; %bb.1606:
	v_cvt_f16_u16_e32 v7, v0
	global_store_short v[4:5], v7, off
.LBB126_1607:
	s_mov_b64 s[0:1], 0
.LBB126_1608:
	s_andn2_b64 vcc, exec, s[0:1]
	s_cbranch_vccnz .LBB126_1624
; %bb.1609:
	s_cmp_lt_i32 s3, 2
	s_mov_b64 s[0:1], -1
	s_cbranch_scc1 .LBB126_1619
; %bb.1610:
	s_cmp_lt_i32 s3, 3
	s_cbranch_scc1 .LBB126_1616
; %bb.1611:
	s_cmp_gt_i32 s3, 3
	s_cbranch_scc0 .LBB126_1613
; %bb.1612:
	s_mov_b32 s0, 0
	v_and_b32_e32 v7, 0xffff, v0
	v_mov_b32_e32 v8, s0
	global_store_dwordx2 v[4:5], v[7:8], off
	s_mov_b64 s[0:1], 0
.LBB126_1613:
	s_andn2_b64 vcc, exec, s[0:1]
	s_cbranch_vccnz .LBB126_1615
; %bb.1614:
	v_and_b32_e32 v7, 0xffff, v0
	global_store_dword v[4:5], v7, off
.LBB126_1615:
	s_mov_b64 s[0:1], 0
.LBB126_1616:
	s_andn2_b64 vcc, exec, s[0:1]
	s_cbranch_vccnz .LBB126_1618
; %bb.1617:
	global_store_short v[4:5], v0, off
.LBB126_1618:
	s_mov_b64 s[0:1], 0
.LBB126_1619:
	s_andn2_b64 vcc, exec, s[0:1]
	s_cbranch_vccnz .LBB126_1624
; %bb.1620:
	s_cmp_gt_i32 s3, 0
	s_mov_b64 s[0:1], -1
	s_cbranch_scc0 .LBB126_1622
; %bb.1621:
	global_store_byte v[4:5], v0, off
	s_mov_b64 s[0:1], 0
.LBB126_1622:
	s_andn2_b64 vcc, exec, s[0:1]
	s_cbranch_vccnz .LBB126_1624
; %bb.1623:
	global_store_byte v[4:5], v0, off
.LBB126_1624:
	s_mov_b64 s[12:13], -1
.LBB126_1625:
	s_andn2_b64 vcc, exec, s[12:13]
	s_cbranch_vccnz .LBB126_1940
; %bb.1626:
	v_mov_b32_e32 v4, 8
	s_lshl_b32 s18, s2, 7
	v_lshrrev_b16_sdwa v0, v1, s21 dst_sel:DWORD dst_unused:UNUSED_PAD src0_sel:BYTE_0 src1_sel:DWORD
	v_cmp_lt_u16_sdwa vcc, v1, v4 src0_sel:BYTE_0 src1_sel:DWORD
	v_add_u32_e32 v4, s18, v6
	v_cndmask_b32_e32 v5, 0, v0, vcc
	v_ashrrev_i32_e32 v1, 31, v4
	v_mov_b32_e32 v6, s9
	v_add_co_u32_e32 v0, vcc, s8, v4
	s_cmp_lt_i32 s20, 11
	v_addc_co_u32_e32 v1, vcc, v6, v1, vcc
	s_cbranch_scc1 .LBB126_1704
; %bb.1627:
	s_and_b32 s19, 0xffff, s20
	s_mov_b64 s[12:13], -1
	s_mov_b64 s[2:3], 0
	s_cmp_gt_i32 s19, 25
	s_mov_b64 s[10:11], 0
	s_mov_b64 s[0:1], 0
	s_cbranch_scc0 .LBB126_1660
; %bb.1628:
	s_cmp_gt_i32 s19, 28
	s_cbranch_scc0 .LBB126_1643
; %bb.1629:
	s_cmp_gt_i32 s19, 43
	;; [unrolled: 3-line block ×3, first 2 shown]
	s_cbranch_scc0 .LBB126_1633
; %bb.1631:
	s_mov_b64 s[0:1], -1
	s_mov_b64 s[12:13], 0
	s_cmp_eq_u32 s19, 46
	s_cbranch_scc0 .LBB126_1633
; %bb.1632:
	v_cvt_f32_ubyte0_e32 v6, v5
	v_bfe_u32 v7, v6, 16, 1
	s_movk_i32 s0, 0x7fff
	v_add3_u32 v6, v6, v7, s0
	v_lshrrev_b32_e32 v6, 16, v6
	global_store_dword v[0:1], v6, off
	s_mov_b64 s[0:1], 0
	s_mov_b64 s[10:11], -1
.LBB126_1633:
	s_and_b64 vcc, exec, s[12:13]
	s_cbranch_vccz .LBB126_1638
; %bb.1634:
	s_cmp_eq_u32 s19, 44
	s_mov_b64 s[0:1], -1
	s_cbranch_scc0 .LBB126_1638
; %bb.1635:
	v_cvt_f32_ubyte0_e32 v7, v5
	v_lshrrev_b32_e32 v6, 23, v7
	s_movk_i32 s0, 0xff
	v_cmp_ne_u32_e32 vcc, s0, v6
	v_mov_b32_e32 v8, 0xff
	s_and_saveexec_b64 s[10:11], vcc
; %bb.1636:
	s_mov_b32 s0, 0x3fffff
	v_and_b32_e32 v8, 0x400000, v7
	v_and_or_b32 v7, v7, s0, v6
	v_cmp_ne_u32_e32 vcc, 0, v8
	v_cmp_ne_u32_e64 s[0:1], 0, v7
	s_and_b64 s[0:1], vcc, s[0:1]
	v_cndmask_b32_e64 v7, 0, 1, s[0:1]
	v_add_u32_e32 v8, v6, v7
; %bb.1637:
	s_or_b64 exec, exec, s[10:11]
	s_mov_b64 s[0:1], 0
	s_mov_b64 s[10:11], -1
	global_store_byte v[0:1], v8, off
.LBB126_1638:
	s_mov_b64 s[12:13], 0
.LBB126_1639:
	s_and_b64 vcc, exec, s[12:13]
	s_cbranch_vccz .LBB126_1642
; %bb.1640:
	s_cmp_eq_u32 s19, 29
	s_mov_b64 s[0:1], -1
	s_cbranch_scc0 .LBB126_1642
; %bb.1641:
	s_mov_b32 s0, 0
	v_and_b32_e32 v6, 0xffff, v5
	v_mov_b32_e32 v7, s0
	global_store_dwordx2 v[0:1], v[6:7], off
	s_mov_b64 s[0:1], 0
	s_mov_b64 s[10:11], -1
.LBB126_1642:
	s_mov_b64 s[12:13], 0
.LBB126_1643:
	s_and_b64 vcc, exec, s[12:13]
	s_cbranch_vccz .LBB126_1659
; %bb.1644:
	s_cmp_lt_i32 s19, 27
	s_mov_b64 s[10:11], -1
	s_cbranch_scc1 .LBB126_1650
; %bb.1645:
	s_cmp_gt_i32 s19, 27
	s_cbranch_scc0 .LBB126_1647
; %bb.1646:
	v_and_b32_e32 v6, 0xffff, v5
	s_mov_b64 s[10:11], 0
	global_store_dword v[0:1], v6, off
.LBB126_1647:
	s_andn2_b64 vcc, exec, s[10:11]
	s_cbranch_vccnz .LBB126_1649
; %bb.1648:
	global_store_short v[0:1], v5, off
.LBB126_1649:
	s_mov_b64 s[10:11], 0
.LBB126_1650:
	s_andn2_b64 vcc, exec, s[10:11]
	s_cbranch_vccnz .LBB126_1658
; %bb.1651:
	v_cvt_f32_ubyte0_e32 v7, v5
	s_mov_b32 s10, 0x43800000
	v_cmp_gt_u32_e32 vcc, s10, v7
	v_mov_b32_e32 v8, 0x80
	s_and_saveexec_b64 s[10:11], vcc
	s_cbranch_execz .LBB126_1657
; %bb.1652:
	s_mov_b32 s12, 0x3bffffff
	v_cmp_lt_u32_e32 vcc, s12, v7
	s_mov_b64 s[12:13], 0
                                        ; implicit-def: $vgpr6
	s_and_saveexec_b64 s[16:17], vcc
	s_xor_b64 s[16:17], exec, s[16:17]
	s_cbranch_execz .LBB126_1992
; %bb.1653:
	v_bfe_u32 v6, v7, 20, 1
	s_mov_b32 s22, 0x487ffff
	v_add3_u32 v6, v7, v6, s22
	s_mov_b64 s[12:13], exec
	v_lshrrev_b32_e32 v6, 20, v6
                                        ; implicit-def: $vgpr7
	s_andn2_saveexec_b64 s[16:17], s[16:17]
	s_cbranch_execnz .LBB126_1993
.LBB126_1654:
	s_or_b64 exec, exec, s[16:17]
	v_mov_b32_e32 v8, 0
	s_and_saveexec_b64 s[16:17], s[12:13]
.LBB126_1655:
	v_mov_b32_e32 v8, v6
.LBB126_1656:
	s_or_b64 exec, exec, s[16:17]
.LBB126_1657:
	s_or_b64 exec, exec, s[10:11]
	global_store_byte v[0:1], v8, off
.LBB126_1658:
	s_mov_b64 s[10:11], -1
.LBB126_1659:
	s_mov_b64 s[12:13], 0
.LBB126_1660:
	s_and_b64 vcc, exec, s[12:13]
	s_cbranch_vccz .LBB126_1700
; %bb.1661:
	s_cmp_gt_i32 s19, 22
	s_mov_b64 s[2:3], -1
	s_cbranch_scc0 .LBB126_1693
; %bb.1662:
	s_cmp_lt_i32 s19, 24
	s_cbranch_scc1 .LBB126_1682
; %bb.1663:
	s_cmp_gt_i32 s19, 24
	s_cbranch_scc0 .LBB126_1671
; %bb.1664:
	v_cvt_f32_ubyte0_e32 v7, v5
	s_mov_b32 s2, 0x47800000
	v_cmp_gt_u32_e32 vcc, s2, v7
	v_mov_b32_e32 v8, 0x80
	s_and_saveexec_b64 s[2:3], vcc
	s_cbranch_execz .LBB126_1670
; %bb.1665:
	s_mov_b32 s10, 0x37ffffff
	v_cmp_lt_u32_e32 vcc, s10, v7
	s_mov_b64 s[10:11], 0
                                        ; implicit-def: $vgpr6
	s_and_saveexec_b64 s[12:13], vcc
	s_xor_b64 s[12:13], exec, s[12:13]
	s_cbranch_execz .LBB126_1995
; %bb.1666:
	v_bfe_u32 v6, v7, 21, 1
	s_mov_b32 s16, 0x88fffff
	v_add3_u32 v6, v7, v6, s16
	s_mov_b64 s[10:11], exec
	v_lshrrev_b32_e32 v6, 21, v6
                                        ; implicit-def: $vgpr7
	s_andn2_saveexec_b64 s[12:13], s[12:13]
	s_cbranch_execnz .LBB126_1996
.LBB126_1667:
	s_or_b64 exec, exec, s[12:13]
	v_mov_b32_e32 v8, 0
	s_and_saveexec_b64 s[12:13], s[10:11]
.LBB126_1668:
	v_mov_b32_e32 v8, v6
.LBB126_1669:
	s_or_b64 exec, exec, s[12:13]
.LBB126_1670:
	s_or_b64 exec, exec, s[2:3]
	s_mov_b64 s[2:3], 0
	global_store_byte v[0:1], v8, off
.LBB126_1671:
	s_and_b64 vcc, exec, s[2:3]
	s_cbranch_vccz .LBB126_1681
; %bb.1672:
	v_cvt_f32_ubyte0_e32 v6, v5
	s_mov_b32 s2, 0x43f00000
	v_cmp_gt_u32_e32 vcc, s2, v6
                                        ; implicit-def: $vgpr7
	s_and_saveexec_b64 s[2:3], vcc
	s_xor_b64 s[2:3], exec, s[2:3]
	s_cbranch_execz .LBB126_1678
; %bb.1673:
	s_mov_b32 s10, 0x3c7fffff
	v_cmp_lt_u32_e32 vcc, s10, v6
                                        ; implicit-def: $vgpr7
	s_and_saveexec_b64 s[10:11], vcc
	s_xor_b64 s[10:11], exec, s[10:11]
; %bb.1674:
	v_bfe_u32 v7, v6, 20, 1
	s_mov_b32 s12, 0x407ffff
	v_add3_u32 v6, v6, v7, s12
	v_lshrrev_b32_e32 v7, 20, v6
	v_and_b32_e32 v6, 0xff00000, v6
	s_mov_b32 s12, 0x7f00000
	v_mov_b32_e32 v8, 0x7e
	v_cmp_ne_u32_e32 vcc, s12, v6
	v_cndmask_b32_e32 v7, v8, v7, vcc
                                        ; implicit-def: $vgpr6
; %bb.1675:
	s_andn2_saveexec_b64 s[10:11], s[10:11]
; %bb.1676:
	v_add_f32_e32 v7, 0x46800000, v6
; %bb.1677:
	s_or_b64 exec, exec, s[10:11]
                                        ; implicit-def: $vgpr6
.LBB126_1678:
	s_andn2_saveexec_b64 s[2:3], s[2:3]
; %bb.1679:
	s_mov_b32 s10, 0x7f800000
	v_mov_b32_e32 v7, 0x7e
	v_mov_b32_e32 v8, 0x7f
	v_cmp_lt_u32_e32 vcc, s10, v6
	v_cndmask_b32_e32 v7, v7, v8, vcc
; %bb.1680:
	s_or_b64 exec, exec, s[2:3]
	global_store_byte v[0:1], v7, off
.LBB126_1681:
	s_mov_b64 s[2:3], 0
.LBB126_1682:
	s_andn2_b64 vcc, exec, s[2:3]
	s_cbranch_vccnz .LBB126_1692
; %bb.1683:
	v_cvt_f32_ubyte0_e32 v6, v5
	s_mov_b32 s2, 0x47800000
	v_cmp_gt_u32_e32 vcc, s2, v6
                                        ; implicit-def: $vgpr7
	s_and_saveexec_b64 s[2:3], vcc
	s_xor_b64 s[2:3], exec, s[2:3]
	s_cbranch_execz .LBB126_1689
; %bb.1684:
	s_mov_b32 s10, 0x387fffff
	v_cmp_lt_u32_e32 vcc, s10, v6
                                        ; implicit-def: $vgpr7
	s_and_saveexec_b64 s[10:11], vcc
	s_xor_b64 s[10:11], exec, s[10:11]
; %bb.1685:
	v_bfe_u32 v7, v6, 21, 1
	s_mov_b32 s12, 0x80fffff
	v_add3_u32 v6, v6, v7, s12
	v_lshrrev_b32_e32 v7, 21, v6
                                        ; implicit-def: $vgpr6
; %bb.1686:
	s_andn2_saveexec_b64 s[10:11], s[10:11]
; %bb.1687:
	v_add_f32_e32 v7, 0x43000000, v6
; %bb.1688:
	s_or_b64 exec, exec, s[10:11]
                                        ; implicit-def: $vgpr6
.LBB126_1689:
	s_andn2_saveexec_b64 s[2:3], s[2:3]
; %bb.1690:
	s_mov_b32 s10, 0x7f800000
	v_mov_b32_e32 v7, 0x7c
	v_mov_b32_e32 v8, 0x7f
	v_cmp_lt_u32_e32 vcc, s10, v6
	v_cndmask_b32_e32 v7, v7, v8, vcc
; %bb.1691:
	s_or_b64 exec, exec, s[2:3]
	global_store_byte v[0:1], v7, off
.LBB126_1692:
	s_mov_b64 s[2:3], 0
	s_mov_b64 s[10:11], -1
.LBB126_1693:
	s_andn2_b64 vcc, exec, s[2:3]
	s_mov_b64 s[2:3], 0
	s_cbranch_vccnz .LBB126_1700
; %bb.1694:
	s_cmp_gt_i32 s19, 14
	s_mov_b64 s[12:13], -1
	s_cbranch_scc0 .LBB126_1698
; %bb.1695:
	s_cmp_eq_u32 s19, 15
	s_mov_b64 s[0:1], -1
	s_cbranch_scc0 .LBB126_1697
; %bb.1696:
	v_cvt_f32_ubyte0_e32 v6, v5
	v_bfe_u32 v7, v6, 16, 1
	s_movk_i32 s0, 0x7fff
	v_add3_u32 v6, v6, v7, s0
	global_store_short_d16_hi v[0:1], v6, off
	s_mov_b64 s[0:1], 0
	s_mov_b64 s[10:11], -1
.LBB126_1697:
	s_mov_b64 s[12:13], 0
.LBB126_1698:
	s_and_b64 vcc, exec, s[12:13]
	s_cbranch_vccz .LBB126_1700
; %bb.1699:
	s_cmp_lg_u32 s19, 11
	s_mov_b64 s[2:3], -1
	s_cselect_b64 s[0:1], -1, 0
.LBB126_1700:
	s_and_b64 vcc, exec, s[0:1]
	s_cbranch_vccnz .LBB126_1994
; %bb.1701:
	s_andn2_b64 vcc, exec, s[2:3]
	s_cbranch_vccnz .LBB126_1703
.LBB126_1702:
	v_cmp_ne_u16_e32 vcc, 0, v5
	v_cndmask_b32_e64 v6, 0, 1, vcc
	s_mov_b64 s[10:11], -1
	global_store_byte v[0:1], v6, off
.LBB126_1703:
	s_mov_b64 s[0:1], 0
	s_branch .LBB126_1705
.LBB126_1704:
	s_mov_b64 s[0:1], -1
	s_mov_b64 s[10:11], 0
.LBB126_1705:
	s_and_b64 vcc, exec, s[0:1]
	s_cbranch_vccz .LBB126_1744
; %bb.1706:
	s_and_b32 s2, 0xffff, s20
	s_cmp_lt_i32 s2, 5
	s_mov_b64 s[0:1], -1
	s_cbranch_scc1 .LBB126_1727
; %bb.1707:
	s_cmp_lt_i32 s2, 8
	s_cbranch_scc1 .LBB126_1717
; %bb.1708:
	s_cmp_lt_i32 s2, 9
	s_cbranch_scc1 .LBB126_1714
; %bb.1709:
	s_cmp_gt_i32 s2, 9
	s_cbranch_scc0 .LBB126_1711
; %bb.1710:
	v_and_b32_e32 v6, 0xffff, v5
	v_cvt_f64_u32_e32 v[6:7], v6
	v_mov_b32_e32 v8, 0
	v_mov_b32_e32 v9, v8
	s_mov_b64 s[0:1], 0
	global_store_dwordx4 v[0:1], v[6:9], off
.LBB126_1711:
	s_andn2_b64 vcc, exec, s[0:1]
	s_cbranch_vccnz .LBB126_1713
; %bb.1712:
	v_cvt_f32_ubyte0_e32 v6, v5
	v_mov_b32_e32 v7, 0
	global_store_dwordx2 v[0:1], v[6:7], off
.LBB126_1713:
	s_mov_b64 s[0:1], 0
.LBB126_1714:
	s_andn2_b64 vcc, exec, s[0:1]
	s_cbranch_vccnz .LBB126_1716
; %bb.1715:
	v_cvt_f16_u16_e32 v6, v5
	global_store_dword v[0:1], v6, off
.LBB126_1716:
	s_mov_b64 s[0:1], 0
.LBB126_1717:
	s_andn2_b64 vcc, exec, s[0:1]
	s_cbranch_vccnz .LBB126_1726
; %bb.1718:
	s_cmp_lt_i32 s2, 6
	s_mov_b64 s[0:1], -1
	s_cbranch_scc1 .LBB126_1724
; %bb.1719:
	s_cmp_gt_i32 s2, 6
	s_cbranch_scc0 .LBB126_1721
; %bb.1720:
	v_and_b32_e32 v6, 0xffff, v5
	v_cvt_f64_u32_e32 v[6:7], v6
	s_mov_b64 s[0:1], 0
	global_store_dwordx2 v[0:1], v[6:7], off
.LBB126_1721:
	s_andn2_b64 vcc, exec, s[0:1]
	s_cbranch_vccnz .LBB126_1723
; %bb.1722:
	v_cvt_f32_ubyte0_e32 v6, v5
	global_store_dword v[0:1], v6, off
.LBB126_1723:
	s_mov_b64 s[0:1], 0
.LBB126_1724:
	s_andn2_b64 vcc, exec, s[0:1]
	s_cbranch_vccnz .LBB126_1726
; %bb.1725:
	v_cvt_f16_u16_e32 v6, v5
	global_store_short v[0:1], v6, off
.LBB126_1726:
	s_mov_b64 s[0:1], 0
.LBB126_1727:
	s_andn2_b64 vcc, exec, s[0:1]
	s_cbranch_vccnz .LBB126_1743
; %bb.1728:
	s_cmp_lt_i32 s2, 2
	s_mov_b64 s[0:1], -1
	s_cbranch_scc1 .LBB126_1738
; %bb.1729:
	s_cmp_lt_i32 s2, 3
	s_cbranch_scc1 .LBB126_1735
; %bb.1730:
	s_cmp_gt_i32 s2, 3
	s_cbranch_scc0 .LBB126_1732
; %bb.1731:
	s_mov_b32 s0, 0
	v_and_b32_e32 v6, 0xffff, v5
	v_mov_b32_e32 v7, s0
	global_store_dwordx2 v[0:1], v[6:7], off
	s_mov_b64 s[0:1], 0
.LBB126_1732:
	s_andn2_b64 vcc, exec, s[0:1]
	s_cbranch_vccnz .LBB126_1734
; %bb.1733:
	v_and_b32_e32 v6, 0xffff, v5
	global_store_dword v[0:1], v6, off
.LBB126_1734:
	s_mov_b64 s[0:1], 0
.LBB126_1735:
	s_andn2_b64 vcc, exec, s[0:1]
	s_cbranch_vccnz .LBB126_1737
; %bb.1736:
	global_store_short v[0:1], v5, off
.LBB126_1737:
	s_mov_b64 s[0:1], 0
.LBB126_1738:
	s_andn2_b64 vcc, exec, s[0:1]
	s_cbranch_vccnz .LBB126_1743
; %bb.1739:
	s_cmp_gt_i32 s2, 0
	s_mov_b64 s[0:1], -1
	s_cbranch_scc0 .LBB126_1741
; %bb.1740:
	global_store_byte v[0:1], v5, off
	s_mov_b64 s[0:1], 0
.LBB126_1741:
	s_andn2_b64 vcc, exec, s[0:1]
	s_cbranch_vccnz .LBB126_1743
; %bb.1742:
	global_store_byte v[0:1], v5, off
.LBB126_1743:
	s_mov_b64 s[10:11], -1
.LBB126_1744:
	s_andn2_b64 vcc, exec, s[10:11]
	s_cbranch_vccnz .LBB126_1940
; %bb.1745:
	v_mov_b32_e32 v1, 8
	v_lshrrev_b16_sdwa v0, v2, s21 dst_sel:DWORD dst_unused:UNUSED_PAD src0_sel:BYTE_0 src1_sel:DWORD
	v_cmp_lt_u16_sdwa vcc, v2, v1 src0_sel:BYTE_0 src1_sel:DWORD
	v_add_u32_e32 v4, s18, v4
	v_cndmask_b32_e32 v2, 0, v0, vcc
	v_ashrrev_i32_e32 v1, 31, v4
	v_mov_b32_e32 v5, s9
	v_add_co_u32_e32 v0, vcc, s8, v4
	s_cmp_lt_i32 s20, 11
	v_addc_co_u32_e32 v1, vcc, v5, v1, vcc
	s_cbranch_scc1 .LBB126_1823
; %bb.1746:
	s_and_b32 s19, 0xffff, s20
	s_mov_b64 s[12:13], -1
	s_mov_b64 s[2:3], 0
	s_cmp_gt_i32 s19, 25
	s_mov_b64 s[10:11], 0
	s_mov_b64 s[0:1], 0
	s_cbranch_scc0 .LBB126_1779
; %bb.1747:
	s_cmp_gt_i32 s19, 28
	s_cbranch_scc0 .LBB126_1762
; %bb.1748:
	s_cmp_gt_i32 s19, 43
	;; [unrolled: 3-line block ×3, first 2 shown]
	s_cbranch_scc0 .LBB126_1752
; %bb.1750:
	s_mov_b64 s[0:1], -1
	s_mov_b64 s[12:13], 0
	s_cmp_eq_u32 s19, 46
	s_cbranch_scc0 .LBB126_1752
; %bb.1751:
	v_cvt_f32_ubyte0_e32 v5, v2
	v_bfe_u32 v6, v5, 16, 1
	s_movk_i32 s0, 0x7fff
	v_add3_u32 v5, v5, v6, s0
	v_lshrrev_b32_e32 v5, 16, v5
	global_store_dword v[0:1], v5, off
	s_mov_b64 s[0:1], 0
	s_mov_b64 s[10:11], -1
.LBB126_1752:
	s_and_b64 vcc, exec, s[12:13]
	s_cbranch_vccz .LBB126_1757
; %bb.1753:
	s_cmp_eq_u32 s19, 44
	s_mov_b64 s[0:1], -1
	s_cbranch_scc0 .LBB126_1757
; %bb.1754:
	v_cvt_f32_ubyte0_e32 v6, v2
	v_lshrrev_b32_e32 v5, 23, v6
	s_movk_i32 s0, 0xff
	v_cmp_ne_u32_e32 vcc, s0, v5
	v_mov_b32_e32 v7, 0xff
	s_and_saveexec_b64 s[10:11], vcc
; %bb.1755:
	s_mov_b32 s0, 0x3fffff
	v_and_b32_e32 v7, 0x400000, v6
	v_and_or_b32 v6, v6, s0, v5
	v_cmp_ne_u32_e32 vcc, 0, v7
	v_cmp_ne_u32_e64 s[0:1], 0, v6
	s_and_b64 s[0:1], vcc, s[0:1]
	v_cndmask_b32_e64 v6, 0, 1, s[0:1]
	v_add_u32_e32 v7, v5, v6
; %bb.1756:
	s_or_b64 exec, exec, s[10:11]
	s_mov_b64 s[0:1], 0
	s_mov_b64 s[10:11], -1
	global_store_byte v[0:1], v7, off
.LBB126_1757:
	s_mov_b64 s[12:13], 0
.LBB126_1758:
	s_and_b64 vcc, exec, s[12:13]
	s_cbranch_vccz .LBB126_1761
; %bb.1759:
	s_cmp_eq_u32 s19, 29
	s_mov_b64 s[0:1], -1
	s_cbranch_scc0 .LBB126_1761
; %bb.1760:
	s_mov_b32 s0, 0
	v_and_b32_e32 v5, 0xffff, v2
	v_mov_b32_e32 v6, s0
	global_store_dwordx2 v[0:1], v[5:6], off
	s_mov_b64 s[0:1], 0
	s_mov_b64 s[10:11], -1
.LBB126_1761:
	s_mov_b64 s[12:13], 0
.LBB126_1762:
	s_and_b64 vcc, exec, s[12:13]
	s_cbranch_vccz .LBB126_1778
; %bb.1763:
	s_cmp_lt_i32 s19, 27
	s_mov_b64 s[10:11], -1
	s_cbranch_scc1 .LBB126_1769
; %bb.1764:
	s_cmp_gt_i32 s19, 27
	s_cbranch_scc0 .LBB126_1766
; %bb.1765:
	v_and_b32_e32 v5, 0xffff, v2
	s_mov_b64 s[10:11], 0
	global_store_dword v[0:1], v5, off
.LBB126_1766:
	s_andn2_b64 vcc, exec, s[10:11]
	s_cbranch_vccnz .LBB126_1768
; %bb.1767:
	global_store_short v[0:1], v2, off
.LBB126_1768:
	s_mov_b64 s[10:11], 0
.LBB126_1769:
	s_andn2_b64 vcc, exec, s[10:11]
	s_cbranch_vccnz .LBB126_1777
; %bb.1770:
	v_cvt_f32_ubyte0_e32 v6, v2
	s_mov_b32 s10, 0x43800000
	v_cmp_gt_u32_e32 vcc, s10, v6
	v_mov_b32_e32 v7, 0x80
	s_and_saveexec_b64 s[10:11], vcc
	s_cbranch_execz .LBB126_1776
; %bb.1771:
	s_mov_b32 s12, 0x3bffffff
	v_cmp_lt_u32_e32 vcc, s12, v6
	s_mov_b64 s[12:13], 0
                                        ; implicit-def: $vgpr5
	s_and_saveexec_b64 s[16:17], vcc
	s_xor_b64 s[16:17], exec, s[16:17]
	s_cbranch_execz .LBB126_1997
; %bb.1772:
	v_bfe_u32 v5, v6, 20, 1
	s_mov_b32 s22, 0x487ffff
	v_add3_u32 v5, v6, v5, s22
	s_mov_b64 s[12:13], exec
	v_lshrrev_b32_e32 v5, 20, v5
                                        ; implicit-def: $vgpr6
	s_andn2_saveexec_b64 s[16:17], s[16:17]
	s_cbranch_execnz .LBB126_1998
.LBB126_1773:
	s_or_b64 exec, exec, s[16:17]
	v_mov_b32_e32 v7, 0
	s_and_saveexec_b64 s[16:17], s[12:13]
.LBB126_1774:
	v_mov_b32_e32 v7, v5
.LBB126_1775:
	s_or_b64 exec, exec, s[16:17]
.LBB126_1776:
	s_or_b64 exec, exec, s[10:11]
	global_store_byte v[0:1], v7, off
.LBB126_1777:
	s_mov_b64 s[10:11], -1
.LBB126_1778:
	s_mov_b64 s[12:13], 0
.LBB126_1779:
	s_and_b64 vcc, exec, s[12:13]
	s_cbranch_vccz .LBB126_1819
; %bb.1780:
	s_cmp_gt_i32 s19, 22
	s_mov_b64 s[2:3], -1
	s_cbranch_scc0 .LBB126_1812
; %bb.1781:
	s_cmp_lt_i32 s19, 24
	s_cbranch_scc1 .LBB126_1801
; %bb.1782:
	s_cmp_gt_i32 s19, 24
	s_cbranch_scc0 .LBB126_1790
; %bb.1783:
	v_cvt_f32_ubyte0_e32 v6, v2
	s_mov_b32 s2, 0x47800000
	v_cmp_gt_u32_e32 vcc, s2, v6
	v_mov_b32_e32 v7, 0x80
	s_and_saveexec_b64 s[2:3], vcc
	s_cbranch_execz .LBB126_1789
; %bb.1784:
	s_mov_b32 s10, 0x37ffffff
	v_cmp_lt_u32_e32 vcc, s10, v6
	s_mov_b64 s[10:11], 0
                                        ; implicit-def: $vgpr5
	s_and_saveexec_b64 s[12:13], vcc
	s_xor_b64 s[12:13], exec, s[12:13]
	s_cbranch_execz .LBB126_2000
; %bb.1785:
	v_bfe_u32 v5, v6, 21, 1
	s_mov_b32 s16, 0x88fffff
	v_add3_u32 v5, v6, v5, s16
	s_mov_b64 s[10:11], exec
	v_lshrrev_b32_e32 v5, 21, v5
                                        ; implicit-def: $vgpr6
	s_andn2_saveexec_b64 s[12:13], s[12:13]
	s_cbranch_execnz .LBB126_2001
.LBB126_1786:
	s_or_b64 exec, exec, s[12:13]
	v_mov_b32_e32 v7, 0
	s_and_saveexec_b64 s[12:13], s[10:11]
.LBB126_1787:
	v_mov_b32_e32 v7, v5
.LBB126_1788:
	s_or_b64 exec, exec, s[12:13]
.LBB126_1789:
	s_or_b64 exec, exec, s[2:3]
	s_mov_b64 s[2:3], 0
	global_store_byte v[0:1], v7, off
.LBB126_1790:
	s_and_b64 vcc, exec, s[2:3]
	s_cbranch_vccz .LBB126_1800
; %bb.1791:
	v_cvt_f32_ubyte0_e32 v5, v2
	s_mov_b32 s2, 0x43f00000
	v_cmp_gt_u32_e32 vcc, s2, v5
                                        ; implicit-def: $vgpr6
	s_and_saveexec_b64 s[2:3], vcc
	s_xor_b64 s[2:3], exec, s[2:3]
	s_cbranch_execz .LBB126_1797
; %bb.1792:
	s_mov_b32 s10, 0x3c7fffff
	v_cmp_lt_u32_e32 vcc, s10, v5
                                        ; implicit-def: $vgpr6
	s_and_saveexec_b64 s[10:11], vcc
	s_xor_b64 s[10:11], exec, s[10:11]
; %bb.1793:
	v_bfe_u32 v6, v5, 20, 1
	s_mov_b32 s12, 0x407ffff
	v_add3_u32 v5, v5, v6, s12
	v_lshrrev_b32_e32 v6, 20, v5
	v_and_b32_e32 v5, 0xff00000, v5
	s_mov_b32 s12, 0x7f00000
	v_mov_b32_e32 v7, 0x7e
	v_cmp_ne_u32_e32 vcc, s12, v5
	v_cndmask_b32_e32 v6, v7, v6, vcc
                                        ; implicit-def: $vgpr5
; %bb.1794:
	s_andn2_saveexec_b64 s[10:11], s[10:11]
; %bb.1795:
	v_add_f32_e32 v6, 0x46800000, v5
; %bb.1796:
	s_or_b64 exec, exec, s[10:11]
                                        ; implicit-def: $vgpr5
.LBB126_1797:
	s_andn2_saveexec_b64 s[2:3], s[2:3]
; %bb.1798:
	s_mov_b32 s10, 0x7f800000
	v_mov_b32_e32 v6, 0x7e
	v_mov_b32_e32 v7, 0x7f
	v_cmp_lt_u32_e32 vcc, s10, v5
	v_cndmask_b32_e32 v6, v6, v7, vcc
; %bb.1799:
	s_or_b64 exec, exec, s[2:3]
	global_store_byte v[0:1], v6, off
.LBB126_1800:
	s_mov_b64 s[2:3], 0
.LBB126_1801:
	s_andn2_b64 vcc, exec, s[2:3]
	s_cbranch_vccnz .LBB126_1811
; %bb.1802:
	v_cvt_f32_ubyte0_e32 v5, v2
	s_mov_b32 s2, 0x47800000
	v_cmp_gt_u32_e32 vcc, s2, v5
                                        ; implicit-def: $vgpr6
	s_and_saveexec_b64 s[2:3], vcc
	s_xor_b64 s[2:3], exec, s[2:3]
	s_cbranch_execz .LBB126_1808
; %bb.1803:
	s_mov_b32 s10, 0x387fffff
	v_cmp_lt_u32_e32 vcc, s10, v5
                                        ; implicit-def: $vgpr6
	s_and_saveexec_b64 s[10:11], vcc
	s_xor_b64 s[10:11], exec, s[10:11]
; %bb.1804:
	v_bfe_u32 v6, v5, 21, 1
	s_mov_b32 s12, 0x80fffff
	v_add3_u32 v5, v5, v6, s12
	v_lshrrev_b32_e32 v6, 21, v5
                                        ; implicit-def: $vgpr5
; %bb.1805:
	s_andn2_saveexec_b64 s[10:11], s[10:11]
; %bb.1806:
	v_add_f32_e32 v6, 0x43000000, v5
; %bb.1807:
	s_or_b64 exec, exec, s[10:11]
                                        ; implicit-def: $vgpr5
.LBB126_1808:
	s_andn2_saveexec_b64 s[2:3], s[2:3]
; %bb.1809:
	s_mov_b32 s10, 0x7f800000
	v_mov_b32_e32 v6, 0x7c
	v_mov_b32_e32 v7, 0x7f
	v_cmp_lt_u32_e32 vcc, s10, v5
	v_cndmask_b32_e32 v6, v6, v7, vcc
; %bb.1810:
	s_or_b64 exec, exec, s[2:3]
	global_store_byte v[0:1], v6, off
.LBB126_1811:
	s_mov_b64 s[2:3], 0
	s_mov_b64 s[10:11], -1
.LBB126_1812:
	s_andn2_b64 vcc, exec, s[2:3]
	s_mov_b64 s[2:3], 0
	s_cbranch_vccnz .LBB126_1819
; %bb.1813:
	s_cmp_gt_i32 s19, 14
	s_mov_b64 s[12:13], -1
	s_cbranch_scc0 .LBB126_1817
; %bb.1814:
	s_cmp_eq_u32 s19, 15
	s_mov_b64 s[0:1], -1
	s_cbranch_scc0 .LBB126_1816
; %bb.1815:
	v_cvt_f32_ubyte0_e32 v5, v2
	v_bfe_u32 v6, v5, 16, 1
	s_movk_i32 s0, 0x7fff
	v_add3_u32 v5, v5, v6, s0
	global_store_short_d16_hi v[0:1], v5, off
	s_mov_b64 s[0:1], 0
	s_mov_b64 s[10:11], -1
.LBB126_1816:
	s_mov_b64 s[12:13], 0
.LBB126_1817:
	s_and_b64 vcc, exec, s[12:13]
	s_cbranch_vccz .LBB126_1819
; %bb.1818:
	s_cmp_lg_u32 s19, 11
	s_mov_b64 s[2:3], -1
	s_cselect_b64 s[0:1], -1, 0
.LBB126_1819:
	s_and_b64 vcc, exec, s[0:1]
	s_cbranch_vccnz .LBB126_1999
; %bb.1820:
	s_andn2_b64 vcc, exec, s[2:3]
	s_cbranch_vccnz .LBB126_1822
.LBB126_1821:
	v_cmp_ne_u16_e32 vcc, 0, v2
	v_cndmask_b32_e64 v5, 0, 1, vcc
	s_mov_b64 s[10:11], -1
	global_store_byte v[0:1], v5, off
.LBB126_1822:
	s_mov_b64 s[0:1], 0
	s_branch .LBB126_1824
.LBB126_1823:
	s_mov_b64 s[0:1], -1
	s_mov_b64 s[10:11], 0
.LBB126_1824:
	s_and_b64 vcc, exec, s[0:1]
	s_cbranch_vccz .LBB126_1863
; %bb.1825:
	s_and_b32 s2, 0xffff, s20
	s_cmp_lt_i32 s2, 5
	s_mov_b64 s[0:1], -1
	s_cbranch_scc1 .LBB126_1846
; %bb.1826:
	s_cmp_lt_i32 s2, 8
	s_cbranch_scc1 .LBB126_1836
; %bb.1827:
	s_cmp_lt_i32 s2, 9
	s_cbranch_scc1 .LBB126_1833
; %bb.1828:
	s_cmp_gt_i32 s2, 9
	s_cbranch_scc0 .LBB126_1830
; %bb.1829:
	v_and_b32_e32 v5, 0xffff, v2
	v_cvt_f64_u32_e32 v[5:6], v5
	v_mov_b32_e32 v7, 0
	v_mov_b32_e32 v8, v7
	s_mov_b64 s[0:1], 0
	global_store_dwordx4 v[0:1], v[5:8], off
.LBB126_1830:
	s_andn2_b64 vcc, exec, s[0:1]
	s_cbranch_vccnz .LBB126_1832
; %bb.1831:
	v_cvt_f32_ubyte0_e32 v5, v2
	v_mov_b32_e32 v6, 0
	global_store_dwordx2 v[0:1], v[5:6], off
.LBB126_1832:
	s_mov_b64 s[0:1], 0
.LBB126_1833:
	s_andn2_b64 vcc, exec, s[0:1]
	s_cbranch_vccnz .LBB126_1835
; %bb.1834:
	v_cvt_f16_u16_e32 v5, v2
	global_store_dword v[0:1], v5, off
.LBB126_1835:
	s_mov_b64 s[0:1], 0
.LBB126_1836:
	s_andn2_b64 vcc, exec, s[0:1]
	s_cbranch_vccnz .LBB126_1845
; %bb.1837:
	s_cmp_lt_i32 s2, 6
	s_mov_b64 s[0:1], -1
	s_cbranch_scc1 .LBB126_1843
; %bb.1838:
	s_cmp_gt_i32 s2, 6
	s_cbranch_scc0 .LBB126_1840
; %bb.1839:
	v_and_b32_e32 v5, 0xffff, v2
	v_cvt_f64_u32_e32 v[5:6], v5
	s_mov_b64 s[0:1], 0
	global_store_dwordx2 v[0:1], v[5:6], off
.LBB126_1840:
	s_andn2_b64 vcc, exec, s[0:1]
	s_cbranch_vccnz .LBB126_1842
; %bb.1841:
	v_cvt_f32_ubyte0_e32 v5, v2
	global_store_dword v[0:1], v5, off
.LBB126_1842:
	s_mov_b64 s[0:1], 0
.LBB126_1843:
	s_andn2_b64 vcc, exec, s[0:1]
	s_cbranch_vccnz .LBB126_1845
; %bb.1844:
	v_cvt_f16_u16_e32 v5, v2
	global_store_short v[0:1], v5, off
.LBB126_1845:
	s_mov_b64 s[0:1], 0
.LBB126_1846:
	s_andn2_b64 vcc, exec, s[0:1]
	s_cbranch_vccnz .LBB126_1862
; %bb.1847:
	s_cmp_lt_i32 s2, 2
	s_mov_b64 s[0:1], -1
	s_cbranch_scc1 .LBB126_1857
; %bb.1848:
	s_cmp_lt_i32 s2, 3
	s_cbranch_scc1 .LBB126_1854
; %bb.1849:
	s_cmp_gt_i32 s2, 3
	s_cbranch_scc0 .LBB126_1851
; %bb.1850:
	s_mov_b32 s0, 0
	v_and_b32_e32 v5, 0xffff, v2
	v_mov_b32_e32 v6, s0
	global_store_dwordx2 v[0:1], v[5:6], off
	s_mov_b64 s[0:1], 0
.LBB126_1851:
	s_andn2_b64 vcc, exec, s[0:1]
	s_cbranch_vccnz .LBB126_1853
; %bb.1852:
	v_and_b32_e32 v5, 0xffff, v2
	global_store_dword v[0:1], v5, off
.LBB126_1853:
	s_mov_b64 s[0:1], 0
.LBB126_1854:
	s_andn2_b64 vcc, exec, s[0:1]
	s_cbranch_vccnz .LBB126_1856
; %bb.1855:
	global_store_short v[0:1], v2, off
.LBB126_1856:
	s_mov_b64 s[0:1], 0
.LBB126_1857:
	s_andn2_b64 vcc, exec, s[0:1]
	s_cbranch_vccnz .LBB126_1862
; %bb.1858:
	s_cmp_gt_i32 s2, 0
	s_mov_b64 s[0:1], -1
	s_cbranch_scc0 .LBB126_1860
; %bb.1859:
	global_store_byte v[0:1], v2, off
	s_mov_b64 s[0:1], 0
.LBB126_1860:
	s_andn2_b64 vcc, exec, s[0:1]
	s_cbranch_vccnz .LBB126_1862
; %bb.1861:
	global_store_byte v[0:1], v2, off
.LBB126_1862:
	s_mov_b64 s[10:11], -1
.LBB126_1863:
	s_andn2_b64 vcc, exec, s[10:11]
	s_cbranch_vccnz .LBB126_1940
; %bb.1864:
	v_mov_b32_e32 v1, 8
	v_lshrrev_b16_sdwa v0, v3, s21 dst_sel:DWORD dst_unused:UNUSED_PAD src0_sel:BYTE_0 src1_sel:DWORD
	v_cmp_lt_u16_sdwa vcc, v3, v1 src0_sel:BYTE_0 src1_sel:DWORD
	v_cndmask_b32_e32 v2, 0, v0, vcc
	v_add_u32_e32 v0, s18, v4
	v_ashrrev_i32_e32 v1, 31, v0
	v_mov_b32_e32 v3, s9
	v_add_co_u32_e32 v0, vcc, s8, v0
	s_cmp_lt_i32 s20, 11
	v_addc_co_u32_e32 v1, vcc, v3, v1, vcc
	s_cbranch_scc1 .LBB126_1985
; %bb.1865:
	s_and_b32 s16, 0xffff, s20
	s_mov_b64 s[8:9], -1
	s_mov_b64 s[2:3], 0
	s_cmp_gt_i32 s16, 25
	s_mov_b64 s[0:1], 0
	s_cbranch_scc0 .LBB126_1898
; %bb.1866:
	s_cmp_gt_i32 s16, 28
	s_cbranch_scc0 .LBB126_1882
; %bb.1867:
	s_cmp_gt_i32 s16, 43
	s_cbranch_scc0 .LBB126_1878
; %bb.1868:
	s_cmp_gt_i32 s16, 45
	s_cbranch_scc0 .LBB126_1872
; %bb.1869:
	s_cmp_eq_u32 s16, 46
	s_mov_b64 s[0:1], -1
	s_cbranch_scc0 .LBB126_1871
; %bb.1870:
	v_cvt_f32_ubyte0_e32 v3, v2
	v_bfe_u32 v4, v3, 16, 1
	s_movk_i32 s0, 0x7fff
	v_add3_u32 v3, v3, v4, s0
	v_lshrrev_b32_e32 v3, 16, v3
	global_store_dword v[0:1], v3, off
	s_mov_b64 s[0:1], 0
.LBB126_1871:
	s_mov_b64 s[8:9], 0
.LBB126_1872:
	s_and_b64 vcc, exec, s[8:9]
	s_cbranch_vccz .LBB126_1877
; %bb.1873:
	s_cmp_eq_u32 s16, 44
	s_mov_b64 s[0:1], -1
	s_cbranch_scc0 .LBB126_1877
; %bb.1874:
	v_cvt_f32_ubyte0_e32 v4, v2
	v_lshrrev_b32_e32 v3, 23, v4
	s_movk_i32 s0, 0xff
	v_cmp_ne_u32_e32 vcc, s0, v3
	v_mov_b32_e32 v5, 0xff
	s_and_saveexec_b64 s[8:9], vcc
; %bb.1875:
	s_mov_b32 s0, 0x3fffff
	v_and_b32_e32 v5, 0x400000, v4
	v_and_or_b32 v4, v4, s0, v3
	v_cmp_ne_u32_e32 vcc, 0, v5
	v_cmp_ne_u32_e64 s[0:1], 0, v4
	s_and_b64 s[0:1], vcc, s[0:1]
	v_cndmask_b32_e64 v4, 0, 1, s[0:1]
	v_add_u32_e32 v5, v3, v4
; %bb.1876:
	s_or_b64 exec, exec, s[8:9]
	s_mov_b64 s[0:1], 0
	global_store_byte v[0:1], v5, off
.LBB126_1877:
	s_mov_b64 s[8:9], 0
.LBB126_1878:
	s_and_b64 vcc, exec, s[8:9]
	s_cbranch_vccz .LBB126_1881
; %bb.1879:
	s_cmp_eq_u32 s16, 29
	s_mov_b64 s[0:1], -1
	s_cbranch_scc0 .LBB126_1881
; %bb.1880:
	s_mov_b32 s0, 0
	v_and_b32_e32 v3, 0xffff, v2
	v_mov_b32_e32 v4, s0
	global_store_dwordx2 v[0:1], v[3:4], off
	s_mov_b64 s[0:1], 0
.LBB126_1881:
	s_mov_b64 s[8:9], 0
.LBB126_1882:
	s_and_b64 vcc, exec, s[8:9]
	s_cbranch_vccz .LBB126_1897
; %bb.1883:
	s_cmp_lt_i32 s16, 27
	s_mov_b64 s[8:9], -1
	s_cbranch_scc1 .LBB126_1889
; %bb.1884:
	s_cmp_gt_i32 s16, 27
	s_cbranch_scc0 .LBB126_1886
; %bb.1885:
	v_and_b32_e32 v3, 0xffff, v2
	global_store_dword v[0:1], v3, off
	s_mov_b64 s[8:9], 0
.LBB126_1886:
	s_andn2_b64 vcc, exec, s[8:9]
	s_cbranch_vccnz .LBB126_1888
; %bb.1887:
	global_store_short v[0:1], v2, off
.LBB126_1888:
	s_mov_b64 s[8:9], 0
.LBB126_1889:
	s_andn2_b64 vcc, exec, s[8:9]
	s_cbranch_vccnz .LBB126_1897
; %bb.1890:
	v_cvt_f32_ubyte0_e32 v4, v2
	s_mov_b32 s8, 0x43800000
	v_cmp_gt_u32_e32 vcc, s8, v4
	v_mov_b32_e32 v5, 0x80
	s_and_saveexec_b64 s[8:9], vcc
	s_cbranch_execz .LBB126_1896
; %bb.1891:
	s_mov_b32 s10, 0x3bffffff
	v_cmp_lt_u32_e32 vcc, s10, v4
	s_mov_b64 s[10:11], 0
                                        ; implicit-def: $vgpr3
	s_and_saveexec_b64 s[12:13], vcc
	s_xor_b64 s[12:13], exec, s[12:13]
	s_cbranch_execz .LBB126_2002
; %bb.1892:
	v_bfe_u32 v3, v4, 20, 1
	s_mov_b32 s17, 0x487ffff
	v_add3_u32 v3, v4, v3, s17
	s_mov_b64 s[10:11], exec
	v_lshrrev_b32_e32 v3, 20, v3
                                        ; implicit-def: $vgpr4
	s_andn2_saveexec_b64 s[12:13], s[12:13]
	s_cbranch_execnz .LBB126_2003
.LBB126_1893:
	s_or_b64 exec, exec, s[12:13]
	v_mov_b32_e32 v5, 0
	s_and_saveexec_b64 s[12:13], s[10:11]
.LBB126_1894:
	v_mov_b32_e32 v5, v3
.LBB126_1895:
	s_or_b64 exec, exec, s[12:13]
.LBB126_1896:
	s_or_b64 exec, exec, s[8:9]
	global_store_byte v[0:1], v5, off
.LBB126_1897:
	s_mov_b64 s[8:9], 0
.LBB126_1898:
	s_and_b64 vcc, exec, s[8:9]
	s_cbranch_vccz .LBB126_1938
; %bb.1899:
	s_cmp_gt_i32 s16, 22
	s_mov_b64 s[2:3], -1
	s_cbranch_scc0 .LBB126_1931
; %bb.1900:
	s_cmp_lt_i32 s16, 24
	s_cbranch_scc1 .LBB126_1920
; %bb.1901:
	s_cmp_gt_i32 s16, 24
	s_cbranch_scc0 .LBB126_1909
; %bb.1902:
	v_cvt_f32_ubyte0_e32 v4, v2
	s_mov_b32 s2, 0x47800000
	v_cmp_gt_u32_e32 vcc, s2, v4
	v_mov_b32_e32 v5, 0x80
	s_and_saveexec_b64 s[2:3], vcc
	s_cbranch_execz .LBB126_1908
; %bb.1903:
	s_mov_b32 s8, 0x37ffffff
	v_cmp_lt_u32_e32 vcc, s8, v4
	s_mov_b64 s[8:9], 0
                                        ; implicit-def: $vgpr3
	s_and_saveexec_b64 s[10:11], vcc
	s_xor_b64 s[10:11], exec, s[10:11]
	s_cbranch_execz .LBB126_2005
; %bb.1904:
	v_bfe_u32 v3, v4, 21, 1
	s_mov_b32 s12, 0x88fffff
	v_add3_u32 v3, v4, v3, s12
	s_mov_b64 s[8:9], exec
	v_lshrrev_b32_e32 v3, 21, v3
                                        ; implicit-def: $vgpr4
	s_andn2_saveexec_b64 s[10:11], s[10:11]
	s_cbranch_execnz .LBB126_2006
.LBB126_1905:
	s_or_b64 exec, exec, s[10:11]
	v_mov_b32_e32 v5, 0
	s_and_saveexec_b64 s[10:11], s[8:9]
.LBB126_1906:
	v_mov_b32_e32 v5, v3
.LBB126_1907:
	s_or_b64 exec, exec, s[10:11]
.LBB126_1908:
	s_or_b64 exec, exec, s[2:3]
	s_mov_b64 s[2:3], 0
	global_store_byte v[0:1], v5, off
.LBB126_1909:
	s_and_b64 vcc, exec, s[2:3]
	s_cbranch_vccz .LBB126_1919
; %bb.1910:
	v_cvt_f32_ubyte0_e32 v3, v2
	s_mov_b32 s2, 0x43f00000
	v_cmp_gt_u32_e32 vcc, s2, v3
                                        ; implicit-def: $vgpr4
	s_and_saveexec_b64 s[2:3], vcc
	s_xor_b64 s[2:3], exec, s[2:3]
	s_cbranch_execz .LBB126_1916
; %bb.1911:
	s_mov_b32 s8, 0x3c7fffff
	v_cmp_lt_u32_e32 vcc, s8, v3
                                        ; implicit-def: $vgpr4
	s_and_saveexec_b64 s[8:9], vcc
	s_xor_b64 s[8:9], exec, s[8:9]
; %bb.1912:
	v_bfe_u32 v4, v3, 20, 1
	s_mov_b32 s10, 0x407ffff
	v_add3_u32 v3, v3, v4, s10
	v_lshrrev_b32_e32 v4, 20, v3
	v_and_b32_e32 v3, 0xff00000, v3
	s_mov_b32 s10, 0x7f00000
	v_mov_b32_e32 v5, 0x7e
	v_cmp_ne_u32_e32 vcc, s10, v3
	v_cndmask_b32_e32 v4, v5, v4, vcc
                                        ; implicit-def: $vgpr3
; %bb.1913:
	s_andn2_saveexec_b64 s[8:9], s[8:9]
; %bb.1914:
	v_add_f32_e32 v4, 0x46800000, v3
; %bb.1915:
	s_or_b64 exec, exec, s[8:9]
                                        ; implicit-def: $vgpr3
.LBB126_1916:
	s_andn2_saveexec_b64 s[2:3], s[2:3]
; %bb.1917:
	s_mov_b32 s8, 0x7f800000
	v_mov_b32_e32 v4, 0x7e
	v_mov_b32_e32 v5, 0x7f
	v_cmp_lt_u32_e32 vcc, s8, v3
	v_cndmask_b32_e32 v4, v4, v5, vcc
; %bb.1918:
	s_or_b64 exec, exec, s[2:3]
	global_store_byte v[0:1], v4, off
.LBB126_1919:
	s_mov_b64 s[2:3], 0
.LBB126_1920:
	s_andn2_b64 vcc, exec, s[2:3]
	s_cbranch_vccnz .LBB126_1930
; %bb.1921:
	v_cvt_f32_ubyte0_e32 v3, v2
	s_mov_b32 s2, 0x47800000
	v_cmp_gt_u32_e32 vcc, s2, v3
                                        ; implicit-def: $vgpr4
	s_and_saveexec_b64 s[2:3], vcc
	s_xor_b64 s[2:3], exec, s[2:3]
	s_cbranch_execz .LBB126_1927
; %bb.1922:
	s_mov_b32 s8, 0x387fffff
	v_cmp_lt_u32_e32 vcc, s8, v3
                                        ; implicit-def: $vgpr4
	s_and_saveexec_b64 s[8:9], vcc
	s_xor_b64 s[8:9], exec, s[8:9]
; %bb.1923:
	v_bfe_u32 v4, v3, 21, 1
	s_mov_b32 s10, 0x80fffff
	v_add3_u32 v3, v3, v4, s10
	v_lshrrev_b32_e32 v4, 21, v3
                                        ; implicit-def: $vgpr3
; %bb.1924:
	s_andn2_saveexec_b64 s[8:9], s[8:9]
; %bb.1925:
	v_add_f32_e32 v4, 0x43000000, v3
; %bb.1926:
	s_or_b64 exec, exec, s[8:9]
                                        ; implicit-def: $vgpr3
.LBB126_1927:
	s_andn2_saveexec_b64 s[2:3], s[2:3]
; %bb.1928:
	s_mov_b32 s8, 0x7f800000
	v_mov_b32_e32 v4, 0x7c
	v_mov_b32_e32 v5, 0x7f
	v_cmp_lt_u32_e32 vcc, s8, v3
	v_cndmask_b32_e32 v4, v4, v5, vcc
; %bb.1929:
	s_or_b64 exec, exec, s[2:3]
	global_store_byte v[0:1], v4, off
.LBB126_1930:
	s_mov_b64 s[2:3], 0
.LBB126_1931:
	s_andn2_b64 vcc, exec, s[2:3]
	s_mov_b64 s[2:3], 0
	s_cbranch_vccnz .LBB126_1938
; %bb.1932:
	s_cmp_gt_i32 s16, 14
	s_mov_b64 s[8:9], -1
	s_cbranch_scc0 .LBB126_1936
; %bb.1933:
	s_cmp_eq_u32 s16, 15
	s_mov_b64 s[0:1], -1
	s_cbranch_scc0 .LBB126_1935
; %bb.1934:
	v_cvt_f32_ubyte0_e32 v3, v2
	v_bfe_u32 v4, v3, 16, 1
	s_movk_i32 s0, 0x7fff
	v_add3_u32 v3, v3, v4, s0
	global_store_short_d16_hi v[0:1], v3, off
	s_mov_b64 s[0:1], 0
.LBB126_1935:
	s_mov_b64 s[8:9], 0
.LBB126_1936:
	s_and_b64 vcc, exec, s[8:9]
	s_cbranch_vccz .LBB126_1938
; %bb.1937:
	s_cmp_lg_u32 s16, 11
	s_mov_b64 s[2:3], -1
	s_cselect_b64 s[0:1], -1, 0
.LBB126_1938:
	s_and_b64 vcc, exec, s[0:1]
	s_cbranch_vccnz .LBB126_2004
.LBB126_1939:
	s_mov_b64 s[0:1], 0
	s_branch .LBB126_1941
.LBB126_1940:
	s_mov_b64 s[0:1], 0
	s_mov_b64 s[2:3], 0
                                        ; implicit-def: $sgpr20
                                        ; implicit-def: $vgpr0_vgpr1
                                        ; implicit-def: $vgpr2
.LBB126_1941:
	s_and_b64 s[12:13], s[2:3], exec
	s_andn2_b64 s[2:3], s[6:7], exec
	s_and_b64 s[6:7], s[14:15], exec
	s_and_b64 s[0:1], s[0:1], exec
	s_or_b64 s[6:7], s[2:3], s[6:7]
.LBB126_1942:
	s_or_b64 exec, exec, s[4:5]
	s_and_saveexec_b64 s[2:3], s[6:7]
	s_cbranch_execz .LBB126_1945
; %bb.1943:
	; divergent unreachable
	s_or_b64 exec, exec, s[2:3]
	s_and_saveexec_b64 s[2:3], s[12:13]
	s_xor_b64 s[2:3], exec, s[2:3]
	s_cbranch_execnz .LBB126_1946
.LBB126_1944:
	s_or_b64 exec, exec, s[2:3]
	s_and_saveexec_b64 s[2:3], s[0:1]
	s_cbranch_execnz .LBB126_1947
	s_branch .LBB126_1984
.LBB126_1945:
	s_or_b64 exec, exec, s[2:3]
	s_and_saveexec_b64 s[2:3], s[12:13]
	s_xor_b64 s[2:3], exec, s[2:3]
	s_cbranch_execz .LBB126_1944
.LBB126_1946:
	s_waitcnt vmcnt(0)
	v_mov_b32_e32 v3, 0
	v_cmp_ne_u16_sdwa s[4:5], v2, v3 src0_sel:BYTE_0 src1_sel:DWORD
	v_cndmask_b32_e64 v3, 0, 1, s[4:5]
	global_store_byte v[0:1], v3, off
	s_or_b64 exec, exec, s[2:3]
	s_and_saveexec_b64 s[2:3], s[0:1]
	s_cbranch_execz .LBB126_1984
.LBB126_1947:
	s_sext_i32_i16 s2, s20
	s_cmp_lt_i32 s2, 5
	s_mov_b64 s[0:1], -1
	s_cbranch_scc1 .LBB126_1968
; %bb.1948:
	s_cmp_lt_i32 s2, 8
	s_cbranch_scc1 .LBB126_1958
; %bb.1949:
	s_cmp_lt_i32 s2, 9
	s_cbranch_scc1 .LBB126_1955
; %bb.1950:
	s_cmp_gt_i32 s2, 9
	s_cbranch_scc0 .LBB126_1952
; %bb.1951:
	s_mov_b32 s0, 0xffff
	s_waitcnt vmcnt(0)
	v_and_b32_sdwa v3, s0, v2 dst_sel:DWORD dst_unused:UNUSED_PAD src0_sel:DWORD src1_sel:BYTE_0
	v_cvt_f64_u32_e32 v[3:4], v3
	v_mov_b32_e32 v5, 0
	v_mov_b32_e32 v6, v5
	s_mov_b64 s[0:1], 0
	global_store_dwordx4 v[0:1], v[3:6], off
.LBB126_1952:
	s_andn2_b64 vcc, exec, s[0:1]
	s_cbranch_vccnz .LBB126_1954
; %bb.1953:
	s_waitcnt vmcnt(0)
	v_cvt_f32_ubyte0_e32 v3, v2
	v_mov_b32_e32 v4, 0
	global_store_dwordx2 v[0:1], v[3:4], off
.LBB126_1954:
	s_mov_b64 s[0:1], 0
.LBB126_1955:
	s_andn2_b64 vcc, exec, s[0:1]
	s_cbranch_vccnz .LBB126_1957
; %bb.1956:
	s_waitcnt vmcnt(0)
	v_cvt_f16_u16_sdwa v3, v2 dst_sel:DWORD dst_unused:UNUSED_PAD src0_sel:BYTE_0
	global_store_dword v[0:1], v3, off
.LBB126_1957:
	s_mov_b64 s[0:1], 0
.LBB126_1958:
	s_andn2_b64 vcc, exec, s[0:1]
	s_cbranch_vccnz .LBB126_1967
; %bb.1959:
	s_sext_i32_i16 s2, s20
	s_cmp_lt_i32 s2, 6
	s_mov_b64 s[0:1], -1
	s_cbranch_scc1 .LBB126_1965
; %bb.1960:
	s_cmp_gt_i32 s2, 6
	s_cbranch_scc0 .LBB126_1962
; %bb.1961:
	s_mov_b32 s0, 0xffff
	s_waitcnt vmcnt(0)
	v_and_b32_sdwa v3, s0, v2 dst_sel:DWORD dst_unused:UNUSED_PAD src0_sel:DWORD src1_sel:BYTE_0
	v_cvt_f64_u32_e32 v[3:4], v3
	s_mov_b64 s[0:1], 0
	global_store_dwordx2 v[0:1], v[3:4], off
.LBB126_1962:
	s_andn2_b64 vcc, exec, s[0:1]
	s_cbranch_vccnz .LBB126_1964
; %bb.1963:
	s_waitcnt vmcnt(0)
	v_cvt_f32_ubyte0_e32 v3, v2
	global_store_dword v[0:1], v3, off
.LBB126_1964:
	s_mov_b64 s[0:1], 0
.LBB126_1965:
	s_andn2_b64 vcc, exec, s[0:1]
	s_cbranch_vccnz .LBB126_1967
; %bb.1966:
	s_waitcnt vmcnt(0)
	v_cvt_f16_u16_sdwa v3, v2 dst_sel:DWORD dst_unused:UNUSED_PAD src0_sel:BYTE_0
	global_store_short v[0:1], v3, off
.LBB126_1967:
	s_mov_b64 s[0:1], 0
.LBB126_1968:
	s_andn2_b64 vcc, exec, s[0:1]
	s_cbranch_vccnz .LBB126_1984
; %bb.1969:
	s_sext_i32_i16 s2, s20
	s_cmp_lt_i32 s2, 2
	s_mov_b64 s[0:1], -1
	s_cbranch_scc1 .LBB126_1979
; %bb.1970:
	s_cmp_lt_i32 s2, 3
	s_cbranch_scc1 .LBB126_1976
; %bb.1971:
	s_cmp_gt_i32 s2, 3
	s_cbranch_scc0 .LBB126_1973
; %bb.1972:
	s_waitcnt vmcnt(0)
	v_and_b32_e32 v3, 0xff, v2
	v_mov_b32_e32 v4, 0
	global_store_dwordx2 v[0:1], v[3:4], off
	s_mov_b64 s[0:1], 0
.LBB126_1973:
	s_andn2_b64 vcc, exec, s[0:1]
	s_cbranch_vccnz .LBB126_1975
; %bb.1974:
	s_waitcnt vmcnt(0)
	v_and_b32_e32 v3, 0xff, v2
	global_store_dword v[0:1], v3, off
.LBB126_1975:
	s_mov_b64 s[0:1], 0
.LBB126_1976:
	s_andn2_b64 vcc, exec, s[0:1]
	s_cbranch_vccnz .LBB126_1978
; %bb.1977:
	s_waitcnt vmcnt(0)
	v_and_b32_e32 v3, 0xff, v2
	global_store_short v[0:1], v3, off
.LBB126_1978:
	s_mov_b64 s[0:1], 0
.LBB126_1979:
	s_andn2_b64 vcc, exec, s[0:1]
	s_cbranch_vccnz .LBB126_1984
; %bb.1980:
	s_sext_i32_i16 s0, s20
	s_cmp_gt_i32 s0, 0
	s_mov_b64 s[0:1], -1
	s_cbranch_scc0 .LBB126_1982
; %bb.1981:
	s_waitcnt vmcnt(0)
	global_store_byte v[0:1], v2, off
	s_mov_b64 s[0:1], 0
.LBB126_1982:
	s_andn2_b64 vcc, exec, s[0:1]
	s_cbranch_vccnz .LBB126_1984
; %bb.1983:
	s_waitcnt vmcnt(0)
	global_store_byte v[0:1], v2, off
	s_endpgm
.LBB126_1984:
	s_endpgm
.LBB126_1985:
	s_mov_b64 s[2:3], 0
	s_mov_b64 s[0:1], -1
	s_branch .LBB126_1941
.LBB126_1986:
	s_trap 2
	s_or_b64 s[14:15], s[14:15], exec
	s_cbranch_execz .LBB126_1455
	s_branch .LBB126_1456
.LBB126_1987:
	s_andn2_saveexec_b64 s[18:19], s[18:19]
	s_cbranch_execz .LBB126_1535
.LBB126_1988:
	v_add_f32_e32 v7, 0x46000000, v8
	v_and_b32_e32 v7, 0xff, v7
	v_cmp_ne_u32_e32 vcc, 0, v7
	s_andn2_b64 s[16:17], s[16:17], exec
	s_and_b64 s[22:23], vcc, exec
	s_or_b64 s[16:17], s[16:17], s[22:23]
	s_or_b64 exec, exec, s[18:19]
	v_mov_b32_e32 v9, 0
	s_and_saveexec_b64 s[18:19], s[16:17]
	s_cbranch_execnz .LBB126_1536
	s_branch .LBB126_1537
.LBB126_1989:
	s_trap 2
	s_or_b64 s[14:15], s[14:15], exec
	s_cbranch_execz .LBB126_1583
	s_branch .LBB126_1584
.LBB126_1990:
	s_andn2_saveexec_b64 s[16:17], s[16:17]
	s_cbranch_execz .LBB126_1548
.LBB126_1991:
	v_add_f32_e32 v7, 0x42800000, v8
	v_and_b32_e32 v7, 0xff, v7
	v_cmp_ne_u32_e32 vcc, 0, v7
	s_andn2_b64 s[12:13], s[12:13], exec
	s_and_b64 s[18:19], vcc, exec
	s_or_b64 s[12:13], s[12:13], s[18:19]
	s_or_b64 exec, exec, s[16:17]
	v_mov_b32_e32 v9, 0
	s_and_saveexec_b64 s[16:17], s[12:13]
	s_cbranch_execnz .LBB126_1549
	s_branch .LBB126_1550
.LBB126_1992:
	s_andn2_saveexec_b64 s[16:17], s[16:17]
	s_cbranch_execz .LBB126_1654
.LBB126_1993:
	v_add_f32_e32 v6, 0x46000000, v7
	v_and_b32_e32 v6, 0xff, v6
	v_cmp_ne_u32_e32 vcc, 0, v6
	s_andn2_b64 s[12:13], s[12:13], exec
	s_and_b64 s[22:23], vcc, exec
	s_or_b64 s[12:13], s[12:13], s[22:23]
	s_or_b64 exec, exec, s[16:17]
	v_mov_b32_e32 v8, 0
	s_and_saveexec_b64 s[16:17], s[12:13]
	s_cbranch_execnz .LBB126_1655
	s_branch .LBB126_1656
.LBB126_1994:
	s_trap 2
	s_or_b64 s[14:15], s[14:15], exec
	s_cbranch_execz .LBB126_1702
	s_branch .LBB126_1703
.LBB126_1995:
	s_andn2_saveexec_b64 s[12:13], s[12:13]
	s_cbranch_execz .LBB126_1667
.LBB126_1996:
	v_add_f32_e32 v6, 0x42800000, v7
	v_and_b32_e32 v6, 0xff, v6
	v_cmp_ne_u32_e32 vcc, 0, v6
	s_andn2_b64 s[10:11], s[10:11], exec
	s_and_b64 s[16:17], vcc, exec
	s_or_b64 s[10:11], s[10:11], s[16:17]
	s_or_b64 exec, exec, s[12:13]
	v_mov_b32_e32 v8, 0
	s_and_saveexec_b64 s[12:13], s[10:11]
	s_cbranch_execnz .LBB126_1668
	s_branch .LBB126_1669
.LBB126_1997:
	s_andn2_saveexec_b64 s[16:17], s[16:17]
	s_cbranch_execz .LBB126_1773
.LBB126_1998:
	v_add_f32_e32 v5, 0x46000000, v6
	v_and_b32_e32 v5, 0xff, v5
	v_cmp_ne_u32_e32 vcc, 0, v5
	s_andn2_b64 s[12:13], s[12:13], exec
	s_and_b64 s[22:23], vcc, exec
	s_or_b64 s[12:13], s[12:13], s[22:23]
	s_or_b64 exec, exec, s[16:17]
	v_mov_b32_e32 v7, 0
	s_and_saveexec_b64 s[16:17], s[12:13]
	s_cbranch_execnz .LBB126_1774
	s_branch .LBB126_1775
.LBB126_1999:
	s_trap 2
	s_or_b64 s[14:15], s[14:15], exec
	s_cbranch_execz .LBB126_1821
	s_branch .LBB126_1822
.LBB126_2000:
	s_andn2_saveexec_b64 s[12:13], s[12:13]
	s_cbranch_execz .LBB126_1786
.LBB126_2001:
	v_add_f32_e32 v5, 0x42800000, v6
	v_and_b32_e32 v5, 0xff, v5
	v_cmp_ne_u32_e32 vcc, 0, v5
	s_andn2_b64 s[10:11], s[10:11], exec
	s_and_b64 s[16:17], vcc, exec
	s_or_b64 s[10:11], s[10:11], s[16:17]
	s_or_b64 exec, exec, s[12:13]
	v_mov_b32_e32 v7, 0
	s_and_saveexec_b64 s[12:13], s[10:11]
	s_cbranch_execnz .LBB126_1787
	s_branch .LBB126_1788
.LBB126_2002:
	s_andn2_saveexec_b64 s[12:13], s[12:13]
	s_cbranch_execz .LBB126_1893
.LBB126_2003:
	v_add_f32_e32 v3, 0x46000000, v4
	v_and_b32_e32 v3, 0xff, v3
	v_cmp_ne_u32_e32 vcc, 0, v3
	s_andn2_b64 s[10:11], s[10:11], exec
	s_and_b64 s[18:19], vcc, exec
	s_or_b64 s[10:11], s[10:11], s[18:19]
	s_or_b64 exec, exec, s[12:13]
	v_mov_b32_e32 v5, 0
	s_and_saveexec_b64 s[12:13], s[10:11]
	s_cbranch_execnz .LBB126_1894
	s_branch .LBB126_1895
.LBB126_2004:
	s_mov_b64 s[2:3], 0
	s_or_b64 s[14:15], s[14:15], exec
	s_trap 2
	s_branch .LBB126_1939
.LBB126_2005:
	s_andn2_saveexec_b64 s[10:11], s[10:11]
	s_cbranch_execz .LBB126_1905
.LBB126_2006:
	v_add_f32_e32 v3, 0x42800000, v4
	v_and_b32_e32 v3, 0xff, v3
	v_cmp_ne_u32_e32 vcc, 0, v3
	s_andn2_b64 s[8:9], s[8:9], exec
	s_and_b64 s[12:13], vcc, exec
	s_or_b64 s[8:9], s[8:9], s[12:13]
	s_or_b64 exec, exec, s[10:11]
	v_mov_b32_e32 v5, 0
	s_and_saveexec_b64 s[10:11], s[8:9]
	s_cbranch_execnz .LBB126_1906
	s_branch .LBB126_1907
	.section	.rodata,"a",@progbits
	.p2align	6, 0x0
	.amdhsa_kernel _ZN2at6native32elementwise_kernel_manual_unrollILi128ELi4EZNS0_15gpu_kernel_implINS0_13AUnaryFunctorIhhhZZZNS0_18rshift_kernel_cudaERNS_18TensorIteratorBaseEENKUlvE_clEvENKUlvE_clEvEUlhhE_EEEEvS5_RKT_EUlibE_EEviT1_
		.amdhsa_group_segment_fixed_size 0
		.amdhsa_private_segment_fixed_size 0
		.amdhsa_kernarg_size 40
		.amdhsa_user_sgpr_count 6
		.amdhsa_user_sgpr_private_segment_buffer 1
		.amdhsa_user_sgpr_dispatch_ptr 0
		.amdhsa_user_sgpr_queue_ptr 0
		.amdhsa_user_sgpr_kernarg_segment_ptr 1
		.amdhsa_user_sgpr_dispatch_id 0
		.amdhsa_user_sgpr_flat_scratch_init 0
		.amdhsa_user_sgpr_private_segment_size 0
		.amdhsa_uses_dynamic_stack 0
		.amdhsa_system_sgpr_private_segment_wavefront_offset 0
		.amdhsa_system_sgpr_workgroup_id_x 1
		.amdhsa_system_sgpr_workgroup_id_y 0
		.amdhsa_system_sgpr_workgroup_id_z 0
		.amdhsa_system_sgpr_workgroup_info 0
		.amdhsa_system_vgpr_workitem_id 0
		.amdhsa_next_free_vgpr 12
		.amdhsa_next_free_sgpr 48
		.amdhsa_reserve_vcc 1
		.amdhsa_reserve_flat_scratch 0
		.amdhsa_float_round_mode_32 0
		.amdhsa_float_round_mode_16_64 0
		.amdhsa_float_denorm_mode_32 3
		.amdhsa_float_denorm_mode_16_64 3
		.amdhsa_dx10_clamp 1
		.amdhsa_ieee_mode 1
		.amdhsa_fp16_overflow 0
		.amdhsa_exception_fp_ieee_invalid_op 0
		.amdhsa_exception_fp_denorm_src 0
		.amdhsa_exception_fp_ieee_div_zero 0
		.amdhsa_exception_fp_ieee_overflow 0
		.amdhsa_exception_fp_ieee_underflow 0
		.amdhsa_exception_fp_ieee_inexact 0
		.amdhsa_exception_int_div_zero 0
	.end_amdhsa_kernel
	.section	.text._ZN2at6native32elementwise_kernel_manual_unrollILi128ELi4EZNS0_15gpu_kernel_implINS0_13AUnaryFunctorIhhhZZZNS0_18rshift_kernel_cudaERNS_18TensorIteratorBaseEENKUlvE_clEvENKUlvE_clEvEUlhhE_EEEEvS5_RKT_EUlibE_EEviT1_,"axG",@progbits,_ZN2at6native32elementwise_kernel_manual_unrollILi128ELi4EZNS0_15gpu_kernel_implINS0_13AUnaryFunctorIhhhZZZNS0_18rshift_kernel_cudaERNS_18TensorIteratorBaseEENKUlvE_clEvENKUlvE_clEvEUlhhE_EEEEvS5_RKT_EUlibE_EEviT1_,comdat
.Lfunc_end126:
	.size	_ZN2at6native32elementwise_kernel_manual_unrollILi128ELi4EZNS0_15gpu_kernel_implINS0_13AUnaryFunctorIhhhZZZNS0_18rshift_kernel_cudaERNS_18TensorIteratorBaseEENKUlvE_clEvENKUlvE_clEvEUlhhE_EEEEvS5_RKT_EUlibE_EEviT1_, .Lfunc_end126-_ZN2at6native32elementwise_kernel_manual_unrollILi128ELi4EZNS0_15gpu_kernel_implINS0_13AUnaryFunctorIhhhZZZNS0_18rshift_kernel_cudaERNS_18TensorIteratorBaseEENKUlvE_clEvENKUlvE_clEvEUlhhE_EEEEvS5_RKT_EUlibE_EEviT1_
                                        ; -- End function
	.set _ZN2at6native32elementwise_kernel_manual_unrollILi128ELi4EZNS0_15gpu_kernel_implINS0_13AUnaryFunctorIhhhZZZNS0_18rshift_kernel_cudaERNS_18TensorIteratorBaseEENKUlvE_clEvENKUlvE_clEvEUlhhE_EEEEvS5_RKT_EUlibE_EEviT1_.num_vgpr, 12
	.set _ZN2at6native32elementwise_kernel_manual_unrollILi128ELi4EZNS0_15gpu_kernel_implINS0_13AUnaryFunctorIhhhZZZNS0_18rshift_kernel_cudaERNS_18TensorIteratorBaseEENKUlvE_clEvENKUlvE_clEvEUlhhE_EEEEvS5_RKT_EUlibE_EEviT1_.num_agpr, 0
	.set _ZN2at6native32elementwise_kernel_manual_unrollILi128ELi4EZNS0_15gpu_kernel_implINS0_13AUnaryFunctorIhhhZZZNS0_18rshift_kernel_cudaERNS_18TensorIteratorBaseEENKUlvE_clEvENKUlvE_clEvEUlhhE_EEEEvS5_RKT_EUlibE_EEviT1_.numbered_sgpr, 48
	.set _ZN2at6native32elementwise_kernel_manual_unrollILi128ELi4EZNS0_15gpu_kernel_implINS0_13AUnaryFunctorIhhhZZZNS0_18rshift_kernel_cudaERNS_18TensorIteratorBaseEENKUlvE_clEvENKUlvE_clEvEUlhhE_EEEEvS5_RKT_EUlibE_EEviT1_.num_named_barrier, 0
	.set _ZN2at6native32elementwise_kernel_manual_unrollILi128ELi4EZNS0_15gpu_kernel_implINS0_13AUnaryFunctorIhhhZZZNS0_18rshift_kernel_cudaERNS_18TensorIteratorBaseEENKUlvE_clEvENKUlvE_clEvEUlhhE_EEEEvS5_RKT_EUlibE_EEviT1_.private_seg_size, 0
	.set _ZN2at6native32elementwise_kernel_manual_unrollILi128ELi4EZNS0_15gpu_kernel_implINS0_13AUnaryFunctorIhhhZZZNS0_18rshift_kernel_cudaERNS_18TensorIteratorBaseEENKUlvE_clEvENKUlvE_clEvEUlhhE_EEEEvS5_RKT_EUlibE_EEviT1_.uses_vcc, 1
	.set _ZN2at6native32elementwise_kernel_manual_unrollILi128ELi4EZNS0_15gpu_kernel_implINS0_13AUnaryFunctorIhhhZZZNS0_18rshift_kernel_cudaERNS_18TensorIteratorBaseEENKUlvE_clEvENKUlvE_clEvEUlhhE_EEEEvS5_RKT_EUlibE_EEviT1_.uses_flat_scratch, 0
	.set _ZN2at6native32elementwise_kernel_manual_unrollILi128ELi4EZNS0_15gpu_kernel_implINS0_13AUnaryFunctorIhhhZZZNS0_18rshift_kernel_cudaERNS_18TensorIteratorBaseEENKUlvE_clEvENKUlvE_clEvEUlhhE_EEEEvS5_RKT_EUlibE_EEviT1_.has_dyn_sized_stack, 0
	.set _ZN2at6native32elementwise_kernel_manual_unrollILi128ELi4EZNS0_15gpu_kernel_implINS0_13AUnaryFunctorIhhhZZZNS0_18rshift_kernel_cudaERNS_18TensorIteratorBaseEENKUlvE_clEvENKUlvE_clEvEUlhhE_EEEEvS5_RKT_EUlibE_EEviT1_.has_recursion, 0
	.set _ZN2at6native32elementwise_kernel_manual_unrollILi128ELi4EZNS0_15gpu_kernel_implINS0_13AUnaryFunctorIhhhZZZNS0_18rshift_kernel_cudaERNS_18TensorIteratorBaseEENKUlvE_clEvENKUlvE_clEvEUlhhE_EEEEvS5_RKT_EUlibE_EEviT1_.has_indirect_call, 0
	.section	.AMDGPU.csdata,"",@progbits
; Kernel info:
; codeLenInByte = 33468
; TotalNumSgprs: 52
; NumVgprs: 12
; ScratchSize: 0
; MemoryBound: 1
; FloatMode: 240
; IeeeMode: 1
; LDSByteSize: 0 bytes/workgroup (compile time only)
; SGPRBlocks: 6
; VGPRBlocks: 2
; NumSGPRsForWavesPerEU: 52
; NumVGPRsForWavesPerEU: 12
; Occupancy: 10
; WaveLimiterHint : 0
; COMPUTE_PGM_RSRC2:SCRATCH_EN: 0
; COMPUTE_PGM_RSRC2:USER_SGPR: 6
; COMPUTE_PGM_RSRC2:TRAP_HANDLER: 0
; COMPUTE_PGM_RSRC2:TGID_X_EN: 1
; COMPUTE_PGM_RSRC2:TGID_Y_EN: 0
; COMPUTE_PGM_RSRC2:TGID_Z_EN: 0
; COMPUTE_PGM_RSRC2:TIDIG_COMP_CNT: 0
	.section	.text._ZN2at6native32elementwise_kernel_manual_unrollILi128ELi4EZNS0_15gpu_kernel_implINS0_13AUnaryFunctorIhhhZZZNS0_18rshift_kernel_cudaERNS_18TensorIteratorBaseEENKUlvE_clEvENKUlvE_clEvEUlhhE_EEEEvS5_RKT_EUlibE0_EEviT1_,"axG",@progbits,_ZN2at6native32elementwise_kernel_manual_unrollILi128ELi4EZNS0_15gpu_kernel_implINS0_13AUnaryFunctorIhhhZZZNS0_18rshift_kernel_cudaERNS_18TensorIteratorBaseEENKUlvE_clEvENKUlvE_clEvEUlhhE_EEEEvS5_RKT_EUlibE0_EEviT1_,comdat
	.globl	_ZN2at6native32elementwise_kernel_manual_unrollILi128ELi4EZNS0_15gpu_kernel_implINS0_13AUnaryFunctorIhhhZZZNS0_18rshift_kernel_cudaERNS_18TensorIteratorBaseEENKUlvE_clEvENKUlvE_clEvEUlhhE_EEEEvS5_RKT_EUlibE0_EEviT1_ ; -- Begin function _ZN2at6native32elementwise_kernel_manual_unrollILi128ELi4EZNS0_15gpu_kernel_implINS0_13AUnaryFunctorIhhhZZZNS0_18rshift_kernel_cudaERNS_18TensorIteratorBaseEENKUlvE_clEvENKUlvE_clEvEUlhhE_EEEEvS5_RKT_EUlibE0_EEviT1_
	.p2align	8
	.type	_ZN2at6native32elementwise_kernel_manual_unrollILi128ELi4EZNS0_15gpu_kernel_implINS0_13AUnaryFunctorIhhhZZZNS0_18rshift_kernel_cudaERNS_18TensorIteratorBaseEENKUlvE_clEvENKUlvE_clEvEUlhhE_EEEEvS5_RKT_EUlibE0_EEviT1_,@function
_ZN2at6native32elementwise_kernel_manual_unrollILi128ELi4EZNS0_15gpu_kernel_implINS0_13AUnaryFunctorIhhhZZZNS0_18rshift_kernel_cudaERNS_18TensorIteratorBaseEENKUlvE_clEvENKUlvE_clEvEUlhhE_EEEEvS5_RKT_EUlibE0_EEviT1_: ; @_ZN2at6native32elementwise_kernel_manual_unrollILi128ELi4EZNS0_15gpu_kernel_implINS0_13AUnaryFunctorIhhhZZZNS0_18rshift_kernel_cudaERNS_18TensorIteratorBaseEENKUlvE_clEvENKUlvE_clEvEUlhhE_EEEEvS5_RKT_EUlibE0_EEviT1_
; %bb.0:
	s_load_dword s70, s[4:5], 0x0
	s_load_dword s33, s[4:5], 0x8
	s_add_u32 s34, s4, 8
	s_addc_u32 s35, s5, 0
	v_lshl_or_b32 v11, s6, 9, v0
	v_or_b32_e32 v13, 0x180, v11
	s_waitcnt lgkmcnt(0)
	s_add_i32 s72, s33, -1
	s_cmp_gt_u32 s72, 1
	v_cmp_le_i32_e32 vcc, s70, v13
	s_cselect_b64 s[40:41], -1, 0
	s_mov_b64 s[6:7], 0
	s_mov_b64 s[28:29], 0
	s_and_saveexec_b64 s[0:1], vcc
	s_xor_b64 s[42:43], exec, s[0:1]
	s_cbranch_execz .LBB127_1070
; %bb.1:
	v_mov_b32_e32 v0, 0
	global_load_ushort v1, v0, s[34:35] offset:345
	global_load_sbyte v2, v0, s[34:35] offset:347
	s_load_dwordx4 s[36:39], s[34:35], 0x4
	s_load_dwordx2 s[44:45], s[34:35], 0x14
	s_load_dwordx4 s[28:31], s[34:35], 0xc4
	s_load_dwordx4 s[24:27], s[34:35], 0x148
	s_cmp_lg_u32 s33, 0
	s_cselect_b64 s[50:51], -1, 0
	s_add_u32 s48, s34, 0xc4
	s_addc_u32 s49, s35, 0
	s_min_u32 s76, s72, 15
	s_cmp_gt_u32 s33, 1
	v_cmp_gt_i32_e32 vcc, s70, v11
	s_mov_b64 s[2:3], -1
	s_mov_b64 s[60:61], 0
	s_mov_b64 s[54:55], 0
	s_cselect_b64 s[46:47], -1, 0
	s_mov_b64 s[52:53], 0
	s_waitcnt vmcnt(1)
	v_readfirstlane_b32 s74, v1
	s_waitcnt vmcnt(0)
	v_readfirstlane_b32 s75, v2
	s_lshr_b32 s73, s74, 8
	s_and_saveexec_b64 s[56:57], vcc
	s_cbranch_execz .LBB127_262
; %bb.2:
	s_andn2_b64 vcc, exec, s[40:41]
	s_cbranch_vccnz .LBB127_7
; %bb.3:
	s_andn2_b64 vcc, exec, s[50:51]
	s_cbranch_vccnz .LBB127_8
; %bb.4:
	s_add_i32 s59, s76, 1
	s_cmp_eq_u32 s72, 2
	s_cbranch_scc1 .LBB127_9
; %bb.5:
	s_and_b32 s58, s59, 28
	v_mov_b32_e32 v2, 0
	s_mov_b32 s62, 0
	s_mov_b64 s[52:53], s[34:35]
	s_mov_b64 s[54:55], s[48:49]
	v_mov_b32_e32 v0, 0
	v_mov_b32_e32 v1, v11
.LBB127_6:                              ; =>This Inner Loop Header: Depth=1
	s_load_dwordx8 s[16:23], s[52:53], 0x4
	s_load_dwordx4 s[0:3], s[52:53], 0x24
	s_load_dwordx8 s[8:15], s[54:55], 0x0
	s_add_u32 s52, s52, 48
	s_addc_u32 s53, s53, 0
	s_waitcnt lgkmcnt(0)
	v_mul_hi_u32 v3, s17, v1
	s_add_i32 s62, s62, 4
	s_add_u32 s54, s54, 32
	s_addc_u32 s55, s55, 0
	v_add_u32_e32 v3, v1, v3
	v_lshrrev_b32_e32 v3, s18, v3
	v_mul_lo_u32 v4, v3, s16
	v_mul_hi_u32 v5, s20, v3
	s_cmp_lg_u32 s58, s62
	v_sub_u32_e32 v1, v1, v4
	v_add_u32_e32 v4, v3, v5
	v_mul_lo_u32 v5, v1, s8
	v_mul_lo_u32 v6, v1, s9
	v_lshrrev_b32_e32 v1, s21, v4
	v_mul_lo_u32 v4, v1, s19
	v_mul_hi_u32 v7, s23, v1
	v_sub_u32_e32 v3, v3, v4
	v_add_u32_e32 v4, v1, v7
	v_lshrrev_b32_e32 v4, s0, v4
	v_mul_hi_u32 v8, s2, v4
	v_mul_lo_u32 v9, v4, s22
	v_mul_lo_u32 v7, v3, s10
	;; [unrolled: 1-line block ×3, first 2 shown]
	v_sub_u32_e32 v9, v1, v9
	v_add_u32_e32 v1, v4, v8
	v_lshrrev_b32_e32 v1, s3, v1
	v_mul_lo_u32 v8, v1, s1
	v_mul_lo_u32 v10, v9, s12
	;; [unrolled: 1-line block ×3, first 2 shown]
	v_add3_u32 v0, v5, v0, v7
	v_sub_u32_e32 v4, v4, v8
	v_mul_lo_u32 v8, v4, s14
	v_mul_lo_u32 v4, v4, s15
	v_add3_u32 v2, v6, v2, v3
	v_add3_u32 v0, v10, v0, v8
	;; [unrolled: 1-line block ×3, first 2 shown]
	s_cbranch_scc1 .LBB127_6
	s_branch .LBB127_10
.LBB127_7:
                                        ; implicit-def: $vgpr0
                                        ; implicit-def: $vgpr2
	s_branch .LBB127_14
.LBB127_8:
	v_mov_b32_e32 v0, 0
	v_mov_b32_e32 v2, 0
	s_branch .LBB127_13
.LBB127_9:
	s_mov_b32 s58, 0
	v_mov_b32_e32 v0, 0
	v_mov_b32_e32 v2, 0
	;; [unrolled: 1-line block ×3, first 2 shown]
.LBB127_10:
	s_and_b32 s8, s59, 3
	s_cmp_eq_u32 s8, 0
	s_cbranch_scc1 .LBB127_13
; %bb.11:
	s_lshl_b32 s0, s58, 3
	s_add_u32 s0, s34, s0
	s_addc_u32 s1, s35, 0
	s_add_u32 s0, s0, 0xc4
	s_addc_u32 s1, s1, 0
	s_mul_i32 s2, s58, 12
	s_add_u32 s2, s34, s2
	s_addc_u32 s3, s35, 0
.LBB127_12:                             ; =>This Inner Loop Header: Depth=1
	s_load_dwordx2 s[10:11], s[2:3], 0x4
	s_load_dword s9, s[2:3], 0xc
	s_load_dwordx2 s[12:13], s[0:1], 0x0
	s_add_u32 s2, s2, 12
	s_addc_u32 s3, s3, 0
	s_waitcnt lgkmcnt(0)
	v_mul_hi_u32 v3, s11, v1
	s_add_u32 s0, s0, 8
	s_addc_u32 s1, s1, 0
	s_add_i32 s8, s8, -1
	v_add_u32_e32 v3, v1, v3
	v_lshrrev_b32_e32 v4, s9, v3
	v_mul_lo_u32 v3, v4, s10
	s_cmp_lg_u32 s8, 0
	v_sub_u32_e32 v3, v1, v3
	v_mad_u64_u32 v[0:1], s[10:11], v3, s12, v[0:1]
	v_mad_u64_u32 v[2:3], s[10:11], v3, s13, v[2:3]
	v_mov_b32_e32 v1, v4
	s_cbranch_scc1 .LBB127_12
.LBB127_13:
	s_cbranch_execnz .LBB127_16
.LBB127_14:
	s_waitcnt lgkmcnt(0)
	v_mul_hi_u32 v0, s37, v11
	s_andn2_b64 vcc, exec, s[46:47]
	v_add_u32_e32 v0, v11, v0
	v_lshrrev_b32_e32 v1, s38, v0
	v_mul_lo_u32 v0, v1, s36
	v_sub_u32_e32 v2, v11, v0
	v_mul_lo_u32 v0, v2, s28
	v_mul_lo_u32 v2, v2, s29
	s_cbranch_vccnz .LBB127_16
; %bb.15:
	v_mul_hi_u32 v3, s44, v1
	v_add_u32_e32 v3, v1, v3
	v_lshrrev_b32_e32 v3, s45, v3
	v_mul_lo_u32 v3, v3, s39
	v_sub_u32_e32 v3, v1, v3
	v_mad_u64_u32 v[0:1], s[0:1], v3, s30, v[0:1]
	v_mad_u64_u32 v[2:3], s[0:1], v3, s31, v[2:3]
.LBB127_16:
	s_waitcnt lgkmcnt(0)
	v_mov_b32_e32 v3, s27
	s_and_b32 s10, s75, 0xff
	v_add_co_u32_e32 v1, vcc, s26, v2
	s_cmp_lt_i32 s10, 11
	v_addc_co_u32_e32 v2, vcc, 0, v3, vcc
	s_cbranch_scc1 .LBB127_23
; %bb.17:
	s_and_b32 s11, 0xffff, s10
	s_cmp_gt_i32 s11, 25
	s_cbranch_scc0 .LBB127_32
; %bb.18:
	s_cmp_gt_i32 s11, 28
	s_cbranch_scc0 .LBB127_35
; %bb.19:
	;; [unrolled: 3-line block ×4, first 2 shown]
	s_cmp_eq_u32 s11, 46
	s_mov_b64 s[8:9], 0
	s_cbranch_scc0 .LBB127_41
; %bb.22:
	global_load_dword v3, v[1:2], off
	s_mov_b32 s0, 0x2f800000
	s_mov_b32 s1, 0xcf800000
	s_mov_b64 s[2:3], 0
	s_waitcnt vmcnt(0)
	v_lshlrev_b32_e32 v3, 16, v3
	v_trunc_f32_e32 v3, v3
	v_mul_f32_e64 v4, |v3|, s0
	v_floor_f32_e32 v4, v4
	v_fma_f32 v4, v4, s1, |v3|
	v_cvt_u32_f32_e32 v4, v4
	v_ashrrev_i32_e32 v3, 31, v3
	s_mov_b64 s[0:1], -1
	v_xor_b32_e32 v4, v4, v3
	v_sub_u32_e32 v3, v4, v3
	s_branch .LBB127_43
.LBB127_23:
	s_mov_b64 s[2:3], 0
                                        ; implicit-def: $vgpr3
	s_mov_b64 s[0:1], 0
	s_cbranch_execnz .LBB127_212
.LBB127_24:
	s_andn2_b64 vcc, exec, s[0:1]
	s_cbranch_vccnz .LBB127_259
.LBB127_25:
	s_and_b32 s0, s74, 0xff
	v_mov_b32_e32 v2, 8
	s_waitcnt vmcnt(0)
	v_lshrrev_b16_sdwa v1, v3, s0 dst_sel:DWORD dst_unused:UNUSED_PAD src0_sel:BYTE_0 src1_sel:DWORD
	v_cmp_lt_u16_sdwa vcc, v3, v2 src0_sel:BYTE_0 src1_sel:DWORD
	v_cndmask_b32_e32 v2, 0, v1, vcc
	v_mov_b32_e32 v1, s25
	s_and_b32 s14, s73, 0xff
	v_add_co_u32_e32 v0, vcc, s24, v0
	s_cmp_lt_i32 s14, 11
	v_addc_co_u32_e32 v1, vcc, 0, v1, vcc
	s_cbranch_scc1 .LBB127_33
; %bb.26:
	s_and_b32 s15, 0xffff, s14
	s_cmp_gt_i32 s15, 25
	s_cbranch_scc0 .LBB127_36
; %bb.27:
	s_cmp_gt_i32 s15, 28
	s_cbranch_scc0 .LBB127_38
; %bb.28:
	;; [unrolled: 3-line block ×4, first 2 shown]
	s_mov_b64 s[10:11], 0
	s_mov_b64 s[0:1], -1
	s_cmp_eq_u32 s15, 46
	s_mov_b64 s[8:9], 0
	s_cbranch_scc0 .LBB127_47
; %bb.31:
	v_cvt_f32_ubyte0_e32 v3, v2
	v_bfe_u32 v4, v3, 16, 1
	s_movk_i32 s0, 0x7fff
	v_add3_u32 v3, v3, v4, s0
	v_lshrrev_b32_e32 v3, 16, v3
	global_store_dword v[0:1], v3, off
	s_mov_b64 s[8:9], -1
	s_mov_b64 s[0:1], 0
	s_branch .LBB127_47
.LBB127_32:
	s_mov_b64 s[2:3], 0
	s_mov_b64 s[0:1], 0
                                        ; implicit-def: $vgpr3
	s_cbranch_execnz .LBB127_179
	s_branch .LBB127_211
.LBB127_33:
	s_mov_b64 s[0:1], 0
	s_mov_b64 s[8:9], 0
	s_cbranch_execnz .LBB127_116
.LBB127_34:
	s_andn2_b64 vcc, exec, s[8:9]
	s_cbranch_vccnz .LBB127_260
	s_branch .LBB127_154
.LBB127_35:
	s_mov_b64 s[8:9], -1
	s_mov_b64 s[2:3], 0
	s_mov_b64 s[0:1], 0
                                        ; implicit-def: $vgpr3
	s_branch .LBB127_162
.LBB127_36:
	s_mov_b64 s[10:11], -1
	s_mov_b64 s[0:1], 0
	s_mov_b64 s[8:9], 0
	s_branch .LBB127_74
.LBB127_37:
	s_mov_b64 s[8:9], -1
	s_mov_b64 s[2:3], 0
	s_mov_b64 s[0:1], 0
                                        ; implicit-def: $vgpr3
	s_branch .LBB127_157
.LBB127_38:
	s_mov_b64 s[10:11], -1
	s_mov_b64 s[0:1], 0
	s_mov_b64 s[8:9], 0
	s_branch .LBB127_57
.LBB127_39:
	s_mov_b64 s[8:9], -1
	s_mov_b64 s[2:3], 0
	s_branch .LBB127_42
.LBB127_40:
	s_mov_b64 s[10:11], -1
	s_mov_b64 s[0:1], 0
	s_mov_b64 s[8:9], 0
	s_branch .LBB127_53
.LBB127_41:
	s_mov_b64 s[2:3], -1
.LBB127_42:
	s_mov_b64 s[0:1], 0
                                        ; implicit-def: $vgpr3
.LBB127_43:
	s_and_b64 vcc, exec, s[8:9]
	s_cbranch_vccz .LBB127_156
; %bb.44:
	s_cmp_eq_u32 s11, 44
	s_cbranch_scc0 .LBB127_155
; %bb.45:
	global_load_ubyte v3, v[1:2], off
	s_mov_b32 s0, 0x2f800000
	s_mov_b32 s1, 0xcf800000
	s_mov_b64 s[2:3], 0
	s_waitcnt vmcnt(0)
	v_lshlrev_b32_e32 v4, 23, v3
	v_trunc_f32_e32 v4, v4
	v_mul_f32_e64 v5, |v4|, s0
	v_floor_f32_e32 v5, v5
	v_fma_f32 v5, v5, s1, |v4|
	v_cvt_u32_f32_e32 v5, v5
	v_ashrrev_i32_e32 v4, 31, v4
	v_cmp_ne_u32_e32 vcc, 0, v3
	s_mov_b64 s[0:1], -1
	v_xor_b32_e32 v5, v5, v4
	v_sub_u32_e32 v4, v5, v4
	v_cndmask_b32_e32 v3, 0, v4, vcc
	s_branch .LBB127_156
.LBB127_46:
	s_mov_b64 s[10:11], -1
	s_mov_b64 s[0:1], 0
	s_mov_b64 s[8:9], 0
.LBB127_47:
	s_and_b64 vcc, exec, s[10:11]
	s_cbranch_vccz .LBB127_52
; %bb.48:
	s_cmp_eq_u32 s15, 44
	s_mov_b64 s[0:1], -1
	s_cbranch_scc0 .LBB127_52
; %bb.49:
	v_cvt_f32_ubyte0_e32 v4, v2
	v_lshrrev_b32_e32 v3, 23, v4
	s_movk_i32 s0, 0xff
	v_cmp_ne_u32_e32 vcc, s0, v3
	v_mov_b32_e32 v5, 0xff
	s_and_saveexec_b64 s[8:9], vcc
; %bb.50:
	s_mov_b32 s0, 0x3fffff
	v_and_b32_e32 v5, 0x400000, v4
	v_and_or_b32 v4, v4, s0, v3
	v_cmp_ne_u32_e32 vcc, 0, v5
	v_cmp_ne_u32_e64 s[0:1], 0, v4
	s_and_b64 s[0:1], vcc, s[0:1]
	v_cndmask_b32_e64 v4, 0, 1, s[0:1]
	v_add_u32_e32 v5, v3, v4
; %bb.51:
	s_or_b64 exec, exec, s[8:9]
	s_mov_b64 s[8:9], -1
	s_mov_b64 s[0:1], 0
	global_store_byte v[0:1], v5, off
.LBB127_52:
	s_mov_b64 s[10:11], 0
.LBB127_53:
	s_and_b64 vcc, exec, s[10:11]
	s_cbranch_vccz .LBB127_56
; %bb.54:
	s_cmp_eq_u32 s15, 29
	s_mov_b64 s[0:1], -1
	s_cbranch_scc0 .LBB127_56
; %bb.55:
	s_mov_b32 s0, 0
	v_and_b32_e32 v3, 0xffff, v2
	v_mov_b32_e32 v4, s0
	global_store_dwordx2 v[0:1], v[3:4], off
	s_mov_b64 s[8:9], -1
	s_mov_b64 s[0:1], 0
.LBB127_56:
	s_mov_b64 s[10:11], 0
.LBB127_57:
	s_and_b64 vcc, exec, s[10:11]
	s_cbranch_vccz .LBB127_73
; %bb.58:
	s_cmp_lt_i32 s15, 27
	s_mov_b64 s[8:9], -1
	s_cbranch_scc1 .LBB127_64
; %bb.59:
	s_cmp_gt_i32 s15, 27
	s_cbranch_scc0 .LBB127_61
; %bb.60:
	v_and_b32_e32 v3, 0xffff, v2
	s_mov_b64 s[8:9], 0
	global_store_dword v[0:1], v3, off
.LBB127_61:
	s_andn2_b64 vcc, exec, s[8:9]
	s_cbranch_vccnz .LBB127_63
; %bb.62:
	global_store_short v[0:1], v2, off
.LBB127_63:
	s_mov_b64 s[8:9], 0
.LBB127_64:
	s_andn2_b64 vcc, exec, s[8:9]
	s_cbranch_vccnz .LBB127_72
; %bb.65:
	v_cvt_f32_ubyte0_e32 v4, v2
	s_mov_b32 s8, 0x43800000
	v_cmp_gt_u32_e32 vcc, s8, v4
	v_mov_b32_e32 v5, 0x80
	s_and_saveexec_b64 s[8:9], vcc
	s_cbranch_execz .LBB127_71
; %bb.66:
	s_mov_b32 s10, 0x3bffffff
	v_cmp_lt_u32_e32 vcc, s10, v4
	s_mov_b64 s[10:11], 0
                                        ; implicit-def: $vgpr3
	s_and_saveexec_b64 s[12:13], vcc
	s_xor_b64 s[12:13], exec, s[12:13]
	s_cbranch_execz .LBB127_303
; %bb.67:
	v_bfe_u32 v3, v4, 20, 1
	s_mov_b32 s16, 0x487ffff
	v_add3_u32 v3, v4, v3, s16
	s_mov_b64 s[10:11], exec
	v_lshrrev_b32_e32 v3, 20, v3
                                        ; implicit-def: $vgpr4
	s_andn2_saveexec_b64 s[12:13], s[12:13]
	s_cbranch_execnz .LBB127_304
.LBB127_68:
	s_or_b64 exec, exec, s[12:13]
	v_mov_b32_e32 v5, 0
	s_and_saveexec_b64 s[12:13], s[10:11]
.LBB127_69:
	v_mov_b32_e32 v5, v3
.LBB127_70:
	s_or_b64 exec, exec, s[12:13]
.LBB127_71:
	s_or_b64 exec, exec, s[8:9]
	global_store_byte v[0:1], v5, off
.LBB127_72:
	s_mov_b64 s[8:9], -1
.LBB127_73:
	s_mov_b64 s[10:11], 0
.LBB127_74:
	s_and_b64 vcc, exec, s[10:11]
	s_cbranch_vccz .LBB127_115
; %bb.75:
	s_cmp_gt_i32 s15, 22
	s_mov_b64 s[10:11], -1
	s_cbranch_scc0 .LBB127_107
; %bb.76:
	s_cmp_lt_i32 s15, 24
	s_mov_b64 s[8:9], -1
	s_cbranch_scc1 .LBB127_96
; %bb.77:
	s_cmp_gt_i32 s15, 24
	s_cbranch_scc0 .LBB127_85
; %bb.78:
	v_cvt_f32_ubyte0_e32 v4, v2
	s_mov_b32 s8, 0x47800000
	v_cmp_gt_u32_e32 vcc, s8, v4
	v_mov_b32_e32 v5, 0x80
	s_and_saveexec_b64 s[8:9], vcc
	s_cbranch_execz .LBB127_84
; %bb.79:
	s_mov_b32 s10, 0x37ffffff
	v_cmp_lt_u32_e32 vcc, s10, v4
	s_mov_b64 s[10:11], 0
                                        ; implicit-def: $vgpr3
	s_and_saveexec_b64 s[12:13], vcc
	s_xor_b64 s[12:13], exec, s[12:13]
	s_cbranch_execz .LBB127_307
; %bb.80:
	v_bfe_u32 v3, v4, 21, 1
	s_mov_b32 s16, 0x88fffff
	v_add3_u32 v3, v4, v3, s16
	s_mov_b64 s[10:11], exec
	v_lshrrev_b32_e32 v3, 21, v3
                                        ; implicit-def: $vgpr4
	s_andn2_saveexec_b64 s[12:13], s[12:13]
	s_cbranch_execnz .LBB127_308
.LBB127_81:
	s_or_b64 exec, exec, s[12:13]
	v_mov_b32_e32 v5, 0
	s_and_saveexec_b64 s[12:13], s[10:11]
.LBB127_82:
	v_mov_b32_e32 v5, v3
.LBB127_83:
	s_or_b64 exec, exec, s[12:13]
.LBB127_84:
	s_or_b64 exec, exec, s[8:9]
	s_mov_b64 s[8:9], 0
	global_store_byte v[0:1], v5, off
.LBB127_85:
	s_and_b64 vcc, exec, s[8:9]
	s_cbranch_vccz .LBB127_95
; %bb.86:
	v_cvt_f32_ubyte0_e32 v3, v2
	s_mov_b32 s8, 0x43f00000
	v_cmp_gt_u32_e32 vcc, s8, v3
                                        ; implicit-def: $vgpr4
	s_and_saveexec_b64 s[8:9], vcc
	s_xor_b64 s[8:9], exec, s[8:9]
	s_cbranch_execz .LBB127_92
; %bb.87:
	s_mov_b32 s10, 0x3c7fffff
	v_cmp_lt_u32_e32 vcc, s10, v3
                                        ; implicit-def: $vgpr4
	s_and_saveexec_b64 s[10:11], vcc
	s_xor_b64 s[10:11], exec, s[10:11]
; %bb.88:
	v_bfe_u32 v4, v3, 20, 1
	s_mov_b32 s12, 0x407ffff
	v_add3_u32 v3, v3, v4, s12
	v_lshrrev_b32_e32 v4, 20, v3
	v_and_b32_e32 v3, 0xff00000, v3
	s_mov_b32 s12, 0x7f00000
	v_mov_b32_e32 v5, 0x7e
	v_cmp_ne_u32_e32 vcc, s12, v3
	v_cndmask_b32_e32 v4, v5, v4, vcc
                                        ; implicit-def: $vgpr3
; %bb.89:
	s_andn2_saveexec_b64 s[10:11], s[10:11]
; %bb.90:
	v_add_f32_e32 v4, 0x46800000, v3
; %bb.91:
	s_or_b64 exec, exec, s[10:11]
                                        ; implicit-def: $vgpr3
.LBB127_92:
	s_andn2_saveexec_b64 s[8:9], s[8:9]
; %bb.93:
	s_mov_b32 s10, 0x7f800000
	v_mov_b32_e32 v4, 0x7e
	v_mov_b32_e32 v5, 0x7f
	v_cmp_lt_u32_e32 vcc, s10, v3
	v_cndmask_b32_e32 v4, v4, v5, vcc
; %bb.94:
	s_or_b64 exec, exec, s[8:9]
	global_store_byte v[0:1], v4, off
.LBB127_95:
	s_mov_b64 s[8:9], 0
.LBB127_96:
	s_andn2_b64 vcc, exec, s[8:9]
	s_cbranch_vccnz .LBB127_106
; %bb.97:
	v_cvt_f32_ubyte0_e32 v3, v2
	s_mov_b32 s8, 0x47800000
	v_cmp_gt_u32_e32 vcc, s8, v3
                                        ; implicit-def: $vgpr4
	s_and_saveexec_b64 s[8:9], vcc
	s_xor_b64 s[8:9], exec, s[8:9]
	s_cbranch_execz .LBB127_103
; %bb.98:
	s_mov_b32 s10, 0x387fffff
	v_cmp_lt_u32_e32 vcc, s10, v3
                                        ; implicit-def: $vgpr4
	s_and_saveexec_b64 s[10:11], vcc
	s_xor_b64 s[10:11], exec, s[10:11]
; %bb.99:
	v_bfe_u32 v4, v3, 21, 1
	s_mov_b32 s12, 0x80fffff
	v_add3_u32 v3, v3, v4, s12
	v_lshrrev_b32_e32 v4, 21, v3
                                        ; implicit-def: $vgpr3
; %bb.100:
	s_andn2_saveexec_b64 s[10:11], s[10:11]
; %bb.101:
	v_add_f32_e32 v4, 0x43000000, v3
; %bb.102:
	s_or_b64 exec, exec, s[10:11]
                                        ; implicit-def: $vgpr3
.LBB127_103:
	s_andn2_saveexec_b64 s[8:9], s[8:9]
; %bb.104:
	s_mov_b32 s10, 0x7f800000
	v_mov_b32_e32 v4, 0x7c
	v_mov_b32_e32 v5, 0x7f
	v_cmp_lt_u32_e32 vcc, s10, v3
	v_cndmask_b32_e32 v4, v4, v5, vcc
; %bb.105:
	s_or_b64 exec, exec, s[8:9]
	global_store_byte v[0:1], v4, off
.LBB127_106:
	s_mov_b64 s[10:11], 0
	s_mov_b64 s[8:9], -1
.LBB127_107:
	s_andn2_b64 vcc, exec, s[10:11]
	s_cbranch_vccnz .LBB127_115
; %bb.108:
	s_cmp_gt_i32 s15, 14
	s_mov_b64 s[10:11], -1
	s_cbranch_scc0 .LBB127_112
; %bb.109:
	s_cmp_eq_u32 s15, 15
	s_mov_b64 s[0:1], -1
	s_cbranch_scc0 .LBB127_111
; %bb.110:
	v_cvt_f32_ubyte0_e32 v3, v2
	v_bfe_u32 v4, v3, 16, 1
	s_movk_i32 s0, 0x7fff
	v_add3_u32 v3, v3, v4, s0
	global_store_short_d16_hi v[0:1], v3, off
	s_mov_b64 s[8:9], -1
	s_mov_b64 s[0:1], 0
.LBB127_111:
	s_mov_b64 s[10:11], 0
.LBB127_112:
	s_and_b64 vcc, exec, s[10:11]
	s_cbranch_vccz .LBB127_115
; %bb.113:
	s_cmp_eq_u32 s15, 11
	s_mov_b64 s[0:1], -1
	s_cbranch_scc0 .LBB127_115
; %bb.114:
	v_cmp_ne_u16_e32 vcc, 0, v2
	v_cndmask_b32_e64 v3, 0, 1, vcc
	s_mov_b64 s[8:9], -1
	s_mov_b64 s[0:1], 0
	global_store_byte v[0:1], v3, off
.LBB127_115:
	s_branch .LBB127_34
.LBB127_116:
	s_and_b32 s10, 0xffff, s14
	s_cmp_lt_i32 s10, 5
	s_mov_b64 s[8:9], -1
	s_cbranch_scc1 .LBB127_137
; %bb.117:
	s_cmp_lt_i32 s10, 8
	s_cbranch_scc1 .LBB127_127
; %bb.118:
	s_cmp_lt_i32 s10, 9
	s_cbranch_scc1 .LBB127_124
; %bb.119:
	s_cmp_gt_i32 s10, 9
	s_cbranch_scc0 .LBB127_121
; %bb.120:
	v_and_b32_e32 v3, 0xffff, v2
	v_cvt_f64_u32_e32 v[3:4], v3
	v_mov_b32_e32 v5, 0
	v_mov_b32_e32 v6, v5
	s_mov_b64 s[8:9], 0
	global_store_dwordx4 v[0:1], v[3:6], off
.LBB127_121:
	s_andn2_b64 vcc, exec, s[8:9]
	s_cbranch_vccnz .LBB127_123
; %bb.122:
	v_cvt_f32_ubyte0_e32 v3, v2
	v_mov_b32_e32 v4, 0
	global_store_dwordx2 v[0:1], v[3:4], off
.LBB127_123:
	s_mov_b64 s[8:9], 0
.LBB127_124:
	s_andn2_b64 vcc, exec, s[8:9]
	s_cbranch_vccnz .LBB127_126
; %bb.125:
	v_cvt_f16_u16_e32 v3, v2
	global_store_dword v[0:1], v3, off
.LBB127_126:
	s_mov_b64 s[8:9], 0
.LBB127_127:
	s_andn2_b64 vcc, exec, s[8:9]
	s_cbranch_vccnz .LBB127_136
; %bb.128:
	s_cmp_lt_i32 s10, 6
	s_mov_b64 s[8:9], -1
	s_cbranch_scc1 .LBB127_134
; %bb.129:
	s_cmp_gt_i32 s10, 6
	s_cbranch_scc0 .LBB127_131
; %bb.130:
	v_and_b32_e32 v3, 0xffff, v2
	v_cvt_f64_u32_e32 v[3:4], v3
	s_mov_b64 s[8:9], 0
	global_store_dwordx2 v[0:1], v[3:4], off
.LBB127_131:
	s_andn2_b64 vcc, exec, s[8:9]
	s_cbranch_vccnz .LBB127_133
; %bb.132:
	v_cvt_f32_ubyte0_e32 v3, v2
	global_store_dword v[0:1], v3, off
.LBB127_133:
	s_mov_b64 s[8:9], 0
.LBB127_134:
	s_andn2_b64 vcc, exec, s[8:9]
	s_cbranch_vccnz .LBB127_136
; %bb.135:
	v_cvt_f16_u16_e32 v3, v2
	global_store_short v[0:1], v3, off
.LBB127_136:
	s_mov_b64 s[8:9], 0
.LBB127_137:
	s_andn2_b64 vcc, exec, s[8:9]
	s_cbranch_vccnz .LBB127_153
; %bb.138:
	s_cmp_lt_i32 s10, 2
	s_mov_b64 s[8:9], -1
	s_cbranch_scc1 .LBB127_148
; %bb.139:
	s_cmp_lt_i32 s10, 3
	s_cbranch_scc1 .LBB127_145
; %bb.140:
	s_cmp_gt_i32 s10, 3
	s_cbranch_scc0 .LBB127_142
; %bb.141:
	s_mov_b32 s8, 0
	v_and_b32_e32 v3, 0xffff, v2
	v_mov_b32_e32 v4, s8
	global_store_dwordx2 v[0:1], v[3:4], off
	s_mov_b64 s[8:9], 0
.LBB127_142:
	s_andn2_b64 vcc, exec, s[8:9]
	s_cbranch_vccnz .LBB127_144
; %bb.143:
	v_and_b32_e32 v3, 0xffff, v2
	global_store_dword v[0:1], v3, off
.LBB127_144:
	s_mov_b64 s[8:9], 0
.LBB127_145:
	s_andn2_b64 vcc, exec, s[8:9]
	s_cbranch_vccnz .LBB127_147
; %bb.146:
	global_store_short v[0:1], v2, off
.LBB127_147:
	s_mov_b64 s[8:9], 0
.LBB127_148:
	s_andn2_b64 vcc, exec, s[8:9]
	s_cbranch_vccnz .LBB127_153
; %bb.149:
	s_cmp_gt_i32 s10, 0
	s_mov_b64 s[8:9], -1
	s_cbranch_scc0 .LBB127_151
; %bb.150:
	global_store_byte v[0:1], v2, off
	s_mov_b64 s[8:9], 0
.LBB127_151:
	s_andn2_b64 vcc, exec, s[8:9]
	s_cbranch_vccnz .LBB127_153
; %bb.152:
	global_store_byte v[0:1], v2, off
.LBB127_153:
.LBB127_154:
	v_add_u32_e32 v11, 0x80, v11
	s_mov_b64 s[8:9], -1
	s_branch .LBB127_261
.LBB127_155:
	s_mov_b64 s[2:3], -1
                                        ; implicit-def: $vgpr3
.LBB127_156:
	s_mov_b64 s[8:9], 0
.LBB127_157:
	s_and_b64 vcc, exec, s[8:9]
	s_cbranch_vccz .LBB127_161
; %bb.158:
	s_cmp_eq_u32 s11, 29
	s_cbranch_scc0 .LBB127_160
; %bb.159:
	global_load_dwordx2 v[3:4], v[1:2], off
	s_mov_b64 s[0:1], -1
	s_mov_b64 s[2:3], 0
	s_branch .LBB127_161
.LBB127_160:
	s_mov_b64 s[2:3], -1
                                        ; implicit-def: $vgpr3
.LBB127_161:
	s_mov_b64 s[8:9], 0
.LBB127_162:
	s_and_b64 vcc, exec, s[8:9]
	s_cbranch_vccz .LBB127_178
; %bb.163:
	s_cmp_lt_i32 s11, 27
	s_cbranch_scc1 .LBB127_166
; %bb.164:
	s_cmp_gt_i32 s11, 27
	s_cbranch_scc0 .LBB127_167
; %bb.165:
	global_load_dword v3, v[1:2], off
	s_mov_b64 s[0:1], 0
	s_branch .LBB127_168
.LBB127_166:
	s_mov_b64 s[0:1], -1
                                        ; implicit-def: $vgpr3
	s_branch .LBB127_171
.LBB127_167:
	s_mov_b64 s[0:1], -1
                                        ; implicit-def: $vgpr3
.LBB127_168:
	s_andn2_b64 vcc, exec, s[0:1]
	s_cbranch_vccnz .LBB127_170
; %bb.169:
	global_load_ushort v3, v[1:2], off
.LBB127_170:
	s_mov_b64 s[0:1], 0
.LBB127_171:
	s_andn2_b64 vcc, exec, s[0:1]
	s_cbranch_vccnz .LBB127_177
; %bb.172:
	global_load_ubyte v4, v[1:2], off
	s_movk_i32 s0, 0x7f
	s_mov_b64 s[8:9], 0
	s_waitcnt vmcnt(0)
	v_cmp_lt_i16_e32 vcc, s0, v4
	s_and_saveexec_b64 s[0:1], vcc
	s_xor_b64 s[0:1], exec, s[0:1]
	s_cbranch_execz .LBB127_188
; %bb.173:
	s_movk_i32 s8, 0x80
	v_cmp_ne_u16_e32 vcc, s8, v4
	s_and_b64 s[8:9], vcc, exec
	s_andn2_saveexec_b64 s[0:1], s[0:1]
	s_cbranch_execnz .LBB127_189
.LBB127_174:
	s_or_b64 exec, exec, s[0:1]
	v_mov_b32_e32 v3, 0
	s_and_saveexec_b64 s[0:1], s[8:9]
	s_cbranch_execz .LBB127_176
.LBB127_175:
	v_lshlrev_b32_e32 v3, 24, v4
	v_and_b32_e32 v4, 0xffff, v4
	v_and_b32_e32 v5, 7, v4
	v_ffbh_u32_e32 v7, v5
	v_min_u32_e32 v7, 32, v7
	v_subrev_u32_e32 v8, 28, v7
	v_bfe_u32 v6, v4, 3, 4
	v_lshlrev_b32_e32 v4, v8, v4
	v_sub_u32_e32 v7, 29, v7
	v_and_b32_e32 v4, 7, v4
	v_cmp_eq_u32_e32 vcc, 0, v6
	v_cndmask_b32_e32 v6, v6, v7, vcc
	v_cndmask_b32_e32 v4, v5, v4, vcc
	v_mov_b32_e32 v5, 0x3b800000
	v_lshlrev_b32_e32 v4, 20, v4
	v_and_b32_e32 v3, 0x80000000, v3
	v_lshl_add_u32 v5, v6, 23, v5
	v_or3_b32 v3, v3, v5, v4
	v_trunc_f32_e32 v3, v3
	s_mov_b32 s8, 0x2f800000
	v_mul_f32_e64 v4, |v3|, s8
	v_floor_f32_e32 v4, v4
	s_mov_b32 s8, 0xcf800000
	v_fma_f32 v4, v4, s8, |v3|
	v_cvt_u32_f32_e32 v4, v4
	v_ashrrev_i32_e32 v3, 31, v3
	v_xor_b32_e32 v4, v4, v3
	v_sub_u32_e32 v3, v4, v3
.LBB127_176:
	s_or_b64 exec, exec, s[0:1]
.LBB127_177:
	s_mov_b64 s[0:1], -1
.LBB127_178:
	s_branch .LBB127_211
.LBB127_179:
	s_cmp_gt_i32 s11, 22
	s_cbranch_scc0 .LBB127_187
; %bb.180:
	s_cmp_lt_i32 s11, 24
	s_cbranch_scc1 .LBB127_190
; %bb.181:
	s_cmp_gt_i32 s11, 24
	s_cbranch_scc0 .LBB127_191
; %bb.182:
	global_load_ubyte v4, v[1:2], off
	s_movk_i32 s0, 0x7f
	s_mov_b64 s[8:9], 0
	s_waitcnt vmcnt(0)
	v_cmp_lt_i16_e32 vcc, s0, v4
	s_and_saveexec_b64 s[0:1], vcc
	s_xor_b64 s[0:1], exec, s[0:1]
	s_cbranch_execz .LBB127_203
; %bb.183:
	s_movk_i32 s8, 0x80
	v_cmp_ne_u16_e32 vcc, s8, v4
	s_and_b64 s[8:9], vcc, exec
	s_andn2_saveexec_b64 s[0:1], s[0:1]
	s_cbranch_execnz .LBB127_204
.LBB127_184:
	s_or_b64 exec, exec, s[0:1]
	v_mov_b32_e32 v3, 0
	s_and_saveexec_b64 s[0:1], s[8:9]
	s_cbranch_execz .LBB127_186
.LBB127_185:
	v_lshlrev_b32_e32 v3, 24, v4
	v_and_b32_e32 v4, 0xffff, v4
	v_and_b32_e32 v5, 3, v4
	v_ffbh_u32_e32 v7, v5
	v_min_u32_e32 v7, 32, v7
	v_subrev_u32_e32 v8, 29, v7
	v_bfe_u32 v6, v4, 2, 5
	v_lshlrev_b32_e32 v4, v8, v4
	v_sub_u32_e32 v7, 30, v7
	v_and_b32_e32 v4, 3, v4
	v_cmp_eq_u32_e32 vcc, 0, v6
	v_cndmask_b32_e32 v6, v6, v7, vcc
	v_cndmask_b32_e32 v4, v5, v4, vcc
	v_mov_b32_e32 v5, 0x37800000
	v_lshlrev_b32_e32 v4, 21, v4
	v_and_b32_e32 v3, 0x80000000, v3
	v_lshl_add_u32 v5, v6, 23, v5
	v_or3_b32 v3, v3, v5, v4
	v_trunc_f32_e32 v3, v3
	s_mov_b32 s8, 0x2f800000
	v_mul_f32_e64 v4, |v3|, s8
	v_floor_f32_e32 v4, v4
	s_mov_b32 s8, 0xcf800000
	v_fma_f32 v4, v4, s8, |v3|
	v_cvt_u32_f32_e32 v4, v4
	v_ashrrev_i32_e32 v3, 31, v3
	v_xor_b32_e32 v4, v4, v3
	v_sub_u32_e32 v3, v4, v3
.LBB127_186:
	s_or_b64 exec, exec, s[0:1]
	s_mov_b64 s[0:1], 0
	s_branch .LBB127_192
.LBB127_187:
	s_mov_b64 s[8:9], -1
                                        ; implicit-def: $vgpr3
	s_branch .LBB127_198
.LBB127_188:
	s_andn2_saveexec_b64 s[0:1], s[0:1]
	s_cbranch_execz .LBB127_174
.LBB127_189:
	v_cmp_ne_u16_e32 vcc, 0, v4
	s_andn2_b64 s[8:9], s[8:9], exec
	s_and_b64 s[12:13], vcc, exec
	s_or_b64 s[8:9], s[8:9], s[12:13]
	s_or_b64 exec, exec, s[0:1]
	v_mov_b32_e32 v3, 0
	s_and_saveexec_b64 s[0:1], s[8:9]
	s_cbranch_execnz .LBB127_175
	s_branch .LBB127_176
.LBB127_190:
	s_mov_b64 s[0:1], -1
                                        ; implicit-def: $vgpr3
	s_branch .LBB127_195
.LBB127_191:
	s_mov_b64 s[0:1], -1
                                        ; implicit-def: $vgpr3
.LBB127_192:
	s_and_b64 vcc, exec, s[0:1]
	s_cbranch_vccz .LBB127_194
; %bb.193:
	global_load_ubyte v3, v[1:2], off
	s_mov_b32 s0, 0x7f800000
	s_brev_b32 s1, 1
	s_mov_b32 s8, 0x2f800000
	s_waitcnt vmcnt(0)
	v_lshlrev_b32_e32 v3, 24, v3
	v_and_b32_e32 v4, 0x7f000000, v3
	v_ffbh_u32_e32 v5, v4
	v_min_u32_e32 v5, 32, v5
	v_sub_u32_e64 v5, v5, 4 clamp
	v_lshlrev_b32_e32 v7, v5, v4
	v_lshlrev_b32_e32 v5, 23, v5
	v_lshrrev_b32_e32 v7, 4, v7
	v_add_u32_e32 v6, 0x1000000, v4
	v_sub_u32_e32 v5, v7, v5
	v_ashrrev_i32_e32 v6, 8, v6
	v_add_u32_e32 v5, 0x3c000000, v5
	v_and_or_b32 v5, v6, s0, v5
	v_cmp_ne_u32_e32 vcc, 0, v4
	v_cndmask_b32_e32 v4, 0, v5, vcc
	v_and_or_b32 v3, v3, s1, v4
	v_trunc_f32_e32 v3, v3
	v_mul_f32_e64 v4, |v3|, s8
	v_floor_f32_e32 v4, v4
	s_mov_b32 s0, 0xcf800000
	v_fma_f32 v4, v4, s0, |v3|
	v_cvt_u32_f32_e32 v4, v4
	v_ashrrev_i32_e32 v3, 31, v3
	v_xor_b32_e32 v4, v4, v3
	v_sub_u32_e32 v3, v4, v3
.LBB127_194:
	s_mov_b64 s[0:1], 0
.LBB127_195:
	s_andn2_b64 vcc, exec, s[0:1]
	s_cbranch_vccnz .LBB127_197
; %bb.196:
	global_load_ubyte v3, v[1:2], off
	s_movk_i32 s0, 0x7f00
	s_brev_b32 s1, 16
	s_brev_b32 s8, 1
	s_mov_b32 s9, 0x2f800000
	s_waitcnt vmcnt(0)
	v_lshlrev_b16_e32 v4, 8, v3
	v_lshlrev_b32_e32 v3, 25, v3
	v_lshrrev_b32_e32 v5, 4, v3
	v_and_or_b32 v6, v4, s0, 0.5
	v_or_b32_e32 v5, 0x70000000, v5
	v_add_f32_e32 v6, -0.5, v6
	v_mul_f32_e32 v5, 0x7800000, v5
	v_cmp_gt_u32_e32 vcc, s1, v3
	v_bfe_i32 v4, v4, 0, 16
	v_cndmask_b32_e32 v3, v5, v6, vcc
	v_and_or_b32 v3, v4, s8, v3
	v_trunc_f32_e32 v3, v3
	v_mul_f32_e64 v4, |v3|, s9
	v_floor_f32_e32 v4, v4
	s_mov_b32 s0, 0xcf800000
	v_fma_f32 v4, v4, s0, |v3|
	v_cvt_u32_f32_e32 v4, v4
	v_ashrrev_i32_e32 v3, 31, v3
	v_xor_b32_e32 v4, v4, v3
	v_sub_u32_e32 v3, v4, v3
.LBB127_197:
	s_mov_b64 s[8:9], 0
	s_mov_b64 s[0:1], -1
.LBB127_198:
	s_andn2_b64 vcc, exec, s[8:9]
	s_cbranch_vccnz .LBB127_211
; %bb.199:
	s_cmp_gt_i32 s11, 14
	s_cbranch_scc0 .LBB127_202
; %bb.200:
	s_cmp_eq_u32 s11, 15
	s_cbranch_scc0 .LBB127_205
; %bb.201:
	global_load_ushort v3, v[1:2], off
	s_mov_b32 s0, 0x2f800000
	s_mov_b32 s1, 0xcf800000
	s_mov_b64 s[2:3], 0
	s_waitcnt vmcnt(0)
	v_lshlrev_b32_e32 v3, 16, v3
	v_trunc_f32_e32 v3, v3
	v_mul_f32_e64 v4, |v3|, s0
	v_floor_f32_e32 v4, v4
	v_fma_f32 v4, v4, s1, |v3|
	v_cvt_u32_f32_e32 v4, v4
	v_ashrrev_i32_e32 v3, 31, v3
	s_mov_b64 s[0:1], -1
	v_xor_b32_e32 v4, v4, v3
	v_sub_u32_e32 v3, v4, v3
	s_branch .LBB127_206
.LBB127_202:
	s_mov_b64 s[8:9], -1
                                        ; implicit-def: $vgpr3
	s_branch .LBB127_207
.LBB127_203:
	s_andn2_saveexec_b64 s[0:1], s[0:1]
	s_cbranch_execz .LBB127_184
.LBB127_204:
	v_cmp_ne_u16_e32 vcc, 0, v4
	s_andn2_b64 s[8:9], s[8:9], exec
	s_and_b64 s[12:13], vcc, exec
	s_or_b64 s[8:9], s[8:9], s[12:13]
	s_or_b64 exec, exec, s[0:1]
	v_mov_b32_e32 v3, 0
	s_and_saveexec_b64 s[0:1], s[8:9]
	s_cbranch_execnz .LBB127_185
	s_branch .LBB127_186
.LBB127_205:
	s_mov_b64 s[2:3], -1
                                        ; implicit-def: $vgpr3
.LBB127_206:
	s_mov_b64 s[8:9], 0
.LBB127_207:
	s_and_b64 vcc, exec, s[8:9]
	s_cbranch_vccz .LBB127_211
; %bb.208:
	s_cmp_eq_u32 s11, 11
	s_cbranch_scc0 .LBB127_210
; %bb.209:
	global_load_ubyte v3, v[1:2], off
	s_mov_b64 s[0:1], -1
	s_mov_b64 s[2:3], 0
	s_waitcnt vmcnt(0)
	v_cmp_ne_u16_e32 vcc, 0, v3
	v_cndmask_b32_e64 v3, 0, 1, vcc
	s_branch .LBB127_211
.LBB127_210:
	s_mov_b64 s[2:3], -1
                                        ; implicit-def: $vgpr3
.LBB127_211:
	s_branch .LBB127_24
.LBB127_212:
	s_and_b32 s8, 0xffff, s10
	s_cmp_lt_i32 s8, 5
	s_cbranch_scc1 .LBB127_217
; %bb.213:
	s_cmp_lt_i32 s8, 8
	s_cbranch_scc1 .LBB127_218
; %bb.214:
	;; [unrolled: 3-line block ×3, first 2 shown]
	s_cmp_gt_i32 s8, 9
	s_cbranch_scc0 .LBB127_220
; %bb.216:
	global_load_dwordx2 v[3:4], v[1:2], off
	s_movk_i32 s0, 0xffe0
	s_waitcnt vmcnt(0)
	v_trunc_f64_e32 v[3:4], v[3:4]
	v_ldexp_f64 v[5:6], v[3:4], s0
	s_mov_b32 s0, 0
	s_mov_b32 s1, 0xc1f00000
	v_floor_f64_e32 v[5:6], v[5:6]
	v_fma_f64 v[3:4], v[5:6], s[0:1], v[3:4]
	s_mov_b64 s[0:1], 0
	v_cvt_u32_f64_e32 v3, v[3:4]
	s_branch .LBB127_221
.LBB127_217:
                                        ; implicit-def: $vgpr3
	s_branch .LBB127_239
.LBB127_218:
	s_mov_b64 s[0:1], -1
                                        ; implicit-def: $vgpr3
	s_branch .LBB127_227
.LBB127_219:
	s_mov_b64 s[0:1], -1
                                        ; implicit-def: $vgpr3
	s_branch .LBB127_224
.LBB127_220:
	s_mov_b64 s[0:1], -1
                                        ; implicit-def: $vgpr3
.LBB127_221:
	s_andn2_b64 vcc, exec, s[0:1]
	s_cbranch_vccnz .LBB127_223
; %bb.222:
	global_load_dword v3, v[1:2], off
	s_mov_b32 s0, 0x2f800000
	s_waitcnt vmcnt(0)
	v_trunc_f32_e32 v3, v3
	v_mul_f32_e64 v4, |v3|, s0
	v_floor_f32_e32 v4, v4
	s_mov_b32 s0, 0xcf800000
	v_fma_f32 v4, v4, s0, |v3|
	v_cvt_u32_f32_e32 v4, v4
	v_ashrrev_i32_e32 v3, 31, v3
	v_xor_b32_e32 v4, v4, v3
	v_sub_u32_e32 v3, v4, v3
.LBB127_223:
	s_mov_b64 s[0:1], 0
.LBB127_224:
	s_andn2_b64 vcc, exec, s[0:1]
	s_cbranch_vccnz .LBB127_226
; %bb.225:
	global_load_dword v3, v[1:2], off
	s_waitcnt vmcnt(0)
	v_cvt_f32_f16_e32 v3, v3
	v_cvt_i32_f32_e32 v3, v3
.LBB127_226:
	s_mov_b64 s[0:1], 0
.LBB127_227:
	s_andn2_b64 vcc, exec, s[0:1]
	s_cbranch_vccnz .LBB127_238
; %bb.228:
	s_cmp_lt_i32 s8, 6
	s_cbranch_scc1 .LBB127_231
; %bb.229:
	s_cmp_gt_i32 s8, 6
	s_cbranch_scc0 .LBB127_232
; %bb.230:
	global_load_dwordx2 v[3:4], v[1:2], off
	s_movk_i32 s0, 0xffe0
	s_waitcnt vmcnt(0)
	v_trunc_f64_e32 v[3:4], v[3:4]
	v_ldexp_f64 v[5:6], v[3:4], s0
	s_mov_b32 s0, 0
	s_mov_b32 s1, 0xc1f00000
	v_floor_f64_e32 v[5:6], v[5:6]
	v_fma_f64 v[3:4], v[5:6], s[0:1], v[3:4]
	s_mov_b64 s[0:1], 0
	v_cvt_u32_f64_e32 v3, v[3:4]
	s_branch .LBB127_233
.LBB127_231:
	s_mov_b64 s[0:1], -1
                                        ; implicit-def: $vgpr3
	s_branch .LBB127_236
.LBB127_232:
	s_mov_b64 s[0:1], -1
                                        ; implicit-def: $vgpr3
.LBB127_233:
	s_andn2_b64 vcc, exec, s[0:1]
	s_cbranch_vccnz .LBB127_235
; %bb.234:
	global_load_dword v3, v[1:2], off
	s_mov_b32 s0, 0x2f800000
	s_waitcnt vmcnt(0)
	v_trunc_f32_e32 v3, v3
	v_mul_f32_e64 v4, |v3|, s0
	v_floor_f32_e32 v4, v4
	s_mov_b32 s0, 0xcf800000
	v_fma_f32 v4, v4, s0, |v3|
	v_cvt_u32_f32_e32 v4, v4
	v_ashrrev_i32_e32 v3, 31, v3
	v_xor_b32_e32 v4, v4, v3
	v_sub_u32_e32 v3, v4, v3
.LBB127_235:
	s_mov_b64 s[0:1], 0
.LBB127_236:
	s_andn2_b64 vcc, exec, s[0:1]
	s_cbranch_vccnz .LBB127_238
; %bb.237:
	global_load_ushort v3, v[1:2], off
	s_waitcnt vmcnt(0)
	v_cvt_f32_f16_e32 v3, v3
	v_cvt_i32_f32_e32 v3, v3
.LBB127_238:
	s_cbranch_execnz .LBB127_258
.LBB127_239:
	s_cmp_lt_i32 s8, 2
	s_cbranch_scc1 .LBB127_243
; %bb.240:
	s_cmp_lt_i32 s8, 3
	s_cbranch_scc1 .LBB127_244
; %bb.241:
	s_cmp_gt_i32 s8, 3
	s_cbranch_scc0 .LBB127_245
; %bb.242:
	global_load_dwordx2 v[3:4], v[1:2], off
	s_mov_b64 s[0:1], 0
	s_branch .LBB127_246
.LBB127_243:
	s_mov_b64 s[0:1], -1
                                        ; implicit-def: $vgpr3
	s_branch .LBB127_252
.LBB127_244:
	s_mov_b64 s[0:1], -1
                                        ; implicit-def: $vgpr3
	s_branch .LBB127_249
.LBB127_245:
	s_mov_b64 s[0:1], -1
                                        ; implicit-def: $vgpr3
.LBB127_246:
	s_andn2_b64 vcc, exec, s[0:1]
	s_cbranch_vccnz .LBB127_248
; %bb.247:
	global_load_dword v3, v[1:2], off
.LBB127_248:
	s_mov_b64 s[0:1], 0
.LBB127_249:
	s_andn2_b64 vcc, exec, s[0:1]
	s_cbranch_vccnz .LBB127_251
; %bb.250:
	global_load_ushort v3, v[1:2], off
.LBB127_251:
	s_mov_b64 s[0:1], 0
.LBB127_252:
	s_andn2_b64 vcc, exec, s[0:1]
	s_cbranch_vccnz .LBB127_258
; %bb.253:
	s_cmp_gt_i32 s8, 0
	s_cbranch_scc0 .LBB127_255
; %bb.254:
	global_load_ubyte v3, v[1:2], off
	s_mov_b64 s[0:1], 0
	s_branch .LBB127_256
.LBB127_255:
	s_mov_b64 s[0:1], -1
                                        ; implicit-def: $vgpr3
.LBB127_256:
	s_andn2_b64 vcc, exec, s[0:1]
	s_cbranch_vccnz .LBB127_258
; %bb.257:
	global_load_ubyte v3, v[1:2], off
.LBB127_258:
	s_branch .LBB127_25
.LBB127_259:
	s_mov_b64 s[0:1], 0
.LBB127_260:
	s_mov_b64 s[8:9], 0
                                        ; implicit-def: $vgpr11
.LBB127_261:
	s_and_b64 s[52:53], s[0:1], exec
	s_and_b64 s[54:55], s[2:3], exec
	s_orn2_b64 s[2:3], s[8:9], exec
.LBB127_262:
	s_or_b64 exec, exec, s[56:57]
	s_mov_b64 s[10:11], 0
	s_mov_b64 s[0:1], 0
                                        ; implicit-def: $sgpr14
                                        ; implicit-def: $vgpr1_vgpr2
                                        ; implicit-def: $vgpr0
                                        ; implicit-def: $vgpr3
	s_and_saveexec_b64 s[56:57], s[2:3]
	s_cbranch_execz .LBB127_269
; %bb.263:
	v_cmp_gt_i32_e32 vcc, s70, v11
	s_mov_b64 s[0:1], -1
	s_mov_b64 s[58:59], s[54:55]
	s_mov_b64 s[60:61], s[52:53]
	s_and_saveexec_b64 s[62:63], vcc
	s_cbranch_execz .LBB127_534
; %bb.264:
	s_andn2_b64 vcc, exec, s[40:41]
	s_cbranch_vccnz .LBB127_272
; %bb.265:
	s_andn2_b64 vcc, exec, s[50:51]
	s_cbranch_vccnz .LBB127_273
; %bb.266:
	s_add_i32 s65, s76, 1
	s_cmp_eq_u32 s72, 2
	s_cbranch_scc1 .LBB127_274
; %bb.267:
	s_and_b32 s64, s65, 28
	v_mov_b32_e32 v2, 0
	s_mov_b32 s66, 0
	s_mov_b64 s[58:59], s[34:35]
	s_mov_b64 s[60:61], s[48:49]
	v_mov_b32_e32 v0, 0
	v_mov_b32_e32 v1, v11
.LBB127_268:                            ; =>This Inner Loop Header: Depth=1
	s_load_dwordx8 s[16:23], s[58:59], 0x4
	s_load_dwordx4 s[0:3], s[58:59], 0x24
	s_load_dwordx8 s[8:15], s[60:61], 0x0
	s_add_u32 s58, s58, 48
	s_addc_u32 s59, s59, 0
	s_waitcnt vmcnt(0) lgkmcnt(0)
	v_mul_hi_u32 v3, s17, v1
	s_add_i32 s66, s66, 4
	s_add_u32 s60, s60, 32
	s_addc_u32 s61, s61, 0
	v_add_u32_e32 v3, v1, v3
	v_lshrrev_b32_e32 v3, s18, v3
	v_mul_lo_u32 v4, v3, s16
	v_mul_hi_u32 v5, s20, v3
	s_cmp_eq_u32 s64, s66
	v_sub_u32_e32 v1, v1, v4
	v_add_u32_e32 v4, v3, v5
	v_mul_lo_u32 v5, v1, s8
	v_mul_lo_u32 v6, v1, s9
	v_lshrrev_b32_e32 v1, s21, v4
	v_mul_lo_u32 v4, v1, s19
	v_mul_hi_u32 v7, s23, v1
	v_sub_u32_e32 v3, v3, v4
	v_add_u32_e32 v4, v1, v7
	v_lshrrev_b32_e32 v4, s0, v4
	v_mul_hi_u32 v8, s2, v4
	v_mul_lo_u32 v9, v4, s22
	v_mul_lo_u32 v7, v3, s10
	;; [unrolled: 1-line block ×3, first 2 shown]
	v_sub_u32_e32 v9, v1, v9
	v_add_u32_e32 v1, v4, v8
	v_lshrrev_b32_e32 v1, s3, v1
	v_mul_lo_u32 v8, v1, s1
	v_mul_lo_u32 v10, v9, s12
	;; [unrolled: 1-line block ×3, first 2 shown]
	v_add3_u32 v0, v5, v0, v7
	v_sub_u32_e32 v4, v4, v8
	v_mul_lo_u32 v8, v4, s14
	v_mul_lo_u32 v4, v4, s15
	v_add3_u32 v2, v6, v2, v3
	v_add3_u32 v0, v10, v0, v8
	;; [unrolled: 1-line block ×3, first 2 shown]
	s_cbranch_scc0 .LBB127_268
	s_branch .LBB127_275
.LBB127_269:
	s_or_b64 exec, exec, s[56:57]
	s_mov_b64 s[2:3], 0
	s_and_saveexec_b64 s[8:9], s[54:55]
	s_cbranch_execnz .LBB127_902
.LBB127_270:
	s_or_b64 exec, exec, s[8:9]
	s_and_saveexec_b64 s[8:9], s[60:61]
	s_xor_b64 s[8:9], exec, s[8:9]
	s_cbranch_execz .LBB127_903
.LBB127_271:
	global_load_ubyte v3, v[1:2], off
	s_or_b64 s[0:1], s[0:1], exec
	s_waitcnt vmcnt(0)
	v_cmp_ne_u16_e32 vcc, 0, v3
	v_cndmask_b32_e64 v3, 0, 1, vcc
	s_or_b64 exec, exec, s[8:9]
	s_and_saveexec_b64 s[8:9], s[10:11]
	s_cbranch_execz .LBB127_949
	s_branch .LBB127_904
.LBB127_272:
                                        ; implicit-def: $vgpr0
                                        ; implicit-def: $vgpr2
	s_andn2_b64 vcc, exec, s[0:1]
	s_cbranch_vccz .LBB127_279
	s_branch .LBB127_281
.LBB127_273:
	v_mov_b32_e32 v0, 0
	v_mov_b32_e32 v2, 0
	s_branch .LBB127_278
.LBB127_274:
	s_mov_b32 s64, 0
	v_mov_b32_e32 v0, 0
	v_mov_b32_e32 v2, 0
	;; [unrolled: 1-line block ×3, first 2 shown]
.LBB127_275:
	s_and_b32 s8, s65, 3
	s_cmp_eq_u32 s8, 0
	s_cbranch_scc1 .LBB127_278
; %bb.276:
	s_lshl_b32 s0, s64, 3
	s_add_u32 s0, s34, s0
	s_addc_u32 s1, s35, 0
	s_add_u32 s0, s0, 0xc4
	s_addc_u32 s1, s1, 0
	s_mul_i32 s2, s64, 12
	s_add_u32 s2, s34, s2
	s_addc_u32 s3, s35, 0
.LBB127_277:                            ; =>This Inner Loop Header: Depth=1
	s_load_dwordx2 s[10:11], s[2:3], 0x4
	s_load_dword s9, s[2:3], 0xc
	s_load_dwordx2 s[12:13], s[0:1], 0x0
	s_add_u32 s2, s2, 12
	s_addc_u32 s3, s3, 0
	s_waitcnt vmcnt(0) lgkmcnt(0)
	v_mul_hi_u32 v3, s11, v1
	s_add_u32 s0, s0, 8
	s_addc_u32 s1, s1, 0
	s_add_i32 s8, s8, -1
	v_add_u32_e32 v3, v1, v3
	v_lshrrev_b32_e32 v4, s9, v3
	v_mul_lo_u32 v3, v4, s10
	s_cmp_lg_u32 s8, 0
	v_sub_u32_e32 v3, v1, v3
	v_mad_u64_u32 v[0:1], s[10:11], v3, s12, v[0:1]
	v_mad_u64_u32 v[2:3], s[10:11], v3, s13, v[2:3]
	v_mov_b32_e32 v1, v4
	s_cbranch_scc1 .LBB127_277
.LBB127_278:
	s_cbranch_execnz .LBB127_281
.LBB127_279:
	s_waitcnt lgkmcnt(0)
	v_mul_hi_u32 v0, s37, v11
	s_andn2_b64 vcc, exec, s[46:47]
	v_add_u32_e32 v0, v11, v0
	v_lshrrev_b32_e32 v1, s38, v0
	v_mul_lo_u32 v0, v1, s36
	v_sub_u32_e32 v2, v11, v0
	v_mul_lo_u32 v0, v2, s28
	v_mul_lo_u32 v2, v2, s29
	s_cbranch_vccnz .LBB127_281
; %bb.280:
	s_waitcnt vmcnt(0)
	v_mul_hi_u32 v3, s44, v1
	v_add_u32_e32 v3, v1, v3
	v_lshrrev_b32_e32 v3, s45, v3
	v_mul_lo_u32 v3, v3, s39
	v_sub_u32_e32 v3, v1, v3
	v_mad_u64_u32 v[0:1], s[0:1], v3, s30, v[0:1]
	v_mad_u64_u32 v[2:3], s[0:1], v3, s31, v[2:3]
.LBB127_281:
	s_waitcnt vmcnt(0) lgkmcnt(0)
	v_mov_b32_e32 v3, s27
	s_and_b32 s10, s75, 0xff
	v_add_co_u32_e32 v1, vcc, s26, v2
	s_cmp_lt_i32 s10, 11
	v_addc_co_u32_e32 v2, vcc, 0, v3, vcc
	s_cbranch_scc1 .LBB127_288
; %bb.282:
	s_and_b32 s11, 0xffff, s10
	s_cmp_gt_i32 s11, 25
	s_cbranch_scc0 .LBB127_297
; %bb.283:
	s_cmp_gt_i32 s11, 28
	s_cbranch_scc0 .LBB127_299
; %bb.284:
	;; [unrolled: 3-line block ×4, first 2 shown]
	s_cmp_eq_u32 s11, 46
	s_mov_b64 s[8:9], 0
	s_cbranch_scc0 .LBB127_309
; %bb.287:
	global_load_dword v3, v[1:2], off
	s_mov_b32 s0, 0x2f800000
	s_mov_b32 s1, 0xcf800000
	s_mov_b64 s[2:3], 0
	s_waitcnt vmcnt(0)
	v_lshlrev_b32_e32 v3, 16, v3
	v_trunc_f32_e32 v3, v3
	v_mul_f32_e64 v4, |v3|, s0
	v_floor_f32_e32 v4, v4
	v_fma_f32 v4, v4, s1, |v3|
	v_cvt_u32_f32_e32 v4, v4
	v_ashrrev_i32_e32 v3, 31, v3
	s_mov_b64 s[0:1], -1
	v_xor_b32_e32 v4, v4, v3
	v_sub_u32_e32 v3, v4, v3
	s_branch .LBB127_310
.LBB127_288:
	s_mov_b64 s[0:1], 0
                                        ; implicit-def: $vgpr3
	s_mov_b64 s[2:3], s[54:55]
	s_cbranch_execnz .LBB127_483
.LBB127_289:
	s_andn2_b64 vcc, exec, s[0:1]
	s_cbranch_vccnz .LBB127_531
.LBB127_290:
	s_and_b32 s0, s74, 0xff
	v_mov_b32_e32 v2, 8
	s_waitcnt vmcnt(0)
	v_lshrrev_b16_sdwa v1, v3, s0 dst_sel:DWORD dst_unused:UNUSED_PAD src0_sel:BYTE_0 src1_sel:DWORD
	v_cmp_lt_u16_sdwa vcc, v3, v2 src0_sel:BYTE_0 src1_sel:DWORD
	v_cndmask_b32_e32 v2, 0, v1, vcc
	v_mov_b32_e32 v1, s25
	s_and_b32 s14, s73, 0xff
	v_add_co_u32_e32 v0, vcc, s24, v0
	s_cmp_lt_i32 s14, 11
	v_addc_co_u32_e32 v1, vcc, 0, v1, vcc
	s_cbranch_scc1 .LBB127_298
; %bb.291:
	s_and_b32 s15, 0xffff, s14
	s_cmp_gt_i32 s15, 25
	s_cbranch_scc0 .LBB127_300
; %bb.292:
	s_cmp_gt_i32 s15, 28
	s_cbranch_scc0 .LBB127_302
; %bb.293:
	;; [unrolled: 3-line block ×4, first 2 shown]
	s_mov_b64 s[10:11], 0
	s_mov_b64 s[0:1], -1
	s_cmp_eq_u32 s15, 46
	s_mov_b64 s[8:9], 0
	s_cbranch_scc0 .LBB127_314
; %bb.296:
	v_cvt_f32_ubyte0_e32 v3, v2
	v_bfe_u32 v4, v3, 16, 1
	s_movk_i32 s0, 0x7fff
	v_add3_u32 v3, v3, v4, s0
	v_lshrrev_b32_e32 v3, 16, v3
	global_store_dword v[0:1], v3, off
	s_mov_b64 s[8:9], -1
	s_mov_b64 s[0:1], 0
	s_branch .LBB127_314
.LBB127_297:
	s_mov_b64 s[8:9], -1
	s_mov_b64 s[0:1], 0
	s_mov_b64 s[2:3], s[54:55]
                                        ; implicit-def: $vgpr3
	s_branch .LBB127_449
.LBB127_298:
	s_mov_b64 s[10:11], -1
	s_mov_b64 s[8:9], 0
	s_mov_b64 s[0:1], s[52:53]
	s_branch .LBB127_383
.LBB127_299:
	s_mov_b64 s[8:9], -1
	s_mov_b64 s[0:1], 0
	s_mov_b64 s[2:3], s[54:55]
                                        ; implicit-def: $vgpr3
	s_branch .LBB127_432
.LBB127_300:
	s_mov_b64 s[10:11], -1
	s_mov_b64 s[8:9], 0
	s_mov_b64 s[0:1], s[52:53]
	s_branch .LBB127_341
.LBB127_301:
	s_mov_b64 s[8:9], -1
	s_mov_b64 s[0:1], 0
	s_mov_b64 s[2:3], s[54:55]
                                        ; implicit-def: $vgpr3
	s_branch .LBB127_427
.LBB127_302:
	s_mov_b64 s[10:11], -1
	s_mov_b64 s[8:9], 0
	s_mov_b64 s[0:1], s[52:53]
	s_branch .LBB127_324
.LBB127_303:
	s_andn2_saveexec_b64 s[12:13], s[12:13]
	s_cbranch_execz .LBB127_68
.LBB127_304:
	v_add_f32_e32 v3, 0x46000000, v4
	v_and_b32_e32 v3, 0xff, v3
	v_cmp_ne_u32_e32 vcc, 0, v3
	s_andn2_b64 s[10:11], s[10:11], exec
	s_and_b64 s[16:17], vcc, exec
	s_or_b64 s[10:11], s[10:11], s[16:17]
	s_or_b64 exec, exec, s[12:13]
	v_mov_b32_e32 v5, 0
	s_and_saveexec_b64 s[12:13], s[10:11]
	s_cbranch_execnz .LBB127_69
	s_branch .LBB127_70
.LBB127_305:
	s_mov_b64 s[8:9], -1
	s_mov_b64 s[0:1], 0
	s_mov_b64 s[2:3], s[54:55]
                                        ; implicit-def: $vgpr3
	s_branch .LBB127_310
.LBB127_306:
	s_mov_b64 s[10:11], -1
	s_mov_b64 s[8:9], 0
	s_mov_b64 s[0:1], s[52:53]
	s_branch .LBB127_320
.LBB127_307:
	s_andn2_saveexec_b64 s[12:13], s[12:13]
	s_cbranch_execz .LBB127_81
.LBB127_308:
	v_add_f32_e32 v3, 0x42800000, v4
	v_and_b32_e32 v3, 0xff, v3
	v_cmp_ne_u32_e32 vcc, 0, v3
	s_andn2_b64 s[10:11], s[10:11], exec
	s_and_b64 s[16:17], vcc, exec
	s_or_b64 s[10:11], s[10:11], s[16:17]
	s_or_b64 exec, exec, s[12:13]
	v_mov_b32_e32 v5, 0
	s_and_saveexec_b64 s[12:13], s[10:11]
	s_cbranch_execnz .LBB127_82
	s_branch .LBB127_83
.LBB127_309:
	s_mov_b64 s[2:3], -1
                                        ; implicit-def: $vgpr3
	s_mov_b64 s[0:1], 0
.LBB127_310:
	s_and_b64 vcc, exec, s[8:9]
	s_cbranch_vccz .LBB127_426
; %bb.311:
	s_cmp_eq_u32 s11, 44
	s_cbranch_scc0 .LBB127_425
; %bb.312:
	global_load_ubyte v3, v[1:2], off
	s_mov_b32 s0, 0x2f800000
	s_mov_b32 s1, 0xcf800000
	s_mov_b64 s[2:3], 0
	s_waitcnt vmcnt(0)
	v_lshlrev_b32_e32 v4, 23, v3
	v_trunc_f32_e32 v4, v4
	v_mul_f32_e64 v5, |v4|, s0
	v_floor_f32_e32 v5, v5
	v_fma_f32 v5, v5, s1, |v4|
	v_cvt_u32_f32_e32 v5, v5
	v_ashrrev_i32_e32 v4, 31, v4
	v_cmp_ne_u32_e32 vcc, 0, v3
	s_mov_b64 s[0:1], -1
	v_xor_b32_e32 v5, v5, v4
	v_sub_u32_e32 v4, v5, v4
	v_cndmask_b32_e32 v3, 0, v4, vcc
	s_branch .LBB127_426
.LBB127_313:
	s_mov_b64 s[10:11], -1
	s_mov_b64 s[8:9], 0
	s_mov_b64 s[0:1], s[52:53]
.LBB127_314:
	s_and_b64 vcc, exec, s[10:11]
	s_cbranch_vccz .LBB127_319
; %bb.315:
	s_cmp_eq_u32 s15, 44
	s_mov_b64 s[0:1], -1
	s_cbranch_scc0 .LBB127_319
; %bb.316:
	v_cvt_f32_ubyte0_e32 v4, v2
	v_lshrrev_b32_e32 v3, 23, v4
	s_movk_i32 s0, 0xff
	v_cmp_ne_u32_e32 vcc, s0, v3
	v_mov_b32_e32 v5, 0xff
	s_and_saveexec_b64 s[8:9], vcc
; %bb.317:
	s_mov_b32 s0, 0x3fffff
	v_and_b32_e32 v5, 0x400000, v4
	v_and_or_b32 v4, v4, s0, v3
	v_cmp_ne_u32_e32 vcc, 0, v5
	v_cmp_ne_u32_e64 s[0:1], 0, v4
	s_and_b64 s[0:1], vcc, s[0:1]
	v_cndmask_b32_e64 v4, 0, 1, s[0:1]
	v_add_u32_e32 v5, v3, v4
; %bb.318:
	s_or_b64 exec, exec, s[8:9]
	s_mov_b64 s[8:9], -1
	s_mov_b64 s[0:1], 0
	global_store_byte v[0:1], v5, off
.LBB127_319:
	s_mov_b64 s[10:11], 0
.LBB127_320:
	s_and_b64 vcc, exec, s[10:11]
	s_cbranch_vccz .LBB127_323
; %bb.321:
	s_cmp_eq_u32 s15, 29
	s_mov_b64 s[0:1], -1
	s_cbranch_scc0 .LBB127_323
; %bb.322:
	s_mov_b32 s0, 0
	v_and_b32_e32 v3, 0xffff, v2
	v_mov_b32_e32 v4, s0
	global_store_dwordx2 v[0:1], v[3:4], off
	s_mov_b64 s[8:9], -1
	s_mov_b64 s[0:1], 0
.LBB127_323:
	s_mov_b64 s[10:11], 0
.LBB127_324:
	s_and_b64 vcc, exec, s[10:11]
	s_cbranch_vccz .LBB127_340
; %bb.325:
	s_cmp_lt_i32 s15, 27
	s_mov_b64 s[8:9], -1
	s_cbranch_scc1 .LBB127_331
; %bb.326:
	s_cmp_gt_i32 s15, 27
	s_cbranch_scc0 .LBB127_328
; %bb.327:
	v_and_b32_e32 v3, 0xffff, v2
	s_mov_b64 s[8:9], 0
	global_store_dword v[0:1], v3, off
.LBB127_328:
	s_andn2_b64 vcc, exec, s[8:9]
	s_cbranch_vccnz .LBB127_330
; %bb.329:
	global_store_short v[0:1], v2, off
.LBB127_330:
	s_mov_b64 s[8:9], 0
.LBB127_331:
	s_andn2_b64 vcc, exec, s[8:9]
	s_cbranch_vccnz .LBB127_339
; %bb.332:
	v_cvt_f32_ubyte0_e32 v4, v2
	s_mov_b32 s8, 0x43800000
	v_cmp_gt_u32_e32 vcc, s8, v4
	v_mov_b32_e32 v5, 0x80
	s_and_saveexec_b64 s[8:9], vcc
	s_cbranch_execz .LBB127_338
; %bb.333:
	s_mov_b32 s10, 0x3bffffff
	v_cmp_lt_u32_e32 vcc, s10, v4
	s_mov_b64 s[10:11], 0
                                        ; implicit-def: $vgpr3
	s_and_saveexec_b64 s[12:13], vcc
	s_xor_b64 s[12:13], exec, s[12:13]
	s_cbranch_execz .LBB127_562
; %bb.334:
	v_bfe_u32 v3, v4, 20, 1
	s_mov_b32 s16, 0x487ffff
	v_add3_u32 v3, v4, v3, s16
	s_mov_b64 s[10:11], exec
	v_lshrrev_b32_e32 v3, 20, v3
                                        ; implicit-def: $vgpr4
	s_andn2_saveexec_b64 s[12:13], s[12:13]
	s_cbranch_execnz .LBB127_563
.LBB127_335:
	s_or_b64 exec, exec, s[12:13]
	v_mov_b32_e32 v5, 0
	s_and_saveexec_b64 s[12:13], s[10:11]
.LBB127_336:
	v_mov_b32_e32 v5, v3
.LBB127_337:
	s_or_b64 exec, exec, s[12:13]
.LBB127_338:
	s_or_b64 exec, exec, s[8:9]
	global_store_byte v[0:1], v5, off
.LBB127_339:
	s_mov_b64 s[8:9], -1
.LBB127_340:
	s_mov_b64 s[10:11], 0
.LBB127_341:
	s_and_b64 vcc, exec, s[10:11]
	s_cbranch_vccz .LBB127_382
; %bb.342:
	s_cmp_gt_i32 s15, 22
	s_mov_b64 s[10:11], -1
	s_cbranch_scc0 .LBB127_374
; %bb.343:
	s_cmp_lt_i32 s15, 24
	s_mov_b64 s[8:9], -1
	s_cbranch_scc1 .LBB127_363
; %bb.344:
	s_cmp_gt_i32 s15, 24
	s_cbranch_scc0 .LBB127_352
; %bb.345:
	v_cvt_f32_ubyte0_e32 v4, v2
	s_mov_b32 s8, 0x47800000
	v_cmp_gt_u32_e32 vcc, s8, v4
	v_mov_b32_e32 v5, 0x80
	s_and_saveexec_b64 s[8:9], vcc
	s_cbranch_execz .LBB127_351
; %bb.346:
	s_mov_b32 s10, 0x37ffffff
	v_cmp_lt_u32_e32 vcc, s10, v4
	s_mov_b64 s[10:11], 0
                                        ; implicit-def: $vgpr3
	s_and_saveexec_b64 s[12:13], vcc
	s_xor_b64 s[12:13], exec, s[12:13]
	s_cbranch_execz .LBB127_565
; %bb.347:
	v_bfe_u32 v3, v4, 21, 1
	s_mov_b32 s16, 0x88fffff
	v_add3_u32 v3, v4, v3, s16
	s_mov_b64 s[10:11], exec
	v_lshrrev_b32_e32 v3, 21, v3
                                        ; implicit-def: $vgpr4
	s_andn2_saveexec_b64 s[12:13], s[12:13]
	s_cbranch_execnz .LBB127_566
.LBB127_348:
	s_or_b64 exec, exec, s[12:13]
	v_mov_b32_e32 v5, 0
	s_and_saveexec_b64 s[12:13], s[10:11]
.LBB127_349:
	v_mov_b32_e32 v5, v3
.LBB127_350:
	s_or_b64 exec, exec, s[12:13]
.LBB127_351:
	s_or_b64 exec, exec, s[8:9]
	s_mov_b64 s[8:9], 0
	global_store_byte v[0:1], v5, off
.LBB127_352:
	s_and_b64 vcc, exec, s[8:9]
	s_cbranch_vccz .LBB127_362
; %bb.353:
	v_cvt_f32_ubyte0_e32 v3, v2
	s_mov_b32 s8, 0x43f00000
	v_cmp_gt_u32_e32 vcc, s8, v3
                                        ; implicit-def: $vgpr4
	s_and_saveexec_b64 s[8:9], vcc
	s_xor_b64 s[8:9], exec, s[8:9]
	s_cbranch_execz .LBB127_359
; %bb.354:
	s_mov_b32 s10, 0x3c7fffff
	v_cmp_lt_u32_e32 vcc, s10, v3
                                        ; implicit-def: $vgpr4
	s_and_saveexec_b64 s[10:11], vcc
	s_xor_b64 s[10:11], exec, s[10:11]
; %bb.355:
	v_bfe_u32 v4, v3, 20, 1
	s_mov_b32 s12, 0x407ffff
	v_add3_u32 v3, v3, v4, s12
	v_lshrrev_b32_e32 v4, 20, v3
	v_and_b32_e32 v3, 0xff00000, v3
	s_mov_b32 s12, 0x7f00000
	v_mov_b32_e32 v5, 0x7e
	v_cmp_ne_u32_e32 vcc, s12, v3
	v_cndmask_b32_e32 v4, v5, v4, vcc
                                        ; implicit-def: $vgpr3
; %bb.356:
	s_andn2_saveexec_b64 s[10:11], s[10:11]
; %bb.357:
	v_add_f32_e32 v4, 0x46800000, v3
; %bb.358:
	s_or_b64 exec, exec, s[10:11]
                                        ; implicit-def: $vgpr3
.LBB127_359:
	s_andn2_saveexec_b64 s[8:9], s[8:9]
; %bb.360:
	s_mov_b32 s10, 0x7f800000
	v_mov_b32_e32 v4, 0x7e
	v_mov_b32_e32 v5, 0x7f
	v_cmp_lt_u32_e32 vcc, s10, v3
	v_cndmask_b32_e32 v4, v4, v5, vcc
; %bb.361:
	s_or_b64 exec, exec, s[8:9]
	global_store_byte v[0:1], v4, off
.LBB127_362:
	s_mov_b64 s[8:9], 0
.LBB127_363:
	s_andn2_b64 vcc, exec, s[8:9]
	s_cbranch_vccnz .LBB127_373
; %bb.364:
	v_cvt_f32_ubyte0_e32 v3, v2
	s_mov_b32 s8, 0x47800000
	v_cmp_gt_u32_e32 vcc, s8, v3
                                        ; implicit-def: $vgpr4
	s_and_saveexec_b64 s[8:9], vcc
	s_xor_b64 s[8:9], exec, s[8:9]
	s_cbranch_execz .LBB127_370
; %bb.365:
	s_mov_b32 s10, 0x387fffff
	v_cmp_lt_u32_e32 vcc, s10, v3
                                        ; implicit-def: $vgpr4
	s_and_saveexec_b64 s[10:11], vcc
	s_xor_b64 s[10:11], exec, s[10:11]
; %bb.366:
	v_bfe_u32 v4, v3, 21, 1
	s_mov_b32 s12, 0x80fffff
	v_add3_u32 v3, v3, v4, s12
	v_lshrrev_b32_e32 v4, 21, v3
                                        ; implicit-def: $vgpr3
; %bb.367:
	s_andn2_saveexec_b64 s[10:11], s[10:11]
; %bb.368:
	v_add_f32_e32 v4, 0x43000000, v3
; %bb.369:
	s_or_b64 exec, exec, s[10:11]
                                        ; implicit-def: $vgpr3
.LBB127_370:
	s_andn2_saveexec_b64 s[8:9], s[8:9]
; %bb.371:
	s_mov_b32 s10, 0x7f800000
	v_mov_b32_e32 v4, 0x7c
	v_mov_b32_e32 v5, 0x7f
	v_cmp_lt_u32_e32 vcc, s10, v3
	v_cndmask_b32_e32 v4, v4, v5, vcc
; %bb.372:
	s_or_b64 exec, exec, s[8:9]
	global_store_byte v[0:1], v4, off
.LBB127_373:
	s_mov_b64 s[10:11], 0
	s_mov_b64 s[8:9], -1
.LBB127_374:
	s_andn2_b64 vcc, exec, s[10:11]
	s_cbranch_vccnz .LBB127_382
; %bb.375:
	s_cmp_gt_i32 s15, 14
	s_mov_b64 s[10:11], -1
	s_cbranch_scc0 .LBB127_379
; %bb.376:
	s_cmp_eq_u32 s15, 15
	s_mov_b64 s[0:1], -1
	s_cbranch_scc0 .LBB127_378
; %bb.377:
	v_cvt_f32_ubyte0_e32 v3, v2
	v_bfe_u32 v4, v3, 16, 1
	s_movk_i32 s0, 0x7fff
	v_add3_u32 v3, v3, v4, s0
	global_store_short_d16_hi v[0:1], v3, off
	s_mov_b64 s[8:9], -1
	s_mov_b64 s[0:1], 0
.LBB127_378:
	s_mov_b64 s[10:11], 0
.LBB127_379:
	s_and_b64 vcc, exec, s[10:11]
	s_cbranch_vccz .LBB127_382
; %bb.380:
	s_cmp_eq_u32 s15, 11
	s_mov_b64 s[0:1], -1
	s_cbranch_scc0 .LBB127_382
; %bb.381:
	v_cmp_ne_u16_e32 vcc, 0, v2
	v_cndmask_b32_e64 v3, 0, 1, vcc
	s_mov_b64 s[8:9], -1
	s_mov_b64 s[0:1], 0
	global_store_byte v[0:1], v3, off
.LBB127_382:
	s_mov_b64 s[10:11], 0
.LBB127_383:
	s_and_b64 vcc, exec, s[10:11]
	s_cbranch_vccz .LBB127_422
; %bb.384:
	s_and_b32 s10, 0xffff, s14
	s_cmp_lt_i32 s10, 5
	s_mov_b64 s[8:9], -1
	s_cbranch_scc1 .LBB127_405
; %bb.385:
	s_cmp_lt_i32 s10, 8
	s_cbranch_scc1 .LBB127_395
; %bb.386:
	s_cmp_lt_i32 s10, 9
	s_cbranch_scc1 .LBB127_392
; %bb.387:
	s_cmp_gt_i32 s10, 9
	s_cbranch_scc0 .LBB127_389
; %bb.388:
	v_and_b32_e32 v3, 0xffff, v2
	v_cvt_f64_u32_e32 v[3:4], v3
	v_mov_b32_e32 v5, 0
	v_mov_b32_e32 v6, v5
	s_mov_b64 s[8:9], 0
	global_store_dwordx4 v[0:1], v[3:6], off
.LBB127_389:
	s_andn2_b64 vcc, exec, s[8:9]
	s_cbranch_vccnz .LBB127_391
; %bb.390:
	v_cvt_f32_ubyte0_e32 v3, v2
	v_mov_b32_e32 v4, 0
	global_store_dwordx2 v[0:1], v[3:4], off
.LBB127_391:
	s_mov_b64 s[8:9], 0
.LBB127_392:
	s_andn2_b64 vcc, exec, s[8:9]
	s_cbranch_vccnz .LBB127_394
; %bb.393:
	v_cvt_f16_u16_e32 v3, v2
	global_store_dword v[0:1], v3, off
.LBB127_394:
	s_mov_b64 s[8:9], 0
.LBB127_395:
	s_andn2_b64 vcc, exec, s[8:9]
	s_cbranch_vccnz .LBB127_404
; %bb.396:
	s_cmp_lt_i32 s10, 6
	s_mov_b64 s[8:9], -1
	s_cbranch_scc1 .LBB127_402
; %bb.397:
	s_cmp_gt_i32 s10, 6
	s_cbranch_scc0 .LBB127_399
; %bb.398:
	v_and_b32_e32 v3, 0xffff, v2
	v_cvt_f64_u32_e32 v[3:4], v3
	s_mov_b64 s[8:9], 0
	global_store_dwordx2 v[0:1], v[3:4], off
.LBB127_399:
	s_andn2_b64 vcc, exec, s[8:9]
	s_cbranch_vccnz .LBB127_401
; %bb.400:
	v_cvt_f32_ubyte0_e32 v3, v2
	global_store_dword v[0:1], v3, off
.LBB127_401:
	s_mov_b64 s[8:9], 0
.LBB127_402:
	s_andn2_b64 vcc, exec, s[8:9]
	s_cbranch_vccnz .LBB127_404
; %bb.403:
	v_cvt_f16_u16_e32 v3, v2
	global_store_short v[0:1], v3, off
.LBB127_404:
	s_mov_b64 s[8:9], 0
.LBB127_405:
	s_andn2_b64 vcc, exec, s[8:9]
	s_cbranch_vccnz .LBB127_421
; %bb.406:
	s_cmp_lt_i32 s10, 2
	s_mov_b64 s[8:9], -1
	s_cbranch_scc1 .LBB127_416
; %bb.407:
	s_cmp_lt_i32 s10, 3
	s_cbranch_scc1 .LBB127_413
; %bb.408:
	s_cmp_gt_i32 s10, 3
	s_cbranch_scc0 .LBB127_410
; %bb.409:
	s_mov_b32 s8, 0
	v_and_b32_e32 v3, 0xffff, v2
	v_mov_b32_e32 v4, s8
	s_mov_b64 s[8:9], 0
	global_store_dwordx2 v[0:1], v[3:4], off
.LBB127_410:
	s_andn2_b64 vcc, exec, s[8:9]
	s_cbranch_vccnz .LBB127_412
; %bb.411:
	v_and_b32_e32 v3, 0xffff, v2
	global_store_dword v[0:1], v3, off
.LBB127_412:
	s_mov_b64 s[8:9], 0
.LBB127_413:
	s_andn2_b64 vcc, exec, s[8:9]
	s_cbranch_vccnz .LBB127_415
; %bb.414:
	global_store_short v[0:1], v2, off
.LBB127_415:
	s_mov_b64 s[8:9], 0
.LBB127_416:
	s_andn2_b64 vcc, exec, s[8:9]
	s_cbranch_vccnz .LBB127_421
; %bb.417:
	s_cmp_gt_i32 s10, 0
	s_mov_b64 s[8:9], -1
	s_cbranch_scc0 .LBB127_419
; %bb.418:
	s_mov_b64 s[8:9], 0
	global_store_byte v[0:1], v2, off
.LBB127_419:
	s_andn2_b64 vcc, exec, s[8:9]
	s_cbranch_vccnz .LBB127_421
; %bb.420:
	global_store_byte v[0:1], v2, off
.LBB127_421:
	s_mov_b64 s[8:9], -1
.LBB127_422:
	s_andn2_b64 vcc, exec, s[8:9]
	s_cbranch_vccnz .LBB127_424
; %bb.423:
	v_add_u32_e32 v11, 0x80, v11
	s_mov_b64 s[8:9], -1
	s_branch .LBB127_533
.LBB127_424:
	s_mov_b64 s[8:9], 0
	s_branch .LBB127_532
.LBB127_425:
	s_mov_b64 s[2:3], -1
                                        ; implicit-def: $vgpr3
.LBB127_426:
	s_mov_b64 s[8:9], 0
.LBB127_427:
	s_and_b64 vcc, exec, s[8:9]
	s_cbranch_vccz .LBB127_431
; %bb.428:
	s_cmp_eq_u32 s11, 29
	s_cbranch_scc0 .LBB127_430
; %bb.429:
	global_load_dwordx2 v[3:4], v[1:2], off
	s_mov_b64 s[0:1], -1
	s_mov_b64 s[2:3], 0
	s_branch .LBB127_431
.LBB127_430:
	s_mov_b64 s[2:3], -1
                                        ; implicit-def: $vgpr3
.LBB127_431:
	s_mov_b64 s[8:9], 0
.LBB127_432:
	s_and_b64 vcc, exec, s[8:9]
	s_cbranch_vccz .LBB127_448
; %bb.433:
	s_cmp_lt_i32 s11, 27
	s_cbranch_scc1 .LBB127_436
; %bb.434:
	s_cmp_gt_i32 s11, 27
	s_cbranch_scc0 .LBB127_437
; %bb.435:
	global_load_dword v3, v[1:2], off
	s_mov_b64 s[0:1], 0
	s_branch .LBB127_438
.LBB127_436:
	s_mov_b64 s[0:1], -1
                                        ; implicit-def: $vgpr3
	s_branch .LBB127_441
.LBB127_437:
	s_mov_b64 s[0:1], -1
                                        ; implicit-def: $vgpr3
.LBB127_438:
	s_andn2_b64 vcc, exec, s[0:1]
	s_cbranch_vccnz .LBB127_440
; %bb.439:
	global_load_ushort v3, v[1:2], off
.LBB127_440:
	s_mov_b64 s[0:1], 0
.LBB127_441:
	s_andn2_b64 vcc, exec, s[0:1]
	s_cbranch_vccnz .LBB127_447
; %bb.442:
	global_load_ubyte v4, v[1:2], off
	s_movk_i32 s0, 0x7f
	s_mov_b64 s[8:9], 0
	s_waitcnt vmcnt(0)
	v_cmp_lt_i16_e32 vcc, s0, v4
	s_and_saveexec_b64 s[0:1], vcc
	s_xor_b64 s[0:1], exec, s[0:1]
	s_cbranch_execz .LBB127_459
; %bb.443:
	s_movk_i32 s8, 0x80
	v_cmp_ne_u16_e32 vcc, s8, v4
	s_and_b64 s[8:9], vcc, exec
	s_andn2_saveexec_b64 s[0:1], s[0:1]
	s_cbranch_execnz .LBB127_460
.LBB127_444:
	s_or_b64 exec, exec, s[0:1]
	v_mov_b32_e32 v3, 0
	s_and_saveexec_b64 s[0:1], s[8:9]
	s_cbranch_execz .LBB127_446
.LBB127_445:
	v_lshlrev_b32_e32 v3, 24, v4
	v_and_b32_e32 v4, 0xffff, v4
	v_and_b32_e32 v5, 7, v4
	v_ffbh_u32_e32 v7, v5
	v_min_u32_e32 v7, 32, v7
	v_subrev_u32_e32 v8, 28, v7
	v_bfe_u32 v6, v4, 3, 4
	v_lshlrev_b32_e32 v4, v8, v4
	v_sub_u32_e32 v7, 29, v7
	v_and_b32_e32 v4, 7, v4
	v_cmp_eq_u32_e32 vcc, 0, v6
	v_cndmask_b32_e32 v6, v6, v7, vcc
	v_cndmask_b32_e32 v4, v5, v4, vcc
	v_mov_b32_e32 v5, 0x3b800000
	v_lshlrev_b32_e32 v4, 20, v4
	v_and_b32_e32 v3, 0x80000000, v3
	v_lshl_add_u32 v5, v6, 23, v5
	v_or3_b32 v3, v3, v5, v4
	v_trunc_f32_e32 v3, v3
	s_mov_b32 s8, 0x2f800000
	v_mul_f32_e64 v4, |v3|, s8
	v_floor_f32_e32 v4, v4
	s_mov_b32 s8, 0xcf800000
	v_fma_f32 v4, v4, s8, |v3|
	v_cvt_u32_f32_e32 v4, v4
	v_ashrrev_i32_e32 v3, 31, v3
	v_xor_b32_e32 v4, v4, v3
	v_sub_u32_e32 v3, v4, v3
.LBB127_446:
	s_or_b64 exec, exec, s[0:1]
.LBB127_447:
	s_mov_b64 s[0:1], -1
.LBB127_448:
	s_mov_b64 s[8:9], 0
.LBB127_449:
	s_and_b64 vcc, exec, s[8:9]
	s_cbranch_vccz .LBB127_482
; %bb.450:
	s_cmp_gt_i32 s11, 22
	s_cbranch_scc0 .LBB127_458
; %bb.451:
	s_cmp_lt_i32 s11, 24
	s_cbranch_scc1 .LBB127_461
; %bb.452:
	s_cmp_gt_i32 s11, 24
	s_cbranch_scc0 .LBB127_462
; %bb.453:
	global_load_ubyte v4, v[1:2], off
	s_movk_i32 s0, 0x7f
	s_mov_b64 s[8:9], 0
	s_waitcnt vmcnt(0)
	v_cmp_lt_i16_e32 vcc, s0, v4
	s_and_saveexec_b64 s[0:1], vcc
	s_xor_b64 s[0:1], exec, s[0:1]
	s_cbranch_execz .LBB127_474
; %bb.454:
	s_movk_i32 s8, 0x80
	v_cmp_ne_u16_e32 vcc, s8, v4
	s_and_b64 s[8:9], vcc, exec
	s_andn2_saveexec_b64 s[0:1], s[0:1]
	s_cbranch_execnz .LBB127_475
.LBB127_455:
	s_or_b64 exec, exec, s[0:1]
	v_mov_b32_e32 v3, 0
	s_and_saveexec_b64 s[0:1], s[8:9]
	s_cbranch_execz .LBB127_457
.LBB127_456:
	v_lshlrev_b32_e32 v3, 24, v4
	v_and_b32_e32 v4, 0xffff, v4
	v_and_b32_e32 v5, 3, v4
	v_ffbh_u32_e32 v7, v5
	v_min_u32_e32 v7, 32, v7
	v_subrev_u32_e32 v8, 29, v7
	v_bfe_u32 v6, v4, 2, 5
	v_lshlrev_b32_e32 v4, v8, v4
	v_sub_u32_e32 v7, 30, v7
	v_and_b32_e32 v4, 3, v4
	v_cmp_eq_u32_e32 vcc, 0, v6
	v_cndmask_b32_e32 v6, v6, v7, vcc
	v_cndmask_b32_e32 v4, v5, v4, vcc
	v_mov_b32_e32 v5, 0x37800000
	v_lshlrev_b32_e32 v4, 21, v4
	v_and_b32_e32 v3, 0x80000000, v3
	v_lshl_add_u32 v5, v6, 23, v5
	v_or3_b32 v3, v3, v5, v4
	v_trunc_f32_e32 v3, v3
	s_mov_b32 s8, 0x2f800000
	v_mul_f32_e64 v4, |v3|, s8
	v_floor_f32_e32 v4, v4
	s_mov_b32 s8, 0xcf800000
	v_fma_f32 v4, v4, s8, |v3|
	v_cvt_u32_f32_e32 v4, v4
	v_ashrrev_i32_e32 v3, 31, v3
	v_xor_b32_e32 v4, v4, v3
	v_sub_u32_e32 v3, v4, v3
.LBB127_457:
	s_or_b64 exec, exec, s[0:1]
	s_mov_b64 s[0:1], 0
	s_branch .LBB127_463
.LBB127_458:
	s_mov_b64 s[8:9], -1
                                        ; implicit-def: $vgpr3
	s_branch .LBB127_469
.LBB127_459:
	s_andn2_saveexec_b64 s[0:1], s[0:1]
	s_cbranch_execz .LBB127_444
.LBB127_460:
	v_cmp_ne_u16_e32 vcc, 0, v4
	s_andn2_b64 s[8:9], s[8:9], exec
	s_and_b64 s[12:13], vcc, exec
	s_or_b64 s[8:9], s[8:9], s[12:13]
	s_or_b64 exec, exec, s[0:1]
	v_mov_b32_e32 v3, 0
	s_and_saveexec_b64 s[0:1], s[8:9]
	s_cbranch_execnz .LBB127_445
	s_branch .LBB127_446
.LBB127_461:
	s_mov_b64 s[0:1], -1
                                        ; implicit-def: $vgpr3
	s_branch .LBB127_466
.LBB127_462:
	s_mov_b64 s[0:1], -1
                                        ; implicit-def: $vgpr3
.LBB127_463:
	s_and_b64 vcc, exec, s[0:1]
	s_cbranch_vccz .LBB127_465
; %bb.464:
	global_load_ubyte v3, v[1:2], off
	s_mov_b32 s0, 0x7f800000
	s_brev_b32 s1, 1
	s_mov_b32 s8, 0x2f800000
	s_waitcnt vmcnt(0)
	v_lshlrev_b32_e32 v3, 24, v3
	v_and_b32_e32 v4, 0x7f000000, v3
	v_ffbh_u32_e32 v5, v4
	v_min_u32_e32 v5, 32, v5
	v_sub_u32_e64 v5, v5, 4 clamp
	v_lshlrev_b32_e32 v7, v5, v4
	v_lshlrev_b32_e32 v5, 23, v5
	v_lshrrev_b32_e32 v7, 4, v7
	v_add_u32_e32 v6, 0x1000000, v4
	v_sub_u32_e32 v5, v7, v5
	v_ashrrev_i32_e32 v6, 8, v6
	v_add_u32_e32 v5, 0x3c000000, v5
	v_and_or_b32 v5, v6, s0, v5
	v_cmp_ne_u32_e32 vcc, 0, v4
	v_cndmask_b32_e32 v4, 0, v5, vcc
	v_and_or_b32 v3, v3, s1, v4
	v_trunc_f32_e32 v3, v3
	v_mul_f32_e64 v4, |v3|, s8
	v_floor_f32_e32 v4, v4
	s_mov_b32 s0, 0xcf800000
	v_fma_f32 v4, v4, s0, |v3|
	v_cvt_u32_f32_e32 v4, v4
	v_ashrrev_i32_e32 v3, 31, v3
	v_xor_b32_e32 v4, v4, v3
	v_sub_u32_e32 v3, v4, v3
.LBB127_465:
	s_mov_b64 s[0:1], 0
.LBB127_466:
	s_andn2_b64 vcc, exec, s[0:1]
	s_cbranch_vccnz .LBB127_468
; %bb.467:
	global_load_ubyte v3, v[1:2], off
	s_movk_i32 s0, 0x7f00
	s_brev_b32 s1, 16
	s_brev_b32 s8, 1
	s_mov_b32 s9, 0x2f800000
	s_waitcnt vmcnt(0)
	v_lshlrev_b16_e32 v4, 8, v3
	v_lshlrev_b32_e32 v3, 25, v3
	v_lshrrev_b32_e32 v5, 4, v3
	v_and_or_b32 v6, v4, s0, 0.5
	v_or_b32_e32 v5, 0x70000000, v5
	v_add_f32_e32 v6, -0.5, v6
	v_mul_f32_e32 v5, 0x7800000, v5
	v_cmp_gt_u32_e32 vcc, s1, v3
	v_bfe_i32 v4, v4, 0, 16
	v_cndmask_b32_e32 v3, v5, v6, vcc
	v_and_or_b32 v3, v4, s8, v3
	v_trunc_f32_e32 v3, v3
	v_mul_f32_e64 v4, |v3|, s9
	v_floor_f32_e32 v4, v4
	s_mov_b32 s0, 0xcf800000
	v_fma_f32 v4, v4, s0, |v3|
	v_cvt_u32_f32_e32 v4, v4
	v_ashrrev_i32_e32 v3, 31, v3
	v_xor_b32_e32 v4, v4, v3
	v_sub_u32_e32 v3, v4, v3
.LBB127_468:
	s_mov_b64 s[8:9], 0
	s_mov_b64 s[0:1], -1
.LBB127_469:
	s_andn2_b64 vcc, exec, s[8:9]
	s_cbranch_vccnz .LBB127_482
; %bb.470:
	s_cmp_gt_i32 s11, 14
	s_cbranch_scc0 .LBB127_473
; %bb.471:
	s_cmp_eq_u32 s11, 15
	s_cbranch_scc0 .LBB127_476
; %bb.472:
	global_load_ushort v3, v[1:2], off
	s_mov_b32 s0, 0x2f800000
	s_mov_b32 s1, 0xcf800000
	s_mov_b64 s[2:3], 0
	s_waitcnt vmcnt(0)
	v_lshlrev_b32_e32 v3, 16, v3
	v_trunc_f32_e32 v3, v3
	v_mul_f32_e64 v4, |v3|, s0
	v_floor_f32_e32 v4, v4
	v_fma_f32 v4, v4, s1, |v3|
	v_cvt_u32_f32_e32 v4, v4
	v_ashrrev_i32_e32 v3, 31, v3
	s_mov_b64 s[0:1], -1
	v_xor_b32_e32 v4, v4, v3
	v_sub_u32_e32 v3, v4, v3
	s_branch .LBB127_477
.LBB127_473:
	s_mov_b64 s[8:9], -1
                                        ; implicit-def: $vgpr3
	s_branch .LBB127_478
.LBB127_474:
	s_andn2_saveexec_b64 s[0:1], s[0:1]
	s_cbranch_execz .LBB127_455
.LBB127_475:
	v_cmp_ne_u16_e32 vcc, 0, v4
	s_andn2_b64 s[8:9], s[8:9], exec
	s_and_b64 s[12:13], vcc, exec
	s_or_b64 s[8:9], s[8:9], s[12:13]
	s_or_b64 exec, exec, s[0:1]
	v_mov_b32_e32 v3, 0
	s_and_saveexec_b64 s[0:1], s[8:9]
	s_cbranch_execnz .LBB127_456
	s_branch .LBB127_457
.LBB127_476:
	s_mov_b64 s[2:3], -1
                                        ; implicit-def: $vgpr3
.LBB127_477:
	s_mov_b64 s[8:9], 0
.LBB127_478:
	s_and_b64 vcc, exec, s[8:9]
	s_cbranch_vccz .LBB127_482
; %bb.479:
	s_cmp_eq_u32 s11, 11
	s_cbranch_scc0 .LBB127_481
; %bb.480:
	global_load_ubyte v3, v[1:2], off
	s_mov_b64 s[0:1], -1
	s_mov_b64 s[2:3], 0
	s_waitcnt vmcnt(0)
	v_cmp_ne_u16_e32 vcc, 0, v3
	v_cndmask_b32_e64 v3, 0, 1, vcc
	s_branch .LBB127_482
.LBB127_481:
	s_mov_b64 s[2:3], -1
                                        ; implicit-def: $vgpr3
.LBB127_482:
	s_branch .LBB127_289
.LBB127_483:
	s_and_b32 s8, 0xffff, s10
	s_cmp_lt_i32 s8, 5
	s_cbranch_scc1 .LBB127_488
; %bb.484:
	s_cmp_lt_i32 s8, 8
	s_cbranch_scc1 .LBB127_489
; %bb.485:
	;; [unrolled: 3-line block ×3, first 2 shown]
	s_cmp_gt_i32 s8, 9
	s_cbranch_scc0 .LBB127_491
; %bb.487:
	global_load_dwordx2 v[3:4], v[1:2], off
	s_movk_i32 s0, 0xffe0
	s_waitcnt vmcnt(0)
	v_trunc_f64_e32 v[3:4], v[3:4]
	v_ldexp_f64 v[5:6], v[3:4], s0
	s_mov_b32 s0, 0
	s_mov_b32 s1, 0xc1f00000
	v_floor_f64_e32 v[5:6], v[5:6]
	v_fma_f64 v[3:4], v[5:6], s[0:1], v[3:4]
	s_mov_b64 s[0:1], 0
	v_cvt_u32_f64_e32 v3, v[3:4]
	s_branch .LBB127_492
.LBB127_488:
	s_mov_b64 s[0:1], -1
                                        ; implicit-def: $vgpr3
	s_branch .LBB127_510
.LBB127_489:
	s_mov_b64 s[0:1], -1
                                        ; implicit-def: $vgpr3
	s_branch .LBB127_498
.LBB127_490:
	s_mov_b64 s[0:1], -1
                                        ; implicit-def: $vgpr3
	s_branch .LBB127_495
.LBB127_491:
	s_mov_b64 s[0:1], -1
                                        ; implicit-def: $vgpr3
.LBB127_492:
	s_andn2_b64 vcc, exec, s[0:1]
	s_cbranch_vccnz .LBB127_494
; %bb.493:
	global_load_dword v3, v[1:2], off
	s_mov_b32 s0, 0x2f800000
	s_waitcnt vmcnt(0)
	v_trunc_f32_e32 v3, v3
	v_mul_f32_e64 v4, |v3|, s0
	v_floor_f32_e32 v4, v4
	s_mov_b32 s0, 0xcf800000
	v_fma_f32 v4, v4, s0, |v3|
	v_cvt_u32_f32_e32 v4, v4
	v_ashrrev_i32_e32 v3, 31, v3
	v_xor_b32_e32 v4, v4, v3
	v_sub_u32_e32 v3, v4, v3
.LBB127_494:
	s_mov_b64 s[0:1], 0
.LBB127_495:
	s_andn2_b64 vcc, exec, s[0:1]
	s_cbranch_vccnz .LBB127_497
; %bb.496:
	global_load_dword v3, v[1:2], off
	s_waitcnt vmcnt(0)
	v_cvt_f32_f16_e32 v3, v3
	v_cvt_i32_f32_e32 v3, v3
.LBB127_497:
	s_mov_b64 s[0:1], 0
.LBB127_498:
	s_andn2_b64 vcc, exec, s[0:1]
	s_cbranch_vccnz .LBB127_509
; %bb.499:
	s_cmp_lt_i32 s8, 6
	s_cbranch_scc1 .LBB127_502
; %bb.500:
	s_cmp_gt_i32 s8, 6
	s_cbranch_scc0 .LBB127_503
; %bb.501:
	global_load_dwordx2 v[3:4], v[1:2], off
	s_movk_i32 s0, 0xffe0
	s_waitcnt vmcnt(0)
	v_trunc_f64_e32 v[3:4], v[3:4]
	v_ldexp_f64 v[5:6], v[3:4], s0
	s_mov_b32 s0, 0
	s_mov_b32 s1, 0xc1f00000
	v_floor_f64_e32 v[5:6], v[5:6]
	v_fma_f64 v[3:4], v[5:6], s[0:1], v[3:4]
	s_mov_b64 s[0:1], 0
	v_cvt_u32_f64_e32 v3, v[3:4]
	s_branch .LBB127_504
.LBB127_502:
	s_mov_b64 s[0:1], -1
                                        ; implicit-def: $vgpr3
	s_branch .LBB127_507
.LBB127_503:
	s_mov_b64 s[0:1], -1
                                        ; implicit-def: $vgpr3
.LBB127_504:
	s_andn2_b64 vcc, exec, s[0:1]
	s_cbranch_vccnz .LBB127_506
; %bb.505:
	global_load_dword v3, v[1:2], off
	s_mov_b32 s0, 0x2f800000
	s_waitcnt vmcnt(0)
	v_trunc_f32_e32 v3, v3
	v_mul_f32_e64 v4, |v3|, s0
	v_floor_f32_e32 v4, v4
	s_mov_b32 s0, 0xcf800000
	v_fma_f32 v4, v4, s0, |v3|
	v_cvt_u32_f32_e32 v4, v4
	v_ashrrev_i32_e32 v3, 31, v3
	v_xor_b32_e32 v4, v4, v3
	v_sub_u32_e32 v3, v4, v3
.LBB127_506:
	s_mov_b64 s[0:1], 0
.LBB127_507:
	s_andn2_b64 vcc, exec, s[0:1]
	s_cbranch_vccnz .LBB127_509
; %bb.508:
	global_load_ushort v3, v[1:2], off
	s_waitcnt vmcnt(0)
	v_cvt_f32_f16_e32 v3, v3
	v_cvt_i32_f32_e32 v3, v3
.LBB127_509:
	s_mov_b64 s[0:1], 0
.LBB127_510:
	s_andn2_b64 vcc, exec, s[0:1]
	s_cbranch_vccnz .LBB127_530
; %bb.511:
	s_cmp_lt_i32 s8, 2
	s_cbranch_scc1 .LBB127_515
; %bb.512:
	s_cmp_lt_i32 s8, 3
	s_cbranch_scc1 .LBB127_516
; %bb.513:
	s_cmp_gt_i32 s8, 3
	s_cbranch_scc0 .LBB127_517
; %bb.514:
	global_load_dwordx2 v[3:4], v[1:2], off
	s_mov_b64 s[0:1], 0
	s_branch .LBB127_518
.LBB127_515:
	s_mov_b64 s[0:1], -1
                                        ; implicit-def: $vgpr3
	s_branch .LBB127_524
.LBB127_516:
	s_mov_b64 s[0:1], -1
                                        ; implicit-def: $vgpr3
	s_branch .LBB127_521
.LBB127_517:
	s_mov_b64 s[0:1], -1
                                        ; implicit-def: $vgpr3
.LBB127_518:
	s_andn2_b64 vcc, exec, s[0:1]
	s_cbranch_vccnz .LBB127_520
; %bb.519:
	global_load_dword v3, v[1:2], off
.LBB127_520:
	s_mov_b64 s[0:1], 0
.LBB127_521:
	s_andn2_b64 vcc, exec, s[0:1]
	s_cbranch_vccnz .LBB127_523
; %bb.522:
	global_load_ushort v3, v[1:2], off
.LBB127_523:
	s_mov_b64 s[0:1], 0
.LBB127_524:
	s_andn2_b64 vcc, exec, s[0:1]
	s_cbranch_vccnz .LBB127_530
; %bb.525:
	s_cmp_gt_i32 s8, 0
	s_cbranch_scc0 .LBB127_527
; %bb.526:
	global_load_ubyte v3, v[1:2], off
	s_mov_b64 s[0:1], 0
	s_branch .LBB127_528
.LBB127_527:
	s_mov_b64 s[0:1], -1
                                        ; implicit-def: $vgpr3
.LBB127_528:
	s_andn2_b64 vcc, exec, s[0:1]
	s_cbranch_vccnz .LBB127_530
; %bb.529:
	global_load_ubyte v3, v[1:2], off
.LBB127_530:
	s_branch .LBB127_290
.LBB127_531:
	s_mov_b64 s[8:9], 0
	s_mov_b64 s[0:1], s[52:53]
.LBB127_532:
                                        ; implicit-def: $vgpr11
.LBB127_533:
	s_andn2_b64 s[10:11], s[52:53], exec
	s_and_b64 s[0:1], s[0:1], exec
	s_or_b64 s[60:61], s[10:11], s[0:1]
	s_andn2_b64 s[0:1], s[54:55], exec
	s_and_b64 s[2:3], s[2:3], exec
	s_or_b64 s[58:59], s[0:1], s[2:3]
	s_orn2_b64 s[0:1], s[8:9], exec
.LBB127_534:
	s_or_b64 exec, exec, s[62:63]
	s_mov_b64 s[2:3], 0
	s_mov_b64 s[8:9], 0
	;; [unrolled: 1-line block ×3, first 2 shown]
                                        ; implicit-def: $sgpr14
                                        ; implicit-def: $vgpr1_vgpr2
                                        ; implicit-def: $vgpr0
                                        ; implicit-def: $vgpr3
	s_and_saveexec_b64 s[62:63], s[0:1]
	s_cbranch_execz .LBB127_901
; %bb.535:
	v_cmp_gt_i32_e32 vcc, s70, v11
	s_mov_b64 s[2:3], -1
	s_mov_b64 s[66:67], s[58:59]
	s_mov_b64 s[68:69], s[60:61]
	s_and_saveexec_b64 s[64:65], vcc
	s_cbranch_execz .LBB127_805
; %bb.536:
	s_andn2_b64 vcc, exec, s[40:41]
	s_cbranch_vccnz .LBB127_541
; %bb.537:
	s_andn2_b64 vcc, exec, s[50:51]
	s_cbranch_vccnz .LBB127_542
; %bb.538:
	s_add_i32 s77, s76, 1
	s_cmp_eq_u32 s72, 2
	s_cbranch_scc1 .LBB127_543
; %bb.539:
	s_and_b32 s71, s77, 28
	v_mov_b32_e32 v2, 0
	s_mov_b32 s78, 0
	s_mov_b64 s[66:67], s[34:35]
	s_mov_b64 s[68:69], s[48:49]
	v_mov_b32_e32 v0, 0
	v_mov_b32_e32 v1, v11
.LBB127_540:                            ; =>This Inner Loop Header: Depth=1
	s_load_dwordx8 s[16:23], s[66:67], 0x4
	s_load_dwordx4 s[0:3], s[66:67], 0x24
	s_load_dwordx8 s[8:15], s[68:69], 0x0
	s_add_u32 s66, s66, 48
	s_addc_u32 s67, s67, 0
	s_waitcnt vmcnt(0) lgkmcnt(0)
	v_mul_hi_u32 v3, s17, v1
	s_add_i32 s78, s78, 4
	s_add_u32 s68, s68, 32
	s_addc_u32 s69, s69, 0
	v_add_u32_e32 v3, v1, v3
	v_lshrrev_b32_e32 v3, s18, v3
	v_mul_lo_u32 v4, v3, s16
	v_mul_hi_u32 v5, s20, v3
	s_cmp_eq_u32 s71, s78
	v_sub_u32_e32 v1, v1, v4
	v_add_u32_e32 v4, v3, v5
	v_mul_lo_u32 v5, v1, s8
	v_mul_lo_u32 v6, v1, s9
	v_lshrrev_b32_e32 v1, s21, v4
	v_mul_lo_u32 v4, v1, s19
	v_mul_hi_u32 v7, s23, v1
	v_sub_u32_e32 v3, v3, v4
	v_add_u32_e32 v4, v1, v7
	v_lshrrev_b32_e32 v4, s0, v4
	v_mul_hi_u32 v8, s2, v4
	v_mul_lo_u32 v9, v4, s22
	v_mul_lo_u32 v7, v3, s10
	;; [unrolled: 1-line block ×3, first 2 shown]
	v_sub_u32_e32 v9, v1, v9
	v_add_u32_e32 v1, v4, v8
	v_lshrrev_b32_e32 v1, s3, v1
	v_mul_lo_u32 v8, v1, s1
	v_mul_lo_u32 v10, v9, s12
	;; [unrolled: 1-line block ×3, first 2 shown]
	v_add3_u32 v0, v5, v0, v7
	v_sub_u32_e32 v4, v4, v8
	v_mul_lo_u32 v8, v4, s14
	v_mul_lo_u32 v4, v4, s15
	v_add3_u32 v2, v6, v2, v3
	v_add3_u32 v0, v10, v0, v8
	;; [unrolled: 1-line block ×3, first 2 shown]
	s_cbranch_scc0 .LBB127_540
	s_branch .LBB127_544
.LBB127_541:
	s_mov_b64 s[0:1], -1
                                        ; implicit-def: $vgpr0
                                        ; implicit-def: $vgpr2
	s_branch .LBB127_548
.LBB127_542:
	v_mov_b32_e32 v0, 0
	v_mov_b32_e32 v2, 0
	s_branch .LBB127_547
.LBB127_543:
	s_mov_b32 s71, 0
	v_mov_b32_e32 v0, 0
	v_mov_b32_e32 v2, 0
	;; [unrolled: 1-line block ×3, first 2 shown]
.LBB127_544:
	s_and_b32 s8, s77, 3
	s_cmp_eq_u32 s8, 0
	s_cbranch_scc1 .LBB127_547
; %bb.545:
	s_lshl_b32 s0, s71, 3
	s_add_u32 s0, s34, s0
	s_addc_u32 s1, s35, 0
	s_add_u32 s0, s0, 0xc4
	s_addc_u32 s1, s1, 0
	s_mul_i32 s2, s71, 12
	s_add_u32 s2, s34, s2
	s_addc_u32 s3, s35, 0
.LBB127_546:                            ; =>This Inner Loop Header: Depth=1
	s_load_dwordx2 s[10:11], s[2:3], 0x4
	s_load_dword s9, s[2:3], 0xc
	s_load_dwordx2 s[12:13], s[0:1], 0x0
	s_add_u32 s2, s2, 12
	s_addc_u32 s3, s3, 0
	s_waitcnt vmcnt(0) lgkmcnt(0)
	v_mul_hi_u32 v3, s11, v1
	s_add_u32 s0, s0, 8
	s_addc_u32 s1, s1, 0
	s_add_i32 s8, s8, -1
	v_add_u32_e32 v3, v1, v3
	v_lshrrev_b32_e32 v4, s9, v3
	v_mul_lo_u32 v3, v4, s10
	s_cmp_lg_u32 s8, 0
	v_sub_u32_e32 v3, v1, v3
	v_mad_u64_u32 v[0:1], s[10:11], v3, s12, v[0:1]
	v_mad_u64_u32 v[2:3], s[10:11], v3, s13, v[2:3]
	v_mov_b32_e32 v1, v4
	s_cbranch_scc1 .LBB127_546
.LBB127_547:
	s_mov_b64 s[0:1], 0
.LBB127_548:
	s_andn2_b64 vcc, exec, s[0:1]
	s_cbranch_vccnz .LBB127_551
; %bb.549:
	s_waitcnt lgkmcnt(0)
	v_mul_hi_u32 v0, s37, v11
	s_andn2_b64 vcc, exec, s[46:47]
	v_add_u32_e32 v0, v11, v0
	v_lshrrev_b32_e32 v1, s38, v0
	v_mul_lo_u32 v0, v1, s36
	v_sub_u32_e32 v2, v11, v0
	v_mul_lo_u32 v0, v2, s28
	v_mul_lo_u32 v2, v2, s29
	s_cbranch_vccnz .LBB127_551
; %bb.550:
	s_waitcnt vmcnt(0)
	v_mul_hi_u32 v3, s44, v1
	v_add_u32_e32 v3, v1, v3
	v_lshrrev_b32_e32 v3, s45, v3
	v_mul_lo_u32 v3, v3, s39
	v_sub_u32_e32 v3, v1, v3
	v_mad_u64_u32 v[0:1], s[0:1], v3, s30, v[0:1]
	v_mad_u64_u32 v[2:3], s[0:1], v3, s31, v[2:3]
.LBB127_551:
	s_waitcnt vmcnt(0) lgkmcnt(0)
	v_mov_b32_e32 v3, s27
	s_and_b32 s10, s75, 0xff
	v_add_co_u32_e32 v1, vcc, s26, v2
	s_cmp_lt_i32 s10, 11
	v_addc_co_u32_e32 v2, vcc, 0, v3, vcc
	s_cbranch_scc1 .LBB127_558
; %bb.552:
	s_and_b32 s11, 0xffff, s10
	s_cmp_gt_i32 s11, 25
	s_cbranch_scc0 .LBB127_559
; %bb.553:
	s_cmp_gt_i32 s11, 28
	s_cbranch_scc0 .LBB127_560
; %bb.554:
	;; [unrolled: 3-line block ×4, first 2 shown]
	s_cmp_eq_u32 s11, 46
	s_mov_b64 s[8:9], 0
	s_cbranch_scc0 .LBB127_567
; %bb.557:
	global_load_dword v3, v[1:2], off
	s_mov_b32 s0, 0x2f800000
	s_mov_b32 s1, 0xcf800000
	s_mov_b64 s[2:3], 0
	s_waitcnt vmcnt(0)
	v_lshlrev_b32_e32 v3, 16, v3
	v_trunc_f32_e32 v3, v3
	v_mul_f32_e64 v4, |v3|, s0
	v_floor_f32_e32 v4, v4
	v_fma_f32 v4, v4, s1, |v3|
	v_cvt_u32_f32_e32 v4, v4
	v_ashrrev_i32_e32 v3, 31, v3
	s_mov_b64 s[0:1], -1
	v_xor_b32_e32 v4, v4, v3
	v_sub_u32_e32 v3, v4, v3
	s_branch .LBB127_568
.LBB127_558:
	s_mov_b64 s[8:9], -1
	s_mov_b64 s[0:1], 0
                                        ; implicit-def: $vgpr3
	s_mov_b64 s[2:3], s[58:59]
	s_branch .LBB127_629
.LBB127_559:
	s_mov_b64 s[8:9], -1
	s_mov_b64 s[0:1], 0
	s_mov_b64 s[2:3], s[58:59]
                                        ; implicit-def: $vgpr3
	s_branch .LBB127_595
.LBB127_560:
	s_mov_b64 s[8:9], -1
	s_mov_b64 s[0:1], 0
	s_mov_b64 s[2:3], s[58:59]
                                        ; implicit-def: $vgpr3
	s_branch .LBB127_578
.LBB127_561:
	s_mov_b64 s[8:9], -1
	s_mov_b64 s[0:1], 0
	s_mov_b64 s[2:3], s[58:59]
                                        ; implicit-def: $vgpr3
	s_branch .LBB127_573
.LBB127_562:
	s_andn2_saveexec_b64 s[12:13], s[12:13]
	s_cbranch_execz .LBB127_335
.LBB127_563:
	v_add_f32_e32 v3, 0x46000000, v4
	v_and_b32_e32 v3, 0xff, v3
	v_cmp_ne_u32_e32 vcc, 0, v3
	s_andn2_b64 s[10:11], s[10:11], exec
	s_and_b64 s[16:17], vcc, exec
	s_or_b64 s[10:11], s[10:11], s[16:17]
	s_or_b64 exec, exec, s[12:13]
	v_mov_b32_e32 v5, 0
	s_and_saveexec_b64 s[12:13], s[10:11]
	s_cbranch_execnz .LBB127_336
	s_branch .LBB127_337
.LBB127_564:
	s_mov_b64 s[8:9], -1
	s_mov_b64 s[0:1], 0
	s_mov_b64 s[2:3], s[58:59]
                                        ; implicit-def: $vgpr3
	s_branch .LBB127_568
.LBB127_565:
	s_andn2_saveexec_b64 s[12:13], s[12:13]
	s_cbranch_execz .LBB127_348
.LBB127_566:
	v_add_f32_e32 v3, 0x42800000, v4
	v_and_b32_e32 v3, 0xff, v3
	v_cmp_ne_u32_e32 vcc, 0, v3
	s_andn2_b64 s[10:11], s[10:11], exec
	s_and_b64 s[16:17], vcc, exec
	s_or_b64 s[10:11], s[10:11], s[16:17]
	s_or_b64 exec, exec, s[12:13]
	v_mov_b32_e32 v5, 0
	s_and_saveexec_b64 s[12:13], s[10:11]
	s_cbranch_execnz .LBB127_349
	s_branch .LBB127_350
.LBB127_567:
	s_mov_b64 s[2:3], -1
                                        ; implicit-def: $vgpr3
	s_mov_b64 s[0:1], 0
.LBB127_568:
	s_and_b64 vcc, exec, s[8:9]
	s_cbranch_vccz .LBB127_572
; %bb.569:
	s_cmp_eq_u32 s11, 44
	s_cbranch_scc0 .LBB127_571
; %bb.570:
	global_load_ubyte v3, v[1:2], off
	s_mov_b32 s0, 0x2f800000
	s_mov_b32 s1, 0xcf800000
	s_mov_b64 s[2:3], 0
	s_waitcnt vmcnt(0)
	v_lshlrev_b32_e32 v4, 23, v3
	v_trunc_f32_e32 v4, v4
	v_mul_f32_e64 v5, |v4|, s0
	v_floor_f32_e32 v5, v5
	v_fma_f32 v5, v5, s1, |v4|
	v_cvt_u32_f32_e32 v5, v5
	v_ashrrev_i32_e32 v4, 31, v4
	v_cmp_ne_u32_e32 vcc, 0, v3
	s_mov_b64 s[0:1], -1
	v_xor_b32_e32 v5, v5, v4
	v_sub_u32_e32 v4, v5, v4
	v_cndmask_b32_e32 v3, 0, v4, vcc
	s_branch .LBB127_572
.LBB127_571:
	s_mov_b64 s[2:3], -1
                                        ; implicit-def: $vgpr3
.LBB127_572:
	s_mov_b64 s[8:9], 0
.LBB127_573:
	s_and_b64 vcc, exec, s[8:9]
	s_cbranch_vccz .LBB127_577
; %bb.574:
	s_cmp_eq_u32 s11, 29
	s_cbranch_scc0 .LBB127_576
; %bb.575:
	global_load_dwordx2 v[3:4], v[1:2], off
	s_mov_b64 s[0:1], -1
	s_mov_b64 s[2:3], 0
	s_branch .LBB127_577
.LBB127_576:
	s_mov_b64 s[2:3], -1
                                        ; implicit-def: $vgpr3
.LBB127_577:
	s_mov_b64 s[8:9], 0
.LBB127_578:
	s_and_b64 vcc, exec, s[8:9]
	s_cbranch_vccz .LBB127_594
; %bb.579:
	s_cmp_lt_i32 s11, 27
	s_cbranch_scc1 .LBB127_582
; %bb.580:
	s_cmp_gt_i32 s11, 27
	s_cbranch_scc0 .LBB127_583
; %bb.581:
	global_load_dword v3, v[1:2], off
	s_mov_b64 s[0:1], 0
	s_branch .LBB127_584
.LBB127_582:
	s_mov_b64 s[0:1], -1
                                        ; implicit-def: $vgpr3
	s_branch .LBB127_587
.LBB127_583:
	s_mov_b64 s[0:1], -1
                                        ; implicit-def: $vgpr3
.LBB127_584:
	s_andn2_b64 vcc, exec, s[0:1]
	s_cbranch_vccnz .LBB127_586
; %bb.585:
	global_load_ushort v3, v[1:2], off
.LBB127_586:
	s_mov_b64 s[0:1], 0
.LBB127_587:
	s_andn2_b64 vcc, exec, s[0:1]
	s_cbranch_vccnz .LBB127_593
; %bb.588:
	global_load_ubyte v4, v[1:2], off
	s_movk_i32 s0, 0x7f
	s_mov_b64 s[8:9], 0
	s_waitcnt vmcnt(0)
	v_cmp_lt_i16_e32 vcc, s0, v4
	s_and_saveexec_b64 s[0:1], vcc
	s_xor_b64 s[0:1], exec, s[0:1]
	s_cbranch_execz .LBB127_605
; %bb.589:
	s_movk_i32 s8, 0x80
	v_cmp_ne_u16_e32 vcc, s8, v4
	s_and_b64 s[8:9], vcc, exec
	s_andn2_saveexec_b64 s[0:1], s[0:1]
	s_cbranch_execnz .LBB127_606
.LBB127_590:
	s_or_b64 exec, exec, s[0:1]
	v_mov_b32_e32 v3, 0
	s_and_saveexec_b64 s[0:1], s[8:9]
	s_cbranch_execz .LBB127_592
.LBB127_591:
	v_lshlrev_b32_e32 v3, 24, v4
	v_and_b32_e32 v4, 0xffff, v4
	v_and_b32_e32 v5, 7, v4
	v_ffbh_u32_e32 v7, v5
	v_min_u32_e32 v7, 32, v7
	v_subrev_u32_e32 v8, 28, v7
	v_bfe_u32 v6, v4, 3, 4
	v_lshlrev_b32_e32 v4, v8, v4
	v_sub_u32_e32 v7, 29, v7
	v_and_b32_e32 v4, 7, v4
	v_cmp_eq_u32_e32 vcc, 0, v6
	v_cndmask_b32_e32 v6, v6, v7, vcc
	v_cndmask_b32_e32 v4, v5, v4, vcc
	v_mov_b32_e32 v5, 0x3b800000
	v_lshlrev_b32_e32 v4, 20, v4
	v_and_b32_e32 v3, 0x80000000, v3
	v_lshl_add_u32 v5, v6, 23, v5
	v_or3_b32 v3, v3, v5, v4
	v_trunc_f32_e32 v3, v3
	s_mov_b32 s8, 0x2f800000
	v_mul_f32_e64 v4, |v3|, s8
	v_floor_f32_e32 v4, v4
	s_mov_b32 s8, 0xcf800000
	v_fma_f32 v4, v4, s8, |v3|
	v_cvt_u32_f32_e32 v4, v4
	v_ashrrev_i32_e32 v3, 31, v3
	v_xor_b32_e32 v4, v4, v3
	v_sub_u32_e32 v3, v4, v3
.LBB127_592:
	s_or_b64 exec, exec, s[0:1]
.LBB127_593:
	s_mov_b64 s[0:1], -1
.LBB127_594:
	s_mov_b64 s[8:9], 0
.LBB127_595:
	s_and_b64 vcc, exec, s[8:9]
	s_cbranch_vccz .LBB127_628
; %bb.596:
	s_cmp_gt_i32 s11, 22
	s_cbranch_scc0 .LBB127_604
; %bb.597:
	s_cmp_lt_i32 s11, 24
	s_cbranch_scc1 .LBB127_607
; %bb.598:
	s_cmp_gt_i32 s11, 24
	s_cbranch_scc0 .LBB127_608
; %bb.599:
	global_load_ubyte v4, v[1:2], off
	s_movk_i32 s0, 0x7f
	s_mov_b64 s[8:9], 0
	s_waitcnt vmcnt(0)
	v_cmp_lt_i16_e32 vcc, s0, v4
	s_and_saveexec_b64 s[0:1], vcc
	s_xor_b64 s[0:1], exec, s[0:1]
	s_cbranch_execz .LBB127_620
; %bb.600:
	s_movk_i32 s8, 0x80
	v_cmp_ne_u16_e32 vcc, s8, v4
	s_and_b64 s[8:9], vcc, exec
	s_andn2_saveexec_b64 s[0:1], s[0:1]
	s_cbranch_execnz .LBB127_621
.LBB127_601:
	s_or_b64 exec, exec, s[0:1]
	v_mov_b32_e32 v3, 0
	s_and_saveexec_b64 s[0:1], s[8:9]
	s_cbranch_execz .LBB127_603
.LBB127_602:
	v_lshlrev_b32_e32 v3, 24, v4
	v_and_b32_e32 v4, 0xffff, v4
	v_and_b32_e32 v5, 3, v4
	v_ffbh_u32_e32 v7, v5
	v_min_u32_e32 v7, 32, v7
	v_subrev_u32_e32 v8, 29, v7
	v_bfe_u32 v6, v4, 2, 5
	v_lshlrev_b32_e32 v4, v8, v4
	v_sub_u32_e32 v7, 30, v7
	v_and_b32_e32 v4, 3, v4
	v_cmp_eq_u32_e32 vcc, 0, v6
	v_cndmask_b32_e32 v6, v6, v7, vcc
	v_cndmask_b32_e32 v4, v5, v4, vcc
	v_mov_b32_e32 v5, 0x37800000
	v_lshlrev_b32_e32 v4, 21, v4
	v_and_b32_e32 v3, 0x80000000, v3
	v_lshl_add_u32 v5, v6, 23, v5
	v_or3_b32 v3, v3, v5, v4
	v_trunc_f32_e32 v3, v3
	s_mov_b32 s8, 0x2f800000
	v_mul_f32_e64 v4, |v3|, s8
	v_floor_f32_e32 v4, v4
	s_mov_b32 s8, 0xcf800000
	v_fma_f32 v4, v4, s8, |v3|
	v_cvt_u32_f32_e32 v4, v4
	v_ashrrev_i32_e32 v3, 31, v3
	v_xor_b32_e32 v4, v4, v3
	v_sub_u32_e32 v3, v4, v3
.LBB127_603:
	s_or_b64 exec, exec, s[0:1]
	s_mov_b64 s[0:1], 0
	s_branch .LBB127_609
.LBB127_604:
	s_mov_b64 s[8:9], -1
                                        ; implicit-def: $vgpr3
	s_branch .LBB127_615
.LBB127_605:
	s_andn2_saveexec_b64 s[0:1], s[0:1]
	s_cbranch_execz .LBB127_590
.LBB127_606:
	v_cmp_ne_u16_e32 vcc, 0, v4
	s_andn2_b64 s[8:9], s[8:9], exec
	s_and_b64 s[12:13], vcc, exec
	s_or_b64 s[8:9], s[8:9], s[12:13]
	s_or_b64 exec, exec, s[0:1]
	v_mov_b32_e32 v3, 0
	s_and_saveexec_b64 s[0:1], s[8:9]
	s_cbranch_execnz .LBB127_591
	s_branch .LBB127_592
.LBB127_607:
	s_mov_b64 s[0:1], -1
                                        ; implicit-def: $vgpr3
	s_branch .LBB127_612
.LBB127_608:
	s_mov_b64 s[0:1], -1
                                        ; implicit-def: $vgpr3
.LBB127_609:
	s_and_b64 vcc, exec, s[0:1]
	s_cbranch_vccz .LBB127_611
; %bb.610:
	global_load_ubyte v3, v[1:2], off
	s_mov_b32 s0, 0x7f800000
	s_brev_b32 s1, 1
	s_mov_b32 s8, 0x2f800000
	s_waitcnt vmcnt(0)
	v_lshlrev_b32_e32 v3, 24, v3
	v_and_b32_e32 v4, 0x7f000000, v3
	v_ffbh_u32_e32 v5, v4
	v_min_u32_e32 v5, 32, v5
	v_sub_u32_e64 v5, v5, 4 clamp
	v_lshlrev_b32_e32 v7, v5, v4
	v_lshlrev_b32_e32 v5, 23, v5
	v_lshrrev_b32_e32 v7, 4, v7
	v_add_u32_e32 v6, 0x1000000, v4
	v_sub_u32_e32 v5, v7, v5
	v_ashrrev_i32_e32 v6, 8, v6
	v_add_u32_e32 v5, 0x3c000000, v5
	v_and_or_b32 v5, v6, s0, v5
	v_cmp_ne_u32_e32 vcc, 0, v4
	v_cndmask_b32_e32 v4, 0, v5, vcc
	v_and_or_b32 v3, v3, s1, v4
	v_trunc_f32_e32 v3, v3
	v_mul_f32_e64 v4, |v3|, s8
	v_floor_f32_e32 v4, v4
	s_mov_b32 s0, 0xcf800000
	v_fma_f32 v4, v4, s0, |v3|
	v_cvt_u32_f32_e32 v4, v4
	v_ashrrev_i32_e32 v3, 31, v3
	v_xor_b32_e32 v4, v4, v3
	v_sub_u32_e32 v3, v4, v3
.LBB127_611:
	s_mov_b64 s[0:1], 0
.LBB127_612:
	s_andn2_b64 vcc, exec, s[0:1]
	s_cbranch_vccnz .LBB127_614
; %bb.613:
	global_load_ubyte v3, v[1:2], off
	s_movk_i32 s0, 0x7f00
	s_brev_b32 s1, 16
	s_brev_b32 s8, 1
	s_mov_b32 s9, 0x2f800000
	s_waitcnt vmcnt(0)
	v_lshlrev_b16_e32 v4, 8, v3
	v_lshlrev_b32_e32 v3, 25, v3
	v_lshrrev_b32_e32 v5, 4, v3
	v_and_or_b32 v6, v4, s0, 0.5
	v_or_b32_e32 v5, 0x70000000, v5
	v_add_f32_e32 v6, -0.5, v6
	v_mul_f32_e32 v5, 0x7800000, v5
	v_cmp_gt_u32_e32 vcc, s1, v3
	v_bfe_i32 v4, v4, 0, 16
	v_cndmask_b32_e32 v3, v5, v6, vcc
	v_and_or_b32 v3, v4, s8, v3
	v_trunc_f32_e32 v3, v3
	v_mul_f32_e64 v4, |v3|, s9
	v_floor_f32_e32 v4, v4
	s_mov_b32 s0, 0xcf800000
	v_fma_f32 v4, v4, s0, |v3|
	v_cvt_u32_f32_e32 v4, v4
	v_ashrrev_i32_e32 v3, 31, v3
	v_xor_b32_e32 v4, v4, v3
	v_sub_u32_e32 v3, v4, v3
.LBB127_614:
	s_mov_b64 s[8:9], 0
	s_mov_b64 s[0:1], -1
.LBB127_615:
	s_andn2_b64 vcc, exec, s[8:9]
	s_cbranch_vccnz .LBB127_628
; %bb.616:
	s_cmp_gt_i32 s11, 14
	s_cbranch_scc0 .LBB127_619
; %bb.617:
	s_cmp_eq_u32 s11, 15
	s_cbranch_scc0 .LBB127_622
; %bb.618:
	global_load_ushort v3, v[1:2], off
	s_mov_b32 s0, 0x2f800000
	s_mov_b32 s1, 0xcf800000
	s_mov_b64 s[2:3], 0
	s_waitcnt vmcnt(0)
	v_lshlrev_b32_e32 v3, 16, v3
	v_trunc_f32_e32 v3, v3
	v_mul_f32_e64 v4, |v3|, s0
	v_floor_f32_e32 v4, v4
	v_fma_f32 v4, v4, s1, |v3|
	v_cvt_u32_f32_e32 v4, v4
	v_ashrrev_i32_e32 v3, 31, v3
	s_mov_b64 s[0:1], -1
	v_xor_b32_e32 v4, v4, v3
	v_sub_u32_e32 v3, v4, v3
	s_branch .LBB127_623
.LBB127_619:
	s_mov_b64 s[8:9], -1
                                        ; implicit-def: $vgpr3
	s_branch .LBB127_624
.LBB127_620:
	s_andn2_saveexec_b64 s[0:1], s[0:1]
	s_cbranch_execz .LBB127_601
.LBB127_621:
	v_cmp_ne_u16_e32 vcc, 0, v4
	s_andn2_b64 s[8:9], s[8:9], exec
	s_and_b64 s[12:13], vcc, exec
	s_or_b64 s[8:9], s[8:9], s[12:13]
	s_or_b64 exec, exec, s[0:1]
	v_mov_b32_e32 v3, 0
	s_and_saveexec_b64 s[0:1], s[8:9]
	s_cbranch_execnz .LBB127_602
	s_branch .LBB127_603
.LBB127_622:
	s_mov_b64 s[2:3], -1
                                        ; implicit-def: $vgpr3
.LBB127_623:
	s_mov_b64 s[8:9], 0
.LBB127_624:
	s_and_b64 vcc, exec, s[8:9]
	s_cbranch_vccz .LBB127_628
; %bb.625:
	s_cmp_eq_u32 s11, 11
	s_cbranch_scc0 .LBB127_627
; %bb.626:
	global_load_ubyte v3, v[1:2], off
	s_mov_b64 s[0:1], -1
	s_mov_b64 s[2:3], 0
	s_waitcnt vmcnt(0)
	v_cmp_ne_u16_e32 vcc, 0, v3
	v_cndmask_b32_e64 v3, 0, 1, vcc
	s_branch .LBB127_628
.LBB127_627:
	s_mov_b64 s[2:3], -1
                                        ; implicit-def: $vgpr3
.LBB127_628:
	s_mov_b64 s[8:9], 0
.LBB127_629:
	s_and_b64 vcc, exec, s[8:9]
	s_cbranch_vccz .LBB127_678
; %bb.630:
	s_and_b32 s8, 0xffff, s10
	s_cmp_lt_i32 s8, 5
	s_cbranch_scc1 .LBB127_635
; %bb.631:
	s_cmp_lt_i32 s8, 8
	s_cbranch_scc1 .LBB127_636
; %bb.632:
	;; [unrolled: 3-line block ×3, first 2 shown]
	s_cmp_gt_i32 s8, 9
	s_cbranch_scc0 .LBB127_638
; %bb.634:
	global_load_dwordx2 v[3:4], v[1:2], off
	s_movk_i32 s0, 0xffe0
	s_waitcnt vmcnt(0)
	v_trunc_f64_e32 v[3:4], v[3:4]
	v_ldexp_f64 v[5:6], v[3:4], s0
	s_mov_b32 s0, 0
	s_mov_b32 s1, 0xc1f00000
	v_floor_f64_e32 v[5:6], v[5:6]
	v_fma_f64 v[3:4], v[5:6], s[0:1], v[3:4]
	s_mov_b64 s[0:1], 0
	v_cvt_u32_f64_e32 v3, v[3:4]
	s_branch .LBB127_639
.LBB127_635:
	s_mov_b64 s[0:1], -1
                                        ; implicit-def: $vgpr3
	s_branch .LBB127_657
.LBB127_636:
	s_mov_b64 s[0:1], -1
                                        ; implicit-def: $vgpr3
	s_branch .LBB127_645
.LBB127_637:
	s_mov_b64 s[0:1], -1
                                        ; implicit-def: $vgpr3
	s_branch .LBB127_642
.LBB127_638:
	s_mov_b64 s[0:1], -1
                                        ; implicit-def: $vgpr3
.LBB127_639:
	s_andn2_b64 vcc, exec, s[0:1]
	s_cbranch_vccnz .LBB127_641
; %bb.640:
	global_load_dword v3, v[1:2], off
	s_mov_b32 s0, 0x2f800000
	s_waitcnt vmcnt(0)
	v_trunc_f32_e32 v3, v3
	v_mul_f32_e64 v4, |v3|, s0
	v_floor_f32_e32 v4, v4
	s_mov_b32 s0, 0xcf800000
	v_fma_f32 v4, v4, s0, |v3|
	v_cvt_u32_f32_e32 v4, v4
	v_ashrrev_i32_e32 v3, 31, v3
	v_xor_b32_e32 v4, v4, v3
	v_sub_u32_e32 v3, v4, v3
.LBB127_641:
	s_mov_b64 s[0:1], 0
.LBB127_642:
	s_andn2_b64 vcc, exec, s[0:1]
	s_cbranch_vccnz .LBB127_644
; %bb.643:
	global_load_dword v3, v[1:2], off
	s_waitcnt vmcnt(0)
	v_cvt_f32_f16_e32 v3, v3
	v_cvt_i32_f32_e32 v3, v3
.LBB127_644:
	s_mov_b64 s[0:1], 0
.LBB127_645:
	s_andn2_b64 vcc, exec, s[0:1]
	s_cbranch_vccnz .LBB127_656
; %bb.646:
	s_cmp_lt_i32 s8, 6
	s_cbranch_scc1 .LBB127_649
; %bb.647:
	s_cmp_gt_i32 s8, 6
	s_cbranch_scc0 .LBB127_650
; %bb.648:
	global_load_dwordx2 v[3:4], v[1:2], off
	s_movk_i32 s0, 0xffe0
	s_waitcnt vmcnt(0)
	v_trunc_f64_e32 v[3:4], v[3:4]
	v_ldexp_f64 v[5:6], v[3:4], s0
	s_mov_b32 s0, 0
	s_mov_b32 s1, 0xc1f00000
	v_floor_f64_e32 v[5:6], v[5:6]
	v_fma_f64 v[3:4], v[5:6], s[0:1], v[3:4]
	s_mov_b64 s[0:1], 0
	v_cvt_u32_f64_e32 v3, v[3:4]
	s_branch .LBB127_651
.LBB127_649:
	s_mov_b64 s[0:1], -1
                                        ; implicit-def: $vgpr3
	s_branch .LBB127_654
.LBB127_650:
	s_mov_b64 s[0:1], -1
                                        ; implicit-def: $vgpr3
.LBB127_651:
	s_andn2_b64 vcc, exec, s[0:1]
	s_cbranch_vccnz .LBB127_653
; %bb.652:
	global_load_dword v3, v[1:2], off
	s_mov_b32 s0, 0x2f800000
	s_waitcnt vmcnt(0)
	v_trunc_f32_e32 v3, v3
	v_mul_f32_e64 v4, |v3|, s0
	v_floor_f32_e32 v4, v4
	s_mov_b32 s0, 0xcf800000
	v_fma_f32 v4, v4, s0, |v3|
	v_cvt_u32_f32_e32 v4, v4
	v_ashrrev_i32_e32 v3, 31, v3
	v_xor_b32_e32 v4, v4, v3
	v_sub_u32_e32 v3, v4, v3
.LBB127_653:
	s_mov_b64 s[0:1], 0
.LBB127_654:
	s_andn2_b64 vcc, exec, s[0:1]
	s_cbranch_vccnz .LBB127_656
; %bb.655:
	global_load_ushort v3, v[1:2], off
	s_waitcnt vmcnt(0)
	v_cvt_f32_f16_e32 v3, v3
	v_cvt_i32_f32_e32 v3, v3
.LBB127_656:
	s_mov_b64 s[0:1], 0
.LBB127_657:
	s_andn2_b64 vcc, exec, s[0:1]
	s_cbranch_vccnz .LBB127_677
; %bb.658:
	s_cmp_lt_i32 s8, 2
	s_cbranch_scc1 .LBB127_662
; %bb.659:
	s_cmp_lt_i32 s8, 3
	s_cbranch_scc1 .LBB127_663
; %bb.660:
	s_cmp_gt_i32 s8, 3
	s_cbranch_scc0 .LBB127_664
; %bb.661:
	global_load_dwordx2 v[3:4], v[1:2], off
	s_mov_b64 s[0:1], 0
	s_branch .LBB127_665
.LBB127_662:
	s_mov_b64 s[0:1], -1
                                        ; implicit-def: $vgpr3
	s_branch .LBB127_671
.LBB127_663:
	s_mov_b64 s[0:1], -1
                                        ; implicit-def: $vgpr3
	s_branch .LBB127_668
.LBB127_664:
	s_mov_b64 s[0:1], -1
                                        ; implicit-def: $vgpr3
.LBB127_665:
	s_andn2_b64 vcc, exec, s[0:1]
	s_cbranch_vccnz .LBB127_667
; %bb.666:
	global_load_dword v3, v[1:2], off
.LBB127_667:
	s_mov_b64 s[0:1], 0
.LBB127_668:
	s_andn2_b64 vcc, exec, s[0:1]
	s_cbranch_vccnz .LBB127_670
; %bb.669:
	global_load_ushort v3, v[1:2], off
.LBB127_670:
	s_mov_b64 s[0:1], 0
.LBB127_671:
	s_andn2_b64 vcc, exec, s[0:1]
	s_cbranch_vccnz .LBB127_677
; %bb.672:
	s_cmp_gt_i32 s8, 0
	s_cbranch_scc0 .LBB127_674
; %bb.673:
	global_load_ubyte v3, v[1:2], off
	s_mov_b64 s[0:1], 0
	s_branch .LBB127_675
.LBB127_674:
	s_mov_b64 s[0:1], -1
                                        ; implicit-def: $vgpr3
.LBB127_675:
	s_andn2_b64 vcc, exec, s[0:1]
	s_cbranch_vccnz .LBB127_677
; %bb.676:
	global_load_ubyte v3, v[1:2], off
.LBB127_677:
	s_mov_b64 s[0:1], -1
.LBB127_678:
	s_andn2_b64 vcc, exec, s[0:1]
	s_cbranch_vccnz .LBB127_686
; %bb.679:
	s_and_b32 s0, s74, 0xff
	v_mov_b32_e32 v2, 8
	s_waitcnt vmcnt(0)
	v_lshrrev_b16_sdwa v1, v3, s0 dst_sel:DWORD dst_unused:UNUSED_PAD src0_sel:BYTE_0 src1_sel:DWORD
	v_cmp_lt_u16_sdwa vcc, v3, v2 src0_sel:BYTE_0 src1_sel:DWORD
	v_cndmask_b32_e32 v2, 0, v1, vcc
	v_mov_b32_e32 v1, s25
	s_and_b32 s14, s73, 0xff
	v_add_co_u32_e32 v0, vcc, s24, v0
	s_cmp_lt_i32 s14, 11
	v_addc_co_u32_e32 v1, vcc, 0, v1, vcc
	s_cbranch_scc1 .LBB127_687
; %bb.680:
	s_and_b32 s15, 0xffff, s14
	s_cmp_gt_i32 s15, 25
	s_cbranch_scc0 .LBB127_688
; %bb.681:
	s_cmp_gt_i32 s15, 28
	s_cbranch_scc0 .LBB127_689
; %bb.682:
	;; [unrolled: 3-line block ×4, first 2 shown]
	s_mov_b64 s[10:11], 0
	s_mov_b64 s[0:1], -1
	s_cmp_eq_u32 s15, 46
	s_mov_b64 s[8:9], 0
	s_cbranch_scc0 .LBB127_692
; %bb.685:
	v_cvt_f32_ubyte0_e32 v3, v2
	v_bfe_u32 v4, v3, 16, 1
	s_movk_i32 s0, 0x7fff
	v_add3_u32 v3, v3, v4, s0
	v_lshrrev_b32_e32 v3, 16, v3
	global_store_dword v[0:1], v3, off
	s_mov_b64 s[8:9], -1
	s_mov_b64 s[0:1], 0
	s_branch .LBB127_692
.LBB127_686:
	s_mov_b64 s[8:9], 0
	s_mov_b64 s[0:1], s[60:61]
	s_branch .LBB127_803
.LBB127_687:
	s_mov_b64 s[10:11], -1
	s_mov_b64 s[8:9], 0
	s_mov_b64 s[0:1], s[60:61]
	s_branch .LBB127_761
.LBB127_688:
	s_mov_b64 s[10:11], -1
	s_mov_b64 s[8:9], 0
	s_mov_b64 s[0:1], s[60:61]
	s_branch .LBB127_719
.LBB127_689:
	s_mov_b64 s[10:11], -1
	s_mov_b64 s[8:9], 0
	s_mov_b64 s[0:1], s[60:61]
	s_branch .LBB127_702
.LBB127_690:
	s_mov_b64 s[10:11], -1
	s_mov_b64 s[8:9], 0
	s_mov_b64 s[0:1], s[60:61]
	s_branch .LBB127_698
.LBB127_691:
	s_mov_b64 s[10:11], -1
	s_mov_b64 s[8:9], 0
	s_mov_b64 s[0:1], s[60:61]
.LBB127_692:
	s_and_b64 vcc, exec, s[10:11]
	s_cbranch_vccz .LBB127_697
; %bb.693:
	s_cmp_eq_u32 s15, 44
	s_mov_b64 s[0:1], -1
	s_cbranch_scc0 .LBB127_697
; %bb.694:
	v_cvt_f32_ubyte0_e32 v4, v2
	v_lshrrev_b32_e32 v3, 23, v4
	s_movk_i32 s0, 0xff
	v_cmp_ne_u32_e32 vcc, s0, v3
	v_mov_b32_e32 v5, 0xff
	s_and_saveexec_b64 s[8:9], vcc
; %bb.695:
	s_mov_b32 s0, 0x3fffff
	v_and_b32_e32 v5, 0x400000, v4
	v_and_or_b32 v4, v4, s0, v3
	v_cmp_ne_u32_e32 vcc, 0, v5
	v_cmp_ne_u32_e64 s[0:1], 0, v4
	s_and_b64 s[0:1], vcc, s[0:1]
	v_cndmask_b32_e64 v4, 0, 1, s[0:1]
	v_add_u32_e32 v5, v3, v4
; %bb.696:
	s_or_b64 exec, exec, s[8:9]
	s_mov_b64 s[8:9], -1
	s_mov_b64 s[0:1], 0
	global_store_byte v[0:1], v5, off
.LBB127_697:
	s_mov_b64 s[10:11], 0
.LBB127_698:
	s_and_b64 vcc, exec, s[10:11]
	s_cbranch_vccz .LBB127_701
; %bb.699:
	s_cmp_eq_u32 s15, 29
	s_mov_b64 s[0:1], -1
	s_cbranch_scc0 .LBB127_701
; %bb.700:
	s_mov_b32 s0, 0
	v_and_b32_e32 v3, 0xffff, v2
	v_mov_b32_e32 v4, s0
	global_store_dwordx2 v[0:1], v[3:4], off
	s_mov_b64 s[8:9], -1
	s_mov_b64 s[0:1], 0
.LBB127_701:
	s_mov_b64 s[10:11], 0
.LBB127_702:
	s_and_b64 vcc, exec, s[10:11]
	s_cbranch_vccz .LBB127_718
; %bb.703:
	s_cmp_lt_i32 s15, 27
	s_mov_b64 s[8:9], -1
	s_cbranch_scc1 .LBB127_709
; %bb.704:
	s_cmp_gt_i32 s15, 27
	s_cbranch_scc0 .LBB127_706
; %bb.705:
	v_and_b32_e32 v3, 0xffff, v2
	s_mov_b64 s[8:9], 0
	global_store_dword v[0:1], v3, off
.LBB127_706:
	s_andn2_b64 vcc, exec, s[8:9]
	s_cbranch_vccnz .LBB127_708
; %bb.707:
	global_store_short v[0:1], v2, off
.LBB127_708:
	s_mov_b64 s[8:9], 0
.LBB127_709:
	s_andn2_b64 vcc, exec, s[8:9]
	s_cbranch_vccnz .LBB127_717
; %bb.710:
	v_cvt_f32_ubyte0_e32 v4, v2
	s_mov_b32 s8, 0x43800000
	v_cmp_gt_u32_e32 vcc, s8, v4
	v_mov_b32_e32 v5, 0x80
	s_and_saveexec_b64 s[8:9], vcc
	s_cbranch_execz .LBB127_716
; %bb.711:
	s_mov_b32 s10, 0x3bffffff
	v_cmp_lt_u32_e32 vcc, s10, v4
	s_mov_b64 s[10:11], 0
                                        ; implicit-def: $vgpr3
	s_and_saveexec_b64 s[12:13], vcc
	s_xor_b64 s[12:13], exec, s[12:13]
	s_cbranch_execz .LBB127_833
; %bb.712:
	v_bfe_u32 v3, v4, 20, 1
	s_mov_b32 s16, 0x487ffff
	v_add3_u32 v3, v4, v3, s16
	s_mov_b64 s[10:11], exec
	v_lshrrev_b32_e32 v3, 20, v3
                                        ; implicit-def: $vgpr4
	s_andn2_saveexec_b64 s[12:13], s[12:13]
	s_cbranch_execnz .LBB127_834
.LBB127_713:
	s_or_b64 exec, exec, s[12:13]
	v_mov_b32_e32 v5, 0
	s_and_saveexec_b64 s[12:13], s[10:11]
.LBB127_714:
	v_mov_b32_e32 v5, v3
.LBB127_715:
	s_or_b64 exec, exec, s[12:13]
.LBB127_716:
	s_or_b64 exec, exec, s[8:9]
	global_store_byte v[0:1], v5, off
.LBB127_717:
	s_mov_b64 s[8:9], -1
.LBB127_718:
	s_mov_b64 s[10:11], 0
.LBB127_719:
	s_and_b64 vcc, exec, s[10:11]
	s_cbranch_vccz .LBB127_760
; %bb.720:
	s_cmp_gt_i32 s15, 22
	s_mov_b64 s[10:11], -1
	s_cbranch_scc0 .LBB127_752
; %bb.721:
	s_cmp_lt_i32 s15, 24
	s_mov_b64 s[8:9], -1
	s_cbranch_scc1 .LBB127_741
; %bb.722:
	s_cmp_gt_i32 s15, 24
	s_cbranch_scc0 .LBB127_730
; %bb.723:
	v_cvt_f32_ubyte0_e32 v4, v2
	s_mov_b32 s8, 0x47800000
	v_cmp_gt_u32_e32 vcc, s8, v4
	v_mov_b32_e32 v5, 0x80
	s_and_saveexec_b64 s[8:9], vcc
	s_cbranch_execz .LBB127_729
; %bb.724:
	s_mov_b32 s10, 0x37ffffff
	v_cmp_lt_u32_e32 vcc, s10, v4
	s_mov_b64 s[10:11], 0
                                        ; implicit-def: $vgpr3
	s_and_saveexec_b64 s[12:13], vcc
	s_xor_b64 s[12:13], exec, s[12:13]
	s_cbranch_execz .LBB127_836
; %bb.725:
	v_bfe_u32 v3, v4, 21, 1
	s_mov_b32 s16, 0x88fffff
	v_add3_u32 v3, v4, v3, s16
	s_mov_b64 s[10:11], exec
	v_lshrrev_b32_e32 v3, 21, v3
                                        ; implicit-def: $vgpr4
	s_andn2_saveexec_b64 s[12:13], s[12:13]
	s_cbranch_execnz .LBB127_837
.LBB127_726:
	s_or_b64 exec, exec, s[12:13]
	v_mov_b32_e32 v5, 0
	s_and_saveexec_b64 s[12:13], s[10:11]
.LBB127_727:
	v_mov_b32_e32 v5, v3
.LBB127_728:
	s_or_b64 exec, exec, s[12:13]
.LBB127_729:
	s_or_b64 exec, exec, s[8:9]
	s_mov_b64 s[8:9], 0
	global_store_byte v[0:1], v5, off
.LBB127_730:
	s_and_b64 vcc, exec, s[8:9]
	s_cbranch_vccz .LBB127_740
; %bb.731:
	v_cvt_f32_ubyte0_e32 v3, v2
	s_mov_b32 s8, 0x43f00000
	v_cmp_gt_u32_e32 vcc, s8, v3
                                        ; implicit-def: $vgpr4
	s_and_saveexec_b64 s[8:9], vcc
	s_xor_b64 s[8:9], exec, s[8:9]
	s_cbranch_execz .LBB127_737
; %bb.732:
	s_mov_b32 s10, 0x3c7fffff
	v_cmp_lt_u32_e32 vcc, s10, v3
                                        ; implicit-def: $vgpr4
	s_and_saveexec_b64 s[10:11], vcc
	s_xor_b64 s[10:11], exec, s[10:11]
; %bb.733:
	v_bfe_u32 v4, v3, 20, 1
	s_mov_b32 s12, 0x407ffff
	v_add3_u32 v3, v3, v4, s12
	v_lshrrev_b32_e32 v4, 20, v3
	v_and_b32_e32 v3, 0xff00000, v3
	s_mov_b32 s12, 0x7f00000
	v_mov_b32_e32 v5, 0x7e
	v_cmp_ne_u32_e32 vcc, s12, v3
	v_cndmask_b32_e32 v4, v5, v4, vcc
                                        ; implicit-def: $vgpr3
; %bb.734:
	s_andn2_saveexec_b64 s[10:11], s[10:11]
; %bb.735:
	v_add_f32_e32 v4, 0x46800000, v3
; %bb.736:
	s_or_b64 exec, exec, s[10:11]
                                        ; implicit-def: $vgpr3
.LBB127_737:
	s_andn2_saveexec_b64 s[8:9], s[8:9]
; %bb.738:
	s_mov_b32 s10, 0x7f800000
	v_mov_b32_e32 v4, 0x7e
	v_mov_b32_e32 v5, 0x7f
	v_cmp_lt_u32_e32 vcc, s10, v3
	v_cndmask_b32_e32 v4, v4, v5, vcc
; %bb.739:
	s_or_b64 exec, exec, s[8:9]
	global_store_byte v[0:1], v4, off
.LBB127_740:
	s_mov_b64 s[8:9], 0
.LBB127_741:
	s_andn2_b64 vcc, exec, s[8:9]
	s_cbranch_vccnz .LBB127_751
; %bb.742:
	v_cvt_f32_ubyte0_e32 v3, v2
	s_mov_b32 s8, 0x47800000
	v_cmp_gt_u32_e32 vcc, s8, v3
                                        ; implicit-def: $vgpr4
	s_and_saveexec_b64 s[8:9], vcc
	s_xor_b64 s[8:9], exec, s[8:9]
	s_cbranch_execz .LBB127_748
; %bb.743:
	s_mov_b32 s10, 0x387fffff
	v_cmp_lt_u32_e32 vcc, s10, v3
                                        ; implicit-def: $vgpr4
	s_and_saveexec_b64 s[10:11], vcc
	s_xor_b64 s[10:11], exec, s[10:11]
; %bb.744:
	v_bfe_u32 v4, v3, 21, 1
	s_mov_b32 s12, 0x80fffff
	v_add3_u32 v3, v3, v4, s12
	v_lshrrev_b32_e32 v4, 21, v3
                                        ; implicit-def: $vgpr3
; %bb.745:
	s_andn2_saveexec_b64 s[10:11], s[10:11]
; %bb.746:
	v_add_f32_e32 v4, 0x43000000, v3
; %bb.747:
	s_or_b64 exec, exec, s[10:11]
                                        ; implicit-def: $vgpr3
.LBB127_748:
	s_andn2_saveexec_b64 s[8:9], s[8:9]
; %bb.749:
	s_mov_b32 s10, 0x7f800000
	v_mov_b32_e32 v4, 0x7c
	v_mov_b32_e32 v5, 0x7f
	v_cmp_lt_u32_e32 vcc, s10, v3
	v_cndmask_b32_e32 v4, v4, v5, vcc
; %bb.750:
	s_or_b64 exec, exec, s[8:9]
	global_store_byte v[0:1], v4, off
.LBB127_751:
	s_mov_b64 s[10:11], 0
	s_mov_b64 s[8:9], -1
.LBB127_752:
	s_andn2_b64 vcc, exec, s[10:11]
	s_cbranch_vccnz .LBB127_760
; %bb.753:
	s_cmp_gt_i32 s15, 14
	s_mov_b64 s[10:11], -1
	s_cbranch_scc0 .LBB127_757
; %bb.754:
	s_cmp_eq_u32 s15, 15
	s_mov_b64 s[0:1], -1
	s_cbranch_scc0 .LBB127_756
; %bb.755:
	v_cvt_f32_ubyte0_e32 v3, v2
	v_bfe_u32 v4, v3, 16, 1
	s_movk_i32 s0, 0x7fff
	v_add3_u32 v3, v3, v4, s0
	global_store_short_d16_hi v[0:1], v3, off
	s_mov_b64 s[8:9], -1
	s_mov_b64 s[0:1], 0
.LBB127_756:
	s_mov_b64 s[10:11], 0
.LBB127_757:
	s_and_b64 vcc, exec, s[10:11]
	s_cbranch_vccz .LBB127_760
; %bb.758:
	s_cmp_eq_u32 s15, 11
	s_mov_b64 s[0:1], -1
	s_cbranch_scc0 .LBB127_760
; %bb.759:
	v_cmp_ne_u16_e32 vcc, 0, v2
	v_cndmask_b32_e64 v3, 0, 1, vcc
	s_mov_b64 s[8:9], -1
	s_mov_b64 s[0:1], 0
	global_store_byte v[0:1], v3, off
.LBB127_760:
	s_mov_b64 s[10:11], 0
.LBB127_761:
	s_and_b64 vcc, exec, s[10:11]
	s_cbranch_vccz .LBB127_800
; %bb.762:
	s_and_b32 s10, 0xffff, s14
	s_cmp_lt_i32 s10, 5
	s_mov_b64 s[8:9], -1
	s_cbranch_scc1 .LBB127_783
; %bb.763:
	s_cmp_lt_i32 s10, 8
	s_cbranch_scc1 .LBB127_773
; %bb.764:
	s_cmp_lt_i32 s10, 9
	s_cbranch_scc1 .LBB127_770
; %bb.765:
	s_cmp_gt_i32 s10, 9
	s_cbranch_scc0 .LBB127_767
; %bb.766:
	v_and_b32_e32 v3, 0xffff, v2
	v_cvt_f64_u32_e32 v[3:4], v3
	v_mov_b32_e32 v5, 0
	v_mov_b32_e32 v6, v5
	s_mov_b64 s[8:9], 0
	global_store_dwordx4 v[0:1], v[3:6], off
.LBB127_767:
	s_andn2_b64 vcc, exec, s[8:9]
	s_cbranch_vccnz .LBB127_769
; %bb.768:
	v_cvt_f32_ubyte0_e32 v3, v2
	v_mov_b32_e32 v4, 0
	global_store_dwordx2 v[0:1], v[3:4], off
.LBB127_769:
	s_mov_b64 s[8:9], 0
.LBB127_770:
	s_andn2_b64 vcc, exec, s[8:9]
	s_cbranch_vccnz .LBB127_772
; %bb.771:
	v_cvt_f16_u16_e32 v3, v2
	global_store_dword v[0:1], v3, off
.LBB127_772:
	s_mov_b64 s[8:9], 0
.LBB127_773:
	s_andn2_b64 vcc, exec, s[8:9]
	s_cbranch_vccnz .LBB127_782
; %bb.774:
	s_cmp_lt_i32 s10, 6
	s_mov_b64 s[8:9], -1
	s_cbranch_scc1 .LBB127_780
; %bb.775:
	s_cmp_gt_i32 s10, 6
	s_cbranch_scc0 .LBB127_777
; %bb.776:
	v_and_b32_e32 v3, 0xffff, v2
	v_cvt_f64_u32_e32 v[3:4], v3
	s_mov_b64 s[8:9], 0
	global_store_dwordx2 v[0:1], v[3:4], off
.LBB127_777:
	s_andn2_b64 vcc, exec, s[8:9]
	s_cbranch_vccnz .LBB127_779
; %bb.778:
	v_cvt_f32_ubyte0_e32 v3, v2
	global_store_dword v[0:1], v3, off
.LBB127_779:
	s_mov_b64 s[8:9], 0
.LBB127_780:
	s_andn2_b64 vcc, exec, s[8:9]
	s_cbranch_vccnz .LBB127_782
; %bb.781:
	v_cvt_f16_u16_e32 v3, v2
	global_store_short v[0:1], v3, off
.LBB127_782:
	s_mov_b64 s[8:9], 0
.LBB127_783:
	s_andn2_b64 vcc, exec, s[8:9]
	s_cbranch_vccnz .LBB127_799
; %bb.784:
	s_cmp_lt_i32 s10, 2
	s_mov_b64 s[8:9], -1
	s_cbranch_scc1 .LBB127_794
; %bb.785:
	s_cmp_lt_i32 s10, 3
	s_cbranch_scc1 .LBB127_791
; %bb.786:
	s_cmp_gt_i32 s10, 3
	s_cbranch_scc0 .LBB127_788
; %bb.787:
	s_mov_b32 s8, 0
	v_and_b32_e32 v3, 0xffff, v2
	v_mov_b32_e32 v4, s8
	s_mov_b64 s[8:9], 0
	global_store_dwordx2 v[0:1], v[3:4], off
.LBB127_788:
	s_andn2_b64 vcc, exec, s[8:9]
	s_cbranch_vccnz .LBB127_790
; %bb.789:
	v_and_b32_e32 v3, 0xffff, v2
	global_store_dword v[0:1], v3, off
.LBB127_790:
	s_mov_b64 s[8:9], 0
.LBB127_791:
	s_andn2_b64 vcc, exec, s[8:9]
	s_cbranch_vccnz .LBB127_793
; %bb.792:
	global_store_short v[0:1], v2, off
.LBB127_793:
	s_mov_b64 s[8:9], 0
.LBB127_794:
	s_andn2_b64 vcc, exec, s[8:9]
	s_cbranch_vccnz .LBB127_799
; %bb.795:
	s_cmp_gt_i32 s10, 0
	s_mov_b64 s[8:9], -1
	s_cbranch_scc0 .LBB127_797
; %bb.796:
	s_mov_b64 s[8:9], 0
	global_store_byte v[0:1], v2, off
.LBB127_797:
	s_andn2_b64 vcc, exec, s[8:9]
	s_cbranch_vccnz .LBB127_799
; %bb.798:
	global_store_byte v[0:1], v2, off
.LBB127_799:
	s_mov_b64 s[8:9], -1
.LBB127_800:
	s_andn2_b64 vcc, exec, s[8:9]
	s_cbranch_vccnz .LBB127_802
; %bb.801:
	v_add_u32_e32 v11, 0x80, v11
	s_mov_b64 s[8:9], -1
	s_branch .LBB127_804
.LBB127_802:
	s_mov_b64 s[8:9], 0
.LBB127_803:
                                        ; implicit-def: $vgpr11
.LBB127_804:
	s_andn2_b64 s[10:11], s[60:61], exec
	s_and_b64 s[0:1], s[0:1], exec
	s_or_b64 s[68:69], s[10:11], s[0:1]
	s_andn2_b64 s[0:1], s[58:59], exec
	s_and_b64 s[2:3], s[2:3], exec
	s_or_b64 s[66:67], s[0:1], s[2:3]
	s_orn2_b64 s[2:3], s[8:9], exec
.LBB127_805:
	s_or_b64 exec, exec, s[64:65]
	s_mov_b64 s[0:1], 0
	s_mov_b64 s[8:9], 0
	;; [unrolled: 1-line block ×3, first 2 shown]
                                        ; implicit-def: $sgpr14
                                        ; implicit-def: $vgpr1_vgpr2
                                        ; implicit-def: $vgpr0
                                        ; implicit-def: $vgpr3
	s_and_saveexec_b64 s[64:65], s[2:3]
	s_cbranch_execz .LBB127_900
; %bb.806:
	v_cmp_gt_i32_e32 vcc, s70, v11
	s_mov_b64 s[2:3], 0
	s_mov_b64 s[12:13], s[66:67]
                                        ; implicit-def: $sgpr14
                                        ; implicit-def: $vgpr1_vgpr2
                                        ; implicit-def: $vgpr0
                                        ; implicit-def: $vgpr3
	s_and_saveexec_b64 s[70:71], vcc
	s_cbranch_execz .LBB127_899
; %bb.807:
	s_andn2_b64 vcc, exec, s[40:41]
	s_cbranch_vccnz .LBB127_812
; %bb.808:
	s_andn2_b64 vcc, exec, s[50:51]
	s_cbranch_vccnz .LBB127_813
; %bb.809:
	s_add_i32 s77, s76, 1
	s_cmp_eq_u32 s72, 2
	s_cbranch_scc1 .LBB127_814
; %bb.810:
	s_and_b32 s76, s77, 28
	v_mov_b32_e32 v2, 0
	s_mov_b32 s78, 0
	s_mov_b64 s[50:51], s[34:35]
	v_mov_b32_e32 v0, 0
	v_mov_b32_e32 v1, v11
.LBB127_811:                            ; =>This Inner Loop Header: Depth=1
	s_load_dwordx8 s[16:23], s[50:51], 0x4
	s_load_dwordx4 s[0:3], s[50:51], 0x24
	s_load_dwordx8 s[8:15], s[48:49], 0x0
	s_add_u32 s50, s50, 48
	s_addc_u32 s51, s51, 0
	s_waitcnt vmcnt(0) lgkmcnt(0)
	v_mul_hi_u32 v3, s17, v1
	s_add_i32 s78, s78, 4
	s_add_u32 s48, s48, 32
	s_addc_u32 s49, s49, 0
	v_add_u32_e32 v3, v1, v3
	v_lshrrev_b32_e32 v3, s18, v3
	v_mul_lo_u32 v4, v3, s16
	v_mul_hi_u32 v5, s20, v3
	s_cmp_eq_u32 s76, s78
	v_sub_u32_e32 v1, v1, v4
	v_add_u32_e32 v4, v3, v5
	v_mul_lo_u32 v5, v1, s8
	v_mul_lo_u32 v6, v1, s9
	v_lshrrev_b32_e32 v1, s21, v4
	v_mul_lo_u32 v4, v1, s19
	v_mul_hi_u32 v7, s23, v1
	v_sub_u32_e32 v3, v3, v4
	v_add_u32_e32 v4, v1, v7
	v_lshrrev_b32_e32 v4, s0, v4
	v_mul_hi_u32 v8, s2, v4
	v_mul_lo_u32 v9, v4, s22
	v_mul_lo_u32 v7, v3, s10
	;; [unrolled: 1-line block ×3, first 2 shown]
	v_sub_u32_e32 v9, v1, v9
	v_add_u32_e32 v1, v4, v8
	v_lshrrev_b32_e32 v1, s3, v1
	v_mul_lo_u32 v8, v1, s1
	v_mul_lo_u32 v10, v9, s12
	;; [unrolled: 1-line block ×3, first 2 shown]
	v_add3_u32 v0, v5, v0, v7
	v_sub_u32_e32 v4, v4, v8
	v_mul_lo_u32 v8, v4, s14
	v_mul_lo_u32 v4, v4, s15
	v_add3_u32 v2, v6, v2, v3
	v_add3_u32 v0, v10, v0, v8
	;; [unrolled: 1-line block ×3, first 2 shown]
	s_cbranch_scc0 .LBB127_811
	s_branch .LBB127_815
.LBB127_812:
	s_mov_b64 s[0:1], -1
                                        ; implicit-def: $vgpr0
                                        ; implicit-def: $vgpr2
	s_branch .LBB127_819
.LBB127_813:
	v_mov_b32_e32 v0, 0
	v_mov_b32_e32 v2, 0
	s_branch .LBB127_818
.LBB127_814:
	s_mov_b32 s76, 0
	v_mov_b32_e32 v0, 0
	v_mov_b32_e32 v2, 0
	;; [unrolled: 1-line block ×3, first 2 shown]
.LBB127_815:
	s_and_b32 s8, s77, 3
	s_cmp_eq_u32 s8, 0
	s_cbranch_scc1 .LBB127_818
; %bb.816:
	s_lshl_b32 s0, s76, 3
	s_add_u32 s0, s34, s0
	s_addc_u32 s1, s35, 0
	s_add_u32 s0, s0, 0xc4
	s_addc_u32 s1, s1, 0
	s_mul_i32 s2, s76, 12
	s_add_u32 s2, s34, s2
	s_addc_u32 s3, s35, 0
.LBB127_817:                            ; =>This Inner Loop Header: Depth=1
	s_load_dwordx2 s[10:11], s[2:3], 0x4
	s_load_dword s9, s[2:3], 0xc
	s_load_dwordx2 s[12:13], s[0:1], 0x0
	s_add_u32 s2, s2, 12
	s_addc_u32 s3, s3, 0
	s_waitcnt vmcnt(0) lgkmcnt(0)
	v_mul_hi_u32 v3, s11, v1
	s_add_u32 s0, s0, 8
	s_addc_u32 s1, s1, 0
	s_add_i32 s8, s8, -1
	v_add_u32_e32 v3, v1, v3
	v_lshrrev_b32_e32 v4, s9, v3
	v_mul_lo_u32 v3, v4, s10
	s_cmp_lg_u32 s8, 0
	v_sub_u32_e32 v3, v1, v3
	v_mad_u64_u32 v[0:1], s[10:11], v3, s12, v[0:1]
	v_mad_u64_u32 v[2:3], s[10:11], v3, s13, v[2:3]
	v_mov_b32_e32 v1, v4
	s_cbranch_scc1 .LBB127_817
.LBB127_818:
	s_mov_b64 s[0:1], 0
.LBB127_819:
	s_andn2_b64 vcc, exec, s[0:1]
	s_cbranch_vccnz .LBB127_822
; %bb.820:
	s_waitcnt lgkmcnt(0)
	v_mul_hi_u32 v0, s37, v11
	s_andn2_b64 vcc, exec, s[46:47]
	v_add_u32_e32 v0, v11, v0
	v_lshrrev_b32_e32 v1, s38, v0
	v_mul_lo_u32 v0, v1, s36
	v_sub_u32_e32 v2, v11, v0
	v_mul_lo_u32 v0, v2, s28
	v_mul_lo_u32 v2, v2, s29
	s_cbranch_vccnz .LBB127_822
; %bb.821:
	s_waitcnt vmcnt(0)
	v_mul_hi_u32 v3, s44, v1
	v_add_u32_e32 v3, v1, v3
	v_lshrrev_b32_e32 v3, s45, v3
	v_mul_lo_u32 v3, v3, s39
	v_sub_u32_e32 v3, v1, v3
	v_mad_u64_u32 v[0:1], s[0:1], v3, s30, v[0:1]
	v_mad_u64_u32 v[2:3], s[0:1], v3, s31, v[2:3]
.LBB127_822:
	s_waitcnt vmcnt(0) lgkmcnt(0)
	v_mov_b32_e32 v3, s27
	s_and_b32 s14, s75, 0xff
	v_add_co_u32_e32 v1, vcc, s26, v2
	s_cmp_lt_i32 s14, 11
	v_addc_co_u32_e32 v2, vcc, 0, v3, vcc
	s_cbranch_scc1 .LBB127_829
; %bb.823:
	s_and_b32 s12, 0xffff, s14
	s_cmp_gt_i32 s12, 25
	s_mov_b64 s[2:3], 0
	s_cbranch_scc0 .LBB127_830
; %bb.824:
	s_cmp_gt_i32 s12, 28
	s_cbranch_scc0 .LBB127_831
; %bb.825:
	s_cmp_gt_i32 s12, 43
	;; [unrolled: 3-line block ×3, first 2 shown]
	s_cbranch_scc0 .LBB127_835
; %bb.827:
	s_cmp_eq_u32 s12, 46
	s_mov_b64 s[10:11], 0
	s_cbranch_scc0 .LBB127_838
; %bb.828:
	global_load_dword v3, v[1:2], off
	s_mov_b32 s0, 0x2f800000
	s_mov_b32 s1, 0xcf800000
	s_mov_b64 s[8:9], -1
	s_waitcnt vmcnt(0)
	v_lshlrev_b32_e32 v3, 16, v3
	v_trunc_f32_e32 v3, v3
	v_mul_f32_e64 v4, |v3|, s0
	v_floor_f32_e32 v4, v4
	v_fma_f32 v4, v4, s1, |v3|
	v_cvt_u32_f32_e32 v4, v4
	v_ashrrev_i32_e32 v3, 31, v3
	s_mov_b64 s[0:1], 0
	v_xor_b32_e32 v4, v4, v3
	v_sub_u32_e32 v3, v4, v3
	s_branch .LBB127_839
.LBB127_829:
	s_mov_b64 s[12:13], -1
	s_mov_b64 s[8:9], 0
	s_mov_b64 s[2:3], 0
	;; [unrolled: 1-line block ×3, first 2 shown]
                                        ; implicit-def: $vgpr3
	s_branch .LBB127_898
.LBB127_830:
	s_mov_b64 s[10:11], -1
	s_mov_b64 s[8:9], 0
	s_mov_b64 s[0:1], s[66:67]
                                        ; implicit-def: $vgpr3
	s_branch .LBB127_866
.LBB127_831:
	s_mov_b64 s[10:11], -1
	s_mov_b64 s[8:9], 0
	s_mov_b64 s[0:1], s[66:67]
                                        ; implicit-def: $vgpr3
	s_branch .LBB127_849
.LBB127_832:
	s_mov_b64 s[10:11], -1
	s_mov_b64 s[8:9], 0
	s_mov_b64 s[0:1], s[66:67]
                                        ; implicit-def: $vgpr3
	s_branch .LBB127_844
.LBB127_833:
	s_andn2_saveexec_b64 s[12:13], s[12:13]
	s_cbranch_execz .LBB127_713
.LBB127_834:
	v_add_f32_e32 v3, 0x46000000, v4
	v_and_b32_e32 v3, 0xff, v3
	v_cmp_ne_u32_e32 vcc, 0, v3
	s_andn2_b64 s[10:11], s[10:11], exec
	s_and_b64 s[16:17], vcc, exec
	s_or_b64 s[10:11], s[10:11], s[16:17]
	s_or_b64 exec, exec, s[12:13]
	v_mov_b32_e32 v5, 0
	s_and_saveexec_b64 s[12:13], s[10:11]
	s_cbranch_execnz .LBB127_714
	s_branch .LBB127_715
.LBB127_835:
	s_mov_b64 s[10:11], -1
	s_mov_b64 s[8:9], 0
	s_mov_b64 s[0:1], s[66:67]
                                        ; implicit-def: $vgpr3
	s_branch .LBB127_839
.LBB127_836:
	s_andn2_saveexec_b64 s[12:13], s[12:13]
	s_cbranch_execz .LBB127_726
.LBB127_837:
	v_add_f32_e32 v3, 0x42800000, v4
	v_and_b32_e32 v3, 0xff, v3
	v_cmp_ne_u32_e32 vcc, 0, v3
	s_andn2_b64 s[10:11], s[10:11], exec
	s_and_b64 s[16:17], vcc, exec
	s_or_b64 s[10:11], s[10:11], s[16:17]
	s_or_b64 exec, exec, s[12:13]
	v_mov_b32_e32 v5, 0
	s_and_saveexec_b64 s[12:13], s[10:11]
	s_cbranch_execnz .LBB127_727
	s_branch .LBB127_728
.LBB127_838:
	s_mov_b64 s[0:1], -1
                                        ; implicit-def: $vgpr3
	s_mov_b64 s[8:9], 0
.LBB127_839:
	s_and_b64 vcc, exec, s[10:11]
	s_cbranch_vccz .LBB127_843
; %bb.840:
	s_cmp_eq_u32 s12, 44
	s_cbranch_scc0 .LBB127_842
; %bb.841:
	global_load_ubyte v3, v[1:2], off
	s_mov_b32 s0, 0x2f800000
	s_mov_b32 s1, 0xcf800000
	s_mov_b64 s[8:9], -1
	s_waitcnt vmcnt(0)
	v_lshlrev_b32_e32 v4, 23, v3
	v_trunc_f32_e32 v4, v4
	v_mul_f32_e64 v5, |v4|, s0
	v_floor_f32_e32 v5, v5
	v_fma_f32 v5, v5, s1, |v4|
	v_cvt_u32_f32_e32 v5, v5
	v_ashrrev_i32_e32 v4, 31, v4
	v_cmp_ne_u32_e32 vcc, 0, v3
	s_mov_b64 s[0:1], 0
	v_xor_b32_e32 v5, v5, v4
	v_sub_u32_e32 v4, v5, v4
	v_cndmask_b32_e32 v3, 0, v4, vcc
	s_branch .LBB127_843
.LBB127_842:
	s_mov_b64 s[0:1], -1
                                        ; implicit-def: $vgpr3
.LBB127_843:
	s_mov_b64 s[10:11], 0
.LBB127_844:
	s_and_b64 vcc, exec, s[10:11]
	s_cbranch_vccz .LBB127_848
; %bb.845:
	s_cmp_eq_u32 s12, 29
	s_cbranch_scc0 .LBB127_847
; %bb.846:
	global_load_dwordx2 v[3:4], v[1:2], off
	s_mov_b64 s[0:1], 0
	s_mov_b64 s[8:9], -1
	s_branch .LBB127_848
.LBB127_847:
	s_mov_b64 s[0:1], -1
                                        ; implicit-def: $vgpr3
.LBB127_848:
	s_mov_b64 s[10:11], 0
.LBB127_849:
	s_and_b64 vcc, exec, s[10:11]
	s_cbranch_vccz .LBB127_865
; %bb.850:
	s_cmp_lt_i32 s12, 27
	s_cbranch_scc1 .LBB127_853
; %bb.851:
	s_cmp_gt_i32 s12, 27
	s_cbranch_scc0 .LBB127_854
; %bb.852:
	global_load_dword v3, v[1:2], off
	s_mov_b64 s[8:9], 0
	s_branch .LBB127_855
.LBB127_853:
	s_mov_b64 s[8:9], -1
                                        ; implicit-def: $vgpr3
	s_branch .LBB127_858
.LBB127_854:
	s_mov_b64 s[8:9], -1
                                        ; implicit-def: $vgpr3
.LBB127_855:
	s_andn2_b64 vcc, exec, s[8:9]
	s_cbranch_vccnz .LBB127_857
; %bb.856:
	global_load_ushort v3, v[1:2], off
.LBB127_857:
	s_mov_b64 s[8:9], 0
.LBB127_858:
	s_andn2_b64 vcc, exec, s[8:9]
	s_cbranch_vccnz .LBB127_864
; %bb.859:
	global_load_ubyte v4, v[1:2], off
	s_movk_i32 s8, 0x7f
	s_mov_b64 s[10:11], 0
	s_waitcnt vmcnt(0)
	v_cmp_lt_i16_e32 vcc, s8, v4
	s_and_saveexec_b64 s[8:9], vcc
	s_xor_b64 s[8:9], exec, s[8:9]
	s_cbranch_execz .LBB127_876
; %bb.860:
	s_movk_i32 s10, 0x80
	v_cmp_ne_u16_e32 vcc, s10, v4
	s_and_b64 s[10:11], vcc, exec
	s_andn2_saveexec_b64 s[8:9], s[8:9]
	s_cbranch_execnz .LBB127_877
.LBB127_861:
	s_or_b64 exec, exec, s[8:9]
	v_mov_b32_e32 v3, 0
	s_and_saveexec_b64 s[8:9], s[10:11]
	s_cbranch_execz .LBB127_863
.LBB127_862:
	v_lshlrev_b32_e32 v3, 24, v4
	v_and_b32_e32 v4, 0xffff, v4
	v_and_b32_e32 v5, 7, v4
	v_ffbh_u32_e32 v7, v5
	v_min_u32_e32 v7, 32, v7
	v_subrev_u32_e32 v8, 28, v7
	v_bfe_u32 v6, v4, 3, 4
	v_lshlrev_b32_e32 v4, v8, v4
	v_sub_u32_e32 v7, 29, v7
	v_and_b32_e32 v4, 7, v4
	v_cmp_eq_u32_e32 vcc, 0, v6
	v_cndmask_b32_e32 v6, v6, v7, vcc
	v_cndmask_b32_e32 v4, v5, v4, vcc
	v_mov_b32_e32 v5, 0x3b800000
	v_lshlrev_b32_e32 v4, 20, v4
	v_and_b32_e32 v3, 0x80000000, v3
	v_lshl_add_u32 v5, v6, 23, v5
	v_or3_b32 v3, v3, v5, v4
	v_trunc_f32_e32 v3, v3
	s_mov_b32 s10, 0x2f800000
	v_mul_f32_e64 v4, |v3|, s10
	v_floor_f32_e32 v4, v4
	s_mov_b32 s10, 0xcf800000
	v_fma_f32 v4, v4, s10, |v3|
	v_cvt_u32_f32_e32 v4, v4
	v_ashrrev_i32_e32 v3, 31, v3
	v_xor_b32_e32 v4, v4, v3
	v_sub_u32_e32 v3, v4, v3
.LBB127_863:
	s_or_b64 exec, exec, s[8:9]
.LBB127_864:
	s_mov_b64 s[8:9], -1
.LBB127_865:
	s_mov_b64 s[10:11], 0
.LBB127_866:
	s_and_b64 vcc, exec, s[10:11]
	s_cbranch_vccz .LBB127_897
; %bb.867:
	s_cmp_gt_i32 s12, 22
	s_cbranch_scc0 .LBB127_875
; %bb.868:
	s_cmp_lt_i32 s12, 24
	s_cbranch_scc1 .LBB127_878
; %bb.869:
	s_cmp_gt_i32 s12, 24
	s_cbranch_scc0 .LBB127_879
; %bb.870:
	global_load_ubyte v4, v[1:2], off
	s_movk_i32 s2, 0x7f
	s_mov_b64 s[8:9], 0
	s_waitcnt vmcnt(0)
	v_cmp_lt_i16_e32 vcc, s2, v4
	s_and_saveexec_b64 s[2:3], vcc
	s_xor_b64 s[2:3], exec, s[2:3]
	s_cbranch_execz .LBB127_891
; %bb.871:
	s_movk_i32 s8, 0x80
	v_cmp_ne_u16_e32 vcc, s8, v4
	s_and_b64 s[8:9], vcc, exec
	s_andn2_saveexec_b64 s[2:3], s[2:3]
	s_cbranch_execnz .LBB127_892
.LBB127_872:
	s_or_b64 exec, exec, s[2:3]
	v_mov_b32_e32 v3, 0
	s_and_saveexec_b64 s[2:3], s[8:9]
	s_cbranch_execz .LBB127_874
.LBB127_873:
	v_lshlrev_b32_e32 v3, 24, v4
	v_and_b32_e32 v4, 0xffff, v4
	v_and_b32_e32 v5, 3, v4
	v_ffbh_u32_e32 v7, v5
	v_min_u32_e32 v7, 32, v7
	v_subrev_u32_e32 v8, 29, v7
	v_bfe_u32 v6, v4, 2, 5
	v_lshlrev_b32_e32 v4, v8, v4
	v_sub_u32_e32 v7, 30, v7
	v_and_b32_e32 v4, 3, v4
	v_cmp_eq_u32_e32 vcc, 0, v6
	v_cndmask_b32_e32 v6, v6, v7, vcc
	v_cndmask_b32_e32 v4, v5, v4, vcc
	v_mov_b32_e32 v5, 0x37800000
	v_lshlrev_b32_e32 v4, 21, v4
	v_and_b32_e32 v3, 0x80000000, v3
	v_lshl_add_u32 v5, v6, 23, v5
	v_or3_b32 v3, v3, v5, v4
	v_trunc_f32_e32 v3, v3
	s_mov_b32 s8, 0x2f800000
	v_mul_f32_e64 v4, |v3|, s8
	v_floor_f32_e32 v4, v4
	s_mov_b32 s8, 0xcf800000
	v_fma_f32 v4, v4, s8, |v3|
	v_cvt_u32_f32_e32 v4, v4
	v_ashrrev_i32_e32 v3, 31, v3
	v_xor_b32_e32 v4, v4, v3
	v_sub_u32_e32 v3, v4, v3
.LBB127_874:
	s_or_b64 exec, exec, s[2:3]
	s_mov_b64 s[2:3], 0
	s_branch .LBB127_880
.LBB127_875:
	s_mov_b64 s[2:3], -1
                                        ; implicit-def: $vgpr3
	s_branch .LBB127_886
.LBB127_876:
	s_andn2_saveexec_b64 s[8:9], s[8:9]
	s_cbranch_execz .LBB127_861
.LBB127_877:
	v_cmp_ne_u16_e32 vcc, 0, v4
	s_andn2_b64 s[10:11], s[10:11], exec
	s_and_b64 s[16:17], vcc, exec
	s_or_b64 s[10:11], s[10:11], s[16:17]
	s_or_b64 exec, exec, s[8:9]
	v_mov_b32_e32 v3, 0
	s_and_saveexec_b64 s[8:9], s[10:11]
	s_cbranch_execnz .LBB127_862
	s_branch .LBB127_863
.LBB127_878:
	s_mov_b64 s[2:3], -1
                                        ; implicit-def: $vgpr3
	s_branch .LBB127_883
.LBB127_879:
	s_mov_b64 s[2:3], -1
                                        ; implicit-def: $vgpr3
.LBB127_880:
	s_and_b64 vcc, exec, s[2:3]
	s_cbranch_vccz .LBB127_882
; %bb.881:
	global_load_ubyte v3, v[1:2], off
	s_mov_b32 s2, 0x7f800000
	s_brev_b32 s3, 1
	s_mov_b32 s8, 0x2f800000
	s_waitcnt vmcnt(0)
	v_lshlrev_b32_e32 v3, 24, v3
	v_and_b32_e32 v4, 0x7f000000, v3
	v_ffbh_u32_e32 v5, v4
	v_min_u32_e32 v5, 32, v5
	v_sub_u32_e64 v5, v5, 4 clamp
	v_lshlrev_b32_e32 v7, v5, v4
	v_lshlrev_b32_e32 v5, 23, v5
	v_lshrrev_b32_e32 v7, 4, v7
	v_add_u32_e32 v6, 0x1000000, v4
	v_sub_u32_e32 v5, v7, v5
	v_ashrrev_i32_e32 v6, 8, v6
	v_add_u32_e32 v5, 0x3c000000, v5
	v_and_or_b32 v5, v6, s2, v5
	v_cmp_ne_u32_e32 vcc, 0, v4
	v_cndmask_b32_e32 v4, 0, v5, vcc
	v_and_or_b32 v3, v3, s3, v4
	v_trunc_f32_e32 v3, v3
	v_mul_f32_e64 v4, |v3|, s8
	v_floor_f32_e32 v4, v4
	s_mov_b32 s2, 0xcf800000
	v_fma_f32 v4, v4, s2, |v3|
	v_cvt_u32_f32_e32 v4, v4
	v_ashrrev_i32_e32 v3, 31, v3
	v_xor_b32_e32 v4, v4, v3
	v_sub_u32_e32 v3, v4, v3
.LBB127_882:
	s_mov_b64 s[2:3], 0
.LBB127_883:
	s_andn2_b64 vcc, exec, s[2:3]
	s_cbranch_vccnz .LBB127_885
; %bb.884:
	global_load_ubyte v3, v[1:2], off
	s_movk_i32 s2, 0x7f00
	s_brev_b32 s3, 16
	s_brev_b32 s8, 1
	s_mov_b32 s9, 0x2f800000
	s_waitcnt vmcnt(0)
	v_lshlrev_b16_e32 v4, 8, v3
	v_lshlrev_b32_e32 v3, 25, v3
	v_lshrrev_b32_e32 v5, 4, v3
	v_and_or_b32 v6, v4, s2, 0.5
	v_or_b32_e32 v5, 0x70000000, v5
	v_add_f32_e32 v6, -0.5, v6
	v_mul_f32_e32 v5, 0x7800000, v5
	v_cmp_gt_u32_e32 vcc, s3, v3
	v_bfe_i32 v4, v4, 0, 16
	v_cndmask_b32_e32 v3, v5, v6, vcc
	v_and_or_b32 v3, v4, s8, v3
	v_trunc_f32_e32 v3, v3
	v_mul_f32_e64 v4, |v3|, s9
	v_floor_f32_e32 v4, v4
	s_mov_b32 s2, 0xcf800000
	v_fma_f32 v4, v4, s2, |v3|
	v_cvt_u32_f32_e32 v4, v4
	v_ashrrev_i32_e32 v3, 31, v3
	v_xor_b32_e32 v4, v4, v3
	v_sub_u32_e32 v3, v4, v3
.LBB127_885:
	s_mov_b64 s[2:3], 0
	s_mov_b64 s[8:9], -1
.LBB127_886:
	s_andn2_b64 vcc, exec, s[2:3]
	s_mov_b64 s[2:3], 0
	s_cbranch_vccnz .LBB127_897
; %bb.887:
	s_cmp_gt_i32 s12, 14
	s_cbranch_scc0 .LBB127_890
; %bb.888:
	s_cmp_eq_u32 s12, 15
	s_cbranch_scc0 .LBB127_893
; %bb.889:
	global_load_ushort v3, v[1:2], off
	s_mov_b32 s0, 0x2f800000
	s_mov_b32 s1, 0xcf800000
	s_mov_b64 s[8:9], -1
	s_waitcnt vmcnt(0)
	v_lshlrev_b32_e32 v3, 16, v3
	v_trunc_f32_e32 v3, v3
	v_mul_f32_e64 v4, |v3|, s0
	v_floor_f32_e32 v4, v4
	v_fma_f32 v4, v4, s1, |v3|
	v_cvt_u32_f32_e32 v4, v4
	v_ashrrev_i32_e32 v3, 31, v3
	s_mov_b64 s[0:1], 0
	v_xor_b32_e32 v4, v4, v3
	v_sub_u32_e32 v3, v4, v3
	s_branch .LBB127_894
.LBB127_890:
	s_mov_b64 s[10:11], -1
                                        ; implicit-def: $vgpr3
	s_branch .LBB127_895
.LBB127_891:
	s_andn2_saveexec_b64 s[2:3], s[2:3]
	s_cbranch_execz .LBB127_872
.LBB127_892:
	v_cmp_ne_u16_e32 vcc, 0, v4
	s_andn2_b64 s[8:9], s[8:9], exec
	s_and_b64 s[10:11], vcc, exec
	s_or_b64 s[8:9], s[8:9], s[10:11]
	s_or_b64 exec, exec, s[2:3]
	v_mov_b32_e32 v3, 0
	s_and_saveexec_b64 s[2:3], s[8:9]
	s_cbranch_execnz .LBB127_873
	s_branch .LBB127_874
.LBB127_893:
	s_mov_b64 s[0:1], -1
                                        ; implicit-def: $vgpr3
.LBB127_894:
	s_mov_b64 s[10:11], 0
.LBB127_895:
	s_and_b64 vcc, exec, s[10:11]
	s_cbranch_vccz .LBB127_897
; %bb.896:
	s_cmp_lg_u32 s12, 11
	s_cselect_b64 s[10:11], -1, 0
	s_andn2_b64 s[0:1], s[0:1], exec
	s_and_b64 s[10:11], s[10:11], exec
	s_mov_b64 s[2:3], -1
	s_or_b64 s[0:1], s[0:1], s[10:11]
.LBB127_897:
	s_mov_b64 s[12:13], 0
.LBB127_898:
	s_and_b64 s[10:11], s[8:9], exec
	s_and_b64 s[8:9], s[12:13], exec
	s_andn2_b64 s[12:13], s[66:67], exec
	s_and_b64 s[0:1], s[0:1], exec
	s_and_b64 s[2:3], s[2:3], exec
	s_or_b64 s[12:13], s[12:13], s[0:1]
.LBB127_899:
	s_or_b64 exec, exec, s[70:71]
	s_and_b64 s[0:1], s[2:3], exec
	s_andn2_b64 s[2:3], s[66:67], exec
	s_and_b64 s[12:13], s[12:13], exec
	s_and_b64 s[10:11], s[10:11], exec
	;; [unrolled: 1-line block ×3, first 2 shown]
	s_or_b64 s[66:67], s[2:3], s[12:13]
.LBB127_900:
	s_or_b64 exec, exec, s[64:65]
	s_andn2_b64 s[2:3], s[60:61], exec
	s_and_b64 s[12:13], s[68:69], exec
	s_or_b64 s[60:61], s[2:3], s[12:13]
	s_and_b64 s[2:3], s[0:1], exec
	s_andn2_b64 s[0:1], s[58:59], exec
	s_and_b64 s[12:13], s[66:67], exec
	s_and_b64 s[10:11], s[10:11], exec
	;; [unrolled: 1-line block ×3, first 2 shown]
	s_or_b64 s[58:59], s[0:1], s[12:13]
.LBB127_901:
	s_or_b64 exec, exec, s[62:63]
	s_andn2_b64 s[0:1], s[52:53], exec
	s_and_b64 s[12:13], s[60:61], exec
	s_or_b64 s[52:53], s[0:1], s[12:13]
	s_and_b64 s[0:1], s[10:11], exec
	s_and_b64 s[10:11], s[8:9], exec
	;; [unrolled: 1-line block ×3, first 2 shown]
	s_andn2_b64 s[2:3], s[54:55], exec
	s_and_b64 s[8:9], s[58:59], exec
	s_or_b64 s[54:55], s[2:3], s[8:9]
	s_or_b64 exec, exec, s[56:57]
	s_mov_b64 s[2:3], 0
	s_and_saveexec_b64 s[8:9], s[54:55]
	s_cbranch_execz .LBB127_270
.LBB127_902:
	s_mov_b64 s[2:3], exec
	s_andn2_b64 s[60:61], s[60:61], exec
	s_trap 2
	s_or_b64 exec, exec, s[8:9]
	s_and_saveexec_b64 s[8:9], s[60:61]
	s_xor_b64 s[8:9], exec, s[8:9]
	s_cbranch_execnz .LBB127_271
.LBB127_903:
	s_or_b64 exec, exec, s[8:9]
	s_and_saveexec_b64 s[8:9], s[10:11]
	s_cbranch_execz .LBB127_949
.LBB127_904:
	s_sext_i32_i16 s10, s14
	s_cmp_lt_i32 s10, 5
	s_cbranch_scc1 .LBB127_909
; %bb.905:
	s_cmp_lt_i32 s10, 8
	s_cbranch_scc1 .LBB127_910
; %bb.906:
	;; [unrolled: 3-line block ×3, first 2 shown]
	s_cmp_gt_i32 s10, 9
	s_cbranch_scc0 .LBB127_912
; %bb.908:
	global_load_dwordx2 v[3:4], v[1:2], off
	s_movk_i32 s10, 0xffe0
	s_waitcnt vmcnt(0)
	v_trunc_f64_e32 v[3:4], v[3:4]
	v_ldexp_f64 v[5:6], v[3:4], s10
	s_mov_b32 s10, 0
	s_mov_b32 s11, 0xc1f00000
	v_floor_f64_e32 v[5:6], v[5:6]
	v_fma_f64 v[3:4], v[5:6], s[10:11], v[3:4]
	s_mov_b64 s[10:11], 0
	v_cvt_u32_f64_e32 v3, v[3:4]
	s_branch .LBB127_913
.LBB127_909:
                                        ; implicit-def: $vgpr3
	s_branch .LBB127_930
.LBB127_910:
                                        ; implicit-def: $vgpr3
	s_branch .LBB127_919
.LBB127_911:
	s_mov_b64 s[10:11], -1
                                        ; implicit-def: $vgpr3
	s_branch .LBB127_916
.LBB127_912:
	s_mov_b64 s[10:11], -1
                                        ; implicit-def: $vgpr3
.LBB127_913:
	s_andn2_b64 vcc, exec, s[10:11]
	s_cbranch_vccnz .LBB127_915
; %bb.914:
	global_load_dword v3, v[1:2], off
	s_mov_b32 s10, 0x2f800000
	s_waitcnt vmcnt(0)
	v_trunc_f32_e32 v3, v3
	v_mul_f32_e64 v4, |v3|, s10
	v_floor_f32_e32 v4, v4
	s_mov_b32 s10, 0xcf800000
	v_fma_f32 v4, v4, s10, |v3|
	v_cvt_u32_f32_e32 v4, v4
	v_ashrrev_i32_e32 v3, 31, v3
	v_xor_b32_e32 v4, v4, v3
	v_sub_u32_e32 v3, v4, v3
.LBB127_915:
	s_mov_b64 s[10:11], 0
.LBB127_916:
	s_andn2_b64 vcc, exec, s[10:11]
	s_cbranch_vccnz .LBB127_918
; %bb.917:
	global_load_dword v3, v[1:2], off
	s_waitcnt vmcnt(0)
	v_cvt_f32_f16_e32 v3, v3
	v_cvt_i32_f32_e32 v3, v3
.LBB127_918:
	s_cbranch_execnz .LBB127_929
.LBB127_919:
	s_sext_i32_i16 s10, s14
	s_cmp_lt_i32 s10, 6
	s_cbranch_scc1 .LBB127_922
; %bb.920:
	s_cmp_gt_i32 s10, 6
	s_cbranch_scc0 .LBB127_923
; %bb.921:
	global_load_dwordx2 v[3:4], v[1:2], off
	s_movk_i32 s10, 0xffe0
	s_waitcnt vmcnt(0)
	v_trunc_f64_e32 v[3:4], v[3:4]
	v_ldexp_f64 v[5:6], v[3:4], s10
	s_mov_b32 s10, 0
	s_mov_b32 s11, 0xc1f00000
	v_floor_f64_e32 v[5:6], v[5:6]
	v_fma_f64 v[3:4], v[5:6], s[10:11], v[3:4]
	s_mov_b64 s[10:11], 0
	v_cvt_u32_f64_e32 v3, v[3:4]
	s_branch .LBB127_924
.LBB127_922:
	s_mov_b64 s[10:11], -1
                                        ; implicit-def: $vgpr3
	s_branch .LBB127_927
.LBB127_923:
	s_mov_b64 s[10:11], -1
                                        ; implicit-def: $vgpr3
.LBB127_924:
	s_andn2_b64 vcc, exec, s[10:11]
	s_cbranch_vccnz .LBB127_926
; %bb.925:
	global_load_dword v3, v[1:2], off
	s_mov_b32 s10, 0x2f800000
	s_waitcnt vmcnt(0)
	v_trunc_f32_e32 v3, v3
	v_mul_f32_e64 v4, |v3|, s10
	v_floor_f32_e32 v4, v4
	s_mov_b32 s10, 0xcf800000
	v_fma_f32 v4, v4, s10, |v3|
	v_cvt_u32_f32_e32 v4, v4
	v_ashrrev_i32_e32 v3, 31, v3
	v_xor_b32_e32 v4, v4, v3
	v_sub_u32_e32 v3, v4, v3
.LBB127_926:
	s_mov_b64 s[10:11], 0
.LBB127_927:
	s_andn2_b64 vcc, exec, s[10:11]
	s_cbranch_vccnz .LBB127_929
; %bb.928:
	global_load_ushort v3, v[1:2], off
	s_waitcnt vmcnt(0)
	v_cvt_f32_f16_e32 v3, v3
	v_cvt_i32_f32_e32 v3, v3
.LBB127_929:
	s_cbranch_execnz .LBB127_948
.LBB127_930:
	s_sext_i32_i16 s10, s14
	s_cmp_lt_i32 s10, 2
	s_cbranch_scc1 .LBB127_934
; %bb.931:
	s_cmp_lt_i32 s10, 3
	s_cbranch_scc1 .LBB127_935
; %bb.932:
	s_cmp_gt_i32 s10, 3
	s_cbranch_scc0 .LBB127_936
; %bb.933:
	global_load_dwordx2 v[3:4], v[1:2], off
	s_mov_b64 s[10:11], 0
	s_branch .LBB127_937
.LBB127_934:
                                        ; implicit-def: $vgpr3
	s_branch .LBB127_943
.LBB127_935:
	s_mov_b64 s[10:11], -1
                                        ; implicit-def: $vgpr3
	s_branch .LBB127_940
.LBB127_936:
	s_mov_b64 s[10:11], -1
                                        ; implicit-def: $vgpr3
.LBB127_937:
	s_andn2_b64 vcc, exec, s[10:11]
	s_cbranch_vccnz .LBB127_939
; %bb.938:
	global_load_dword v3, v[1:2], off
.LBB127_939:
	s_mov_b64 s[10:11], 0
.LBB127_940:
	s_andn2_b64 vcc, exec, s[10:11]
	s_cbranch_vccnz .LBB127_942
; %bb.941:
	global_load_ushort v3, v[1:2], off
.LBB127_942:
	s_cbranch_execnz .LBB127_948
.LBB127_943:
	s_sext_i32_i16 s10, s14
	s_cmp_gt_i32 s10, 0
	s_cbranch_scc0 .LBB127_945
; %bb.944:
	global_load_ubyte v3, v[1:2], off
	s_mov_b64 s[10:11], 0
	s_branch .LBB127_946
.LBB127_945:
	s_mov_b64 s[10:11], -1
                                        ; implicit-def: $vgpr3
.LBB127_946:
	s_andn2_b64 vcc, exec, s[10:11]
	s_cbranch_vccnz .LBB127_948
; %bb.947:
	global_load_ubyte v3, v[1:2], off
.LBB127_948:
	s_or_b64 s[0:1], s[0:1], exec
.LBB127_949:
	s_or_b64 exec, exec, s[8:9]
	s_mov_b64 s[12:13], 0
	s_mov_b64 s[10:11], 0
                                        ; implicit-def: $sgpr18
                                        ; implicit-def: $vgpr1_vgpr2
                                        ; implicit-def: $vgpr4
	s_and_saveexec_b64 s[8:9], s[0:1]
	s_cbranch_execz .LBB127_1024
; %bb.950:
	s_and_b32 s0, s74, 0xff
	v_mov_b32_e32 v2, 8
	s_waitcnt vmcnt(0)
	v_lshrrev_b16_sdwa v1, v3, s0 dst_sel:DWORD dst_unused:UNUSED_PAD src0_sel:BYTE_0 src1_sel:DWORD
	v_cmp_lt_u16_sdwa vcc, v3, v2 src0_sel:BYTE_0 src1_sel:DWORD
	v_cndmask_b32_e32 v4, 0, v1, vcc
	s_waitcnt lgkmcnt(0)
	v_mov_b32_e32 v2, s25
	s_and_b32 s18, s73, 0xff
	v_add_co_u32_e32 v1, vcc, s24, v0
	s_cmp_lt_i32 s18, 11
	v_addc_co_u32_e32 v2, vcc, 0, v2, vcc
	s_cbranch_scc1 .LBB127_1027
; %bb.951:
	s_and_b32 s19, 0xffff, s18
	s_mov_b64 s[12:13], -1
	s_cmp_gt_i32 s19, 25
	s_mov_b64 s[0:1], s[52:53]
	s_cbranch_scc0 .LBB127_984
; %bb.952:
	s_mov_b64 s[10:11], -1
	s_cmp_gt_i32 s19, 28
	s_mov_b64 s[0:1], s[52:53]
	s_cbranch_scc0 .LBB127_968
; %bb.953:
	s_cmp_gt_i32 s19, 43
	s_mov_b64 s[0:1], s[52:53]
	s_cbranch_scc0 .LBB127_964
; %bb.954:
	;; [unrolled: 4-line block ×3, first 2 shown]
	s_cmp_eq_u32 s19, 46
	s_mov_b64 s[0:1], -1
	s_cbranch_scc0 .LBB127_957
; %bb.956:
	v_cvt_f32_ubyte0_e32 v0, v4
	v_bfe_u32 v3, v0, 16, 1
	s_movk_i32 s0, 0x7fff
	v_add3_u32 v0, v0, v3, s0
	v_lshrrev_b32_e32 v0, 16, v0
	global_store_dword v[1:2], v0, off
	s_mov_b64 s[0:1], 0
.LBB127_957:
	s_mov_b64 s[10:11], 0
.LBB127_958:
	s_and_b64 vcc, exec, s[10:11]
	s_cbranch_vccz .LBB127_963
; %bb.959:
	s_cmp_eq_u32 s19, 44
	s_mov_b64 s[0:1], -1
	s_cbranch_scc0 .LBB127_963
; %bb.960:
	v_cvt_f32_ubyte0_e32 v3, v4
	v_lshrrev_b32_e32 v0, 23, v3
	s_movk_i32 s0, 0xff
	v_cmp_ne_u32_e32 vcc, s0, v0
	v_mov_b32_e32 v5, 0xff
	s_and_saveexec_b64 s[10:11], vcc
; %bb.961:
	s_mov_b32 s0, 0x3fffff
	v_and_b32_e32 v5, 0x400000, v3
	v_and_or_b32 v3, v3, s0, v0
	v_cmp_ne_u32_e32 vcc, 0, v5
	v_cmp_ne_u32_e64 s[0:1], 0, v3
	s_and_b64 s[0:1], vcc, s[0:1]
	v_cndmask_b32_e64 v3, 0, 1, s[0:1]
	v_add_u32_e32 v5, v0, v3
; %bb.962:
	s_or_b64 exec, exec, s[10:11]
	s_mov_b64 s[0:1], 0
	global_store_byte v[1:2], v5, off
.LBB127_963:
	s_mov_b64 s[10:11], 0
.LBB127_964:
	s_and_b64 vcc, exec, s[10:11]
	s_cbranch_vccz .LBB127_967
; %bb.965:
	s_cmp_eq_u32 s19, 29
	s_mov_b64 s[0:1], -1
	s_cbranch_scc0 .LBB127_967
; %bb.966:
	s_mov_b32 s0, 0
	v_and_b32_e32 v5, 0xffff, v4
	v_mov_b32_e32 v6, s0
	global_store_dwordx2 v[1:2], v[5:6], off
	s_mov_b64 s[0:1], 0
.LBB127_967:
	s_mov_b64 s[10:11], 0
.LBB127_968:
	s_and_b64 vcc, exec, s[10:11]
	s_cbranch_vccz .LBB127_983
; %bb.969:
	s_cmp_lt_i32 s19, 27
	s_mov_b64 s[10:11], -1
	s_cbranch_scc1 .LBB127_975
; %bb.970:
	s_cmp_gt_i32 s19, 27
	s_cbranch_scc0 .LBB127_972
; %bb.971:
	v_and_b32_e32 v0, 0xffff, v4
	s_mov_b64 s[10:11], 0
	global_store_dword v[1:2], v0, off
.LBB127_972:
	s_andn2_b64 vcc, exec, s[10:11]
	s_cbranch_vccnz .LBB127_974
; %bb.973:
	global_store_short v[1:2], v4, off
.LBB127_974:
	s_mov_b64 s[10:11], 0
.LBB127_975:
	s_andn2_b64 vcc, exec, s[10:11]
	s_cbranch_vccnz .LBB127_983
; %bb.976:
	v_cvt_f32_ubyte0_e32 v3, v4
	s_mov_b32 s10, 0x43800000
	v_cmp_gt_u32_e32 vcc, s10, v3
	v_mov_b32_e32 v5, 0x80
	s_and_saveexec_b64 s[10:11], vcc
	s_cbranch_execz .LBB127_982
; %bb.977:
	s_mov_b32 s12, 0x3bffffff
	v_cmp_lt_u32_e32 vcc, s12, v3
	s_mov_b64 s[12:13], 0
                                        ; implicit-def: $vgpr0
	s_and_saveexec_b64 s[14:15], vcc
	s_xor_b64 s[14:15], exec, s[14:15]
	s_cbranch_execz .LBB127_1140
; %bb.978:
	v_bfe_u32 v0, v3, 20, 1
	s_mov_b32 s16, 0x487ffff
	v_add3_u32 v0, v3, v0, s16
	s_mov_b64 s[12:13], exec
	v_lshrrev_b32_e32 v0, 20, v0
                                        ; implicit-def: $vgpr3
	s_andn2_saveexec_b64 s[14:15], s[14:15]
	s_cbranch_execnz .LBB127_1141
.LBB127_979:
	s_or_b64 exec, exec, s[14:15]
	v_mov_b32_e32 v5, 0
	s_and_saveexec_b64 s[14:15], s[12:13]
.LBB127_980:
	v_mov_b32_e32 v5, v0
.LBB127_981:
	s_or_b64 exec, exec, s[14:15]
.LBB127_982:
	s_or_b64 exec, exec, s[10:11]
	global_store_byte v[1:2], v5, off
.LBB127_983:
	s_mov_b64 s[12:13], 0
.LBB127_984:
	s_mov_b64 s[10:11], 0
	s_and_b64 vcc, exec, s[12:13]
	s_cbranch_vccz .LBB127_1028
; %bb.985:
	s_cmp_gt_i32 s19, 22
	s_mov_b64 s[12:13], -1
	s_cbranch_scc0 .LBB127_1017
; %bb.986:
	s_cmp_lt_i32 s19, 24
	s_cbranch_scc1 .LBB127_1006
; %bb.987:
	s_cmp_gt_i32 s19, 24
	s_cbranch_scc0 .LBB127_995
; %bb.988:
	v_cvt_f32_ubyte0_e32 v3, v4
	s_mov_b32 s12, 0x47800000
	v_cmp_gt_u32_e32 vcc, s12, v3
	v_mov_b32_e32 v5, 0x80
	s_and_saveexec_b64 s[12:13], vcc
	s_cbranch_execz .LBB127_994
; %bb.989:
	s_mov_b32 s14, 0x37ffffff
	v_cmp_lt_u32_e32 vcc, s14, v3
	s_mov_b64 s[14:15], 0
                                        ; implicit-def: $vgpr0
	s_and_saveexec_b64 s[16:17], vcc
	s_xor_b64 s[16:17], exec, s[16:17]
	s_cbranch_execz .LBB127_1260
; %bb.990:
	v_bfe_u32 v0, v3, 21, 1
	s_mov_b32 s20, 0x88fffff
	v_add3_u32 v0, v3, v0, s20
	s_mov_b64 s[14:15], exec
	v_lshrrev_b32_e32 v0, 21, v0
                                        ; implicit-def: $vgpr3
	s_andn2_saveexec_b64 s[16:17], s[16:17]
	s_cbranch_execnz .LBB127_1261
.LBB127_991:
	s_or_b64 exec, exec, s[16:17]
	v_mov_b32_e32 v5, 0
	s_and_saveexec_b64 s[16:17], s[14:15]
.LBB127_992:
	v_mov_b32_e32 v5, v0
.LBB127_993:
	s_or_b64 exec, exec, s[16:17]
.LBB127_994:
	s_or_b64 exec, exec, s[12:13]
	s_mov_b64 s[12:13], 0
	global_store_byte v[1:2], v5, off
.LBB127_995:
	s_and_b64 vcc, exec, s[12:13]
	s_cbranch_vccz .LBB127_1005
; %bb.996:
	v_cvt_f32_ubyte0_e32 v0, v4
	s_mov_b32 s12, 0x43f00000
	v_cmp_gt_u32_e32 vcc, s12, v0
                                        ; implicit-def: $vgpr3
	s_and_saveexec_b64 s[12:13], vcc
	s_xor_b64 s[12:13], exec, s[12:13]
	s_cbranch_execz .LBB127_1002
; %bb.997:
	s_mov_b32 s14, 0x3c7fffff
	v_cmp_lt_u32_e32 vcc, s14, v0
                                        ; implicit-def: $vgpr3
	s_and_saveexec_b64 s[14:15], vcc
	s_xor_b64 s[14:15], exec, s[14:15]
; %bb.998:
	v_bfe_u32 v3, v0, 20, 1
	s_mov_b32 s16, 0x407ffff
	v_add3_u32 v0, v0, v3, s16
	v_lshrrev_b32_e32 v3, 20, v0
	v_and_b32_e32 v0, 0xff00000, v0
	s_mov_b32 s16, 0x7f00000
	v_mov_b32_e32 v5, 0x7e
	v_cmp_ne_u32_e32 vcc, s16, v0
	v_cndmask_b32_e32 v3, v5, v3, vcc
                                        ; implicit-def: $vgpr0
; %bb.999:
	s_andn2_saveexec_b64 s[14:15], s[14:15]
; %bb.1000:
	v_add_f32_e32 v3, 0x46800000, v0
; %bb.1001:
	s_or_b64 exec, exec, s[14:15]
                                        ; implicit-def: $vgpr0
.LBB127_1002:
	s_andn2_saveexec_b64 s[12:13], s[12:13]
; %bb.1003:
	s_mov_b32 s14, 0x7f800000
	v_mov_b32_e32 v3, 0x7e
	v_mov_b32_e32 v5, 0x7f
	v_cmp_lt_u32_e32 vcc, s14, v0
	v_cndmask_b32_e32 v3, v3, v5, vcc
; %bb.1004:
	s_or_b64 exec, exec, s[12:13]
	global_store_byte v[1:2], v3, off
.LBB127_1005:
	s_mov_b64 s[12:13], 0
.LBB127_1006:
	s_andn2_b64 vcc, exec, s[12:13]
	s_cbranch_vccnz .LBB127_1016
; %bb.1007:
	v_cvt_f32_ubyte0_e32 v0, v4
	s_mov_b32 s12, 0x47800000
	v_cmp_gt_u32_e32 vcc, s12, v0
                                        ; implicit-def: $vgpr3
	s_and_saveexec_b64 s[12:13], vcc
	s_xor_b64 s[12:13], exec, s[12:13]
	s_cbranch_execz .LBB127_1013
; %bb.1008:
	s_mov_b32 s14, 0x387fffff
	v_cmp_lt_u32_e32 vcc, s14, v0
                                        ; implicit-def: $vgpr3
	s_and_saveexec_b64 s[14:15], vcc
	s_xor_b64 s[14:15], exec, s[14:15]
; %bb.1009:
	v_bfe_u32 v3, v0, 21, 1
	s_mov_b32 s16, 0x80fffff
	v_add3_u32 v0, v0, v3, s16
	v_lshrrev_b32_e32 v3, 21, v0
                                        ; implicit-def: $vgpr0
; %bb.1010:
	s_andn2_saveexec_b64 s[14:15], s[14:15]
; %bb.1011:
	v_add_f32_e32 v3, 0x43000000, v0
; %bb.1012:
	s_or_b64 exec, exec, s[14:15]
                                        ; implicit-def: $vgpr0
.LBB127_1013:
	s_andn2_saveexec_b64 s[12:13], s[12:13]
; %bb.1014:
	s_mov_b32 s14, 0x7f800000
	v_mov_b32_e32 v3, 0x7c
	v_mov_b32_e32 v5, 0x7f
	v_cmp_lt_u32_e32 vcc, s14, v0
	v_cndmask_b32_e32 v3, v3, v5, vcc
; %bb.1015:
	s_or_b64 exec, exec, s[12:13]
	global_store_byte v[1:2], v3, off
.LBB127_1016:
	s_mov_b64 s[12:13], 0
.LBB127_1017:
	s_andn2_b64 vcc, exec, s[12:13]
	s_mov_b64 s[12:13], 0
	s_cbranch_vccnz .LBB127_1029
; %bb.1018:
	s_cmp_gt_i32 s19, 14
	s_mov_b64 s[14:15], -1
	s_cbranch_scc0 .LBB127_1022
; %bb.1019:
	s_cmp_eq_u32 s19, 15
	s_mov_b64 s[0:1], -1
	s_cbranch_scc0 .LBB127_1021
; %bb.1020:
	v_cvt_f32_ubyte0_e32 v0, v4
	v_bfe_u32 v3, v0, 16, 1
	s_movk_i32 s0, 0x7fff
	v_add3_u32 v0, v0, v3, s0
	global_store_short_d16_hi v[1:2], v0, off
	s_mov_b64 s[0:1], 0
.LBB127_1021:
	s_mov_b64 s[14:15], 0
.LBB127_1022:
	s_and_b64 vcc, exec, s[14:15]
	s_cbranch_vccz .LBB127_1029
; %bb.1023:
	s_cmp_lg_u32 s19, 11
	s_cselect_b64 s[14:15], -1, 0
	s_andn2_b64 s[0:1], s[0:1], exec
	s_and_b64 s[14:15], s[14:15], exec
	s_mov_b64 s[12:13], -1
	s_or_b64 s[0:1], s[0:1], s[14:15]
	s_branch .LBB127_1029
.LBB127_1024:
	s_or_b64 exec, exec, s[8:9]
	s_and_saveexec_b64 s[0:1], s[52:53]
	s_cbranch_execnz .LBB127_1030
.LBB127_1025:
	s_or_b64 exec, exec, s[0:1]
	s_and_saveexec_b64 s[0:1], s[12:13]
	s_xor_b64 s[0:1], exec, s[0:1]
	s_cbranch_execz .LBB127_1031
.LBB127_1026:
	v_mov_b32_e32 v0, 0
	s_waitcnt vmcnt(0)
	v_cmp_ne_u16_sdwa s[8:9], v4, v0 src0_sel:BYTE_0 src1_sel:DWORD
	v_cndmask_b32_e64 v0, 0, 1, s[8:9]
	global_store_byte v[1:2], v0, off
	s_or_b64 exec, exec, s[0:1]
	s_and_saveexec_b64 s[0:1], s[10:11]
	s_xor_b64 s[0:1], exec, s[0:1]
	s_cbranch_execz .LBB127_1069
	s_branch .LBB127_1032
.LBB127_1027:
	s_mov_b64 s[10:11], -1
	s_mov_b64 s[0:1], s[52:53]
	s_branch .LBB127_1029
.LBB127_1028:
	s_mov_b64 s[12:13], 0
.LBB127_1029:
	s_andn2_b64 s[14:15], s[52:53], exec
	s_and_b64 s[0:1], s[0:1], exec
	s_and_b64 s[10:11], s[10:11], exec
	;; [unrolled: 1-line block ×3, first 2 shown]
	s_or_b64 s[52:53], s[14:15], s[0:1]
	s_or_b64 exec, exec, s[8:9]
	s_and_saveexec_b64 s[0:1], s[52:53]
	s_cbranch_execz .LBB127_1025
.LBB127_1030:
	s_or_b64 s[2:3], s[2:3], exec
	s_andn2_b64 s[12:13], s[12:13], exec
	s_trap 2
	s_or_b64 exec, exec, s[0:1]
	s_and_saveexec_b64 s[0:1], s[12:13]
	s_xor_b64 s[0:1], exec, s[0:1]
	s_cbranch_execnz .LBB127_1026
.LBB127_1031:
	s_or_b64 exec, exec, s[0:1]
	s_and_saveexec_b64 s[0:1], s[10:11]
	s_xor_b64 s[0:1], exec, s[0:1]
	s_cbranch_execz .LBB127_1069
.LBB127_1032:
	s_sext_i32_i16 s10, s18
	s_cmp_lt_i32 s10, 5
	s_mov_b64 s[8:9], -1
	s_cbranch_scc1 .LBB127_1053
; %bb.1033:
	s_cmp_lt_i32 s10, 8
	s_cbranch_scc1 .LBB127_1043
; %bb.1034:
	s_cmp_lt_i32 s10, 9
	s_cbranch_scc1 .LBB127_1040
; %bb.1035:
	s_cmp_gt_i32 s10, 9
	s_cbranch_scc0 .LBB127_1037
; %bb.1036:
	s_mov_b32 s8, 0xffff
	s_waitcnt vmcnt(0)
	v_and_b32_sdwa v0, s8, v4 dst_sel:DWORD dst_unused:UNUSED_PAD src0_sel:DWORD src1_sel:BYTE_0
	v_cvt_f64_u32_e32 v[5:6], v0
	v_mov_b32_e32 v7, 0
	v_mov_b32_e32 v8, v7
	s_mov_b64 s[8:9], 0
	global_store_dwordx4 v[1:2], v[5:8], off
.LBB127_1037:
	s_andn2_b64 vcc, exec, s[8:9]
	s_cbranch_vccnz .LBB127_1039
; %bb.1038:
	s_waitcnt vmcnt(0)
	v_cvt_f32_ubyte0_e32 v5, v4
	v_mov_b32_e32 v6, 0
	global_store_dwordx2 v[1:2], v[5:6], off
.LBB127_1039:
	s_mov_b64 s[8:9], 0
.LBB127_1040:
	s_andn2_b64 vcc, exec, s[8:9]
	s_cbranch_vccnz .LBB127_1042
; %bb.1041:
	s_waitcnt vmcnt(0)
	v_cvt_f16_u16_sdwa v0, v4 dst_sel:DWORD dst_unused:UNUSED_PAD src0_sel:BYTE_0
	global_store_dword v[1:2], v0, off
.LBB127_1042:
	s_mov_b64 s[8:9], 0
.LBB127_1043:
	s_andn2_b64 vcc, exec, s[8:9]
	s_cbranch_vccnz .LBB127_1052
; %bb.1044:
	s_sext_i32_i16 s10, s18
	s_cmp_lt_i32 s10, 6
	s_mov_b64 s[8:9], -1
	s_cbranch_scc1 .LBB127_1050
; %bb.1045:
	s_cmp_gt_i32 s10, 6
	s_cbranch_scc0 .LBB127_1047
; %bb.1046:
	s_mov_b32 s8, 0xffff
	s_waitcnt vmcnt(0)
	v_and_b32_sdwa v0, s8, v4 dst_sel:DWORD dst_unused:UNUSED_PAD src0_sel:DWORD src1_sel:BYTE_0
	v_cvt_f64_u32_e32 v[5:6], v0
	s_mov_b64 s[8:9], 0
	global_store_dwordx2 v[1:2], v[5:6], off
.LBB127_1047:
	s_andn2_b64 vcc, exec, s[8:9]
	s_cbranch_vccnz .LBB127_1049
; %bb.1048:
	s_waitcnt vmcnt(0)
	v_cvt_f32_ubyte0_e32 v0, v4
	global_store_dword v[1:2], v0, off
.LBB127_1049:
	s_mov_b64 s[8:9], 0
.LBB127_1050:
	s_andn2_b64 vcc, exec, s[8:9]
	s_cbranch_vccnz .LBB127_1052
; %bb.1051:
	s_waitcnt vmcnt(0)
	v_cvt_f16_u16_sdwa v0, v4 dst_sel:DWORD dst_unused:UNUSED_PAD src0_sel:BYTE_0
	global_store_short v[1:2], v0, off
.LBB127_1052:
	s_mov_b64 s[8:9], 0
.LBB127_1053:
	s_andn2_b64 vcc, exec, s[8:9]
	s_cbranch_vccnz .LBB127_1069
; %bb.1054:
	s_sext_i32_i16 s10, s18
	s_cmp_lt_i32 s10, 2
	s_mov_b64 s[8:9], -1
	s_cbranch_scc1 .LBB127_1064
; %bb.1055:
	s_cmp_lt_i32 s10, 3
	s_cbranch_scc1 .LBB127_1061
; %bb.1056:
	s_cmp_gt_i32 s10, 3
	s_cbranch_scc0 .LBB127_1058
; %bb.1057:
	s_waitcnt vmcnt(0)
	v_and_b32_e32 v5, 0xff, v4
	v_mov_b32_e32 v6, 0
	s_mov_b64 s[8:9], 0
	global_store_dwordx2 v[1:2], v[5:6], off
.LBB127_1058:
	s_andn2_b64 vcc, exec, s[8:9]
	s_cbranch_vccnz .LBB127_1060
; %bb.1059:
	s_waitcnt vmcnt(0)
	v_and_b32_e32 v0, 0xff, v4
	global_store_dword v[1:2], v0, off
.LBB127_1060:
	s_mov_b64 s[8:9], 0
.LBB127_1061:
	s_andn2_b64 vcc, exec, s[8:9]
	s_cbranch_vccnz .LBB127_1063
; %bb.1062:
	s_waitcnt vmcnt(0)
	v_and_b32_e32 v0, 0xff, v4
	global_store_short v[1:2], v0, off
.LBB127_1063:
	s_mov_b64 s[8:9], 0
.LBB127_1064:
	s_andn2_b64 vcc, exec, s[8:9]
	s_cbranch_vccnz .LBB127_1069
; %bb.1065:
	s_sext_i32_i16 s8, s18
	s_cmp_gt_i32 s8, 0
	s_mov_b64 s[8:9], -1
	s_cbranch_scc0 .LBB127_1067
; %bb.1066:
	s_mov_b64 s[8:9], 0
	s_waitcnt vmcnt(0)
	global_store_byte v[1:2], v4, off
.LBB127_1067:
	s_andn2_b64 vcc, exec, s[8:9]
	s_cbranch_vccnz .LBB127_1069
; %bb.1068:
	s_waitcnt vmcnt(0)
	global_store_byte v[1:2], v4, off
.LBB127_1069:
	s_or_b64 exec, exec, s[0:1]
	s_waitcnt lgkmcnt(0)
	s_and_b64 s[28:29], s[2:3], exec
                                        ; implicit-def: $vgpr13
                                        ; implicit-def: $vgpr11
.LBB127_1070:
	s_or_saveexec_b64 s[30:31], s[42:43]
	s_mov_b64 s[0:1], 0
                                        ; implicit-def: $vgpr0_vgpr1
                                        ; implicit-def: $sgpr14
                                        ; implicit-def: $vgpr2
	s_xor_b64 exec, exec, s[30:31]
	s_cbranch_execz .LBB127_2057
; %bb.1071:
	v_cndmask_b32_e64 v0, 0, 1, s[40:41]
	v_cmp_ne_u32_e64 s[0:1], 1, v0
	s_andn2_b64 vcc, exec, s[40:41]
	s_cbranch_vccnz .LBB127_1077
; %bb.1072:
	s_cmp_lg_u32 s33, 0
	s_mov_b32 s36, 0
	s_cbranch_scc0 .LBB127_1078
; %bb.1073:
	s_min_u32 s37, s72, 15
	s_add_i32 s37, s37, 1
	s_cmp_eq_u32 s72, 2
	s_cbranch_scc1 .LBB127_1079
; %bb.1074:
	s_and_b32 s36, s37, 28
	s_add_u32 s2, s34, 0xc4
	s_addc_u32 s3, s35, 0
	v_mov_b32_e32 v8, 0
	s_mov_b32 s38, 0
	s_mov_b64 s[6:7], s[34:35]
	v_mov_b32_e32 v6, 0
	v_mov_b32_e32 v0, v11
.LBB127_1075:                           ; =>This Inner Loop Header: Depth=1
	s_load_dwordx8 s[16:23], s[6:7], 0x4
	s_load_dwordx4 s[24:27], s[6:7], 0x24
	s_load_dwordx8 s[8:15], s[2:3], 0x0
	s_add_u32 s6, s6, 48
	s_addc_u32 s7, s7, 0
	s_waitcnt lgkmcnt(0)
	v_mul_hi_u32 v1, s17, v0
	s_add_i32 s38, s38, 4
	s_add_u32 s2, s2, 32
	s_addc_u32 s3, s3, 0
	v_add_u32_e32 v1, v0, v1
	v_lshrrev_b32_e32 v1, s18, v1
	v_mul_lo_u32 v2, v1, s16
	s_waitcnt vmcnt(0)
	v_mul_hi_u32 v3, s20, v1
	s_cmp_lg_u32 s36, s38
	v_sub_u32_e32 v0, v0, v2
	v_add_u32_e32 v2, v1, v3
	v_mul_lo_u32 v3, v0, s8
	v_mul_lo_u32 v4, v0, s9
	v_lshrrev_b32_e32 v0, s21, v2
	v_mul_lo_u32 v2, v0, s19
	v_mul_hi_u32 v5, s23, v0
	v_sub_u32_e32 v1, v1, v2
	v_add_u32_e32 v2, v0, v5
	v_lshrrev_b32_e32 v2, s24, v2
	v_mul_hi_u32 v7, s26, v2
	v_mul_lo_u32 v9, v2, s22
	v_mul_lo_u32 v5, v1, s10
	;; [unrolled: 1-line block ×3, first 2 shown]
	v_sub_u32_e32 v9, v0, v9
	v_add_u32_e32 v0, v2, v7
	v_lshrrev_b32_e32 v0, s27, v0
	v_mul_lo_u32 v7, v0, s25
	v_mul_lo_u32 v10, v9, s12
	;; [unrolled: 1-line block ×3, first 2 shown]
	v_add3_u32 v3, v3, v6, v5
	v_sub_u32_e32 v2, v2, v7
	v_mul_lo_u32 v7, v2, s14
	v_mul_lo_u32 v2, v2, s15
	v_add3_u32 v1, v4, v8, v1
	v_add3_u32 v6, v10, v3, v7
	;; [unrolled: 1-line block ×3, first 2 shown]
	s_cbranch_scc1 .LBB127_1075
; %bb.1076:
	s_and_b32 s8, s37, 3
	s_cmp_eq_u32 s8, 0
	s_cbranch_scc0 .LBB127_1080
	s_branch .LBB127_1082
.LBB127_1077:
                                        ; implicit-def: $vgpr6
                                        ; implicit-def: $vgpr8
	s_branch .LBB127_1083
.LBB127_1078:
	v_mov_b32_e32 v6, 0
	v_mov_b32_e32 v8, 0
	s_branch .LBB127_1082
.LBB127_1079:
	v_mov_b32_e32 v6, 0
	v_mov_b32_e32 v8, 0
	;; [unrolled: 1-line block ×3, first 2 shown]
	s_and_b32 s8, s37, 3
	s_cmp_eq_u32 s8, 0
	s_cbranch_scc1 .LBB127_1082
.LBB127_1080:
	s_lshl_b32 s2, s36, 3
	s_add_u32 s2, s34, s2
	s_addc_u32 s3, s35, 0
	s_add_u32 s2, s2, 0xc4
	s_addc_u32 s3, s3, 0
	s_mul_i32 s6, s36, 12
	s_add_u32 s6, s34, s6
	s_addc_u32 s7, s35, 0
.LBB127_1081:                           ; =>This Inner Loop Header: Depth=1
	s_load_dwordx2 s[10:11], s[6:7], 0x4
	s_load_dword s9, s[6:7], 0xc
	s_load_dwordx2 s[12:13], s[2:3], 0x0
	s_add_u32 s6, s6, 12
	s_addc_u32 s7, s7, 0
	s_waitcnt lgkmcnt(0)
	v_mul_hi_u32 v1, s11, v0
	s_add_u32 s2, s2, 8
	s_addc_u32 s3, s3, 0
	s_add_i32 s8, s8, -1
	v_add_u32_e32 v1, v0, v1
	v_lshrrev_b32_e32 v1, s9, v1
	v_mul_lo_u32 v2, v1, s10
	s_cmp_lg_u32 s8, 0
	v_sub_u32_e32 v0, v0, v2
	v_mad_u64_u32 v[6:7], s[10:11], v0, s12, v[6:7]
	v_mad_u64_u32 v[8:9], s[10:11], v0, s13, v[8:9]
	v_mov_b32_e32 v0, v1
	s_cbranch_scc1 .LBB127_1081
.LBB127_1082:
	s_cbranch_execnz .LBB127_1085
.LBB127_1083:
	s_load_dwordx4 s[8:11], s[34:35], 0x4
	s_load_dwordx2 s[2:3], s[34:35], 0xc4
	s_cmp_lt_u32 s33, 2
	s_waitcnt lgkmcnt(0)
	v_mul_hi_u32 v0, s9, v11
	v_add_u32_e32 v0, v11, v0
	v_lshrrev_b32_e32 v0, s10, v0
	v_mul_lo_u32 v1, v0, s8
	v_sub_u32_e32 v1, v11, v1
	v_mul_lo_u32 v6, v1, s2
	v_mul_lo_u32 v8, v1, s3
	s_cbranch_scc1 .LBB127_1085
; %bb.1084:
	s_load_dwordx4 s[8:11], s[34:35], 0x10
	s_load_dwordx2 s[2:3], s[34:35], 0xcc
	s_waitcnt lgkmcnt(0)
	v_mul_hi_u32 v1, s9, v0
	v_add_u32_e32 v1, v0, v1
	v_lshrrev_b32_e32 v1, s10, v1
	v_mul_lo_u32 v1, v1, s8
	v_sub_u32_e32 v0, v0, v1
	v_mad_u64_u32 v[6:7], s[6:7], v0, s2, v[6:7]
	v_mad_u64_u32 v[8:9], s[2:3], v0, s3, v[8:9]
.LBB127_1085:
	s_and_b64 vcc, exec, s[0:1]
	v_add_u32_e32 v0, 0x80, v11
	s_cbranch_vccnz .LBB127_1091
; %bb.1086:
	s_cmp_lg_u32 s33, 0
	s_mov_b32 s36, 0
	s_cbranch_scc0 .LBB127_1092
; %bb.1087:
	s_min_u32 s37, s72, 15
	s_add_i32 s37, s37, 1
	s_cmp_eq_u32 s72, 2
	s_cbranch_scc1 .LBB127_1093
; %bb.1088:
	s_and_b32 s36, s37, 28
	s_add_u32 s2, s34, 0xc4
	s_addc_u32 s3, s35, 0
	v_mov_b32_e32 v9, 0
	s_mov_b32 s38, 0
	s_mov_b64 s[6:7], s[34:35]
	s_waitcnt vmcnt(0)
	v_mov_b32_e32 v4, 0
	v_mov_b32_e32 v1, v0
.LBB127_1089:                           ; =>This Inner Loop Header: Depth=1
	s_load_dwordx8 s[16:23], s[6:7], 0x4
	s_load_dwordx4 s[24:27], s[6:7], 0x24
	s_load_dwordx8 s[8:15], s[2:3], 0x0
	s_add_u32 s6, s6, 48
	s_addc_u32 s7, s7, 0
	s_waitcnt lgkmcnt(0)
	v_mul_hi_u32 v2, s17, v1
	s_add_i32 s38, s38, 4
	s_add_u32 s2, s2, 32
	s_addc_u32 s3, s3, 0
	v_add_u32_e32 v2, v1, v2
	v_lshrrev_b32_e32 v2, s18, v2
	v_mul_lo_u32 v3, v2, s16
	v_mul_hi_u32 v5, s20, v2
	s_cmp_lg_u32 s36, s38
	v_sub_u32_e32 v1, v1, v3
	v_add_u32_e32 v3, v2, v5
	v_mul_lo_u32 v5, v1, s8
	v_mul_lo_u32 v7, v1, s9
	v_lshrrev_b32_e32 v1, s21, v3
	v_mul_lo_u32 v3, v1, s19
	v_mul_hi_u32 v10, s23, v1
	v_sub_u32_e32 v2, v2, v3
	v_add_u32_e32 v3, v1, v10
	v_lshrrev_b32_e32 v3, s24, v3
	v_mul_hi_u32 v12, s26, v3
	v_mul_lo_u32 v14, v3, s22
	v_mul_lo_u32 v10, v2, s10
	;; [unrolled: 1-line block ×3, first 2 shown]
	v_sub_u32_e32 v14, v1, v14
	v_add_u32_e32 v1, v3, v12
	v_lshrrev_b32_e32 v1, s27, v1
	v_mul_lo_u32 v12, v1, s25
	v_mul_lo_u32 v15, v14, s12
	;; [unrolled: 1-line block ×3, first 2 shown]
	v_add3_u32 v4, v5, v4, v10
	v_sub_u32_e32 v3, v3, v12
	v_mul_lo_u32 v12, v3, s14
	v_mul_lo_u32 v3, v3, s15
	v_add3_u32 v2, v7, v9, v2
	v_add3_u32 v4, v15, v4, v12
	;; [unrolled: 1-line block ×3, first 2 shown]
	s_cbranch_scc1 .LBB127_1089
; %bb.1090:
	s_and_b32 s8, s37, 3
	s_cmp_eq_u32 s8, 0
	s_cbranch_scc0 .LBB127_1094
	s_branch .LBB127_1096
.LBB127_1091:
                                        ; implicit-def: $vgpr4
                                        ; implicit-def: $vgpr9
	s_branch .LBB127_1097
.LBB127_1092:
	s_waitcnt vmcnt(0)
	v_mov_b32_e32 v4, 0
	v_mov_b32_e32 v9, 0
	s_branch .LBB127_1096
.LBB127_1093:
	s_waitcnt vmcnt(0)
	v_mov_b32_e32 v4, 0
	v_mov_b32_e32 v9, 0
	;; [unrolled: 1-line block ×3, first 2 shown]
	s_and_b32 s8, s37, 3
	s_cmp_eq_u32 s8, 0
	s_cbranch_scc1 .LBB127_1096
.LBB127_1094:
	s_lshl_b32 s2, s36, 3
	s_add_u32 s2, s34, s2
	s_addc_u32 s3, s35, 0
	s_add_u32 s2, s2, 0xc4
	s_addc_u32 s3, s3, 0
	s_mul_i32 s6, s36, 12
	s_add_u32 s6, s34, s6
	s_addc_u32 s7, s35, 0
.LBB127_1095:                           ; =>This Inner Loop Header: Depth=1
	s_load_dwordx2 s[10:11], s[6:7], 0x4
	s_load_dword s9, s[6:7], 0xc
	s_load_dwordx2 s[12:13], s[2:3], 0x0
	s_add_u32 s6, s6, 12
	s_addc_u32 s7, s7, 0
	s_waitcnt lgkmcnt(0)
	v_mul_hi_u32 v2, s11, v1
	s_add_u32 s2, s2, 8
	s_addc_u32 s3, s3, 0
	s_add_i32 s8, s8, -1
	v_add_u32_e32 v2, v1, v2
	v_lshrrev_b32_e32 v2, s9, v2
	v_mul_lo_u32 v3, v2, s10
	s_cmp_lg_u32 s8, 0
	v_sub_u32_e32 v1, v1, v3
	v_mad_u64_u32 v[4:5], s[10:11], v1, s12, v[4:5]
	v_mad_u64_u32 v[9:10], s[10:11], v1, s13, v[9:10]
	v_mov_b32_e32 v1, v2
	s_cbranch_scc1 .LBB127_1095
.LBB127_1096:
	s_cbranch_execnz .LBB127_1099
.LBB127_1097:
	s_load_dwordx4 s[8:11], s[34:35], 0x4
	s_load_dwordx2 s[2:3], s[34:35], 0xc4
	s_cmp_lt_u32 s33, 2
	s_waitcnt lgkmcnt(0)
	v_mul_hi_u32 v1, s9, v0
	v_add_u32_e32 v1, v0, v1
	v_lshrrev_b32_e32 v1, s10, v1
	v_mul_lo_u32 v2, v1, s8
	v_sub_u32_e32 v0, v0, v2
	s_waitcnt vmcnt(0)
	v_mul_lo_u32 v4, v0, s2
	v_mul_lo_u32 v9, v0, s3
	s_cbranch_scc1 .LBB127_1099
; %bb.1098:
	s_load_dwordx4 s[8:11], s[34:35], 0x10
	s_load_dwordx2 s[2:3], s[34:35], 0xcc
	s_waitcnt lgkmcnt(0)
	v_mul_hi_u32 v0, s9, v1
	v_add_u32_e32 v0, v1, v0
	v_lshrrev_b32_e32 v0, s10, v0
	v_mul_lo_u32 v0, v0, s8
	v_sub_u32_e32 v0, v1, v0
	v_mad_u64_u32 v[4:5], s[6:7], v0, s2, v[4:5]
	v_mad_u64_u32 v[9:10], s[2:3], v0, s3, v[9:10]
.LBB127_1099:
	s_and_b64 vcc, exec, s[0:1]
	v_add_u32_e32 v0, 0x100, v11
	s_cbranch_vccnz .LBB127_1105
; %bb.1100:
	s_cmp_lg_u32 s33, 0
	s_mov_b32 s36, 0
	s_cbranch_scc0 .LBB127_1106
; %bb.1101:
	s_min_u32 s37, s72, 15
	s_add_i32 s37, s37, 1
	s_cmp_eq_u32 s72, 2
	s_cbranch_scc1 .LBB127_1107
; %bb.1102:
	s_and_b32 s36, s37, 28
	s_add_u32 s2, s34, 0xc4
	s_addc_u32 s3, s35, 0
	v_mov_b32_e32 v10, 0
	s_mov_b32 s38, 0
	s_mov_b64 s[6:7], s[34:35]
	v_mov_b32_e32 v2, 0
	v_mov_b32_e32 v1, v0
.LBB127_1103:                           ; =>This Inner Loop Header: Depth=1
	s_load_dwordx8 s[16:23], s[6:7], 0x4
	s_load_dwordx4 s[24:27], s[6:7], 0x24
	s_load_dwordx8 s[8:15], s[2:3], 0x0
	s_add_u32 s6, s6, 48
	s_addc_u32 s7, s7, 0
	s_waitcnt vmcnt(0) lgkmcnt(0)
	v_mul_hi_u32 v3, s17, v1
	s_add_i32 s38, s38, 4
	s_add_u32 s2, s2, 32
	s_addc_u32 s3, s3, 0
	v_add_u32_e32 v3, v1, v3
	v_lshrrev_b32_e32 v3, s18, v3
	v_mul_lo_u32 v5, v3, s16
	v_mul_hi_u32 v7, s20, v3
	s_cmp_lg_u32 s36, s38
	v_sub_u32_e32 v1, v1, v5
	v_add_u32_e32 v5, v3, v7
	v_mul_lo_u32 v7, v1, s8
	v_mul_lo_u32 v11, v1, s9
	v_lshrrev_b32_e32 v1, s21, v5
	v_mul_lo_u32 v5, v1, s19
	v_mul_hi_u32 v12, s23, v1
	v_sub_u32_e32 v3, v3, v5
	v_add_u32_e32 v5, v1, v12
	v_lshrrev_b32_e32 v5, s24, v5
	v_mul_hi_u32 v14, s26, v5
	v_mul_lo_u32 v15, v5, s22
	v_mul_lo_u32 v12, v3, s10
	;; [unrolled: 1-line block ×3, first 2 shown]
	v_sub_u32_e32 v15, v1, v15
	v_add_u32_e32 v1, v5, v14
	v_lshrrev_b32_e32 v1, s27, v1
	v_mul_lo_u32 v14, v1, s25
	v_mul_lo_u32 v16, v15, s12
	;; [unrolled: 1-line block ×3, first 2 shown]
	v_add3_u32 v2, v7, v2, v12
	v_sub_u32_e32 v5, v5, v14
	v_mul_lo_u32 v14, v5, s14
	v_mul_lo_u32 v5, v5, s15
	v_add3_u32 v3, v11, v10, v3
	v_add3_u32 v2, v16, v2, v14
	;; [unrolled: 1-line block ×3, first 2 shown]
	s_cbranch_scc1 .LBB127_1103
; %bb.1104:
	s_and_b32 s8, s37, 3
	s_cmp_eq_u32 s8, 0
	s_cbranch_scc0 .LBB127_1108
	s_branch .LBB127_1110
.LBB127_1105:
                                        ; implicit-def: $vgpr2
                                        ; implicit-def: $vgpr10
	s_branch .LBB127_1111
.LBB127_1106:
	v_mov_b32_e32 v2, 0
	v_mov_b32_e32 v10, 0
	s_branch .LBB127_1110
.LBB127_1107:
	v_mov_b32_e32 v2, 0
	v_mov_b32_e32 v10, 0
	;; [unrolled: 1-line block ×3, first 2 shown]
	s_and_b32 s8, s37, 3
	s_cmp_eq_u32 s8, 0
	s_cbranch_scc1 .LBB127_1110
.LBB127_1108:
	s_lshl_b32 s2, s36, 3
	s_add_u32 s2, s34, s2
	s_addc_u32 s3, s35, 0
	s_add_u32 s2, s2, 0xc4
	s_addc_u32 s3, s3, 0
	s_mul_i32 s6, s36, 12
	s_add_u32 s6, s34, s6
	s_addc_u32 s7, s35, 0
.LBB127_1109:                           ; =>This Inner Loop Header: Depth=1
	s_load_dwordx2 s[10:11], s[6:7], 0x4
	s_load_dword s9, s[6:7], 0xc
	s_load_dwordx2 s[12:13], s[2:3], 0x0
	s_add_u32 s6, s6, 12
	s_addc_u32 s7, s7, 0
	s_waitcnt vmcnt(0) lgkmcnt(0)
	v_mul_hi_u32 v3, s11, v1
	s_add_u32 s2, s2, 8
	s_addc_u32 s3, s3, 0
	s_add_i32 s8, s8, -1
	v_add_u32_e32 v3, v1, v3
	v_lshrrev_b32_e32 v5, s9, v3
	v_mul_lo_u32 v3, v5, s10
	s_cmp_lg_u32 s8, 0
	v_sub_u32_e32 v1, v1, v3
	v_mad_u64_u32 v[2:3], s[10:11], v1, s12, v[2:3]
	v_mad_u64_u32 v[10:11], s[10:11], v1, s13, v[10:11]
	v_mov_b32_e32 v1, v5
	s_cbranch_scc1 .LBB127_1109
.LBB127_1110:
	s_cbranch_execnz .LBB127_1113
.LBB127_1111:
	s_load_dwordx4 s[8:11], s[34:35], 0x4
	s_load_dwordx2 s[2:3], s[34:35], 0xc4
	s_cmp_lt_u32 s33, 2
	s_waitcnt lgkmcnt(0)
	v_mul_hi_u32 v1, s9, v0
	v_add_u32_e32 v1, v0, v1
	v_lshrrev_b32_e32 v1, s10, v1
	v_mul_lo_u32 v2, v1, s8
	v_sub_u32_e32 v0, v0, v2
	v_mul_lo_u32 v2, v0, s2
	v_mul_lo_u32 v10, v0, s3
	s_cbranch_scc1 .LBB127_1113
; %bb.1112:
	s_load_dwordx4 s[8:11], s[34:35], 0x10
	s_load_dwordx2 s[2:3], s[34:35], 0xcc
	s_waitcnt lgkmcnt(0)
	v_mul_hi_u32 v0, s9, v1
	v_add_u32_e32 v0, v1, v0
	v_lshrrev_b32_e32 v0, s10, v0
	v_mul_lo_u32 v0, v0, s8
	v_sub_u32_e32 v0, v1, v0
	s_waitcnt vmcnt(0)
	v_mad_u64_u32 v[2:3], s[6:7], v0, s2, v[2:3]
	v_mad_u64_u32 v[10:11], s[2:3], v0, s3, v[10:11]
.LBB127_1113:
	s_and_b64 vcc, exec, s[0:1]
	s_cbranch_vccnz .LBB127_1119
; %bb.1114:
	s_cmp_lg_u32 s33, 0
	s_mov_b32 s26, 0
	s_cbranch_scc0 .LBB127_1120
; %bb.1115:
	s_min_u32 s27, s72, 15
	s_add_i32 s27, s27, 1
	s_cmp_eq_u32 s72, 2
	s_cbranch_scc1 .LBB127_1121
; %bb.1116:
	s_and_b32 s26, s27, 28
	s_add_u32 s6, s34, 0xc4
	s_addc_u32 s7, s35, 0
	v_mov_b32_e32 v11, 0
	s_mov_b32 s36, 0
	s_mov_b64 s[24:25], s[34:35]
	v_mov_b32_e32 v0, 0
	v_mov_b32_e32 v1, v13
.LBB127_1117:                           ; =>This Inner Loop Header: Depth=1
	s_load_dwordx8 s[16:23], s[24:25], 0x4
	s_load_dwordx4 s[0:3], s[24:25], 0x24
	s_load_dwordx8 s[8:15], s[6:7], 0x0
	s_add_u32 s24, s24, 48
	s_addc_u32 s25, s25, 0
	s_waitcnt vmcnt(0) lgkmcnt(0)
	v_mul_hi_u32 v3, s17, v1
	s_add_i32 s36, s36, 4
	s_add_u32 s6, s6, 32
	s_addc_u32 s7, s7, 0
	v_add_u32_e32 v3, v1, v3
	v_lshrrev_b32_e32 v3, s18, v3
	v_mul_lo_u32 v5, v3, s16
	v_mul_hi_u32 v7, s20, v3
	s_cmp_lg_u32 s26, s36
	v_sub_u32_e32 v1, v1, v5
	v_add_u32_e32 v5, v3, v7
	v_mul_lo_u32 v7, v1, s8
	v_mul_lo_u32 v12, v1, s9
	v_lshrrev_b32_e32 v1, s21, v5
	v_mul_lo_u32 v5, v1, s19
	v_mul_hi_u32 v14, s23, v1
	v_sub_u32_e32 v3, v3, v5
	v_add_u32_e32 v5, v1, v14
	v_lshrrev_b32_e32 v5, s0, v5
	v_mul_hi_u32 v15, s2, v5
	v_mul_lo_u32 v16, v5, s22
	v_mul_lo_u32 v14, v3, s10
	;; [unrolled: 1-line block ×3, first 2 shown]
	v_sub_u32_e32 v16, v1, v16
	v_add_u32_e32 v1, v5, v15
	v_lshrrev_b32_e32 v1, s3, v1
	v_mul_lo_u32 v15, v1, s1
	v_mul_lo_u32 v17, v16, s12
	;; [unrolled: 1-line block ×3, first 2 shown]
	v_add3_u32 v0, v7, v0, v14
	v_sub_u32_e32 v5, v5, v15
	v_mul_lo_u32 v15, v5, s14
	v_mul_lo_u32 v5, v5, s15
	v_add3_u32 v3, v12, v11, v3
	v_add3_u32 v0, v17, v0, v15
	;; [unrolled: 1-line block ×3, first 2 shown]
	s_cbranch_scc1 .LBB127_1117
; %bb.1118:
	s_and_b32 s6, s27, 3
	s_cmp_eq_u32 s6, 0
	s_cbranch_scc0 .LBB127_1122
	s_branch .LBB127_1124
.LBB127_1119:
                                        ; implicit-def: $vgpr0
                                        ; implicit-def: $vgpr11
	s_branch .LBB127_1125
.LBB127_1120:
	v_mov_b32_e32 v0, 0
	v_mov_b32_e32 v11, 0
	s_branch .LBB127_1124
.LBB127_1121:
	v_mov_b32_e32 v0, 0
	v_mov_b32_e32 v11, 0
	;; [unrolled: 1-line block ×3, first 2 shown]
	s_and_b32 s6, s27, 3
	s_cmp_eq_u32 s6, 0
	s_cbranch_scc1 .LBB127_1124
.LBB127_1122:
	s_lshl_b32 s0, s26, 3
	s_add_u32 s0, s34, s0
	s_addc_u32 s1, s35, 0
	s_add_u32 s0, s0, 0xc4
	s_addc_u32 s1, s1, 0
	s_mul_i32 s2, s26, 12
	s_add_u32 s2, s34, s2
	s_addc_u32 s3, s35, 0
.LBB127_1123:                           ; =>This Inner Loop Header: Depth=1
	s_load_dwordx2 s[8:9], s[2:3], 0x4
	s_load_dword s7, s[2:3], 0xc
	s_load_dwordx2 s[10:11], s[0:1], 0x0
	s_add_u32 s2, s2, 12
	s_addc_u32 s3, s3, 0
	s_waitcnt vmcnt(0) lgkmcnt(0)
	v_mul_hi_u32 v3, s9, v1
	s_add_u32 s0, s0, 8
	s_addc_u32 s1, s1, 0
	s_add_i32 s6, s6, -1
	v_add_u32_e32 v3, v1, v3
	v_lshrrev_b32_e32 v3, s7, v3
	v_mul_lo_u32 v5, v3, s8
	s_cmp_lg_u32 s6, 0
	v_sub_u32_e32 v5, v1, v5
	v_mad_u64_u32 v[0:1], s[8:9], v5, s10, v[0:1]
	v_mad_u64_u32 v[11:12], s[8:9], v5, s11, v[11:12]
	v_mov_b32_e32 v1, v3
	s_cbranch_scc1 .LBB127_1123
.LBB127_1124:
	s_cbranch_execnz .LBB127_1127
.LBB127_1125:
	s_load_dwordx4 s[0:3], s[34:35], 0x4
	s_load_dwordx2 s[6:7], s[34:35], 0xc4
	s_cmp_lt_u32 s33, 2
	s_waitcnt lgkmcnt(0)
	v_mul_hi_u32 v0, s1, v13
	v_add_u32_e32 v0, v13, v0
	v_lshrrev_b32_e32 v1, s2, v0
	v_mul_lo_u32 v0, v1, s0
	s_waitcnt vmcnt(0)
	v_sub_u32_e32 v3, v13, v0
	v_mul_lo_u32 v0, v3, s6
	v_mul_lo_u32 v11, v3, s7
	s_cbranch_scc1 .LBB127_1127
; %bb.1126:
	s_load_dwordx4 s[0:3], s[34:35], 0x10
	s_load_dwordx2 s[6:7], s[34:35], 0xcc
	s_waitcnt lgkmcnt(0)
	v_mul_hi_u32 v3, s1, v1
	v_add_u32_e32 v3, v1, v3
	v_lshrrev_b32_e32 v3, s2, v3
	v_mul_lo_u32 v3, v3, s0
	v_sub_u32_e32 v3, v1, v3
	v_mad_u64_u32 v[0:1], s[0:1], v3, s6, v[0:1]
	v_mad_u64_u32 v[11:12], s[0:1], v3, s7, v[11:12]
.LBB127_1127:
	s_load_dword s14, s[4:5], 0x160
	s_load_dwordx4 s[8:11], s[34:35], 0x148
	s_waitcnt lgkmcnt(0)
	s_lshr_b32 s12, s14, 24
	v_mov_b32_e32 v1, s11
	v_add_co_u32_e32 v12, vcc, s10, v8
	s_cmp_lt_i32 s12, 11
	v_addc_co_u32_e32 v13, vcc, 0, v1, vcc
	s_cbranch_scc1 .LBB127_1134
; %bb.1128:
	s_and_b32 s13, 0xffff, s12
	s_cmp_gt_i32 s13, 25
	s_mov_b64 s[4:5], 0
	s_cbranch_scc0 .LBB127_1136
; %bb.1129:
	s_cmp_gt_i32 s13, 28
	s_cbranch_scc0 .LBB127_1137
; %bb.1130:
	s_cmp_gt_i32 s13, 43
	;; [unrolled: 3-line block ×3, first 2 shown]
	s_cbranch_scc0 .LBB127_1139
; %bb.1132:
	s_cmp_eq_u32 s13, 46
	s_mov_b64 s[2:3], 0
	s_cbranch_scc0 .LBB127_1142
; %bb.1133:
	global_load_dword v1, v[12:13], off
	s_mov_b32 s0, 0x2f800000
	s_mov_b32 s1, 0xcf800000
	s_mov_b64 s[6:7], -1
	s_waitcnt vmcnt(0)
	v_lshlrev_b32_e32 v1, 16, v1
	v_trunc_f32_e32 v1, v1
	v_mul_f32_e64 v3, |v1|, s0
	v_floor_f32_e32 v3, v3
	v_fma_f32 v3, v3, s1, |v1|
	v_cvt_u32_f32_e32 v3, v3
	v_ashrrev_i32_e32 v1, 31, v1
	s_mov_b64 s[0:1], 0
	v_xor_b32_e32 v3, v3, v1
	v_sub_u32_e32 v7, v3, v1
	s_branch .LBB127_1143
.LBB127_1134:
	s_mov_b64 s[6:7], 0
                                        ; implicit-def: $vgpr7
	s_mov_b64 s[2:3], s[28:29]
	s_cbranch_execnz .LBB127_1201
.LBB127_1135:
	s_andn2_b64 vcc, exec, s[6:7]
	s_cbranch_vccz .LBB127_1246
	s_branch .LBB127_2055
.LBB127_1136:
	s_mov_b64 s[6:7], 0
	s_mov_b64 s[0:1], 0
                                        ; implicit-def: $vgpr7
	s_cbranch_execnz .LBB127_1168
	s_branch .LBB127_1197
.LBB127_1137:
	s_mov_b64 s[6:7], 0
	s_mov_b64 s[0:1], 0
                                        ; implicit-def: $vgpr7
	s_cbranch_execz .LBB127_1167
	s_branch .LBB127_1152
.LBB127_1138:
	s_mov_b64 s[6:7], 0
	s_mov_b64 s[0:1], 0
                                        ; implicit-def: $vgpr7
	s_cbranch_execnz .LBB127_1148
	s_branch .LBB127_1151
.LBB127_1139:
	s_mov_b64 s[2:3], -1
	s_mov_b64 s[6:7], 0
	s_mov_b64 s[0:1], 0
                                        ; implicit-def: $vgpr7
	s_branch .LBB127_1143
.LBB127_1140:
	s_andn2_saveexec_b64 s[14:15], s[14:15]
	s_cbranch_execz .LBB127_979
.LBB127_1141:
	v_add_f32_e32 v0, 0x46000000, v3
	v_and_b32_e32 v0, 0xff, v0
	v_cmp_ne_u32_e32 vcc, 0, v0
	s_andn2_b64 s[12:13], s[12:13], exec
	s_and_b64 s[16:17], vcc, exec
	s_or_b64 s[12:13], s[12:13], s[16:17]
	s_or_b64 exec, exec, s[14:15]
	v_mov_b32_e32 v5, 0
	s_and_saveexec_b64 s[14:15], s[12:13]
	s_cbranch_execnz .LBB127_980
	s_branch .LBB127_981
.LBB127_1142:
	s_mov_b64 s[0:1], -1
                                        ; implicit-def: $vgpr7
	s_mov_b64 s[6:7], 0
.LBB127_1143:
	s_and_b64 vcc, exec, s[2:3]
	s_cbranch_vccz .LBB127_1146
; %bb.1144:
	s_cmp_eq_u32 s13, 44
	s_cbranch_scc0 .LBB127_1147
; %bb.1145:
	global_load_ubyte v1, v[12:13], off
	s_mov_b32 s0, 0x2f800000
	s_mov_b32 s1, 0xcf800000
	s_mov_b64 s[6:7], -1
	s_waitcnt vmcnt(0)
	v_lshlrev_b32_e32 v3, 23, v1
	v_trunc_f32_e32 v3, v3
	v_mul_f32_e64 v5, |v3|, s0
	v_floor_f32_e32 v5, v5
	v_fma_f32 v5, v5, s1, |v3|
	v_cvt_u32_f32_e32 v5, v5
	v_ashrrev_i32_e32 v3, 31, v3
	v_cmp_ne_u32_e32 vcc, 0, v1
	s_mov_b64 s[0:1], 0
	v_xor_b32_e32 v5, v5, v3
	v_sub_u32_e32 v3, v5, v3
	v_cndmask_b32_e32 v7, 0, v3, vcc
.LBB127_1146:
	s_branch .LBB127_1151
.LBB127_1147:
	s_mov_b64 s[0:1], -1
                                        ; implicit-def: $vgpr7
	s_branch .LBB127_1151
.LBB127_1148:
	s_cmp_eq_u32 s13, 29
	s_cbranch_scc0 .LBB127_1150
; %bb.1149:
	global_load_dwordx2 v[7:8], v[12:13], off
	s_mov_b64 s[0:1], 0
	s_mov_b64 s[6:7], -1
	s_branch .LBB127_1151
.LBB127_1150:
	s_mov_b64 s[0:1], -1
                                        ; implicit-def: $vgpr7
.LBB127_1151:
	s_branch .LBB127_1167
.LBB127_1152:
	s_cmp_lt_i32 s13, 27
	s_cbranch_scc1 .LBB127_1155
; %bb.1153:
	s_cmp_gt_i32 s13, 27
	s_cbranch_scc0 .LBB127_1156
; %bb.1154:
	global_load_dword v7, v[12:13], off
	s_mov_b64 s[2:3], 0
	s_branch .LBB127_1157
.LBB127_1155:
	s_mov_b64 s[2:3], -1
                                        ; implicit-def: $vgpr7
	s_branch .LBB127_1160
.LBB127_1156:
	s_mov_b64 s[2:3], -1
                                        ; implicit-def: $vgpr7
.LBB127_1157:
	s_andn2_b64 vcc, exec, s[2:3]
	s_cbranch_vccnz .LBB127_1159
; %bb.1158:
	global_load_ushort v7, v[12:13], off
.LBB127_1159:
	s_mov_b64 s[2:3], 0
.LBB127_1160:
	s_andn2_b64 vcc, exec, s[2:3]
	s_cbranch_vccnz .LBB127_1166
; %bb.1161:
	global_load_ubyte v1, v[12:13], off
	s_movk_i32 s2, 0x7f
	s_mov_b64 s[6:7], 0
	s_waitcnt vmcnt(0)
	v_cmp_lt_i16_e32 vcc, s2, v1
	s_and_saveexec_b64 s[2:3], vcc
	s_xor_b64 s[2:3], exec, s[2:3]
	s_cbranch_execz .LBB127_1177
; %bb.1162:
	s_movk_i32 s6, 0x80
	v_cmp_ne_u16_e32 vcc, s6, v1
	s_and_b64 s[6:7], vcc, exec
	s_andn2_saveexec_b64 s[2:3], s[2:3]
	s_cbranch_execnz .LBB127_1178
.LBB127_1163:
	s_or_b64 exec, exec, s[2:3]
	v_mov_b32_e32 v7, 0
	s_and_saveexec_b64 s[2:3], s[6:7]
	s_cbranch_execz .LBB127_1165
.LBB127_1164:
	v_lshlrev_b32_e32 v3, 24, v1
	v_and_b32_e32 v1, 0xffff, v1
	v_and_b32_e32 v5, 7, v1
	v_ffbh_u32_e32 v8, v5
	v_min_u32_e32 v8, 32, v8
	v_subrev_u32_e32 v14, 28, v8
	v_bfe_u32 v7, v1, 3, 4
	v_lshlrev_b32_e32 v1, v14, v1
	v_sub_u32_e32 v8, 29, v8
	v_and_b32_e32 v1, 7, v1
	v_cmp_eq_u32_e32 vcc, 0, v7
	v_cndmask_b32_e32 v7, v7, v8, vcc
	v_cndmask_b32_e32 v1, v5, v1, vcc
	v_mov_b32_e32 v5, 0x3b800000
	v_lshlrev_b32_e32 v1, 20, v1
	v_and_b32_e32 v3, 0x80000000, v3
	v_lshl_add_u32 v5, v7, 23, v5
	v_or3_b32 v1, v3, v5, v1
	v_trunc_f32_e32 v1, v1
	s_mov_b32 s6, 0x2f800000
	v_mul_f32_e64 v3, |v1|, s6
	v_floor_f32_e32 v3, v3
	s_mov_b32 s6, 0xcf800000
	v_fma_f32 v3, v3, s6, |v1|
	v_cvt_u32_f32_e32 v3, v3
	v_ashrrev_i32_e32 v1, 31, v1
	v_xor_b32_e32 v3, v3, v1
	v_sub_u32_e32 v7, v3, v1
.LBB127_1165:
	s_or_b64 exec, exec, s[2:3]
.LBB127_1166:
	s_mov_b64 s[6:7], -1
.LBB127_1167:
	s_branch .LBB127_1197
.LBB127_1168:
	s_cmp_gt_i32 s13, 22
	s_cbranch_scc0 .LBB127_1176
; %bb.1169:
	s_cmp_lt_i32 s13, 24
	s_cbranch_scc1 .LBB127_1179
; %bb.1170:
	s_cmp_gt_i32 s13, 24
	s_cbranch_scc0 .LBB127_1180
; %bb.1171:
	global_load_ubyte v1, v[12:13], off
	s_movk_i32 s2, 0x7f
	s_waitcnt vmcnt(0)
	v_cmp_lt_i16_e32 vcc, s2, v1
	s_and_saveexec_b64 s[2:3], vcc
	s_xor_b64 s[2:3], exec, s[2:3]
	s_cbranch_execz .LBB127_1191
; %bb.1172:
	s_movk_i32 s4, 0x80
	v_cmp_ne_u16_e32 vcc, s4, v1
	s_and_b64 s[4:5], vcc, exec
	s_andn2_saveexec_b64 s[2:3], s[2:3]
	s_cbranch_execnz .LBB127_1192
.LBB127_1173:
	s_or_b64 exec, exec, s[2:3]
	v_mov_b32_e32 v7, 0
	s_and_saveexec_b64 s[2:3], s[4:5]
	s_cbranch_execz .LBB127_1175
.LBB127_1174:
	v_lshlrev_b32_e32 v3, 24, v1
	v_and_b32_e32 v1, 0xffff, v1
	v_and_b32_e32 v5, 3, v1
	v_ffbh_u32_e32 v8, v5
	v_min_u32_e32 v8, 32, v8
	v_subrev_u32_e32 v14, 29, v8
	v_bfe_u32 v7, v1, 2, 5
	v_lshlrev_b32_e32 v1, v14, v1
	v_sub_u32_e32 v8, 30, v8
	v_and_b32_e32 v1, 3, v1
	v_cmp_eq_u32_e32 vcc, 0, v7
	v_cndmask_b32_e32 v7, v7, v8, vcc
	v_cndmask_b32_e32 v1, v5, v1, vcc
	v_mov_b32_e32 v5, 0x37800000
	v_lshlrev_b32_e32 v1, 21, v1
	v_and_b32_e32 v3, 0x80000000, v3
	v_lshl_add_u32 v5, v7, 23, v5
	v_or3_b32 v1, v3, v5, v1
	v_trunc_f32_e32 v1, v1
	s_mov_b32 s4, 0x2f800000
	v_mul_f32_e64 v3, |v1|, s4
	v_floor_f32_e32 v3, v3
	s_mov_b32 s4, 0xcf800000
	v_fma_f32 v3, v3, s4, |v1|
	v_cvt_u32_f32_e32 v3, v3
	v_ashrrev_i32_e32 v1, 31, v1
	v_xor_b32_e32 v3, v3, v1
	v_sub_u32_e32 v7, v3, v1
.LBB127_1175:
	s_or_b64 exec, exec, s[2:3]
	s_mov_b64 s[2:3], 0
	s_branch .LBB127_1181
.LBB127_1176:
                                        ; implicit-def: $vgpr7
	s_mov_b64 s[4:5], 0
	s_branch .LBB127_1187
.LBB127_1177:
	s_andn2_saveexec_b64 s[2:3], s[2:3]
	s_cbranch_execz .LBB127_1163
.LBB127_1178:
	v_cmp_ne_u16_e32 vcc, 0, v1
	s_andn2_b64 s[6:7], s[6:7], exec
	s_and_b64 s[16:17], vcc, exec
	s_or_b64 s[6:7], s[6:7], s[16:17]
	s_or_b64 exec, exec, s[2:3]
	v_mov_b32_e32 v7, 0
	s_and_saveexec_b64 s[2:3], s[6:7]
	s_cbranch_execnz .LBB127_1164
	s_branch .LBB127_1165
.LBB127_1179:
	s_mov_b64 s[2:3], -1
                                        ; implicit-def: $vgpr7
	s_branch .LBB127_1184
.LBB127_1180:
	s_mov_b64 s[2:3], -1
                                        ; implicit-def: $vgpr7
.LBB127_1181:
	s_and_b64 vcc, exec, s[2:3]
	s_cbranch_vccz .LBB127_1183
; %bb.1182:
	global_load_ubyte v1, v[12:13], off
	s_mov_b32 s2, 0x7f800000
	s_brev_b32 s3, 1
	s_mov_b32 s4, 0x2f800000
	s_waitcnt vmcnt(0)
	v_lshlrev_b32_e32 v1, 24, v1
	v_and_b32_e32 v3, 0x7f000000, v1
	v_ffbh_u32_e32 v5, v3
	v_min_u32_e32 v5, 32, v5
	v_sub_u32_e64 v5, v5, 4 clamp
	v_lshlrev_b32_e32 v8, v5, v3
	v_lshlrev_b32_e32 v5, 23, v5
	v_lshrrev_b32_e32 v8, 4, v8
	v_add_u32_e32 v7, 0x1000000, v3
	v_sub_u32_e32 v5, v8, v5
	v_ashrrev_i32_e32 v7, 8, v7
	v_add_u32_e32 v5, 0x3c000000, v5
	v_and_or_b32 v5, v7, s2, v5
	v_cmp_ne_u32_e32 vcc, 0, v3
	v_cndmask_b32_e32 v3, 0, v5, vcc
	v_and_or_b32 v1, v1, s3, v3
	v_trunc_f32_e32 v1, v1
	v_mul_f32_e64 v3, |v1|, s4
	v_floor_f32_e32 v3, v3
	s_mov_b32 s2, 0xcf800000
	v_fma_f32 v3, v3, s2, |v1|
	v_cvt_u32_f32_e32 v3, v3
	v_ashrrev_i32_e32 v1, 31, v1
	v_xor_b32_e32 v3, v3, v1
	v_sub_u32_e32 v7, v3, v1
.LBB127_1183:
	s_mov_b64 s[2:3], 0
.LBB127_1184:
	s_andn2_b64 vcc, exec, s[2:3]
	s_cbranch_vccnz .LBB127_1186
; %bb.1185:
	global_load_ubyte v1, v[12:13], off
	s_movk_i32 s2, 0x7f00
	s_brev_b32 s3, 16
	s_brev_b32 s4, 1
	s_mov_b32 s5, 0x2f800000
	s_waitcnt vmcnt(0)
	v_lshlrev_b16_e32 v3, 8, v1
	v_lshlrev_b32_e32 v1, 25, v1
	v_lshrrev_b32_e32 v5, 4, v1
	v_and_or_b32 v7, v3, s2, 0.5
	v_or_b32_e32 v5, 0x70000000, v5
	v_add_f32_e32 v7, -0.5, v7
	v_mul_f32_e32 v5, 0x7800000, v5
	v_cmp_gt_u32_e32 vcc, s3, v1
	v_bfe_i32 v3, v3, 0, 16
	v_cndmask_b32_e32 v1, v5, v7, vcc
	v_and_or_b32 v1, v3, s4, v1
	v_trunc_f32_e32 v1, v1
	v_mul_f32_e64 v3, |v1|, s5
	v_floor_f32_e32 v3, v3
	s_mov_b32 s2, 0xcf800000
	v_fma_f32 v3, v3, s2, |v1|
	v_cvt_u32_f32_e32 v3, v3
	v_ashrrev_i32_e32 v1, 31, v1
	v_xor_b32_e32 v3, v3, v1
	v_sub_u32_e32 v7, v3, v1
.LBB127_1186:
	s_mov_b64 s[6:7], -1
	s_mov_b64 s[4:5], 0
	s_cbranch_execnz .LBB127_1197
.LBB127_1187:
	s_cmp_gt_i32 s13, 14
	s_cbranch_scc0 .LBB127_1190
; %bb.1188:
	s_cmp_eq_u32 s13, 15
	s_cbranch_scc0 .LBB127_1193
; %bb.1189:
	global_load_ushort v1, v[12:13], off
	s_mov_b32 s0, 0x2f800000
	s_mov_b32 s1, 0xcf800000
	s_mov_b64 s[6:7], -1
	s_waitcnt vmcnt(0)
	v_lshlrev_b32_e32 v1, 16, v1
	v_trunc_f32_e32 v1, v1
	v_mul_f32_e64 v3, |v1|, s0
	v_floor_f32_e32 v3, v3
	v_fma_f32 v3, v3, s1, |v1|
	v_cvt_u32_f32_e32 v3, v3
	v_ashrrev_i32_e32 v1, 31, v1
	s_mov_b64 s[0:1], 0
	v_xor_b32_e32 v3, v3, v1
	v_sub_u32_e32 v7, v3, v1
	s_branch .LBB127_1194
.LBB127_1190:
	s_mov_b64 s[2:3], -1
                                        ; implicit-def: $vgpr7
	s_branch .LBB127_1195
.LBB127_1191:
	s_andn2_saveexec_b64 s[2:3], s[2:3]
	s_cbranch_execz .LBB127_1173
.LBB127_1192:
	v_cmp_ne_u16_e32 vcc, 0, v1
	s_andn2_b64 s[4:5], s[4:5], exec
	s_and_b64 s[6:7], vcc, exec
	s_or_b64 s[4:5], s[4:5], s[6:7]
	s_or_b64 exec, exec, s[2:3]
	v_mov_b32_e32 v7, 0
	s_and_saveexec_b64 s[2:3], s[4:5]
	s_cbranch_execnz .LBB127_1174
	s_branch .LBB127_1175
.LBB127_1193:
	s_mov_b64 s[0:1], -1
                                        ; implicit-def: $vgpr7
.LBB127_1194:
	s_mov_b64 s[2:3], 0
.LBB127_1195:
	s_and_b64 vcc, exec, s[2:3]
	s_cbranch_vccz .LBB127_1197
; %bb.1196:
	s_cmp_lg_u32 s13, 11
	s_mov_b64 s[4:5], -1
	s_cselect_b64 s[0:1], -1, 0
.LBB127_1197:
	s_and_b64 vcc, exec, s[0:1]
	s_mov_b64 s[2:3], s[28:29]
	s_cbranch_vccnz .LBB127_1258
; %bb.1198:
	s_andn2_b64 vcc, exec, s[4:5]
	s_cbranch_vccnz .LBB127_1200
.LBB127_1199:
	global_load_ubyte v1, v[12:13], off
	s_mov_b64 s[6:7], -1
	s_waitcnt vmcnt(0)
	v_cmp_ne_u16_e32 vcc, 0, v1
	v_cndmask_b32_e64 v7, 0, 1, vcc
.LBB127_1200:
	s_branch .LBB127_1135
.LBB127_1201:
	s_and_b32 s4, 0xffff, s12
	s_cmp_lt_i32 s4, 5
	s_cbranch_scc1 .LBB127_1206
; %bb.1202:
	s_cmp_lt_i32 s4, 8
	s_cbranch_scc1 .LBB127_1207
; %bb.1203:
	;; [unrolled: 3-line block ×3, first 2 shown]
	s_cmp_gt_i32 s4, 9
	s_cbranch_scc0 .LBB127_1209
; %bb.1205:
	global_load_dwordx2 v[7:8], v[12:13], off
	s_movk_i32 s0, 0xffe0
	s_waitcnt vmcnt(0)
	v_trunc_f64_e32 v[7:8], v[7:8]
	v_ldexp_f64 v[14:15], v[7:8], s0
	s_mov_b32 s0, 0
	s_mov_b32 s1, 0xc1f00000
	v_floor_f64_e32 v[14:15], v[14:15]
	v_fma_f64 v[7:8], v[14:15], s[0:1], v[7:8]
	s_mov_b64 s[0:1], 0
	v_cvt_u32_f64_e32 v7, v[7:8]
	s_branch .LBB127_1210
.LBB127_1206:
                                        ; implicit-def: $vgpr7
	s_branch .LBB127_1227
.LBB127_1207:
                                        ; implicit-def: $vgpr7
	s_branch .LBB127_1216
.LBB127_1208:
	s_mov_b64 s[0:1], -1
                                        ; implicit-def: $vgpr7
	s_branch .LBB127_1213
.LBB127_1209:
	s_mov_b64 s[0:1], -1
                                        ; implicit-def: $vgpr7
.LBB127_1210:
	s_andn2_b64 vcc, exec, s[0:1]
	s_cbranch_vccnz .LBB127_1212
; %bb.1211:
	global_load_dword v1, v[12:13], off
	s_mov_b32 s0, 0x2f800000
	s_waitcnt vmcnt(0)
	v_trunc_f32_e32 v1, v1
	v_mul_f32_e64 v3, |v1|, s0
	v_floor_f32_e32 v3, v3
	s_mov_b32 s0, 0xcf800000
	v_fma_f32 v3, v3, s0, |v1|
	v_cvt_u32_f32_e32 v3, v3
	v_ashrrev_i32_e32 v1, 31, v1
	v_xor_b32_e32 v3, v3, v1
	v_sub_u32_e32 v7, v3, v1
.LBB127_1212:
	s_mov_b64 s[0:1], 0
.LBB127_1213:
	s_andn2_b64 vcc, exec, s[0:1]
	s_cbranch_vccnz .LBB127_1215
; %bb.1214:
	global_load_dword v1, v[12:13], off
	s_waitcnt vmcnt(0)
	v_cvt_f32_f16_e32 v1, v1
	v_cvt_i32_f32_e32 v7, v1
.LBB127_1215:
	s_cbranch_execnz .LBB127_1226
.LBB127_1216:
	s_cmp_lt_i32 s4, 6
	s_cbranch_scc1 .LBB127_1219
; %bb.1217:
	s_cmp_gt_i32 s4, 6
	s_cbranch_scc0 .LBB127_1220
; %bb.1218:
	global_load_dwordx2 v[7:8], v[12:13], off
	s_movk_i32 s0, 0xffe0
	s_waitcnt vmcnt(0)
	v_trunc_f64_e32 v[7:8], v[7:8]
	v_ldexp_f64 v[14:15], v[7:8], s0
	s_mov_b32 s0, 0
	s_mov_b32 s1, 0xc1f00000
	v_floor_f64_e32 v[14:15], v[14:15]
	v_fma_f64 v[7:8], v[14:15], s[0:1], v[7:8]
	s_mov_b64 s[0:1], 0
	v_cvt_u32_f64_e32 v7, v[7:8]
	s_branch .LBB127_1221
.LBB127_1219:
	s_mov_b64 s[0:1], -1
                                        ; implicit-def: $vgpr7
	s_branch .LBB127_1224
.LBB127_1220:
	s_mov_b64 s[0:1], -1
                                        ; implicit-def: $vgpr7
.LBB127_1221:
	s_andn2_b64 vcc, exec, s[0:1]
	s_cbranch_vccnz .LBB127_1223
; %bb.1222:
	global_load_dword v1, v[12:13], off
	s_mov_b32 s0, 0x2f800000
	s_waitcnt vmcnt(0)
	v_trunc_f32_e32 v1, v1
	v_mul_f32_e64 v3, |v1|, s0
	v_floor_f32_e32 v3, v3
	s_mov_b32 s0, 0xcf800000
	v_fma_f32 v3, v3, s0, |v1|
	v_cvt_u32_f32_e32 v3, v3
	v_ashrrev_i32_e32 v1, 31, v1
	v_xor_b32_e32 v3, v3, v1
	v_sub_u32_e32 v7, v3, v1
.LBB127_1223:
	s_mov_b64 s[0:1], 0
.LBB127_1224:
	s_andn2_b64 vcc, exec, s[0:1]
	s_cbranch_vccnz .LBB127_1226
; %bb.1225:
	global_load_ushort v1, v[12:13], off
	s_waitcnt vmcnt(0)
	v_cvt_f32_f16_e32 v1, v1
	v_cvt_i32_f32_e32 v7, v1
.LBB127_1226:
	s_cbranch_execnz .LBB127_1245
.LBB127_1227:
	s_cmp_lt_i32 s4, 2
	s_cbranch_scc1 .LBB127_1231
; %bb.1228:
	s_cmp_lt_i32 s4, 3
	s_cbranch_scc1 .LBB127_1232
; %bb.1229:
	s_cmp_gt_i32 s4, 3
	s_cbranch_scc0 .LBB127_1233
; %bb.1230:
	global_load_dwordx2 v[7:8], v[12:13], off
	s_mov_b64 s[0:1], 0
	s_branch .LBB127_1234
.LBB127_1231:
                                        ; implicit-def: $vgpr7
	s_branch .LBB127_1240
.LBB127_1232:
	s_mov_b64 s[0:1], -1
                                        ; implicit-def: $vgpr7
	s_branch .LBB127_1237
.LBB127_1233:
	s_mov_b64 s[0:1], -1
                                        ; implicit-def: $vgpr7
.LBB127_1234:
	s_andn2_b64 vcc, exec, s[0:1]
	s_cbranch_vccnz .LBB127_1236
; %bb.1235:
	global_load_dword v7, v[12:13], off
.LBB127_1236:
	s_mov_b64 s[0:1], 0
.LBB127_1237:
	s_andn2_b64 vcc, exec, s[0:1]
	s_cbranch_vccnz .LBB127_1239
; %bb.1238:
	global_load_ushort v7, v[12:13], off
.LBB127_1239:
	s_cbranch_execnz .LBB127_1245
.LBB127_1240:
	s_cmp_gt_i32 s4, 0
	s_cbranch_scc0 .LBB127_1242
; %bb.1241:
	global_load_ubyte v7, v[12:13], off
	s_mov_b64 s[0:1], 0
	s_branch .LBB127_1243
.LBB127_1242:
	s_mov_b64 s[0:1], -1
                                        ; implicit-def: $vgpr7
.LBB127_1243:
	s_andn2_b64 vcc, exec, s[0:1]
	s_cbranch_vccnz .LBB127_1245
; %bb.1244:
	global_load_ubyte v7, v[12:13], off
.LBB127_1245:
.LBB127_1246:
	v_mov_b32_e32 v1, s11
	s_and_b32 s15, 0xffff, s12
	v_add_co_u32_e32 v12, vcc, s10, v9
	s_cmp_lt_i32 s15, 11
	v_addc_co_u32_e32 v13, vcc, 0, v1, vcc
	s_cbranch_scc1 .LBB127_1253
; %bb.1247:
	s_cmp_gt_i32 s15, 25
	s_mov_b64 s[4:5], 0
	s_cbranch_scc0 .LBB127_1255
; %bb.1248:
	s_cmp_gt_i32 s15, 28
	s_cbranch_scc0 .LBB127_1256
; %bb.1249:
	s_cmp_gt_i32 s15, 43
	;; [unrolled: 3-line block ×3, first 2 shown]
	s_cbranch_scc0 .LBB127_1259
; %bb.1251:
	s_cmp_eq_u32 s15, 46
	s_mov_b64 s[12:13], 0
	s_cbranch_scc0 .LBB127_1262
; %bb.1252:
	global_load_dword v1, v[12:13], off
	s_mov_b32 s0, 0x2f800000
	s_mov_b32 s1, 0xcf800000
	s_mov_b64 s[6:7], -1
	s_waitcnt vmcnt(0)
	v_lshlrev_b32_e32 v1, 16, v1
	v_trunc_f32_e32 v1, v1
	v_mul_f32_e64 v3, |v1|, s0
	v_floor_f32_e32 v3, v3
	v_fma_f32 v3, v3, s1, |v1|
	v_cvt_u32_f32_e32 v3, v3
	v_ashrrev_i32_e32 v1, 31, v1
	s_mov_b64 s[0:1], 0
	v_xor_b32_e32 v3, v3, v1
	v_sub_u32_e32 v8, v3, v1
	s_branch .LBB127_1263
.LBB127_1253:
	s_mov_b64 s[6:7], 0
                                        ; implicit-def: $vgpr8
	s_cbranch_execnz .LBB127_1324
.LBB127_1254:
	s_andn2_b64 vcc, exec, s[6:7]
	s_cbranch_vccnz .LBB127_2055
	s_branch .LBB127_1371
.LBB127_1255:
	s_mov_b64 s[6:7], 0
	s_mov_b64 s[0:1], 0
                                        ; implicit-def: $vgpr8
	s_cbranch_execnz .LBB127_1290
	s_branch .LBB127_1320
.LBB127_1256:
	s_mov_b64 s[12:13], -1
	s_mov_b64 s[6:7], 0
	s_mov_b64 s[0:1], 0
                                        ; implicit-def: $vgpr8
	s_branch .LBB127_1273
.LBB127_1257:
	s_mov_b64 s[12:13], -1
	s_mov_b64 s[6:7], 0
	s_mov_b64 s[0:1], 0
                                        ; implicit-def: $vgpr8
	s_branch .LBB127_1268
.LBB127_1258:
	s_or_b64 s[2:3], s[28:29], exec
	s_trap 2
	s_cbranch_execz .LBB127_1199
	s_branch .LBB127_1200
.LBB127_1259:
	s_mov_b64 s[12:13], -1
	s_mov_b64 s[6:7], 0
	s_mov_b64 s[0:1], 0
                                        ; implicit-def: $vgpr8
	s_branch .LBB127_1263
.LBB127_1260:
	s_andn2_saveexec_b64 s[16:17], s[16:17]
	s_cbranch_execz .LBB127_991
.LBB127_1261:
	v_add_f32_e32 v0, 0x42800000, v3
	v_and_b32_e32 v0, 0xff, v0
	v_cmp_ne_u32_e32 vcc, 0, v0
	s_andn2_b64 s[14:15], s[14:15], exec
	s_and_b64 s[20:21], vcc, exec
	s_or_b64 s[14:15], s[14:15], s[20:21]
	s_or_b64 exec, exec, s[16:17]
	v_mov_b32_e32 v5, 0
	s_and_saveexec_b64 s[16:17], s[14:15]
	s_cbranch_execnz .LBB127_992
	s_branch .LBB127_993
.LBB127_1262:
	s_mov_b64 s[0:1], -1
                                        ; implicit-def: $vgpr8
	s_mov_b64 s[6:7], 0
.LBB127_1263:
	s_and_b64 vcc, exec, s[12:13]
	s_cbranch_vccz .LBB127_1267
; %bb.1264:
	s_cmp_eq_u32 s15, 44
	s_cbranch_scc0 .LBB127_1266
; %bb.1265:
	global_load_ubyte v1, v[12:13], off
	s_mov_b32 s0, 0x2f800000
	s_mov_b32 s1, 0xcf800000
	s_mov_b64 s[6:7], -1
	s_waitcnt vmcnt(0)
	v_lshlrev_b32_e32 v3, 23, v1
	v_trunc_f32_e32 v3, v3
	v_mul_f32_e64 v5, |v3|, s0
	v_floor_f32_e32 v5, v5
	v_fma_f32 v5, v5, s1, |v3|
	v_cvt_u32_f32_e32 v5, v5
	v_ashrrev_i32_e32 v3, 31, v3
	v_cmp_ne_u32_e32 vcc, 0, v1
	s_mov_b64 s[0:1], 0
	v_xor_b32_e32 v5, v5, v3
	v_sub_u32_e32 v3, v5, v3
	v_cndmask_b32_e32 v8, 0, v3, vcc
	s_branch .LBB127_1267
.LBB127_1266:
	s_mov_b64 s[0:1], -1
                                        ; implicit-def: $vgpr8
.LBB127_1267:
	s_mov_b64 s[12:13], 0
.LBB127_1268:
	s_and_b64 vcc, exec, s[12:13]
	s_cbranch_vccz .LBB127_1272
; %bb.1269:
	s_cmp_eq_u32 s15, 29
	s_cbranch_scc0 .LBB127_1271
; %bb.1270:
	global_load_dwordx2 v[8:9], v[12:13], off
	s_mov_b64 s[0:1], 0
	s_mov_b64 s[6:7], -1
	s_branch .LBB127_1272
.LBB127_1271:
	s_mov_b64 s[0:1], -1
                                        ; implicit-def: $vgpr8
.LBB127_1272:
	s_mov_b64 s[12:13], 0
.LBB127_1273:
	s_and_b64 vcc, exec, s[12:13]
	s_cbranch_vccz .LBB127_1289
; %bb.1274:
	s_cmp_lt_i32 s15, 27
	s_cbranch_scc1 .LBB127_1277
; %bb.1275:
	s_cmp_gt_i32 s15, 27
	s_cbranch_scc0 .LBB127_1278
; %bb.1276:
	global_load_dword v8, v[12:13], off
	s_mov_b64 s[6:7], 0
	s_branch .LBB127_1279
.LBB127_1277:
	s_mov_b64 s[6:7], -1
                                        ; implicit-def: $vgpr8
	s_branch .LBB127_1282
.LBB127_1278:
	s_mov_b64 s[6:7], -1
                                        ; implicit-def: $vgpr8
.LBB127_1279:
	s_andn2_b64 vcc, exec, s[6:7]
	s_cbranch_vccnz .LBB127_1281
; %bb.1280:
	global_load_ushort v8, v[12:13], off
.LBB127_1281:
	s_mov_b64 s[6:7], 0
.LBB127_1282:
	s_andn2_b64 vcc, exec, s[6:7]
	s_cbranch_vccnz .LBB127_1288
; %bb.1283:
	global_load_ubyte v1, v[12:13], off
	s_movk_i32 s6, 0x7f
	s_mov_b64 s[12:13], 0
	s_waitcnt vmcnt(0)
	v_cmp_lt_i16_e32 vcc, s6, v1
	s_and_saveexec_b64 s[6:7], vcc
	s_xor_b64 s[6:7], exec, s[6:7]
	s_cbranch_execz .LBB127_1299
; %bb.1284:
	s_movk_i32 s12, 0x80
	v_cmp_ne_u16_e32 vcc, s12, v1
	s_and_b64 s[12:13], vcc, exec
	s_andn2_saveexec_b64 s[6:7], s[6:7]
	s_cbranch_execnz .LBB127_1300
.LBB127_1285:
	s_or_b64 exec, exec, s[6:7]
	v_mov_b32_e32 v8, 0
	s_and_saveexec_b64 s[6:7], s[12:13]
	s_cbranch_execz .LBB127_1287
.LBB127_1286:
	v_lshlrev_b32_e32 v3, 24, v1
	v_and_b32_e32 v1, 0xffff, v1
	v_and_b32_e32 v5, 7, v1
	v_ffbh_u32_e32 v9, v5
	v_min_u32_e32 v9, 32, v9
	v_subrev_u32_e32 v14, 28, v9
	v_bfe_u32 v8, v1, 3, 4
	v_lshlrev_b32_e32 v1, v14, v1
	v_sub_u32_e32 v9, 29, v9
	v_and_b32_e32 v1, 7, v1
	v_cmp_eq_u32_e32 vcc, 0, v8
	v_cndmask_b32_e32 v8, v8, v9, vcc
	v_cndmask_b32_e32 v1, v5, v1, vcc
	v_mov_b32_e32 v5, 0x3b800000
	v_lshlrev_b32_e32 v1, 20, v1
	v_and_b32_e32 v3, 0x80000000, v3
	v_lshl_add_u32 v5, v8, 23, v5
	v_or3_b32 v1, v3, v5, v1
	v_trunc_f32_e32 v1, v1
	s_mov_b32 s12, 0x2f800000
	v_mul_f32_e64 v3, |v1|, s12
	v_floor_f32_e32 v3, v3
	s_mov_b32 s12, 0xcf800000
	v_fma_f32 v3, v3, s12, |v1|
	v_cvt_u32_f32_e32 v3, v3
	v_ashrrev_i32_e32 v1, 31, v1
	v_xor_b32_e32 v3, v3, v1
	v_sub_u32_e32 v8, v3, v1
.LBB127_1287:
	s_or_b64 exec, exec, s[6:7]
.LBB127_1288:
	s_mov_b64 s[6:7], -1
.LBB127_1289:
	s_branch .LBB127_1320
.LBB127_1290:
	s_cmp_gt_i32 s15, 22
	s_cbranch_scc0 .LBB127_1298
; %bb.1291:
	s_cmp_lt_i32 s15, 24
	s_cbranch_scc1 .LBB127_1301
; %bb.1292:
	s_cmp_gt_i32 s15, 24
	s_cbranch_scc0 .LBB127_1302
; %bb.1293:
	global_load_ubyte v1, v[12:13], off
	s_movk_i32 s4, 0x7f
	s_mov_b64 s[6:7], 0
	s_waitcnt vmcnt(0)
	v_cmp_lt_i16_e32 vcc, s4, v1
	s_and_saveexec_b64 s[4:5], vcc
	s_xor_b64 s[4:5], exec, s[4:5]
	s_cbranch_execz .LBB127_1314
; %bb.1294:
	s_movk_i32 s6, 0x80
	v_cmp_ne_u16_e32 vcc, s6, v1
	s_and_b64 s[6:7], vcc, exec
	s_andn2_saveexec_b64 s[4:5], s[4:5]
	s_cbranch_execnz .LBB127_1315
.LBB127_1295:
	s_or_b64 exec, exec, s[4:5]
	v_mov_b32_e32 v8, 0
	s_and_saveexec_b64 s[4:5], s[6:7]
	s_cbranch_execz .LBB127_1297
.LBB127_1296:
	v_lshlrev_b32_e32 v3, 24, v1
	v_and_b32_e32 v1, 0xffff, v1
	v_and_b32_e32 v5, 3, v1
	v_ffbh_u32_e32 v9, v5
	v_min_u32_e32 v9, 32, v9
	v_subrev_u32_e32 v14, 29, v9
	v_bfe_u32 v8, v1, 2, 5
	v_lshlrev_b32_e32 v1, v14, v1
	v_sub_u32_e32 v9, 30, v9
	v_and_b32_e32 v1, 3, v1
	v_cmp_eq_u32_e32 vcc, 0, v8
	v_cndmask_b32_e32 v8, v8, v9, vcc
	v_cndmask_b32_e32 v1, v5, v1, vcc
	v_mov_b32_e32 v5, 0x37800000
	v_lshlrev_b32_e32 v1, 21, v1
	v_and_b32_e32 v3, 0x80000000, v3
	v_lshl_add_u32 v5, v8, 23, v5
	v_or3_b32 v1, v3, v5, v1
	v_trunc_f32_e32 v1, v1
	s_mov_b32 s6, 0x2f800000
	v_mul_f32_e64 v3, |v1|, s6
	v_floor_f32_e32 v3, v3
	s_mov_b32 s6, 0xcf800000
	v_fma_f32 v3, v3, s6, |v1|
	v_cvt_u32_f32_e32 v3, v3
	v_ashrrev_i32_e32 v1, 31, v1
	v_xor_b32_e32 v3, v3, v1
	v_sub_u32_e32 v8, v3, v1
.LBB127_1297:
	s_or_b64 exec, exec, s[4:5]
	s_mov_b64 s[4:5], 0
	s_branch .LBB127_1303
.LBB127_1298:
	s_mov_b64 s[4:5], -1
                                        ; implicit-def: $vgpr8
	s_branch .LBB127_1309
.LBB127_1299:
	s_andn2_saveexec_b64 s[6:7], s[6:7]
	s_cbranch_execz .LBB127_1285
.LBB127_1300:
	v_cmp_ne_u16_e32 vcc, 0, v1
	s_andn2_b64 s[12:13], s[12:13], exec
	s_and_b64 s[16:17], vcc, exec
	s_or_b64 s[12:13], s[12:13], s[16:17]
	s_or_b64 exec, exec, s[6:7]
	v_mov_b32_e32 v8, 0
	s_and_saveexec_b64 s[6:7], s[12:13]
	s_cbranch_execnz .LBB127_1286
	s_branch .LBB127_1287
.LBB127_1301:
	s_mov_b64 s[4:5], -1
                                        ; implicit-def: $vgpr8
	s_branch .LBB127_1306
.LBB127_1302:
	s_mov_b64 s[4:5], -1
                                        ; implicit-def: $vgpr8
.LBB127_1303:
	s_and_b64 vcc, exec, s[4:5]
	s_cbranch_vccz .LBB127_1305
; %bb.1304:
	global_load_ubyte v1, v[12:13], off
	s_mov_b32 s4, 0x7f800000
	s_brev_b32 s5, 1
	s_mov_b32 s6, 0x2f800000
	s_waitcnt vmcnt(0)
	v_lshlrev_b32_e32 v1, 24, v1
	v_and_b32_e32 v3, 0x7f000000, v1
	v_ffbh_u32_e32 v5, v3
	v_min_u32_e32 v5, 32, v5
	v_sub_u32_e64 v5, v5, 4 clamp
	v_lshlrev_b32_e32 v9, v5, v3
	v_lshlrev_b32_e32 v5, 23, v5
	v_lshrrev_b32_e32 v9, 4, v9
	v_add_u32_e32 v8, 0x1000000, v3
	v_sub_u32_e32 v5, v9, v5
	v_ashrrev_i32_e32 v8, 8, v8
	v_add_u32_e32 v5, 0x3c000000, v5
	v_and_or_b32 v5, v8, s4, v5
	v_cmp_ne_u32_e32 vcc, 0, v3
	v_cndmask_b32_e32 v3, 0, v5, vcc
	v_and_or_b32 v1, v1, s5, v3
	v_trunc_f32_e32 v1, v1
	v_mul_f32_e64 v3, |v1|, s6
	v_floor_f32_e32 v3, v3
	s_mov_b32 s4, 0xcf800000
	v_fma_f32 v3, v3, s4, |v1|
	v_cvt_u32_f32_e32 v3, v3
	v_ashrrev_i32_e32 v1, 31, v1
	v_xor_b32_e32 v3, v3, v1
	v_sub_u32_e32 v8, v3, v1
.LBB127_1305:
	s_mov_b64 s[4:5], 0
.LBB127_1306:
	s_andn2_b64 vcc, exec, s[4:5]
	s_cbranch_vccnz .LBB127_1308
; %bb.1307:
	global_load_ubyte v1, v[12:13], off
	s_movk_i32 s4, 0x7f00
	s_brev_b32 s5, 16
	s_brev_b32 s6, 1
	s_mov_b32 s7, 0x2f800000
	s_waitcnt vmcnt(0)
	v_lshlrev_b16_e32 v3, 8, v1
	v_lshlrev_b32_e32 v1, 25, v1
	v_lshrrev_b32_e32 v5, 4, v1
	v_and_or_b32 v8, v3, s4, 0.5
	v_or_b32_e32 v5, 0x70000000, v5
	v_add_f32_e32 v8, -0.5, v8
	v_mul_f32_e32 v5, 0x7800000, v5
	v_cmp_gt_u32_e32 vcc, s5, v1
	v_bfe_i32 v3, v3, 0, 16
	v_cndmask_b32_e32 v1, v5, v8, vcc
	v_and_or_b32 v1, v3, s6, v1
	v_trunc_f32_e32 v1, v1
	v_mul_f32_e64 v3, |v1|, s7
	v_floor_f32_e32 v3, v3
	s_mov_b32 s4, 0xcf800000
	v_fma_f32 v3, v3, s4, |v1|
	v_cvt_u32_f32_e32 v3, v3
	v_ashrrev_i32_e32 v1, 31, v1
	v_xor_b32_e32 v3, v3, v1
	v_sub_u32_e32 v8, v3, v1
.LBB127_1308:
	s_mov_b64 s[4:5], 0
	s_mov_b64 s[6:7], -1
.LBB127_1309:
	s_andn2_b64 vcc, exec, s[4:5]
	s_mov_b64 s[4:5], 0
	s_cbranch_vccnz .LBB127_1320
; %bb.1310:
	s_cmp_gt_i32 s15, 14
	s_cbranch_scc0 .LBB127_1313
; %bb.1311:
	s_cmp_eq_u32 s15, 15
	s_cbranch_scc0 .LBB127_1316
; %bb.1312:
	global_load_ushort v1, v[12:13], off
	s_mov_b32 s0, 0x2f800000
	s_mov_b32 s1, 0xcf800000
	s_mov_b64 s[6:7], -1
	s_waitcnt vmcnt(0)
	v_lshlrev_b32_e32 v1, 16, v1
	v_trunc_f32_e32 v1, v1
	v_mul_f32_e64 v3, |v1|, s0
	v_floor_f32_e32 v3, v3
	v_fma_f32 v3, v3, s1, |v1|
	v_cvt_u32_f32_e32 v3, v3
	v_ashrrev_i32_e32 v1, 31, v1
	s_mov_b64 s[0:1], 0
	v_xor_b32_e32 v3, v3, v1
	v_sub_u32_e32 v8, v3, v1
	s_branch .LBB127_1317
.LBB127_1313:
	s_mov_b64 s[12:13], -1
                                        ; implicit-def: $vgpr8
	s_branch .LBB127_1318
.LBB127_1314:
	s_andn2_saveexec_b64 s[4:5], s[4:5]
	s_cbranch_execz .LBB127_1295
.LBB127_1315:
	v_cmp_ne_u16_e32 vcc, 0, v1
	s_andn2_b64 s[6:7], s[6:7], exec
	s_and_b64 s[12:13], vcc, exec
	s_or_b64 s[6:7], s[6:7], s[12:13]
	s_or_b64 exec, exec, s[4:5]
	v_mov_b32_e32 v8, 0
	s_and_saveexec_b64 s[4:5], s[6:7]
	s_cbranch_execnz .LBB127_1296
	s_branch .LBB127_1297
.LBB127_1316:
	s_mov_b64 s[0:1], -1
                                        ; implicit-def: $vgpr8
.LBB127_1317:
	s_mov_b64 s[12:13], 0
.LBB127_1318:
	s_and_b64 vcc, exec, s[12:13]
	s_cbranch_vccz .LBB127_1320
; %bb.1319:
	s_cmp_lg_u32 s15, 11
	s_mov_b64 s[4:5], -1
	s_cselect_b64 s[0:1], -1, 0
.LBB127_1320:
	s_and_b64 vcc, exec, s[0:1]
	s_cbranch_vccnz .LBB127_1383
; %bb.1321:
	s_andn2_b64 vcc, exec, s[4:5]
	s_cbranch_vccnz .LBB127_1323
.LBB127_1322:
	global_load_ubyte v1, v[12:13], off
	s_mov_b64 s[6:7], -1
	s_waitcnt vmcnt(0)
	v_cmp_ne_u16_e32 vcc, 0, v1
	v_cndmask_b32_e64 v8, 0, 1, vcc
.LBB127_1323:
	s_branch .LBB127_1254
.LBB127_1324:
	s_cmp_lt_i32 s15, 5
	s_cbranch_scc1 .LBB127_1329
; %bb.1325:
	s_cmp_lt_i32 s15, 8
	s_cbranch_scc1 .LBB127_1330
; %bb.1326:
	;; [unrolled: 3-line block ×3, first 2 shown]
	s_cmp_gt_i32 s15, 9
	s_cbranch_scc0 .LBB127_1332
; %bb.1328:
	global_load_dwordx2 v[8:9], v[12:13], off
	s_movk_i32 s0, 0xffe0
	s_waitcnt vmcnt(0)
	v_trunc_f64_e32 v[8:9], v[8:9]
	v_ldexp_f64 v[14:15], v[8:9], s0
	s_mov_b32 s0, 0
	s_mov_b32 s1, 0xc1f00000
	v_floor_f64_e32 v[14:15], v[14:15]
	v_fma_f64 v[8:9], v[14:15], s[0:1], v[8:9]
	s_mov_b64 s[0:1], 0
	v_cvt_u32_f64_e32 v8, v[8:9]
	s_branch .LBB127_1333
.LBB127_1329:
                                        ; implicit-def: $vgpr8
	s_branch .LBB127_1351
.LBB127_1330:
	s_mov_b64 s[0:1], -1
                                        ; implicit-def: $vgpr8
	s_branch .LBB127_1339
.LBB127_1331:
	s_mov_b64 s[0:1], -1
                                        ; implicit-def: $vgpr8
	s_branch .LBB127_1336
.LBB127_1332:
	s_mov_b64 s[0:1], -1
                                        ; implicit-def: $vgpr8
.LBB127_1333:
	s_andn2_b64 vcc, exec, s[0:1]
	s_cbranch_vccnz .LBB127_1335
; %bb.1334:
	global_load_dword v1, v[12:13], off
	s_mov_b32 s0, 0x2f800000
	s_waitcnt vmcnt(0)
	v_trunc_f32_e32 v1, v1
	v_mul_f32_e64 v3, |v1|, s0
	v_floor_f32_e32 v3, v3
	s_mov_b32 s0, 0xcf800000
	v_fma_f32 v3, v3, s0, |v1|
	v_cvt_u32_f32_e32 v3, v3
	v_ashrrev_i32_e32 v1, 31, v1
	v_xor_b32_e32 v3, v3, v1
	v_sub_u32_e32 v8, v3, v1
.LBB127_1335:
	s_mov_b64 s[0:1], 0
.LBB127_1336:
	s_andn2_b64 vcc, exec, s[0:1]
	s_cbranch_vccnz .LBB127_1338
; %bb.1337:
	global_load_dword v1, v[12:13], off
	s_waitcnt vmcnt(0)
	v_cvt_f32_f16_e32 v1, v1
	v_cvt_i32_f32_e32 v8, v1
.LBB127_1338:
	s_mov_b64 s[0:1], 0
.LBB127_1339:
	s_andn2_b64 vcc, exec, s[0:1]
	s_cbranch_vccnz .LBB127_1350
; %bb.1340:
	s_cmp_lt_i32 s15, 6
	s_cbranch_scc1 .LBB127_1343
; %bb.1341:
	s_cmp_gt_i32 s15, 6
	s_cbranch_scc0 .LBB127_1344
; %bb.1342:
	global_load_dwordx2 v[8:9], v[12:13], off
	s_movk_i32 s0, 0xffe0
	s_waitcnt vmcnt(0)
	v_trunc_f64_e32 v[8:9], v[8:9]
	v_ldexp_f64 v[14:15], v[8:9], s0
	s_mov_b32 s0, 0
	s_mov_b32 s1, 0xc1f00000
	v_floor_f64_e32 v[14:15], v[14:15]
	v_fma_f64 v[8:9], v[14:15], s[0:1], v[8:9]
	s_mov_b64 s[0:1], 0
	v_cvt_u32_f64_e32 v8, v[8:9]
	s_branch .LBB127_1345
.LBB127_1343:
	s_mov_b64 s[0:1], -1
                                        ; implicit-def: $vgpr8
	s_branch .LBB127_1348
.LBB127_1344:
	s_mov_b64 s[0:1], -1
                                        ; implicit-def: $vgpr8
.LBB127_1345:
	s_andn2_b64 vcc, exec, s[0:1]
	s_cbranch_vccnz .LBB127_1347
; %bb.1346:
	global_load_dword v1, v[12:13], off
	s_mov_b32 s0, 0x2f800000
	s_waitcnt vmcnt(0)
	v_trunc_f32_e32 v1, v1
	v_mul_f32_e64 v3, |v1|, s0
	v_floor_f32_e32 v3, v3
	s_mov_b32 s0, 0xcf800000
	v_fma_f32 v3, v3, s0, |v1|
	v_cvt_u32_f32_e32 v3, v3
	v_ashrrev_i32_e32 v1, 31, v1
	v_xor_b32_e32 v3, v3, v1
	v_sub_u32_e32 v8, v3, v1
.LBB127_1347:
	s_mov_b64 s[0:1], 0
.LBB127_1348:
	s_andn2_b64 vcc, exec, s[0:1]
	s_cbranch_vccnz .LBB127_1350
; %bb.1349:
	global_load_ushort v1, v[12:13], off
	s_waitcnt vmcnt(0)
	v_cvt_f32_f16_e32 v1, v1
	v_cvt_i32_f32_e32 v8, v1
.LBB127_1350:
	s_cbranch_execnz .LBB127_1370
.LBB127_1351:
	s_cmp_lt_i32 s15, 2
	s_cbranch_scc1 .LBB127_1355
; %bb.1352:
	s_cmp_lt_i32 s15, 3
	s_cbranch_scc1 .LBB127_1356
; %bb.1353:
	s_cmp_gt_i32 s15, 3
	s_cbranch_scc0 .LBB127_1357
; %bb.1354:
	global_load_dwordx2 v[8:9], v[12:13], off
	s_mov_b64 s[0:1], 0
	s_branch .LBB127_1358
.LBB127_1355:
	s_mov_b64 s[0:1], -1
                                        ; implicit-def: $vgpr8
	s_branch .LBB127_1364
.LBB127_1356:
	s_mov_b64 s[0:1], -1
                                        ; implicit-def: $vgpr8
	s_branch .LBB127_1361
.LBB127_1357:
	s_mov_b64 s[0:1], -1
                                        ; implicit-def: $vgpr8
.LBB127_1358:
	s_andn2_b64 vcc, exec, s[0:1]
	s_cbranch_vccnz .LBB127_1360
; %bb.1359:
	global_load_dword v8, v[12:13], off
.LBB127_1360:
	s_mov_b64 s[0:1], 0
.LBB127_1361:
	s_andn2_b64 vcc, exec, s[0:1]
	s_cbranch_vccnz .LBB127_1363
; %bb.1362:
	global_load_ushort v8, v[12:13], off
.LBB127_1363:
	s_mov_b64 s[0:1], 0
.LBB127_1364:
	s_andn2_b64 vcc, exec, s[0:1]
	s_cbranch_vccnz .LBB127_1370
; %bb.1365:
	s_cmp_gt_i32 s15, 0
	s_cbranch_scc0 .LBB127_1367
; %bb.1366:
	global_load_ubyte v8, v[12:13], off
	s_mov_b64 s[0:1], 0
	s_branch .LBB127_1368
.LBB127_1367:
	s_mov_b64 s[0:1], -1
                                        ; implicit-def: $vgpr8
.LBB127_1368:
	s_andn2_b64 vcc, exec, s[0:1]
	s_cbranch_vccnz .LBB127_1370
; %bb.1369:
	global_load_ubyte v8, v[12:13], off
.LBB127_1370:
.LBB127_1371:
	v_mov_b32_e32 v1, s11
	v_add_co_u32_e32 v12, vcc, s10, v10
	s_cmp_lt_i32 s15, 11
	v_addc_co_u32_e32 v13, vcc, 0, v1, vcc
	s_cbranch_scc1 .LBB127_1378
; %bb.1372:
	s_cmp_gt_i32 s15, 25
	s_mov_b64 s[4:5], 0
	s_cbranch_scc0 .LBB127_1380
; %bb.1373:
	s_cmp_gt_i32 s15, 28
	s_cbranch_scc0 .LBB127_1381
; %bb.1374:
	s_cmp_gt_i32 s15, 43
	;; [unrolled: 3-line block ×3, first 2 shown]
	s_cbranch_scc0 .LBB127_1384
; %bb.1376:
	s_cmp_eq_u32 s15, 46
	s_mov_b64 s[12:13], 0
	s_cbranch_scc0 .LBB127_1385
; %bb.1377:
	global_load_dword v1, v[12:13], off
	s_mov_b32 s0, 0x2f800000
	s_mov_b32 s1, 0xcf800000
	s_mov_b64 s[6:7], -1
	s_waitcnt vmcnt(0)
	v_lshlrev_b32_e32 v1, 16, v1
	v_trunc_f32_e32 v1, v1
	v_mul_f32_e64 v3, |v1|, s0
	v_floor_f32_e32 v3, v3
	v_fma_f32 v3, v3, s1, |v1|
	v_cvt_u32_f32_e32 v3, v3
	v_ashrrev_i32_e32 v1, 31, v1
	s_mov_b64 s[0:1], 0
	v_xor_b32_e32 v3, v3, v1
	v_sub_u32_e32 v9, v3, v1
	s_branch .LBB127_1386
.LBB127_1378:
	s_mov_b64 s[6:7], 0
                                        ; implicit-def: $vgpr9
	s_cbranch_execnz .LBB127_1448
.LBB127_1379:
	s_andn2_b64 vcc, exec, s[6:7]
	s_cbranch_vccnz .LBB127_2055
	s_branch .LBB127_1496
.LBB127_1380:
	s_mov_b64 s[12:13], -1
	s_mov_b64 s[6:7], 0
	s_mov_b64 s[0:1], 0
                                        ; implicit-def: $vgpr9
	s_branch .LBB127_1413
.LBB127_1381:
	s_mov_b64 s[12:13], -1
	s_mov_b64 s[6:7], 0
	s_mov_b64 s[0:1], 0
                                        ; implicit-def: $vgpr9
	s_branch .LBB127_1396
.LBB127_1382:
	s_mov_b64 s[12:13], -1
	s_mov_b64 s[6:7], 0
	s_mov_b64 s[0:1], 0
                                        ; implicit-def: $vgpr9
	s_branch .LBB127_1391
.LBB127_1383:
	s_trap 2
	s_or_b64 s[2:3], s[2:3], exec
	s_cbranch_execz .LBB127_1322
	s_branch .LBB127_1323
.LBB127_1384:
	s_mov_b64 s[12:13], -1
	s_mov_b64 s[6:7], 0
	s_mov_b64 s[0:1], 0
                                        ; implicit-def: $vgpr9
	s_branch .LBB127_1386
.LBB127_1385:
	s_mov_b64 s[0:1], -1
                                        ; implicit-def: $vgpr9
	s_mov_b64 s[6:7], 0
.LBB127_1386:
	s_and_b64 vcc, exec, s[12:13]
	s_cbranch_vccz .LBB127_1390
; %bb.1387:
	s_cmp_eq_u32 s15, 44
	s_cbranch_scc0 .LBB127_1389
; %bb.1388:
	global_load_ubyte v1, v[12:13], off
	s_mov_b32 s0, 0x2f800000
	s_mov_b32 s1, 0xcf800000
	s_mov_b64 s[6:7], -1
	s_waitcnt vmcnt(0)
	v_lshlrev_b32_e32 v3, 23, v1
	v_trunc_f32_e32 v3, v3
	v_mul_f32_e64 v5, |v3|, s0
	v_floor_f32_e32 v5, v5
	v_fma_f32 v5, v5, s1, |v3|
	v_cvt_u32_f32_e32 v5, v5
	v_ashrrev_i32_e32 v3, 31, v3
	v_cmp_ne_u32_e32 vcc, 0, v1
	s_mov_b64 s[0:1], 0
	v_xor_b32_e32 v5, v5, v3
	v_sub_u32_e32 v3, v5, v3
	v_cndmask_b32_e32 v9, 0, v3, vcc
	s_branch .LBB127_1390
.LBB127_1389:
	s_mov_b64 s[0:1], -1
                                        ; implicit-def: $vgpr9
.LBB127_1390:
	s_mov_b64 s[12:13], 0
.LBB127_1391:
	s_and_b64 vcc, exec, s[12:13]
	s_cbranch_vccz .LBB127_1395
; %bb.1392:
	s_cmp_eq_u32 s15, 29
	s_cbranch_scc0 .LBB127_1394
; %bb.1393:
	global_load_dwordx2 v[9:10], v[12:13], off
	s_mov_b64 s[0:1], 0
	s_mov_b64 s[6:7], -1
	s_branch .LBB127_1395
.LBB127_1394:
	s_mov_b64 s[0:1], -1
                                        ; implicit-def: $vgpr9
.LBB127_1395:
	s_mov_b64 s[12:13], 0
.LBB127_1396:
	s_and_b64 vcc, exec, s[12:13]
	s_cbranch_vccz .LBB127_1412
; %bb.1397:
	s_cmp_lt_i32 s15, 27
	s_cbranch_scc1 .LBB127_1400
; %bb.1398:
	s_cmp_gt_i32 s15, 27
	s_cbranch_scc0 .LBB127_1401
; %bb.1399:
	global_load_dword v9, v[12:13], off
	s_mov_b64 s[6:7], 0
	s_branch .LBB127_1402
.LBB127_1400:
	s_mov_b64 s[6:7], -1
                                        ; implicit-def: $vgpr9
	s_branch .LBB127_1405
.LBB127_1401:
	s_mov_b64 s[6:7], -1
                                        ; implicit-def: $vgpr9
.LBB127_1402:
	s_andn2_b64 vcc, exec, s[6:7]
	s_cbranch_vccnz .LBB127_1404
; %bb.1403:
	global_load_ushort v9, v[12:13], off
.LBB127_1404:
	s_mov_b64 s[6:7], 0
.LBB127_1405:
	s_andn2_b64 vcc, exec, s[6:7]
	s_cbranch_vccnz .LBB127_1411
; %bb.1406:
	global_load_ubyte v1, v[12:13], off
	s_movk_i32 s6, 0x7f
	s_mov_b64 s[12:13], 0
	s_waitcnt vmcnt(0)
	v_cmp_lt_i16_e32 vcc, s6, v1
	s_and_saveexec_b64 s[6:7], vcc
	s_xor_b64 s[6:7], exec, s[6:7]
	s_cbranch_execz .LBB127_1423
; %bb.1407:
	s_movk_i32 s12, 0x80
	v_cmp_ne_u16_e32 vcc, s12, v1
	s_and_b64 s[12:13], vcc, exec
	s_andn2_saveexec_b64 s[6:7], s[6:7]
	s_cbranch_execnz .LBB127_1424
.LBB127_1408:
	s_or_b64 exec, exec, s[6:7]
	v_mov_b32_e32 v9, 0
	s_and_saveexec_b64 s[6:7], s[12:13]
	s_cbranch_execz .LBB127_1410
.LBB127_1409:
	v_lshlrev_b32_e32 v3, 24, v1
	v_and_b32_e32 v1, 0xffff, v1
	v_and_b32_e32 v5, 7, v1
	v_ffbh_u32_e32 v10, v5
	v_min_u32_e32 v10, 32, v10
	v_subrev_u32_e32 v14, 28, v10
	v_bfe_u32 v9, v1, 3, 4
	v_lshlrev_b32_e32 v1, v14, v1
	v_sub_u32_e32 v10, 29, v10
	v_and_b32_e32 v1, 7, v1
	v_cmp_eq_u32_e32 vcc, 0, v9
	v_cndmask_b32_e32 v9, v9, v10, vcc
	v_cndmask_b32_e32 v1, v5, v1, vcc
	v_mov_b32_e32 v5, 0x3b800000
	v_lshlrev_b32_e32 v1, 20, v1
	v_and_b32_e32 v3, 0x80000000, v3
	v_lshl_add_u32 v5, v9, 23, v5
	v_or3_b32 v1, v3, v5, v1
	v_trunc_f32_e32 v1, v1
	s_mov_b32 s12, 0x2f800000
	v_mul_f32_e64 v3, |v1|, s12
	v_floor_f32_e32 v3, v3
	s_mov_b32 s12, 0xcf800000
	v_fma_f32 v3, v3, s12, |v1|
	v_cvt_u32_f32_e32 v3, v3
	v_ashrrev_i32_e32 v1, 31, v1
	v_xor_b32_e32 v3, v3, v1
	v_sub_u32_e32 v9, v3, v1
.LBB127_1410:
	s_or_b64 exec, exec, s[6:7]
.LBB127_1411:
	s_mov_b64 s[6:7], -1
.LBB127_1412:
	s_mov_b64 s[12:13], 0
.LBB127_1413:
	s_and_b64 vcc, exec, s[12:13]
	s_cbranch_vccz .LBB127_1444
; %bb.1414:
	s_cmp_gt_i32 s15, 22
	s_cbranch_scc0 .LBB127_1422
; %bb.1415:
	s_cmp_lt_i32 s15, 24
	s_cbranch_scc1 .LBB127_1425
; %bb.1416:
	s_cmp_gt_i32 s15, 24
	s_cbranch_scc0 .LBB127_1426
; %bb.1417:
	global_load_ubyte v1, v[12:13], off
	s_movk_i32 s4, 0x7f
	s_mov_b64 s[6:7], 0
	s_waitcnt vmcnt(0)
	v_cmp_lt_i16_e32 vcc, s4, v1
	s_and_saveexec_b64 s[4:5], vcc
	s_xor_b64 s[4:5], exec, s[4:5]
	s_cbranch_execz .LBB127_1438
; %bb.1418:
	s_movk_i32 s6, 0x80
	v_cmp_ne_u16_e32 vcc, s6, v1
	s_and_b64 s[6:7], vcc, exec
	s_andn2_saveexec_b64 s[4:5], s[4:5]
	s_cbranch_execnz .LBB127_1439
.LBB127_1419:
	s_or_b64 exec, exec, s[4:5]
	v_mov_b32_e32 v9, 0
	s_and_saveexec_b64 s[4:5], s[6:7]
	s_cbranch_execz .LBB127_1421
.LBB127_1420:
	v_lshlrev_b32_e32 v3, 24, v1
	v_and_b32_e32 v1, 0xffff, v1
	v_and_b32_e32 v5, 3, v1
	v_ffbh_u32_e32 v10, v5
	v_min_u32_e32 v10, 32, v10
	v_subrev_u32_e32 v14, 29, v10
	v_bfe_u32 v9, v1, 2, 5
	v_lshlrev_b32_e32 v1, v14, v1
	v_sub_u32_e32 v10, 30, v10
	v_and_b32_e32 v1, 3, v1
	v_cmp_eq_u32_e32 vcc, 0, v9
	v_cndmask_b32_e32 v9, v9, v10, vcc
	v_cndmask_b32_e32 v1, v5, v1, vcc
	v_mov_b32_e32 v5, 0x37800000
	v_lshlrev_b32_e32 v1, 21, v1
	v_and_b32_e32 v3, 0x80000000, v3
	v_lshl_add_u32 v5, v9, 23, v5
	v_or3_b32 v1, v3, v5, v1
	v_trunc_f32_e32 v1, v1
	s_mov_b32 s6, 0x2f800000
	v_mul_f32_e64 v3, |v1|, s6
	v_floor_f32_e32 v3, v3
	s_mov_b32 s6, 0xcf800000
	v_fma_f32 v3, v3, s6, |v1|
	v_cvt_u32_f32_e32 v3, v3
	v_ashrrev_i32_e32 v1, 31, v1
	v_xor_b32_e32 v3, v3, v1
	v_sub_u32_e32 v9, v3, v1
.LBB127_1421:
	s_or_b64 exec, exec, s[4:5]
	s_mov_b64 s[4:5], 0
	s_branch .LBB127_1427
.LBB127_1422:
	s_mov_b64 s[4:5], -1
                                        ; implicit-def: $vgpr9
	s_branch .LBB127_1433
.LBB127_1423:
	s_andn2_saveexec_b64 s[6:7], s[6:7]
	s_cbranch_execz .LBB127_1408
.LBB127_1424:
	v_cmp_ne_u16_e32 vcc, 0, v1
	s_andn2_b64 s[12:13], s[12:13], exec
	s_and_b64 s[16:17], vcc, exec
	s_or_b64 s[12:13], s[12:13], s[16:17]
	s_or_b64 exec, exec, s[6:7]
	v_mov_b32_e32 v9, 0
	s_and_saveexec_b64 s[6:7], s[12:13]
	s_cbranch_execnz .LBB127_1409
	s_branch .LBB127_1410
.LBB127_1425:
	s_mov_b64 s[4:5], -1
                                        ; implicit-def: $vgpr9
	s_branch .LBB127_1430
.LBB127_1426:
	s_mov_b64 s[4:5], -1
                                        ; implicit-def: $vgpr9
.LBB127_1427:
	s_and_b64 vcc, exec, s[4:5]
	s_cbranch_vccz .LBB127_1429
; %bb.1428:
	global_load_ubyte v1, v[12:13], off
	s_mov_b32 s4, 0x7f800000
	s_brev_b32 s5, 1
	s_mov_b32 s6, 0x2f800000
	s_waitcnt vmcnt(0)
	v_lshlrev_b32_e32 v1, 24, v1
	v_and_b32_e32 v3, 0x7f000000, v1
	v_ffbh_u32_e32 v5, v3
	v_min_u32_e32 v5, 32, v5
	v_sub_u32_e64 v5, v5, 4 clamp
	v_lshlrev_b32_e32 v10, v5, v3
	v_lshlrev_b32_e32 v5, 23, v5
	v_lshrrev_b32_e32 v10, 4, v10
	v_add_u32_e32 v9, 0x1000000, v3
	v_sub_u32_e32 v5, v10, v5
	v_ashrrev_i32_e32 v9, 8, v9
	v_add_u32_e32 v5, 0x3c000000, v5
	v_and_or_b32 v5, v9, s4, v5
	v_cmp_ne_u32_e32 vcc, 0, v3
	v_cndmask_b32_e32 v3, 0, v5, vcc
	v_and_or_b32 v1, v1, s5, v3
	v_trunc_f32_e32 v1, v1
	v_mul_f32_e64 v3, |v1|, s6
	v_floor_f32_e32 v3, v3
	s_mov_b32 s4, 0xcf800000
	v_fma_f32 v3, v3, s4, |v1|
	v_cvt_u32_f32_e32 v3, v3
	v_ashrrev_i32_e32 v1, 31, v1
	v_xor_b32_e32 v3, v3, v1
	v_sub_u32_e32 v9, v3, v1
.LBB127_1429:
	s_mov_b64 s[4:5], 0
.LBB127_1430:
	s_andn2_b64 vcc, exec, s[4:5]
	s_cbranch_vccnz .LBB127_1432
; %bb.1431:
	global_load_ubyte v1, v[12:13], off
	s_movk_i32 s4, 0x7f00
	s_brev_b32 s5, 16
	s_brev_b32 s6, 1
	s_mov_b32 s7, 0x2f800000
	s_waitcnt vmcnt(0)
	v_lshlrev_b16_e32 v3, 8, v1
	v_lshlrev_b32_e32 v1, 25, v1
	v_lshrrev_b32_e32 v5, 4, v1
	v_and_or_b32 v9, v3, s4, 0.5
	v_or_b32_e32 v5, 0x70000000, v5
	v_add_f32_e32 v9, -0.5, v9
	v_mul_f32_e32 v5, 0x7800000, v5
	v_cmp_gt_u32_e32 vcc, s5, v1
	v_bfe_i32 v3, v3, 0, 16
	v_cndmask_b32_e32 v1, v5, v9, vcc
	v_and_or_b32 v1, v3, s6, v1
	v_trunc_f32_e32 v1, v1
	v_mul_f32_e64 v3, |v1|, s7
	v_floor_f32_e32 v3, v3
	s_mov_b32 s4, 0xcf800000
	v_fma_f32 v3, v3, s4, |v1|
	v_cvt_u32_f32_e32 v3, v3
	v_ashrrev_i32_e32 v1, 31, v1
	v_xor_b32_e32 v3, v3, v1
	v_sub_u32_e32 v9, v3, v1
.LBB127_1432:
	s_mov_b64 s[4:5], 0
	s_mov_b64 s[6:7], -1
.LBB127_1433:
	s_andn2_b64 vcc, exec, s[4:5]
	s_mov_b64 s[4:5], 0
	s_cbranch_vccnz .LBB127_1444
; %bb.1434:
	s_cmp_gt_i32 s15, 14
	s_cbranch_scc0 .LBB127_1437
; %bb.1435:
	s_cmp_eq_u32 s15, 15
	s_cbranch_scc0 .LBB127_1440
; %bb.1436:
	global_load_ushort v1, v[12:13], off
	s_mov_b32 s0, 0x2f800000
	s_mov_b32 s1, 0xcf800000
	s_mov_b64 s[6:7], -1
	s_waitcnt vmcnt(0)
	v_lshlrev_b32_e32 v1, 16, v1
	v_trunc_f32_e32 v1, v1
	v_mul_f32_e64 v3, |v1|, s0
	v_floor_f32_e32 v3, v3
	v_fma_f32 v3, v3, s1, |v1|
	v_cvt_u32_f32_e32 v3, v3
	v_ashrrev_i32_e32 v1, 31, v1
	s_mov_b64 s[0:1], 0
	v_xor_b32_e32 v3, v3, v1
	v_sub_u32_e32 v9, v3, v1
	s_branch .LBB127_1441
.LBB127_1437:
	s_mov_b64 s[12:13], -1
                                        ; implicit-def: $vgpr9
	s_branch .LBB127_1442
.LBB127_1438:
	s_andn2_saveexec_b64 s[4:5], s[4:5]
	s_cbranch_execz .LBB127_1419
.LBB127_1439:
	v_cmp_ne_u16_e32 vcc, 0, v1
	s_andn2_b64 s[6:7], s[6:7], exec
	s_and_b64 s[12:13], vcc, exec
	s_or_b64 s[6:7], s[6:7], s[12:13]
	s_or_b64 exec, exec, s[4:5]
	v_mov_b32_e32 v9, 0
	s_and_saveexec_b64 s[4:5], s[6:7]
	s_cbranch_execnz .LBB127_1420
	s_branch .LBB127_1421
.LBB127_1440:
	s_mov_b64 s[0:1], -1
                                        ; implicit-def: $vgpr9
.LBB127_1441:
	s_mov_b64 s[12:13], 0
.LBB127_1442:
	s_and_b64 vcc, exec, s[12:13]
	s_cbranch_vccz .LBB127_1444
; %bb.1443:
	s_cmp_lg_u32 s15, 11
	s_mov_b64 s[4:5], -1
	s_cselect_b64 s[0:1], -1, 0
.LBB127_1444:
	s_and_b64 vcc, exec, s[0:1]
	s_cbranch_vccnz .LBB127_1507
; %bb.1445:
	s_andn2_b64 vcc, exec, s[4:5]
	s_cbranch_vccnz .LBB127_1447
.LBB127_1446:
	global_load_ubyte v1, v[12:13], off
	s_mov_b64 s[6:7], -1
	s_waitcnt vmcnt(0)
	v_cmp_ne_u16_e32 vcc, 0, v1
	v_cndmask_b32_e64 v9, 0, 1, vcc
.LBB127_1447:
	s_branch .LBB127_1379
.LBB127_1448:
	s_cmp_lt_i32 s15, 5
	s_cbranch_scc1 .LBB127_1453
; %bb.1449:
	s_cmp_lt_i32 s15, 8
	s_cbranch_scc1 .LBB127_1454
; %bb.1450:
	s_cmp_lt_i32 s15, 9
	s_cbranch_scc1 .LBB127_1455
; %bb.1451:
	s_cmp_gt_i32 s15, 9
	s_cbranch_scc0 .LBB127_1456
; %bb.1452:
	global_load_dwordx2 v[9:10], v[12:13], off
	s_movk_i32 s0, 0xffe0
	s_waitcnt vmcnt(0)
	v_trunc_f64_e32 v[9:10], v[9:10]
	v_ldexp_f64 v[14:15], v[9:10], s0
	s_mov_b32 s0, 0
	s_mov_b32 s1, 0xc1f00000
	v_floor_f64_e32 v[14:15], v[14:15]
	v_fma_f64 v[9:10], v[14:15], s[0:1], v[9:10]
	s_mov_b64 s[0:1], 0
	v_cvt_u32_f64_e32 v9, v[9:10]
	s_branch .LBB127_1457
.LBB127_1453:
	s_mov_b64 s[0:1], -1
                                        ; implicit-def: $vgpr9
	s_branch .LBB127_1475
.LBB127_1454:
	s_mov_b64 s[0:1], -1
                                        ; implicit-def: $vgpr9
	s_branch .LBB127_1463
.LBB127_1455:
	s_mov_b64 s[0:1], -1
                                        ; implicit-def: $vgpr9
	s_branch .LBB127_1460
.LBB127_1456:
	s_mov_b64 s[0:1], -1
                                        ; implicit-def: $vgpr9
.LBB127_1457:
	s_andn2_b64 vcc, exec, s[0:1]
	s_cbranch_vccnz .LBB127_1459
; %bb.1458:
	global_load_dword v1, v[12:13], off
	s_mov_b32 s0, 0x2f800000
	s_waitcnt vmcnt(0)
	v_trunc_f32_e32 v1, v1
	v_mul_f32_e64 v3, |v1|, s0
	v_floor_f32_e32 v3, v3
	s_mov_b32 s0, 0xcf800000
	v_fma_f32 v3, v3, s0, |v1|
	v_cvt_u32_f32_e32 v3, v3
	v_ashrrev_i32_e32 v1, 31, v1
	v_xor_b32_e32 v3, v3, v1
	v_sub_u32_e32 v9, v3, v1
.LBB127_1459:
	s_mov_b64 s[0:1], 0
.LBB127_1460:
	s_andn2_b64 vcc, exec, s[0:1]
	s_cbranch_vccnz .LBB127_1462
; %bb.1461:
	global_load_dword v1, v[12:13], off
	s_waitcnt vmcnt(0)
	v_cvt_f32_f16_e32 v1, v1
	v_cvt_i32_f32_e32 v9, v1
.LBB127_1462:
	s_mov_b64 s[0:1], 0
.LBB127_1463:
	s_andn2_b64 vcc, exec, s[0:1]
	s_cbranch_vccnz .LBB127_1474
; %bb.1464:
	s_cmp_lt_i32 s15, 6
	s_cbranch_scc1 .LBB127_1467
; %bb.1465:
	s_cmp_gt_i32 s15, 6
	s_cbranch_scc0 .LBB127_1468
; %bb.1466:
	global_load_dwordx2 v[9:10], v[12:13], off
	s_movk_i32 s0, 0xffe0
	s_waitcnt vmcnt(0)
	v_trunc_f64_e32 v[9:10], v[9:10]
	v_ldexp_f64 v[14:15], v[9:10], s0
	s_mov_b32 s0, 0
	s_mov_b32 s1, 0xc1f00000
	v_floor_f64_e32 v[14:15], v[14:15]
	v_fma_f64 v[9:10], v[14:15], s[0:1], v[9:10]
	s_mov_b64 s[0:1], 0
	v_cvt_u32_f64_e32 v9, v[9:10]
	s_branch .LBB127_1469
.LBB127_1467:
	s_mov_b64 s[0:1], -1
                                        ; implicit-def: $vgpr9
	s_branch .LBB127_1472
.LBB127_1468:
	s_mov_b64 s[0:1], -1
                                        ; implicit-def: $vgpr9
.LBB127_1469:
	s_andn2_b64 vcc, exec, s[0:1]
	s_cbranch_vccnz .LBB127_1471
; %bb.1470:
	global_load_dword v1, v[12:13], off
	s_mov_b32 s0, 0x2f800000
	s_waitcnt vmcnt(0)
	v_trunc_f32_e32 v1, v1
	v_mul_f32_e64 v3, |v1|, s0
	v_floor_f32_e32 v3, v3
	s_mov_b32 s0, 0xcf800000
	v_fma_f32 v3, v3, s0, |v1|
	v_cvt_u32_f32_e32 v3, v3
	v_ashrrev_i32_e32 v1, 31, v1
	v_xor_b32_e32 v3, v3, v1
	v_sub_u32_e32 v9, v3, v1
.LBB127_1471:
	s_mov_b64 s[0:1], 0
.LBB127_1472:
	s_andn2_b64 vcc, exec, s[0:1]
	s_cbranch_vccnz .LBB127_1474
; %bb.1473:
	global_load_ushort v1, v[12:13], off
	s_waitcnt vmcnt(0)
	v_cvt_f32_f16_e32 v1, v1
	v_cvt_i32_f32_e32 v9, v1
.LBB127_1474:
	s_mov_b64 s[0:1], 0
.LBB127_1475:
	s_andn2_b64 vcc, exec, s[0:1]
	s_cbranch_vccnz .LBB127_1495
; %bb.1476:
	s_cmp_lt_i32 s15, 2
	s_cbranch_scc1 .LBB127_1480
; %bb.1477:
	s_cmp_lt_i32 s15, 3
	s_cbranch_scc1 .LBB127_1481
; %bb.1478:
	s_cmp_gt_i32 s15, 3
	s_cbranch_scc0 .LBB127_1482
; %bb.1479:
	global_load_dwordx2 v[9:10], v[12:13], off
	s_mov_b64 s[0:1], 0
	s_branch .LBB127_1483
.LBB127_1480:
	s_mov_b64 s[0:1], -1
                                        ; implicit-def: $vgpr9
	s_branch .LBB127_1489
.LBB127_1481:
	s_mov_b64 s[0:1], -1
                                        ; implicit-def: $vgpr9
	s_branch .LBB127_1486
.LBB127_1482:
	s_mov_b64 s[0:1], -1
                                        ; implicit-def: $vgpr9
.LBB127_1483:
	s_andn2_b64 vcc, exec, s[0:1]
	s_cbranch_vccnz .LBB127_1485
; %bb.1484:
	global_load_dword v9, v[12:13], off
.LBB127_1485:
	s_mov_b64 s[0:1], 0
.LBB127_1486:
	s_andn2_b64 vcc, exec, s[0:1]
	s_cbranch_vccnz .LBB127_1488
; %bb.1487:
	global_load_ushort v9, v[12:13], off
.LBB127_1488:
	s_mov_b64 s[0:1], 0
.LBB127_1489:
	s_andn2_b64 vcc, exec, s[0:1]
	s_cbranch_vccnz .LBB127_1495
; %bb.1490:
	s_cmp_gt_i32 s15, 0
	s_cbranch_scc0 .LBB127_1492
; %bb.1491:
	global_load_ubyte v9, v[12:13], off
	s_mov_b64 s[0:1], 0
	s_branch .LBB127_1493
.LBB127_1492:
	s_mov_b64 s[0:1], -1
                                        ; implicit-def: $vgpr9
.LBB127_1493:
	s_andn2_b64 vcc, exec, s[0:1]
	s_cbranch_vccnz .LBB127_1495
; %bb.1494:
	global_load_ubyte v9, v[12:13], off
.LBB127_1495:
.LBB127_1496:
	v_mov_b32_e32 v1, s11
	v_add_co_u32_e32 v12, vcc, s10, v11
	s_cmp_lt_i32 s15, 11
	v_addc_co_u32_e32 v13, vcc, 0, v1, vcc
	s_cbranch_scc1 .LBB127_1503
; %bb.1497:
	s_cmp_gt_i32 s15, 25
	s_mov_b64 s[4:5], 0
	s_cbranch_scc0 .LBB127_1504
; %bb.1498:
	s_cmp_gt_i32 s15, 28
	s_cbranch_scc0 .LBB127_1505
; %bb.1499:
	s_cmp_gt_i32 s15, 43
	;; [unrolled: 3-line block ×3, first 2 shown]
	s_cbranch_scc0 .LBB127_1508
; %bb.1501:
	s_cmp_eq_u32 s15, 46
	s_mov_b64 s[10:11], 0
	s_cbranch_scc0 .LBB127_1509
; %bb.1502:
	global_load_dword v1, v[12:13], off
	s_mov_b32 s0, 0x2f800000
	s_mov_b32 s1, 0xcf800000
	s_mov_b64 s[6:7], -1
	s_waitcnt vmcnt(0)
	v_lshlrev_b32_e32 v1, 16, v1
	v_trunc_f32_e32 v1, v1
	v_mul_f32_e64 v3, |v1|, s0
	v_floor_f32_e32 v3, v3
	v_fma_f32 v3, v3, s1, |v1|
	v_cvt_u32_f32_e32 v3, v3
	v_ashrrev_i32_e32 v1, 31, v1
	s_mov_b64 s[0:1], 0
	v_xor_b32_e32 v3, v3, v1
	v_sub_u32_e32 v10, v3, v1
	s_branch .LBB127_1510
.LBB127_1503:
	s_mov_b64 s[0:1], -1
	s_mov_b64 s[6:7], 0
                                        ; implicit-def: $vgpr10
	s_branch .LBB127_1572
.LBB127_1504:
	s_mov_b64 s[10:11], -1
	s_mov_b64 s[6:7], 0
	s_mov_b64 s[0:1], 0
                                        ; implicit-def: $vgpr10
	s_branch .LBB127_1537
.LBB127_1505:
	s_mov_b64 s[10:11], -1
	s_mov_b64 s[6:7], 0
	s_mov_b64 s[0:1], 0
                                        ; implicit-def: $vgpr10
	s_branch .LBB127_1520
.LBB127_1506:
	s_mov_b64 s[10:11], -1
	s_mov_b64 s[6:7], 0
	s_mov_b64 s[0:1], 0
                                        ; implicit-def: $vgpr10
	s_branch .LBB127_1515
.LBB127_1507:
	s_trap 2
	s_or_b64 s[2:3], s[2:3], exec
	s_cbranch_execz .LBB127_1446
	s_branch .LBB127_1447
.LBB127_1508:
	s_mov_b64 s[10:11], -1
	s_mov_b64 s[6:7], 0
	s_mov_b64 s[0:1], 0
                                        ; implicit-def: $vgpr10
	s_branch .LBB127_1510
.LBB127_1509:
	s_mov_b64 s[0:1], -1
                                        ; implicit-def: $vgpr10
	s_mov_b64 s[6:7], 0
.LBB127_1510:
	s_and_b64 vcc, exec, s[10:11]
	s_cbranch_vccz .LBB127_1514
; %bb.1511:
	s_cmp_eq_u32 s15, 44
	s_cbranch_scc0 .LBB127_1513
; %bb.1512:
	global_load_ubyte v1, v[12:13], off
	s_mov_b32 s0, 0x2f800000
	s_mov_b32 s1, 0xcf800000
	s_mov_b64 s[6:7], -1
	s_waitcnt vmcnt(0)
	v_lshlrev_b32_e32 v3, 23, v1
	v_trunc_f32_e32 v3, v3
	v_mul_f32_e64 v5, |v3|, s0
	v_floor_f32_e32 v5, v5
	v_fma_f32 v5, v5, s1, |v3|
	v_cvt_u32_f32_e32 v5, v5
	v_ashrrev_i32_e32 v3, 31, v3
	v_cmp_ne_u32_e32 vcc, 0, v1
	s_mov_b64 s[0:1], 0
	v_xor_b32_e32 v5, v5, v3
	v_sub_u32_e32 v3, v5, v3
	v_cndmask_b32_e32 v10, 0, v3, vcc
	s_branch .LBB127_1514
.LBB127_1513:
	s_mov_b64 s[0:1], -1
                                        ; implicit-def: $vgpr10
.LBB127_1514:
	s_mov_b64 s[10:11], 0
.LBB127_1515:
	s_and_b64 vcc, exec, s[10:11]
	s_cbranch_vccz .LBB127_1519
; %bb.1516:
	s_cmp_eq_u32 s15, 29
	s_cbranch_scc0 .LBB127_1518
; %bb.1517:
	global_load_dwordx2 v[10:11], v[12:13], off
	s_mov_b64 s[0:1], 0
	s_mov_b64 s[6:7], -1
	s_branch .LBB127_1519
.LBB127_1518:
	s_mov_b64 s[0:1], -1
                                        ; implicit-def: $vgpr10
.LBB127_1519:
	s_mov_b64 s[10:11], 0
.LBB127_1520:
	s_and_b64 vcc, exec, s[10:11]
	s_cbranch_vccz .LBB127_1536
; %bb.1521:
	s_cmp_lt_i32 s15, 27
	s_cbranch_scc1 .LBB127_1524
; %bb.1522:
	s_cmp_gt_i32 s15, 27
	s_cbranch_scc0 .LBB127_1525
; %bb.1523:
	global_load_dword v10, v[12:13], off
	s_mov_b64 s[6:7], 0
	s_branch .LBB127_1526
.LBB127_1524:
	s_mov_b64 s[6:7], -1
                                        ; implicit-def: $vgpr10
	s_branch .LBB127_1529
.LBB127_1525:
	s_mov_b64 s[6:7], -1
                                        ; implicit-def: $vgpr10
.LBB127_1526:
	s_andn2_b64 vcc, exec, s[6:7]
	s_cbranch_vccnz .LBB127_1528
; %bb.1527:
	global_load_ushort v10, v[12:13], off
.LBB127_1528:
	s_mov_b64 s[6:7], 0
.LBB127_1529:
	s_andn2_b64 vcc, exec, s[6:7]
	s_cbranch_vccnz .LBB127_1535
; %bb.1530:
	global_load_ubyte v1, v[12:13], off
	s_movk_i32 s6, 0x7f
	s_mov_b64 s[10:11], 0
	s_waitcnt vmcnt(0)
	v_cmp_lt_i16_e32 vcc, s6, v1
	s_and_saveexec_b64 s[6:7], vcc
	s_xor_b64 s[6:7], exec, s[6:7]
	s_cbranch_execz .LBB127_1547
; %bb.1531:
	s_movk_i32 s10, 0x80
	v_cmp_ne_u16_e32 vcc, s10, v1
	s_and_b64 s[10:11], vcc, exec
	s_andn2_saveexec_b64 s[6:7], s[6:7]
	s_cbranch_execnz .LBB127_1548
.LBB127_1532:
	s_or_b64 exec, exec, s[6:7]
	v_mov_b32_e32 v10, 0
	s_and_saveexec_b64 s[6:7], s[10:11]
	s_cbranch_execz .LBB127_1534
.LBB127_1533:
	v_lshlrev_b32_e32 v3, 24, v1
	v_and_b32_e32 v1, 0xffff, v1
	v_and_b32_e32 v5, 7, v1
	v_ffbh_u32_e32 v11, v5
	v_min_u32_e32 v11, 32, v11
	v_subrev_u32_e32 v14, 28, v11
	v_bfe_u32 v10, v1, 3, 4
	v_lshlrev_b32_e32 v1, v14, v1
	v_sub_u32_e32 v11, 29, v11
	v_and_b32_e32 v1, 7, v1
	v_cmp_eq_u32_e32 vcc, 0, v10
	v_cndmask_b32_e32 v10, v10, v11, vcc
	v_cndmask_b32_e32 v1, v5, v1, vcc
	v_mov_b32_e32 v5, 0x3b800000
	v_lshlrev_b32_e32 v1, 20, v1
	v_and_b32_e32 v3, 0x80000000, v3
	v_lshl_add_u32 v5, v10, 23, v5
	v_or3_b32 v1, v3, v5, v1
	v_trunc_f32_e32 v1, v1
	s_mov_b32 s10, 0x2f800000
	v_mul_f32_e64 v3, |v1|, s10
	v_floor_f32_e32 v3, v3
	s_mov_b32 s10, 0xcf800000
	v_fma_f32 v3, v3, s10, |v1|
	v_cvt_u32_f32_e32 v3, v3
	v_ashrrev_i32_e32 v1, 31, v1
	v_xor_b32_e32 v3, v3, v1
	v_sub_u32_e32 v10, v3, v1
.LBB127_1534:
	s_or_b64 exec, exec, s[6:7]
.LBB127_1535:
	s_mov_b64 s[6:7], -1
.LBB127_1536:
	s_mov_b64 s[10:11], 0
.LBB127_1537:
	s_and_b64 vcc, exec, s[10:11]
	s_cbranch_vccz .LBB127_1568
; %bb.1538:
	s_cmp_gt_i32 s15, 22
	s_cbranch_scc0 .LBB127_1546
; %bb.1539:
	s_cmp_lt_i32 s15, 24
	s_cbranch_scc1 .LBB127_1549
; %bb.1540:
	s_cmp_gt_i32 s15, 24
	s_cbranch_scc0 .LBB127_1550
; %bb.1541:
	global_load_ubyte v1, v[12:13], off
	s_movk_i32 s4, 0x7f
	s_mov_b64 s[6:7], 0
	s_waitcnt vmcnt(0)
	v_cmp_lt_i16_e32 vcc, s4, v1
	s_and_saveexec_b64 s[4:5], vcc
	s_xor_b64 s[4:5], exec, s[4:5]
	s_cbranch_execz .LBB127_1562
; %bb.1542:
	s_movk_i32 s6, 0x80
	v_cmp_ne_u16_e32 vcc, s6, v1
	s_and_b64 s[6:7], vcc, exec
	s_andn2_saveexec_b64 s[4:5], s[4:5]
	s_cbranch_execnz .LBB127_1563
.LBB127_1543:
	s_or_b64 exec, exec, s[4:5]
	v_mov_b32_e32 v10, 0
	s_and_saveexec_b64 s[4:5], s[6:7]
	s_cbranch_execz .LBB127_1545
.LBB127_1544:
	v_lshlrev_b32_e32 v3, 24, v1
	v_and_b32_e32 v1, 0xffff, v1
	v_and_b32_e32 v5, 3, v1
	v_ffbh_u32_e32 v11, v5
	v_min_u32_e32 v11, 32, v11
	v_subrev_u32_e32 v14, 29, v11
	v_bfe_u32 v10, v1, 2, 5
	v_lshlrev_b32_e32 v1, v14, v1
	v_sub_u32_e32 v11, 30, v11
	v_and_b32_e32 v1, 3, v1
	v_cmp_eq_u32_e32 vcc, 0, v10
	v_cndmask_b32_e32 v10, v10, v11, vcc
	v_cndmask_b32_e32 v1, v5, v1, vcc
	v_mov_b32_e32 v5, 0x37800000
	v_lshlrev_b32_e32 v1, 21, v1
	v_and_b32_e32 v3, 0x80000000, v3
	v_lshl_add_u32 v5, v10, 23, v5
	v_or3_b32 v1, v3, v5, v1
	v_trunc_f32_e32 v1, v1
	s_mov_b32 s6, 0x2f800000
	v_mul_f32_e64 v3, |v1|, s6
	v_floor_f32_e32 v3, v3
	s_mov_b32 s6, 0xcf800000
	v_fma_f32 v3, v3, s6, |v1|
	v_cvt_u32_f32_e32 v3, v3
	v_ashrrev_i32_e32 v1, 31, v1
	v_xor_b32_e32 v3, v3, v1
	v_sub_u32_e32 v10, v3, v1
.LBB127_1545:
	s_or_b64 exec, exec, s[4:5]
	s_mov_b64 s[4:5], 0
	s_branch .LBB127_1551
.LBB127_1546:
	s_mov_b64 s[4:5], -1
                                        ; implicit-def: $vgpr10
	s_branch .LBB127_1557
.LBB127_1547:
	s_andn2_saveexec_b64 s[6:7], s[6:7]
	s_cbranch_execz .LBB127_1532
.LBB127_1548:
	v_cmp_ne_u16_e32 vcc, 0, v1
	s_andn2_b64 s[10:11], s[10:11], exec
	s_and_b64 s[12:13], vcc, exec
	s_or_b64 s[10:11], s[10:11], s[12:13]
	s_or_b64 exec, exec, s[6:7]
	v_mov_b32_e32 v10, 0
	s_and_saveexec_b64 s[6:7], s[10:11]
	s_cbranch_execnz .LBB127_1533
	s_branch .LBB127_1534
.LBB127_1549:
	s_mov_b64 s[4:5], -1
                                        ; implicit-def: $vgpr10
	s_branch .LBB127_1554
.LBB127_1550:
	s_mov_b64 s[4:5], -1
                                        ; implicit-def: $vgpr10
.LBB127_1551:
	s_and_b64 vcc, exec, s[4:5]
	s_cbranch_vccz .LBB127_1553
; %bb.1552:
	global_load_ubyte v1, v[12:13], off
	s_mov_b32 s4, 0x7f800000
	s_brev_b32 s5, 1
	s_mov_b32 s6, 0x2f800000
	s_waitcnt vmcnt(0)
	v_lshlrev_b32_e32 v1, 24, v1
	v_and_b32_e32 v3, 0x7f000000, v1
	v_ffbh_u32_e32 v5, v3
	v_min_u32_e32 v5, 32, v5
	v_sub_u32_e64 v5, v5, 4 clamp
	v_lshlrev_b32_e32 v11, v5, v3
	v_lshlrev_b32_e32 v5, 23, v5
	v_lshrrev_b32_e32 v11, 4, v11
	v_add_u32_e32 v10, 0x1000000, v3
	v_sub_u32_e32 v5, v11, v5
	v_ashrrev_i32_e32 v10, 8, v10
	v_add_u32_e32 v5, 0x3c000000, v5
	v_and_or_b32 v5, v10, s4, v5
	v_cmp_ne_u32_e32 vcc, 0, v3
	v_cndmask_b32_e32 v3, 0, v5, vcc
	v_and_or_b32 v1, v1, s5, v3
	v_trunc_f32_e32 v1, v1
	v_mul_f32_e64 v3, |v1|, s6
	v_floor_f32_e32 v3, v3
	s_mov_b32 s4, 0xcf800000
	v_fma_f32 v3, v3, s4, |v1|
	v_cvt_u32_f32_e32 v3, v3
	v_ashrrev_i32_e32 v1, 31, v1
	v_xor_b32_e32 v3, v3, v1
	v_sub_u32_e32 v10, v3, v1
.LBB127_1553:
	s_mov_b64 s[4:5], 0
.LBB127_1554:
	s_andn2_b64 vcc, exec, s[4:5]
	s_cbranch_vccnz .LBB127_1556
; %bb.1555:
	global_load_ubyte v1, v[12:13], off
	s_movk_i32 s4, 0x7f00
	s_brev_b32 s5, 16
	s_brev_b32 s6, 1
	s_mov_b32 s7, 0x2f800000
	s_waitcnt vmcnt(0)
	v_lshlrev_b16_e32 v3, 8, v1
	v_lshlrev_b32_e32 v1, 25, v1
	v_lshrrev_b32_e32 v5, 4, v1
	v_and_or_b32 v10, v3, s4, 0.5
	v_or_b32_e32 v5, 0x70000000, v5
	v_add_f32_e32 v10, -0.5, v10
	v_mul_f32_e32 v5, 0x7800000, v5
	v_cmp_gt_u32_e32 vcc, s5, v1
	v_bfe_i32 v3, v3, 0, 16
	v_cndmask_b32_e32 v1, v5, v10, vcc
	v_and_or_b32 v1, v3, s6, v1
	v_trunc_f32_e32 v1, v1
	v_mul_f32_e64 v3, |v1|, s7
	v_floor_f32_e32 v3, v3
	s_mov_b32 s4, 0xcf800000
	v_fma_f32 v3, v3, s4, |v1|
	v_cvt_u32_f32_e32 v3, v3
	v_ashrrev_i32_e32 v1, 31, v1
	v_xor_b32_e32 v3, v3, v1
	v_sub_u32_e32 v10, v3, v1
.LBB127_1556:
	s_mov_b64 s[4:5], 0
	s_mov_b64 s[6:7], -1
.LBB127_1557:
	s_andn2_b64 vcc, exec, s[4:5]
	s_mov_b64 s[4:5], 0
	s_cbranch_vccnz .LBB127_1568
; %bb.1558:
	s_cmp_gt_i32 s15, 14
	s_cbranch_scc0 .LBB127_1561
; %bb.1559:
	s_cmp_eq_u32 s15, 15
	s_cbranch_scc0 .LBB127_1564
; %bb.1560:
	global_load_ushort v1, v[12:13], off
	s_mov_b32 s0, 0x2f800000
	s_mov_b32 s1, 0xcf800000
	s_mov_b64 s[6:7], -1
	s_waitcnt vmcnt(0)
	v_lshlrev_b32_e32 v1, 16, v1
	v_trunc_f32_e32 v1, v1
	v_mul_f32_e64 v3, |v1|, s0
	v_floor_f32_e32 v3, v3
	v_fma_f32 v3, v3, s1, |v1|
	v_cvt_u32_f32_e32 v3, v3
	v_ashrrev_i32_e32 v1, 31, v1
	s_mov_b64 s[0:1], 0
	v_xor_b32_e32 v3, v3, v1
	v_sub_u32_e32 v10, v3, v1
	s_branch .LBB127_1565
.LBB127_1561:
	s_mov_b64 s[10:11], -1
                                        ; implicit-def: $vgpr10
	s_branch .LBB127_1566
.LBB127_1562:
	s_andn2_saveexec_b64 s[4:5], s[4:5]
	s_cbranch_execz .LBB127_1543
.LBB127_1563:
	v_cmp_ne_u16_e32 vcc, 0, v1
	s_andn2_b64 s[6:7], s[6:7], exec
	s_and_b64 s[10:11], vcc, exec
	s_or_b64 s[6:7], s[6:7], s[10:11]
	s_or_b64 exec, exec, s[4:5]
	v_mov_b32_e32 v10, 0
	s_and_saveexec_b64 s[4:5], s[6:7]
	s_cbranch_execnz .LBB127_1544
	s_branch .LBB127_1545
.LBB127_1564:
	s_mov_b64 s[0:1], -1
                                        ; implicit-def: $vgpr10
.LBB127_1565:
	s_mov_b64 s[10:11], 0
.LBB127_1566:
	s_and_b64 vcc, exec, s[10:11]
	s_cbranch_vccz .LBB127_1568
; %bb.1567:
	s_cmp_lg_u32 s15, 11
	s_mov_b64 s[4:5], -1
	s_cselect_b64 s[0:1], -1, 0
.LBB127_1568:
	s_and_b64 vcc, exec, s[0:1]
	s_cbranch_vccnz .LBB127_2101
; %bb.1569:
	s_andn2_b64 vcc, exec, s[4:5]
	s_cbranch_vccnz .LBB127_1571
.LBB127_1570:
	global_load_ubyte v1, v[12:13], off
	s_mov_b64 s[6:7], -1
	s_waitcnt vmcnt(0)
	v_cmp_ne_u16_e32 vcc, 0, v1
	v_cndmask_b32_e64 v10, 0, 1, vcc
.LBB127_1571:
	s_mov_b64 s[0:1], 0
.LBB127_1572:
	s_and_b64 vcc, exec, s[0:1]
	s_cbranch_vccz .LBB127_1621
; %bb.1573:
	s_cmp_lt_i32 s15, 5
	s_cbranch_scc1 .LBB127_1578
; %bb.1574:
	s_cmp_lt_i32 s15, 8
	s_cbranch_scc1 .LBB127_1579
	;; [unrolled: 3-line block ×3, first 2 shown]
; %bb.1576:
	s_cmp_gt_i32 s15, 9
	s_cbranch_scc0 .LBB127_1581
; %bb.1577:
	global_load_dwordx2 v[10:11], v[12:13], off
	s_movk_i32 s0, 0xffe0
	s_waitcnt vmcnt(0)
	v_trunc_f64_e32 v[10:11], v[10:11]
	v_ldexp_f64 v[14:15], v[10:11], s0
	s_mov_b32 s0, 0
	s_mov_b32 s1, 0xc1f00000
	v_floor_f64_e32 v[14:15], v[14:15]
	v_fma_f64 v[10:11], v[14:15], s[0:1], v[10:11]
	s_mov_b64 s[0:1], 0
	v_cvt_u32_f64_e32 v10, v[10:11]
	s_branch .LBB127_1582
.LBB127_1578:
	s_mov_b64 s[0:1], -1
                                        ; implicit-def: $vgpr10
	s_branch .LBB127_1600
.LBB127_1579:
	s_mov_b64 s[0:1], -1
                                        ; implicit-def: $vgpr10
	s_branch .LBB127_1588
.LBB127_1580:
	s_mov_b64 s[0:1], -1
                                        ; implicit-def: $vgpr10
	s_branch .LBB127_1585
.LBB127_1581:
	s_mov_b64 s[0:1], -1
                                        ; implicit-def: $vgpr10
.LBB127_1582:
	s_andn2_b64 vcc, exec, s[0:1]
	s_cbranch_vccnz .LBB127_1584
; %bb.1583:
	global_load_dword v1, v[12:13], off
	s_mov_b32 s0, 0x2f800000
	s_waitcnt vmcnt(0)
	v_trunc_f32_e32 v1, v1
	v_mul_f32_e64 v3, |v1|, s0
	v_floor_f32_e32 v3, v3
	s_mov_b32 s0, 0xcf800000
	v_fma_f32 v3, v3, s0, |v1|
	v_cvt_u32_f32_e32 v3, v3
	v_ashrrev_i32_e32 v1, 31, v1
	v_xor_b32_e32 v3, v3, v1
	v_sub_u32_e32 v10, v3, v1
.LBB127_1584:
	s_mov_b64 s[0:1], 0
.LBB127_1585:
	s_andn2_b64 vcc, exec, s[0:1]
	s_cbranch_vccnz .LBB127_1587
; %bb.1586:
	global_load_dword v1, v[12:13], off
	s_waitcnt vmcnt(0)
	v_cvt_f32_f16_e32 v1, v1
	v_cvt_i32_f32_e32 v10, v1
.LBB127_1587:
	s_mov_b64 s[0:1], 0
.LBB127_1588:
	s_andn2_b64 vcc, exec, s[0:1]
	s_cbranch_vccnz .LBB127_1599
; %bb.1589:
	s_cmp_lt_i32 s15, 6
	s_cbranch_scc1 .LBB127_1592
; %bb.1590:
	s_cmp_gt_i32 s15, 6
	s_cbranch_scc0 .LBB127_1593
; %bb.1591:
	global_load_dwordx2 v[10:11], v[12:13], off
	s_movk_i32 s0, 0xffe0
	s_waitcnt vmcnt(0)
	v_trunc_f64_e32 v[10:11], v[10:11]
	v_ldexp_f64 v[14:15], v[10:11], s0
	s_mov_b32 s0, 0
	s_mov_b32 s1, 0xc1f00000
	v_floor_f64_e32 v[14:15], v[14:15]
	v_fma_f64 v[10:11], v[14:15], s[0:1], v[10:11]
	s_mov_b64 s[0:1], 0
	v_cvt_u32_f64_e32 v10, v[10:11]
	s_branch .LBB127_1594
.LBB127_1592:
	s_mov_b64 s[0:1], -1
                                        ; implicit-def: $vgpr10
	s_branch .LBB127_1597
.LBB127_1593:
	s_mov_b64 s[0:1], -1
                                        ; implicit-def: $vgpr10
.LBB127_1594:
	s_andn2_b64 vcc, exec, s[0:1]
	s_cbranch_vccnz .LBB127_1596
; %bb.1595:
	global_load_dword v1, v[12:13], off
	s_mov_b32 s0, 0x2f800000
	s_waitcnt vmcnt(0)
	v_trunc_f32_e32 v1, v1
	v_mul_f32_e64 v3, |v1|, s0
	v_floor_f32_e32 v3, v3
	s_mov_b32 s0, 0xcf800000
	v_fma_f32 v3, v3, s0, |v1|
	v_cvt_u32_f32_e32 v3, v3
	v_ashrrev_i32_e32 v1, 31, v1
	v_xor_b32_e32 v3, v3, v1
	v_sub_u32_e32 v10, v3, v1
.LBB127_1596:
	s_mov_b64 s[0:1], 0
.LBB127_1597:
	s_andn2_b64 vcc, exec, s[0:1]
	s_cbranch_vccnz .LBB127_1599
; %bb.1598:
	global_load_ushort v1, v[12:13], off
	s_waitcnt vmcnt(0)
	v_cvt_f32_f16_e32 v1, v1
	v_cvt_i32_f32_e32 v10, v1
.LBB127_1599:
	s_mov_b64 s[0:1], 0
.LBB127_1600:
	s_andn2_b64 vcc, exec, s[0:1]
	s_cbranch_vccnz .LBB127_1620
; %bb.1601:
	s_cmp_lt_i32 s15, 2
	s_cbranch_scc1 .LBB127_1605
; %bb.1602:
	s_cmp_lt_i32 s15, 3
	s_cbranch_scc1 .LBB127_1606
; %bb.1603:
	s_cmp_gt_i32 s15, 3
	s_cbranch_scc0 .LBB127_1607
; %bb.1604:
	global_load_dwordx2 v[10:11], v[12:13], off
	s_mov_b64 s[0:1], 0
	s_branch .LBB127_1608
.LBB127_1605:
	s_mov_b64 s[0:1], -1
                                        ; implicit-def: $vgpr10
	s_branch .LBB127_1614
.LBB127_1606:
	s_mov_b64 s[0:1], -1
                                        ; implicit-def: $vgpr10
	s_branch .LBB127_1611
.LBB127_1607:
	s_mov_b64 s[0:1], -1
                                        ; implicit-def: $vgpr10
.LBB127_1608:
	s_andn2_b64 vcc, exec, s[0:1]
	s_cbranch_vccnz .LBB127_1610
; %bb.1609:
	global_load_dword v10, v[12:13], off
.LBB127_1610:
	s_mov_b64 s[0:1], 0
.LBB127_1611:
	s_andn2_b64 vcc, exec, s[0:1]
	s_cbranch_vccnz .LBB127_1613
; %bb.1612:
	global_load_ushort v10, v[12:13], off
.LBB127_1613:
	s_mov_b64 s[0:1], 0
.LBB127_1614:
	s_andn2_b64 vcc, exec, s[0:1]
	s_cbranch_vccnz .LBB127_1620
; %bb.1615:
	s_cmp_gt_i32 s15, 0
	s_cbranch_scc0 .LBB127_1617
; %bb.1616:
	global_load_ubyte v10, v[12:13], off
	s_mov_b64 s[0:1], 0
	s_branch .LBB127_1618
.LBB127_1617:
	s_mov_b64 s[0:1], -1
                                        ; implicit-def: $vgpr10
.LBB127_1618:
	s_andn2_b64 vcc, exec, s[0:1]
	s_cbranch_vccnz .LBB127_1620
; %bb.1619:
	global_load_ubyte v10, v[12:13], off
.LBB127_1620:
	s_mov_b64 s[6:7], -1
.LBB127_1621:
	s_andn2_b64 vcc, exec, s[6:7]
	s_cbranch_vccnz .LBB127_2055
; %bb.1622:
	s_lshr_b32 s0, s14, 8
	s_and_b32 s15, s0, 0xff
	s_waitcnt vmcnt(0)
	v_mov_b32_e32 v3, 8
	v_lshrrev_b16_sdwa v1, v7, s15 dst_sel:DWORD dst_unused:UNUSED_PAD src0_sel:BYTE_0 src1_sel:DWORD
	v_cmp_lt_u16_sdwa vcc, v7, v3 src0_sel:BYTE_0 src1_sel:DWORD
	s_bfe_u32 s16, s14, 0x80010
	v_cndmask_b32_e32 v1, 0, v1, vcc
	v_mov_b32_e32 v3, s9
	v_add_co_u32_e32 v5, vcc, s8, v6
	s_cmp_lt_i32 s16, 11
	v_addc_co_u32_e32 v6, vcc, 0, v3, vcc
	s_cbranch_scc1 .LBB127_1700
; %bb.1623:
	s_and_b32 s17, 0xffff, s16
	s_mov_b64 s[10:11], -1
	s_mov_b64 s[4:5], 0
	s_cmp_gt_i32 s17, 25
	s_mov_b64 s[6:7], 0
	s_mov_b64 s[0:1], 0
	s_cbranch_scc0 .LBB127_1656
; %bb.1624:
	s_cmp_gt_i32 s17, 28
	s_cbranch_scc0 .LBB127_1639
; %bb.1625:
	s_cmp_gt_i32 s17, 43
	;; [unrolled: 3-line block ×3, first 2 shown]
	s_cbranch_scc0 .LBB127_1629
; %bb.1627:
	s_mov_b64 s[0:1], -1
	s_mov_b64 s[10:11], 0
	s_cmp_eq_u32 s17, 46
	s_cbranch_scc0 .LBB127_1629
; %bb.1628:
	v_cvt_f32_ubyte0_e32 v3, v1
	v_bfe_u32 v7, v3, 16, 1
	s_movk_i32 s0, 0x7fff
	v_add3_u32 v3, v3, v7, s0
	v_lshrrev_b32_e32 v3, 16, v3
	global_store_dword v[5:6], v3, off
	s_mov_b64 s[0:1], 0
	s_mov_b64 s[6:7], -1
.LBB127_1629:
	s_and_b64 vcc, exec, s[10:11]
	s_cbranch_vccz .LBB127_1634
; %bb.1630:
	s_cmp_eq_u32 s17, 44
	s_mov_b64 s[0:1], -1
	s_cbranch_scc0 .LBB127_1634
; %bb.1631:
	v_cvt_f32_ubyte0_e32 v7, v1
	v_lshrrev_b32_e32 v3, 23, v7
	s_movk_i32 s0, 0xff
	v_cmp_ne_u32_e32 vcc, s0, v3
	v_mov_b32_e32 v11, 0xff
	s_and_saveexec_b64 s[6:7], vcc
; %bb.1632:
	s_mov_b32 s0, 0x3fffff
	v_and_b32_e32 v11, 0x400000, v7
	v_and_or_b32 v7, v7, s0, v3
	v_cmp_ne_u32_e32 vcc, 0, v11
	v_cmp_ne_u32_e64 s[0:1], 0, v7
	s_and_b64 s[0:1], vcc, s[0:1]
	v_cndmask_b32_e64 v7, 0, 1, s[0:1]
	v_add_u32_e32 v11, v3, v7
; %bb.1633:
	s_or_b64 exec, exec, s[6:7]
	s_mov_b64 s[0:1], 0
	s_mov_b64 s[6:7], -1
	global_store_byte v[5:6], v11, off
.LBB127_1634:
	s_mov_b64 s[10:11], 0
.LBB127_1635:
	s_and_b64 vcc, exec, s[10:11]
	s_cbranch_vccz .LBB127_1638
; %bb.1636:
	s_cmp_eq_u32 s17, 29
	s_mov_b64 s[0:1], -1
	s_cbranch_scc0 .LBB127_1638
; %bb.1637:
	s_mov_b32 s0, 0
	v_and_b32_e32 v11, 0xffff, v1
	v_mov_b32_e32 v12, s0
	global_store_dwordx2 v[5:6], v[11:12], off
	s_mov_b64 s[0:1], 0
	s_mov_b64 s[6:7], -1
.LBB127_1638:
	s_mov_b64 s[10:11], 0
.LBB127_1639:
	s_and_b64 vcc, exec, s[10:11]
	s_cbranch_vccz .LBB127_1655
; %bb.1640:
	s_cmp_lt_i32 s17, 27
	s_mov_b64 s[6:7], -1
	s_cbranch_scc1 .LBB127_1646
; %bb.1641:
	s_cmp_gt_i32 s17, 27
	s_cbranch_scc0 .LBB127_1643
; %bb.1642:
	v_and_b32_e32 v3, 0xffff, v1
	s_mov_b64 s[6:7], 0
	global_store_dword v[5:6], v3, off
.LBB127_1643:
	s_andn2_b64 vcc, exec, s[6:7]
	s_cbranch_vccnz .LBB127_1645
; %bb.1644:
	global_store_short v[5:6], v1, off
.LBB127_1645:
	s_mov_b64 s[6:7], 0
.LBB127_1646:
	s_andn2_b64 vcc, exec, s[6:7]
	s_cbranch_vccnz .LBB127_1654
; %bb.1647:
	v_cvt_f32_ubyte0_e32 v7, v1
	s_mov_b32 s6, 0x43800000
	v_cmp_gt_u32_e32 vcc, s6, v7
	v_mov_b32_e32 v11, 0x80
	s_and_saveexec_b64 s[6:7], vcc
	s_cbranch_execz .LBB127_1653
; %bb.1648:
	s_mov_b32 s10, 0x3bffffff
	v_cmp_lt_u32_e32 vcc, s10, v7
	s_mov_b64 s[10:11], 0
                                        ; implicit-def: $vgpr3
	s_and_saveexec_b64 s[12:13], vcc
	s_xor_b64 s[12:13], exec, s[12:13]
	s_cbranch_execz .LBB127_2102
; %bb.1649:
	v_bfe_u32 v3, v7, 20, 1
	s_mov_b32 s18, 0x487ffff
	v_add3_u32 v3, v7, v3, s18
	s_mov_b64 s[10:11], exec
	v_lshrrev_b32_e32 v3, 20, v3
                                        ; implicit-def: $vgpr7
	s_andn2_saveexec_b64 s[12:13], s[12:13]
	s_cbranch_execnz .LBB127_2103
.LBB127_1650:
	s_or_b64 exec, exec, s[12:13]
	v_mov_b32_e32 v11, 0
	s_and_saveexec_b64 s[12:13], s[10:11]
.LBB127_1651:
	v_mov_b32_e32 v11, v3
.LBB127_1652:
	s_or_b64 exec, exec, s[12:13]
.LBB127_1653:
	s_or_b64 exec, exec, s[6:7]
	global_store_byte v[5:6], v11, off
.LBB127_1654:
	s_mov_b64 s[6:7], -1
.LBB127_1655:
	s_mov_b64 s[10:11], 0
.LBB127_1656:
	s_and_b64 vcc, exec, s[10:11]
	s_cbranch_vccz .LBB127_1696
; %bb.1657:
	s_cmp_gt_i32 s17, 22
	s_mov_b64 s[4:5], -1
	s_cbranch_scc0 .LBB127_1689
; %bb.1658:
	s_cmp_lt_i32 s17, 24
	s_cbranch_scc1 .LBB127_1678
; %bb.1659:
	s_cmp_gt_i32 s17, 24
	s_cbranch_scc0 .LBB127_1667
; %bb.1660:
	v_cvt_f32_ubyte0_e32 v7, v1
	s_mov_b32 s4, 0x47800000
	v_cmp_gt_u32_e32 vcc, s4, v7
	v_mov_b32_e32 v11, 0x80
	s_and_saveexec_b64 s[4:5], vcc
	s_cbranch_execz .LBB127_1666
; %bb.1661:
	s_mov_b32 s6, 0x37ffffff
	v_cmp_lt_u32_e32 vcc, s6, v7
	s_mov_b64 s[6:7], 0
                                        ; implicit-def: $vgpr3
	s_and_saveexec_b64 s[10:11], vcc
	s_xor_b64 s[10:11], exec, s[10:11]
	s_cbranch_execz .LBB127_2105
; %bb.1662:
	v_bfe_u32 v3, v7, 21, 1
	s_mov_b32 s12, 0x88fffff
	v_add3_u32 v3, v7, v3, s12
	s_mov_b64 s[6:7], exec
	v_lshrrev_b32_e32 v3, 21, v3
                                        ; implicit-def: $vgpr7
	s_andn2_saveexec_b64 s[10:11], s[10:11]
	s_cbranch_execnz .LBB127_2106
.LBB127_1663:
	s_or_b64 exec, exec, s[10:11]
	v_mov_b32_e32 v11, 0
	s_and_saveexec_b64 s[10:11], s[6:7]
.LBB127_1664:
	v_mov_b32_e32 v11, v3
.LBB127_1665:
	s_or_b64 exec, exec, s[10:11]
.LBB127_1666:
	s_or_b64 exec, exec, s[4:5]
	s_mov_b64 s[4:5], 0
	global_store_byte v[5:6], v11, off
.LBB127_1667:
	s_and_b64 vcc, exec, s[4:5]
	s_cbranch_vccz .LBB127_1677
; %bb.1668:
	v_cvt_f32_ubyte0_e32 v3, v1
	s_mov_b32 s4, 0x43f00000
	v_cmp_gt_u32_e32 vcc, s4, v3
                                        ; implicit-def: $vgpr7
	s_and_saveexec_b64 s[4:5], vcc
	s_xor_b64 s[4:5], exec, s[4:5]
	s_cbranch_execz .LBB127_1674
; %bb.1669:
	s_mov_b32 s6, 0x3c7fffff
	v_cmp_lt_u32_e32 vcc, s6, v3
                                        ; implicit-def: $vgpr7
	s_and_saveexec_b64 s[6:7], vcc
	s_xor_b64 s[6:7], exec, s[6:7]
; %bb.1670:
	v_bfe_u32 v7, v3, 20, 1
	s_mov_b32 s10, 0x407ffff
	v_add3_u32 v3, v3, v7, s10
	v_lshrrev_b32_e32 v7, 20, v3
	v_and_b32_e32 v3, 0xff00000, v3
	s_mov_b32 s10, 0x7f00000
	v_mov_b32_e32 v11, 0x7e
	v_cmp_ne_u32_e32 vcc, s10, v3
	v_cndmask_b32_e32 v7, v11, v7, vcc
                                        ; implicit-def: $vgpr3
; %bb.1671:
	s_andn2_saveexec_b64 s[6:7], s[6:7]
; %bb.1672:
	v_add_f32_e32 v7, 0x46800000, v3
; %bb.1673:
	s_or_b64 exec, exec, s[6:7]
                                        ; implicit-def: $vgpr3
.LBB127_1674:
	s_andn2_saveexec_b64 s[4:5], s[4:5]
; %bb.1675:
	s_mov_b32 s6, 0x7f800000
	v_mov_b32_e32 v7, 0x7e
	v_mov_b32_e32 v11, 0x7f
	v_cmp_lt_u32_e32 vcc, s6, v3
	v_cndmask_b32_e32 v7, v7, v11, vcc
; %bb.1676:
	s_or_b64 exec, exec, s[4:5]
	global_store_byte v[5:6], v7, off
.LBB127_1677:
	s_mov_b64 s[4:5], 0
.LBB127_1678:
	s_andn2_b64 vcc, exec, s[4:5]
	s_cbranch_vccnz .LBB127_1688
; %bb.1679:
	v_cvt_f32_ubyte0_e32 v3, v1
	s_mov_b32 s4, 0x47800000
	v_cmp_gt_u32_e32 vcc, s4, v3
                                        ; implicit-def: $vgpr7
	s_and_saveexec_b64 s[4:5], vcc
	s_xor_b64 s[4:5], exec, s[4:5]
	s_cbranch_execz .LBB127_1685
; %bb.1680:
	s_mov_b32 s6, 0x387fffff
	v_cmp_lt_u32_e32 vcc, s6, v3
                                        ; implicit-def: $vgpr7
	s_and_saveexec_b64 s[6:7], vcc
	s_xor_b64 s[6:7], exec, s[6:7]
; %bb.1681:
	v_bfe_u32 v7, v3, 21, 1
	s_mov_b32 s10, 0x80fffff
	v_add3_u32 v3, v3, v7, s10
	v_lshrrev_b32_e32 v7, 21, v3
                                        ; implicit-def: $vgpr3
; %bb.1682:
	s_andn2_saveexec_b64 s[6:7], s[6:7]
; %bb.1683:
	v_add_f32_e32 v7, 0x43000000, v3
; %bb.1684:
	s_or_b64 exec, exec, s[6:7]
                                        ; implicit-def: $vgpr3
.LBB127_1685:
	s_andn2_saveexec_b64 s[4:5], s[4:5]
; %bb.1686:
	s_mov_b32 s6, 0x7f800000
	v_mov_b32_e32 v7, 0x7c
	v_mov_b32_e32 v11, 0x7f
	v_cmp_lt_u32_e32 vcc, s6, v3
	v_cndmask_b32_e32 v7, v7, v11, vcc
; %bb.1687:
	s_or_b64 exec, exec, s[4:5]
	global_store_byte v[5:6], v7, off
.LBB127_1688:
	s_mov_b64 s[4:5], 0
	s_mov_b64 s[6:7], -1
.LBB127_1689:
	s_andn2_b64 vcc, exec, s[4:5]
	s_mov_b64 s[4:5], 0
	s_cbranch_vccnz .LBB127_1696
; %bb.1690:
	s_cmp_gt_i32 s17, 14
	s_mov_b64 s[10:11], -1
	s_cbranch_scc0 .LBB127_1694
; %bb.1691:
	s_cmp_eq_u32 s17, 15
	s_mov_b64 s[0:1], -1
	s_cbranch_scc0 .LBB127_1693
; %bb.1692:
	v_cvt_f32_ubyte0_e32 v3, v1
	v_bfe_u32 v7, v3, 16, 1
	s_movk_i32 s0, 0x7fff
	v_add3_u32 v3, v3, v7, s0
	global_store_short_d16_hi v[5:6], v3, off
	s_mov_b64 s[0:1], 0
	s_mov_b64 s[6:7], -1
.LBB127_1693:
	s_mov_b64 s[10:11], 0
.LBB127_1694:
	s_and_b64 vcc, exec, s[10:11]
	s_cbranch_vccz .LBB127_1696
; %bb.1695:
	s_cmp_lg_u32 s17, 11
	s_mov_b64 s[4:5], -1
	s_cselect_b64 s[0:1], -1, 0
.LBB127_1696:
	s_and_b64 vcc, exec, s[0:1]
	s_cbranch_vccnz .LBB127_2104
; %bb.1697:
	s_andn2_b64 vcc, exec, s[4:5]
	s_cbranch_vccnz .LBB127_1699
.LBB127_1698:
	v_cmp_ne_u16_e32 vcc, 0, v1
	v_cndmask_b32_e64 v3, 0, 1, vcc
	s_mov_b64 s[6:7], -1
	global_store_byte v[5:6], v3, off
.LBB127_1699:
	s_mov_b64 s[0:1], 0
	s_branch .LBB127_1701
.LBB127_1700:
	s_mov_b64 s[0:1], -1
	s_mov_b64 s[6:7], 0
.LBB127_1701:
	s_and_b64 vcc, exec, s[0:1]
	s_cbranch_vccz .LBB127_1740
; %bb.1702:
	s_and_b32 s4, 0xffff, s16
	s_cmp_lt_i32 s4, 5
	s_mov_b64 s[0:1], -1
	s_cbranch_scc1 .LBB127_1723
; %bb.1703:
	s_cmp_lt_i32 s4, 8
	s_cbranch_scc1 .LBB127_1713
; %bb.1704:
	s_cmp_lt_i32 s4, 9
	s_cbranch_scc1 .LBB127_1710
; %bb.1705:
	s_cmp_gt_i32 s4, 9
	s_cbranch_scc0 .LBB127_1707
; %bb.1706:
	v_and_b32_e32 v3, 0xffff, v1
	v_cvt_f64_u32_e32 v[11:12], v3
	v_mov_b32_e32 v13, 0
	v_mov_b32_e32 v14, v13
	s_mov_b64 s[0:1], 0
	global_store_dwordx4 v[5:6], v[11:14], off
.LBB127_1707:
	s_andn2_b64 vcc, exec, s[0:1]
	s_cbranch_vccnz .LBB127_1709
; %bb.1708:
	v_cvt_f32_ubyte0_e32 v11, v1
	v_mov_b32_e32 v12, 0
	global_store_dwordx2 v[5:6], v[11:12], off
.LBB127_1709:
	s_mov_b64 s[0:1], 0
.LBB127_1710:
	s_andn2_b64 vcc, exec, s[0:1]
	s_cbranch_vccnz .LBB127_1712
; %bb.1711:
	v_cvt_f16_u16_e32 v3, v1
	global_store_dword v[5:6], v3, off
.LBB127_1712:
	s_mov_b64 s[0:1], 0
.LBB127_1713:
	s_andn2_b64 vcc, exec, s[0:1]
	s_cbranch_vccnz .LBB127_1722
; %bb.1714:
	s_cmp_lt_i32 s4, 6
	s_mov_b64 s[0:1], -1
	s_cbranch_scc1 .LBB127_1720
; %bb.1715:
	s_cmp_gt_i32 s4, 6
	s_cbranch_scc0 .LBB127_1717
; %bb.1716:
	v_and_b32_e32 v3, 0xffff, v1
	v_cvt_f64_u32_e32 v[11:12], v3
	s_mov_b64 s[0:1], 0
	global_store_dwordx2 v[5:6], v[11:12], off
.LBB127_1717:
	s_andn2_b64 vcc, exec, s[0:1]
	s_cbranch_vccnz .LBB127_1719
; %bb.1718:
	v_cvt_f32_ubyte0_e32 v3, v1
	global_store_dword v[5:6], v3, off
.LBB127_1719:
	s_mov_b64 s[0:1], 0
.LBB127_1720:
	s_andn2_b64 vcc, exec, s[0:1]
	s_cbranch_vccnz .LBB127_1722
; %bb.1721:
	v_cvt_f16_u16_e32 v3, v1
	global_store_short v[5:6], v3, off
.LBB127_1722:
	s_mov_b64 s[0:1], 0
.LBB127_1723:
	s_andn2_b64 vcc, exec, s[0:1]
	s_cbranch_vccnz .LBB127_1739
; %bb.1724:
	s_cmp_lt_i32 s4, 2
	s_mov_b64 s[0:1], -1
	s_cbranch_scc1 .LBB127_1734
; %bb.1725:
	s_cmp_lt_i32 s4, 3
	s_cbranch_scc1 .LBB127_1731
; %bb.1726:
	s_cmp_gt_i32 s4, 3
	s_cbranch_scc0 .LBB127_1728
; %bb.1727:
	s_mov_b32 s0, 0
	v_and_b32_e32 v11, 0xffff, v1
	v_mov_b32_e32 v12, s0
	global_store_dwordx2 v[5:6], v[11:12], off
	s_mov_b64 s[0:1], 0
.LBB127_1728:
	s_andn2_b64 vcc, exec, s[0:1]
	s_cbranch_vccnz .LBB127_1730
; %bb.1729:
	v_and_b32_e32 v3, 0xffff, v1
	global_store_dword v[5:6], v3, off
.LBB127_1730:
	s_mov_b64 s[0:1], 0
.LBB127_1731:
	s_andn2_b64 vcc, exec, s[0:1]
	s_cbranch_vccnz .LBB127_1733
; %bb.1732:
	global_store_short v[5:6], v1, off
.LBB127_1733:
	s_mov_b64 s[0:1], 0
.LBB127_1734:
	s_andn2_b64 vcc, exec, s[0:1]
	s_cbranch_vccnz .LBB127_1739
; %bb.1735:
	s_cmp_gt_i32 s4, 0
	s_mov_b64 s[0:1], -1
	s_cbranch_scc0 .LBB127_1737
; %bb.1736:
	global_store_byte v[5:6], v1, off
	s_mov_b64 s[0:1], 0
.LBB127_1737:
	s_andn2_b64 vcc, exec, s[0:1]
	s_cbranch_vccnz .LBB127_1739
; %bb.1738:
	global_store_byte v[5:6], v1, off
.LBB127_1739:
	s_mov_b64 s[6:7], -1
.LBB127_1740:
	s_andn2_b64 vcc, exec, s[6:7]
	s_cbranch_vccnz .LBB127_2055
; %bb.1741:
	v_mov_b32_e32 v3, 8
	s_lshr_b32 s0, s14, 16
	v_lshrrev_b16_sdwa v1, v8, s15 dst_sel:DWORD dst_unused:UNUSED_PAD src0_sel:BYTE_0 src1_sel:DWORD
	v_cmp_lt_u16_sdwa vcc, v8, v3 src0_sel:BYTE_0 src1_sel:DWORD
	s_and_b32 s14, s0, 0xff
	v_cndmask_b32_e32 v1, 0, v1, vcc
	v_mov_b32_e32 v5, s9
	v_add_co_u32_e32 v3, vcc, s8, v4
	s_cmp_lt_i32 s14, 11
	v_addc_co_u32_e32 v4, vcc, 0, v5, vcc
	s_cbranch_scc1 .LBB127_1819
; %bb.1742:
	s_and_b32 s16, 0xffff, s14
	s_mov_b64 s[10:11], -1
	s_mov_b64 s[4:5], 0
	s_cmp_gt_i32 s16, 25
	s_mov_b64 s[6:7], 0
	s_mov_b64 s[0:1], 0
	s_cbranch_scc0 .LBB127_1775
; %bb.1743:
	s_cmp_gt_i32 s16, 28
	s_cbranch_scc0 .LBB127_1758
; %bb.1744:
	s_cmp_gt_i32 s16, 43
	;; [unrolled: 3-line block ×3, first 2 shown]
	s_cbranch_scc0 .LBB127_1748
; %bb.1746:
	s_mov_b64 s[0:1], -1
	s_mov_b64 s[10:11], 0
	s_cmp_eq_u32 s16, 46
	s_cbranch_scc0 .LBB127_1748
; %bb.1747:
	v_cvt_f32_ubyte0_e32 v5, v1
	v_bfe_u32 v6, v5, 16, 1
	s_movk_i32 s0, 0x7fff
	v_add3_u32 v5, v5, v6, s0
	v_lshrrev_b32_e32 v5, 16, v5
	global_store_dword v[3:4], v5, off
	s_mov_b64 s[0:1], 0
	s_mov_b64 s[6:7], -1
.LBB127_1748:
	s_and_b64 vcc, exec, s[10:11]
	s_cbranch_vccz .LBB127_1753
; %bb.1749:
	s_cmp_eq_u32 s16, 44
	s_mov_b64 s[0:1], -1
	s_cbranch_scc0 .LBB127_1753
; %bb.1750:
	v_cvt_f32_ubyte0_e32 v6, v1
	v_lshrrev_b32_e32 v5, 23, v6
	s_movk_i32 s0, 0xff
	v_cmp_ne_u32_e32 vcc, s0, v5
	v_mov_b32_e32 v7, 0xff
	s_and_saveexec_b64 s[6:7], vcc
; %bb.1751:
	s_mov_b32 s0, 0x3fffff
	v_and_b32_e32 v7, 0x400000, v6
	v_and_or_b32 v6, v6, s0, v5
	v_cmp_ne_u32_e32 vcc, 0, v7
	v_cmp_ne_u32_e64 s[0:1], 0, v6
	s_and_b64 s[0:1], vcc, s[0:1]
	v_cndmask_b32_e64 v6, 0, 1, s[0:1]
	v_add_u32_e32 v7, v5, v6
; %bb.1752:
	s_or_b64 exec, exec, s[6:7]
	s_mov_b64 s[0:1], 0
	s_mov_b64 s[6:7], -1
	global_store_byte v[3:4], v7, off
.LBB127_1753:
	s_mov_b64 s[10:11], 0
.LBB127_1754:
	s_and_b64 vcc, exec, s[10:11]
	s_cbranch_vccz .LBB127_1757
; %bb.1755:
	s_cmp_eq_u32 s16, 29
	s_mov_b64 s[0:1], -1
	s_cbranch_scc0 .LBB127_1757
; %bb.1756:
	s_mov_b32 s0, 0
	v_and_b32_e32 v5, 0xffff, v1
	v_mov_b32_e32 v6, s0
	global_store_dwordx2 v[3:4], v[5:6], off
	s_mov_b64 s[0:1], 0
	s_mov_b64 s[6:7], -1
.LBB127_1757:
	s_mov_b64 s[10:11], 0
.LBB127_1758:
	s_and_b64 vcc, exec, s[10:11]
	s_cbranch_vccz .LBB127_1774
; %bb.1759:
	s_cmp_lt_i32 s16, 27
	s_mov_b64 s[6:7], -1
	s_cbranch_scc1 .LBB127_1765
; %bb.1760:
	s_cmp_gt_i32 s16, 27
	s_cbranch_scc0 .LBB127_1762
; %bb.1761:
	v_and_b32_e32 v5, 0xffff, v1
	s_mov_b64 s[6:7], 0
	global_store_dword v[3:4], v5, off
.LBB127_1762:
	s_andn2_b64 vcc, exec, s[6:7]
	s_cbranch_vccnz .LBB127_1764
; %bb.1763:
	global_store_short v[3:4], v1, off
.LBB127_1764:
	s_mov_b64 s[6:7], 0
.LBB127_1765:
	s_andn2_b64 vcc, exec, s[6:7]
	s_cbranch_vccnz .LBB127_1773
; %bb.1766:
	v_cvt_f32_ubyte0_e32 v6, v1
	s_mov_b32 s6, 0x43800000
	v_cmp_gt_u32_e32 vcc, s6, v6
	v_mov_b32_e32 v7, 0x80
	s_and_saveexec_b64 s[6:7], vcc
	s_cbranch_execz .LBB127_1772
; %bb.1767:
	s_mov_b32 s10, 0x3bffffff
	v_cmp_lt_u32_e32 vcc, s10, v6
	s_mov_b64 s[10:11], 0
                                        ; implicit-def: $vgpr5
	s_and_saveexec_b64 s[12:13], vcc
	s_xor_b64 s[12:13], exec, s[12:13]
	s_cbranch_execz .LBB127_2107
; %bb.1768:
	v_bfe_u32 v5, v6, 20, 1
	s_mov_b32 s17, 0x487ffff
	v_add3_u32 v5, v6, v5, s17
	s_mov_b64 s[10:11], exec
	v_lshrrev_b32_e32 v5, 20, v5
                                        ; implicit-def: $vgpr6
	s_andn2_saveexec_b64 s[12:13], s[12:13]
	s_cbranch_execnz .LBB127_2108
.LBB127_1769:
	s_or_b64 exec, exec, s[12:13]
	v_mov_b32_e32 v7, 0
	s_and_saveexec_b64 s[12:13], s[10:11]
.LBB127_1770:
	v_mov_b32_e32 v7, v5
.LBB127_1771:
	s_or_b64 exec, exec, s[12:13]
.LBB127_1772:
	s_or_b64 exec, exec, s[6:7]
	global_store_byte v[3:4], v7, off
.LBB127_1773:
	s_mov_b64 s[6:7], -1
.LBB127_1774:
	s_mov_b64 s[10:11], 0
.LBB127_1775:
	s_and_b64 vcc, exec, s[10:11]
	s_cbranch_vccz .LBB127_1815
; %bb.1776:
	s_cmp_gt_i32 s16, 22
	s_mov_b64 s[4:5], -1
	s_cbranch_scc0 .LBB127_1808
; %bb.1777:
	s_cmp_lt_i32 s16, 24
	s_cbranch_scc1 .LBB127_1797
; %bb.1778:
	s_cmp_gt_i32 s16, 24
	s_cbranch_scc0 .LBB127_1786
; %bb.1779:
	v_cvt_f32_ubyte0_e32 v6, v1
	s_mov_b32 s4, 0x47800000
	v_cmp_gt_u32_e32 vcc, s4, v6
	v_mov_b32_e32 v7, 0x80
	s_and_saveexec_b64 s[4:5], vcc
	s_cbranch_execz .LBB127_1785
; %bb.1780:
	s_mov_b32 s6, 0x37ffffff
	v_cmp_lt_u32_e32 vcc, s6, v6
	s_mov_b64 s[6:7], 0
                                        ; implicit-def: $vgpr5
	s_and_saveexec_b64 s[10:11], vcc
	s_xor_b64 s[10:11], exec, s[10:11]
	s_cbranch_execz .LBB127_2110
; %bb.1781:
	v_bfe_u32 v5, v6, 21, 1
	s_mov_b32 s12, 0x88fffff
	v_add3_u32 v5, v6, v5, s12
	s_mov_b64 s[6:7], exec
	v_lshrrev_b32_e32 v5, 21, v5
                                        ; implicit-def: $vgpr6
	s_andn2_saveexec_b64 s[10:11], s[10:11]
	s_cbranch_execnz .LBB127_2111
.LBB127_1782:
	s_or_b64 exec, exec, s[10:11]
	v_mov_b32_e32 v7, 0
	s_and_saveexec_b64 s[10:11], s[6:7]
.LBB127_1783:
	v_mov_b32_e32 v7, v5
.LBB127_1784:
	s_or_b64 exec, exec, s[10:11]
.LBB127_1785:
	s_or_b64 exec, exec, s[4:5]
	s_mov_b64 s[4:5], 0
	global_store_byte v[3:4], v7, off
.LBB127_1786:
	s_and_b64 vcc, exec, s[4:5]
	s_cbranch_vccz .LBB127_1796
; %bb.1787:
	v_cvt_f32_ubyte0_e32 v5, v1
	s_mov_b32 s4, 0x43f00000
	v_cmp_gt_u32_e32 vcc, s4, v5
                                        ; implicit-def: $vgpr6
	s_and_saveexec_b64 s[4:5], vcc
	s_xor_b64 s[4:5], exec, s[4:5]
	s_cbranch_execz .LBB127_1793
; %bb.1788:
	s_mov_b32 s6, 0x3c7fffff
	v_cmp_lt_u32_e32 vcc, s6, v5
                                        ; implicit-def: $vgpr6
	s_and_saveexec_b64 s[6:7], vcc
	s_xor_b64 s[6:7], exec, s[6:7]
; %bb.1789:
	v_bfe_u32 v6, v5, 20, 1
	s_mov_b32 s10, 0x407ffff
	v_add3_u32 v5, v5, v6, s10
	v_lshrrev_b32_e32 v6, 20, v5
	v_and_b32_e32 v5, 0xff00000, v5
	s_mov_b32 s10, 0x7f00000
	v_mov_b32_e32 v7, 0x7e
	v_cmp_ne_u32_e32 vcc, s10, v5
	v_cndmask_b32_e32 v6, v7, v6, vcc
                                        ; implicit-def: $vgpr5
; %bb.1790:
	s_andn2_saveexec_b64 s[6:7], s[6:7]
; %bb.1791:
	v_add_f32_e32 v6, 0x46800000, v5
; %bb.1792:
	s_or_b64 exec, exec, s[6:7]
                                        ; implicit-def: $vgpr5
.LBB127_1793:
	s_andn2_saveexec_b64 s[4:5], s[4:5]
; %bb.1794:
	s_mov_b32 s6, 0x7f800000
	v_mov_b32_e32 v6, 0x7e
	v_mov_b32_e32 v7, 0x7f
	v_cmp_lt_u32_e32 vcc, s6, v5
	v_cndmask_b32_e32 v6, v6, v7, vcc
; %bb.1795:
	s_or_b64 exec, exec, s[4:5]
	global_store_byte v[3:4], v6, off
.LBB127_1796:
	s_mov_b64 s[4:5], 0
.LBB127_1797:
	s_andn2_b64 vcc, exec, s[4:5]
	s_cbranch_vccnz .LBB127_1807
; %bb.1798:
	v_cvt_f32_ubyte0_e32 v5, v1
	s_mov_b32 s4, 0x47800000
	v_cmp_gt_u32_e32 vcc, s4, v5
                                        ; implicit-def: $vgpr6
	s_and_saveexec_b64 s[4:5], vcc
	s_xor_b64 s[4:5], exec, s[4:5]
	s_cbranch_execz .LBB127_1804
; %bb.1799:
	s_mov_b32 s6, 0x387fffff
	v_cmp_lt_u32_e32 vcc, s6, v5
                                        ; implicit-def: $vgpr6
	s_and_saveexec_b64 s[6:7], vcc
	s_xor_b64 s[6:7], exec, s[6:7]
; %bb.1800:
	v_bfe_u32 v6, v5, 21, 1
	s_mov_b32 s10, 0x80fffff
	v_add3_u32 v5, v5, v6, s10
	v_lshrrev_b32_e32 v6, 21, v5
                                        ; implicit-def: $vgpr5
; %bb.1801:
	s_andn2_saveexec_b64 s[6:7], s[6:7]
; %bb.1802:
	v_add_f32_e32 v6, 0x43000000, v5
; %bb.1803:
	s_or_b64 exec, exec, s[6:7]
                                        ; implicit-def: $vgpr5
.LBB127_1804:
	s_andn2_saveexec_b64 s[4:5], s[4:5]
; %bb.1805:
	s_mov_b32 s6, 0x7f800000
	v_mov_b32_e32 v6, 0x7c
	v_mov_b32_e32 v7, 0x7f
	v_cmp_lt_u32_e32 vcc, s6, v5
	v_cndmask_b32_e32 v6, v6, v7, vcc
; %bb.1806:
	s_or_b64 exec, exec, s[4:5]
	global_store_byte v[3:4], v6, off
.LBB127_1807:
	s_mov_b64 s[4:5], 0
	s_mov_b64 s[6:7], -1
.LBB127_1808:
	s_andn2_b64 vcc, exec, s[4:5]
	s_mov_b64 s[4:5], 0
	s_cbranch_vccnz .LBB127_1815
; %bb.1809:
	s_cmp_gt_i32 s16, 14
	s_mov_b64 s[10:11], -1
	s_cbranch_scc0 .LBB127_1813
; %bb.1810:
	s_cmp_eq_u32 s16, 15
	s_mov_b64 s[0:1], -1
	s_cbranch_scc0 .LBB127_1812
; %bb.1811:
	v_cvt_f32_ubyte0_e32 v5, v1
	v_bfe_u32 v6, v5, 16, 1
	s_movk_i32 s0, 0x7fff
	v_add3_u32 v5, v5, v6, s0
	global_store_short_d16_hi v[3:4], v5, off
	s_mov_b64 s[0:1], 0
	s_mov_b64 s[6:7], -1
.LBB127_1812:
	s_mov_b64 s[10:11], 0
.LBB127_1813:
	s_and_b64 vcc, exec, s[10:11]
	s_cbranch_vccz .LBB127_1815
; %bb.1814:
	s_cmp_lg_u32 s16, 11
	s_mov_b64 s[4:5], -1
	s_cselect_b64 s[0:1], -1, 0
.LBB127_1815:
	s_and_b64 vcc, exec, s[0:1]
	s_cbranch_vccnz .LBB127_2109
; %bb.1816:
	s_andn2_b64 vcc, exec, s[4:5]
	s_cbranch_vccnz .LBB127_1818
.LBB127_1817:
	v_cmp_ne_u16_e32 vcc, 0, v1
	v_cndmask_b32_e64 v5, 0, 1, vcc
	s_mov_b64 s[6:7], -1
	global_store_byte v[3:4], v5, off
.LBB127_1818:
	s_mov_b64 s[0:1], 0
	s_branch .LBB127_1820
.LBB127_1819:
	s_mov_b64 s[0:1], -1
	s_mov_b64 s[6:7], 0
.LBB127_1820:
	s_and_b64 vcc, exec, s[0:1]
	s_cbranch_vccz .LBB127_1859
; %bb.1821:
	s_and_b32 s4, 0xffff, s14
	s_cmp_lt_i32 s4, 5
	s_mov_b64 s[0:1], -1
	s_cbranch_scc1 .LBB127_1842
; %bb.1822:
	s_cmp_lt_i32 s4, 8
	s_cbranch_scc1 .LBB127_1832
; %bb.1823:
	s_cmp_lt_i32 s4, 9
	s_cbranch_scc1 .LBB127_1829
; %bb.1824:
	s_cmp_gt_i32 s4, 9
	s_cbranch_scc0 .LBB127_1826
; %bb.1825:
	v_and_b32_e32 v5, 0xffff, v1
	v_cvt_f64_u32_e32 v[5:6], v5
	v_mov_b32_e32 v7, 0
	v_mov_b32_e32 v8, v7
	s_mov_b64 s[0:1], 0
	global_store_dwordx4 v[3:4], v[5:8], off
.LBB127_1826:
	s_andn2_b64 vcc, exec, s[0:1]
	s_cbranch_vccnz .LBB127_1828
; %bb.1827:
	v_cvt_f32_ubyte0_e32 v5, v1
	v_mov_b32_e32 v6, 0
	global_store_dwordx2 v[3:4], v[5:6], off
.LBB127_1828:
	s_mov_b64 s[0:1], 0
.LBB127_1829:
	s_andn2_b64 vcc, exec, s[0:1]
	s_cbranch_vccnz .LBB127_1831
; %bb.1830:
	v_cvt_f16_u16_e32 v5, v1
	global_store_dword v[3:4], v5, off
.LBB127_1831:
	s_mov_b64 s[0:1], 0
.LBB127_1832:
	s_andn2_b64 vcc, exec, s[0:1]
	s_cbranch_vccnz .LBB127_1841
; %bb.1833:
	s_cmp_lt_i32 s4, 6
	s_mov_b64 s[0:1], -1
	s_cbranch_scc1 .LBB127_1839
; %bb.1834:
	s_cmp_gt_i32 s4, 6
	s_cbranch_scc0 .LBB127_1836
; %bb.1835:
	v_and_b32_e32 v5, 0xffff, v1
	v_cvt_f64_u32_e32 v[5:6], v5
	s_mov_b64 s[0:1], 0
	global_store_dwordx2 v[3:4], v[5:6], off
.LBB127_1836:
	s_andn2_b64 vcc, exec, s[0:1]
	s_cbranch_vccnz .LBB127_1838
; %bb.1837:
	v_cvt_f32_ubyte0_e32 v5, v1
	global_store_dword v[3:4], v5, off
.LBB127_1838:
	s_mov_b64 s[0:1], 0
.LBB127_1839:
	s_andn2_b64 vcc, exec, s[0:1]
	s_cbranch_vccnz .LBB127_1841
; %bb.1840:
	v_cvt_f16_u16_e32 v5, v1
	global_store_short v[3:4], v5, off
.LBB127_1841:
	s_mov_b64 s[0:1], 0
.LBB127_1842:
	s_andn2_b64 vcc, exec, s[0:1]
	s_cbranch_vccnz .LBB127_1858
; %bb.1843:
	s_cmp_lt_i32 s4, 2
	s_mov_b64 s[0:1], -1
	s_cbranch_scc1 .LBB127_1853
; %bb.1844:
	s_cmp_lt_i32 s4, 3
	s_cbranch_scc1 .LBB127_1850
; %bb.1845:
	s_cmp_gt_i32 s4, 3
	s_cbranch_scc0 .LBB127_1847
; %bb.1846:
	s_mov_b32 s0, 0
	v_and_b32_e32 v5, 0xffff, v1
	v_mov_b32_e32 v6, s0
	global_store_dwordx2 v[3:4], v[5:6], off
	s_mov_b64 s[0:1], 0
.LBB127_1847:
	s_andn2_b64 vcc, exec, s[0:1]
	s_cbranch_vccnz .LBB127_1849
; %bb.1848:
	v_and_b32_e32 v5, 0xffff, v1
	global_store_dword v[3:4], v5, off
.LBB127_1849:
	s_mov_b64 s[0:1], 0
.LBB127_1850:
	s_andn2_b64 vcc, exec, s[0:1]
	s_cbranch_vccnz .LBB127_1852
; %bb.1851:
	global_store_short v[3:4], v1, off
.LBB127_1852:
	s_mov_b64 s[0:1], 0
.LBB127_1853:
	s_andn2_b64 vcc, exec, s[0:1]
	s_cbranch_vccnz .LBB127_1858
; %bb.1854:
	s_cmp_gt_i32 s4, 0
	s_mov_b64 s[0:1], -1
	s_cbranch_scc0 .LBB127_1856
; %bb.1855:
	global_store_byte v[3:4], v1, off
	s_mov_b64 s[0:1], 0
.LBB127_1856:
	s_andn2_b64 vcc, exec, s[0:1]
	s_cbranch_vccnz .LBB127_1858
; %bb.1857:
	global_store_byte v[3:4], v1, off
.LBB127_1858:
	s_mov_b64 s[6:7], -1
.LBB127_1859:
	s_andn2_b64 vcc, exec, s[6:7]
	s_cbranch_vccnz .LBB127_2055
; %bb.1860:
	v_mov_b32_e32 v3, 8
	v_lshrrev_b16_sdwa v1, v9, s15 dst_sel:DWORD dst_unused:UNUSED_PAD src0_sel:BYTE_0 src1_sel:DWORD
	v_cmp_lt_u16_sdwa vcc, v9, v3 src0_sel:BYTE_0 src1_sel:DWORD
	v_cndmask_b32_e32 v3, 0, v1, vcc
	v_mov_b32_e32 v4, s9
	v_add_co_u32_e32 v1, vcc, s8, v2
	s_cmp_lt_i32 s14, 11
	v_addc_co_u32_e32 v2, vcc, 0, v4, vcc
	s_cbranch_scc1 .LBB127_1938
; %bb.1861:
	s_and_b32 s16, 0xffff, s14
	s_mov_b64 s[10:11], -1
	s_mov_b64 s[4:5], 0
	s_cmp_gt_i32 s16, 25
	s_mov_b64 s[6:7], 0
	s_mov_b64 s[0:1], 0
	s_cbranch_scc0 .LBB127_1894
; %bb.1862:
	s_cmp_gt_i32 s16, 28
	s_cbranch_scc0 .LBB127_1877
; %bb.1863:
	s_cmp_gt_i32 s16, 43
	;; [unrolled: 3-line block ×3, first 2 shown]
	s_cbranch_scc0 .LBB127_1867
; %bb.1865:
	s_mov_b64 s[0:1], -1
	s_mov_b64 s[10:11], 0
	s_cmp_eq_u32 s16, 46
	s_cbranch_scc0 .LBB127_1867
; %bb.1866:
	v_cvt_f32_ubyte0_e32 v4, v3
	v_bfe_u32 v5, v4, 16, 1
	s_movk_i32 s0, 0x7fff
	v_add3_u32 v4, v4, v5, s0
	v_lshrrev_b32_e32 v4, 16, v4
	global_store_dword v[1:2], v4, off
	s_mov_b64 s[0:1], 0
	s_mov_b64 s[6:7], -1
.LBB127_1867:
	s_and_b64 vcc, exec, s[10:11]
	s_cbranch_vccz .LBB127_1872
; %bb.1868:
	s_cmp_eq_u32 s16, 44
	s_mov_b64 s[0:1], -1
	s_cbranch_scc0 .LBB127_1872
; %bb.1869:
	v_cvt_f32_ubyte0_e32 v5, v3
	v_lshrrev_b32_e32 v4, 23, v5
	s_movk_i32 s0, 0xff
	v_cmp_ne_u32_e32 vcc, s0, v4
	v_mov_b32_e32 v6, 0xff
	s_and_saveexec_b64 s[6:7], vcc
; %bb.1870:
	s_mov_b32 s0, 0x3fffff
	v_and_b32_e32 v6, 0x400000, v5
	v_and_or_b32 v5, v5, s0, v4
	v_cmp_ne_u32_e32 vcc, 0, v6
	v_cmp_ne_u32_e64 s[0:1], 0, v5
	s_and_b64 s[0:1], vcc, s[0:1]
	v_cndmask_b32_e64 v5, 0, 1, s[0:1]
	v_add_u32_e32 v6, v4, v5
; %bb.1871:
	s_or_b64 exec, exec, s[6:7]
	s_mov_b64 s[0:1], 0
	s_mov_b64 s[6:7], -1
	global_store_byte v[1:2], v6, off
.LBB127_1872:
	s_mov_b64 s[10:11], 0
.LBB127_1873:
	s_and_b64 vcc, exec, s[10:11]
	s_cbranch_vccz .LBB127_1876
; %bb.1874:
	s_cmp_eq_u32 s16, 29
	s_mov_b64 s[0:1], -1
	s_cbranch_scc0 .LBB127_1876
; %bb.1875:
	s_mov_b32 s0, 0
	v_and_b32_e32 v4, 0xffff, v3
	v_mov_b32_e32 v5, s0
	global_store_dwordx2 v[1:2], v[4:5], off
	s_mov_b64 s[0:1], 0
	s_mov_b64 s[6:7], -1
.LBB127_1876:
	s_mov_b64 s[10:11], 0
.LBB127_1877:
	s_and_b64 vcc, exec, s[10:11]
	s_cbranch_vccz .LBB127_1893
; %bb.1878:
	s_cmp_lt_i32 s16, 27
	s_mov_b64 s[6:7], -1
	s_cbranch_scc1 .LBB127_1884
; %bb.1879:
	s_cmp_gt_i32 s16, 27
	s_cbranch_scc0 .LBB127_1881
; %bb.1880:
	v_and_b32_e32 v4, 0xffff, v3
	s_mov_b64 s[6:7], 0
	global_store_dword v[1:2], v4, off
.LBB127_1881:
	s_andn2_b64 vcc, exec, s[6:7]
	s_cbranch_vccnz .LBB127_1883
; %bb.1882:
	global_store_short v[1:2], v3, off
.LBB127_1883:
	s_mov_b64 s[6:7], 0
.LBB127_1884:
	s_andn2_b64 vcc, exec, s[6:7]
	s_cbranch_vccnz .LBB127_1892
; %bb.1885:
	v_cvt_f32_ubyte0_e32 v5, v3
	s_mov_b32 s6, 0x43800000
	v_cmp_gt_u32_e32 vcc, s6, v5
	v_mov_b32_e32 v6, 0x80
	s_and_saveexec_b64 s[6:7], vcc
	s_cbranch_execz .LBB127_1891
; %bb.1886:
	s_mov_b32 s10, 0x3bffffff
	v_cmp_lt_u32_e32 vcc, s10, v5
	s_mov_b64 s[10:11], 0
                                        ; implicit-def: $vgpr4
	s_and_saveexec_b64 s[12:13], vcc
	s_xor_b64 s[12:13], exec, s[12:13]
	s_cbranch_execz .LBB127_2112
; %bb.1887:
	v_bfe_u32 v4, v5, 20, 1
	s_mov_b32 s17, 0x487ffff
	v_add3_u32 v4, v5, v4, s17
	s_mov_b64 s[10:11], exec
	v_lshrrev_b32_e32 v4, 20, v4
                                        ; implicit-def: $vgpr5
	s_andn2_saveexec_b64 s[12:13], s[12:13]
	s_cbranch_execnz .LBB127_2113
.LBB127_1888:
	s_or_b64 exec, exec, s[12:13]
	v_mov_b32_e32 v6, 0
	s_and_saveexec_b64 s[12:13], s[10:11]
.LBB127_1889:
	v_mov_b32_e32 v6, v4
.LBB127_1890:
	s_or_b64 exec, exec, s[12:13]
.LBB127_1891:
	s_or_b64 exec, exec, s[6:7]
	global_store_byte v[1:2], v6, off
.LBB127_1892:
	s_mov_b64 s[6:7], -1
.LBB127_1893:
	s_mov_b64 s[10:11], 0
.LBB127_1894:
	s_and_b64 vcc, exec, s[10:11]
	s_cbranch_vccz .LBB127_1934
; %bb.1895:
	s_cmp_gt_i32 s16, 22
	s_mov_b64 s[4:5], -1
	s_cbranch_scc0 .LBB127_1927
; %bb.1896:
	s_cmp_lt_i32 s16, 24
	s_cbranch_scc1 .LBB127_1916
; %bb.1897:
	s_cmp_gt_i32 s16, 24
	s_cbranch_scc0 .LBB127_1905
; %bb.1898:
	v_cvt_f32_ubyte0_e32 v5, v3
	s_mov_b32 s4, 0x47800000
	v_cmp_gt_u32_e32 vcc, s4, v5
	v_mov_b32_e32 v6, 0x80
	s_and_saveexec_b64 s[4:5], vcc
	s_cbranch_execz .LBB127_1904
; %bb.1899:
	s_mov_b32 s6, 0x37ffffff
	v_cmp_lt_u32_e32 vcc, s6, v5
	s_mov_b64 s[6:7], 0
                                        ; implicit-def: $vgpr4
	s_and_saveexec_b64 s[10:11], vcc
	s_xor_b64 s[10:11], exec, s[10:11]
	s_cbranch_execz .LBB127_2115
; %bb.1900:
	v_bfe_u32 v4, v5, 21, 1
	s_mov_b32 s12, 0x88fffff
	v_add3_u32 v4, v5, v4, s12
	s_mov_b64 s[6:7], exec
	v_lshrrev_b32_e32 v4, 21, v4
                                        ; implicit-def: $vgpr5
	s_andn2_saveexec_b64 s[10:11], s[10:11]
	s_cbranch_execnz .LBB127_2116
.LBB127_1901:
	s_or_b64 exec, exec, s[10:11]
	v_mov_b32_e32 v6, 0
	s_and_saveexec_b64 s[10:11], s[6:7]
.LBB127_1902:
	v_mov_b32_e32 v6, v4
.LBB127_1903:
	s_or_b64 exec, exec, s[10:11]
.LBB127_1904:
	s_or_b64 exec, exec, s[4:5]
	s_mov_b64 s[4:5], 0
	global_store_byte v[1:2], v6, off
.LBB127_1905:
	s_and_b64 vcc, exec, s[4:5]
	s_cbranch_vccz .LBB127_1915
; %bb.1906:
	v_cvt_f32_ubyte0_e32 v4, v3
	s_mov_b32 s4, 0x43f00000
	v_cmp_gt_u32_e32 vcc, s4, v4
                                        ; implicit-def: $vgpr5
	s_and_saveexec_b64 s[4:5], vcc
	s_xor_b64 s[4:5], exec, s[4:5]
	s_cbranch_execz .LBB127_1912
; %bb.1907:
	s_mov_b32 s6, 0x3c7fffff
	v_cmp_lt_u32_e32 vcc, s6, v4
                                        ; implicit-def: $vgpr5
	s_and_saveexec_b64 s[6:7], vcc
	s_xor_b64 s[6:7], exec, s[6:7]
; %bb.1908:
	v_bfe_u32 v5, v4, 20, 1
	s_mov_b32 s10, 0x407ffff
	v_add3_u32 v4, v4, v5, s10
	v_lshrrev_b32_e32 v5, 20, v4
	v_and_b32_e32 v4, 0xff00000, v4
	s_mov_b32 s10, 0x7f00000
	v_mov_b32_e32 v6, 0x7e
	v_cmp_ne_u32_e32 vcc, s10, v4
	v_cndmask_b32_e32 v5, v6, v5, vcc
                                        ; implicit-def: $vgpr4
; %bb.1909:
	s_andn2_saveexec_b64 s[6:7], s[6:7]
; %bb.1910:
	v_add_f32_e32 v5, 0x46800000, v4
; %bb.1911:
	s_or_b64 exec, exec, s[6:7]
                                        ; implicit-def: $vgpr4
.LBB127_1912:
	s_andn2_saveexec_b64 s[4:5], s[4:5]
; %bb.1913:
	s_mov_b32 s6, 0x7f800000
	v_mov_b32_e32 v5, 0x7e
	v_mov_b32_e32 v6, 0x7f
	v_cmp_lt_u32_e32 vcc, s6, v4
	v_cndmask_b32_e32 v5, v5, v6, vcc
; %bb.1914:
	s_or_b64 exec, exec, s[4:5]
	global_store_byte v[1:2], v5, off
.LBB127_1915:
	s_mov_b64 s[4:5], 0
.LBB127_1916:
	s_andn2_b64 vcc, exec, s[4:5]
	s_cbranch_vccnz .LBB127_1926
; %bb.1917:
	v_cvt_f32_ubyte0_e32 v4, v3
	s_mov_b32 s4, 0x47800000
	v_cmp_gt_u32_e32 vcc, s4, v4
                                        ; implicit-def: $vgpr5
	s_and_saveexec_b64 s[4:5], vcc
	s_xor_b64 s[4:5], exec, s[4:5]
	s_cbranch_execz .LBB127_1923
; %bb.1918:
	s_mov_b32 s6, 0x387fffff
	v_cmp_lt_u32_e32 vcc, s6, v4
                                        ; implicit-def: $vgpr5
	s_and_saveexec_b64 s[6:7], vcc
	s_xor_b64 s[6:7], exec, s[6:7]
; %bb.1919:
	v_bfe_u32 v5, v4, 21, 1
	s_mov_b32 s10, 0x80fffff
	v_add3_u32 v4, v4, v5, s10
	v_lshrrev_b32_e32 v5, 21, v4
                                        ; implicit-def: $vgpr4
; %bb.1920:
	s_andn2_saveexec_b64 s[6:7], s[6:7]
; %bb.1921:
	v_add_f32_e32 v5, 0x43000000, v4
; %bb.1922:
	s_or_b64 exec, exec, s[6:7]
                                        ; implicit-def: $vgpr4
.LBB127_1923:
	s_andn2_saveexec_b64 s[4:5], s[4:5]
; %bb.1924:
	s_mov_b32 s6, 0x7f800000
	v_mov_b32_e32 v5, 0x7c
	v_mov_b32_e32 v6, 0x7f
	v_cmp_lt_u32_e32 vcc, s6, v4
	v_cndmask_b32_e32 v5, v5, v6, vcc
; %bb.1925:
	s_or_b64 exec, exec, s[4:5]
	global_store_byte v[1:2], v5, off
.LBB127_1926:
	s_mov_b64 s[4:5], 0
	s_mov_b64 s[6:7], -1
.LBB127_1927:
	s_andn2_b64 vcc, exec, s[4:5]
	s_mov_b64 s[4:5], 0
	s_cbranch_vccnz .LBB127_1934
; %bb.1928:
	s_cmp_gt_i32 s16, 14
	s_mov_b64 s[10:11], -1
	s_cbranch_scc0 .LBB127_1932
; %bb.1929:
	s_cmp_eq_u32 s16, 15
	s_mov_b64 s[0:1], -1
	s_cbranch_scc0 .LBB127_1931
; %bb.1930:
	v_cvt_f32_ubyte0_e32 v4, v3
	v_bfe_u32 v5, v4, 16, 1
	s_movk_i32 s0, 0x7fff
	v_add3_u32 v4, v4, v5, s0
	global_store_short_d16_hi v[1:2], v4, off
	s_mov_b64 s[0:1], 0
	s_mov_b64 s[6:7], -1
.LBB127_1931:
	s_mov_b64 s[10:11], 0
.LBB127_1932:
	s_and_b64 vcc, exec, s[10:11]
	s_cbranch_vccz .LBB127_1934
; %bb.1933:
	s_cmp_lg_u32 s16, 11
	s_mov_b64 s[4:5], -1
	s_cselect_b64 s[0:1], -1, 0
.LBB127_1934:
	s_and_b64 vcc, exec, s[0:1]
	s_cbranch_vccnz .LBB127_2114
; %bb.1935:
	s_andn2_b64 vcc, exec, s[4:5]
	s_cbranch_vccnz .LBB127_1937
.LBB127_1936:
	v_cmp_ne_u16_e32 vcc, 0, v3
	v_cndmask_b32_e64 v4, 0, 1, vcc
	s_mov_b64 s[6:7], -1
	global_store_byte v[1:2], v4, off
.LBB127_1937:
	s_mov_b64 s[0:1], 0
	s_branch .LBB127_1939
.LBB127_1938:
	s_mov_b64 s[0:1], -1
	s_mov_b64 s[6:7], 0
.LBB127_1939:
	s_and_b64 vcc, exec, s[0:1]
	s_cbranch_vccz .LBB127_1978
; %bb.1940:
	s_and_b32 s4, 0xffff, s14
	s_cmp_lt_i32 s4, 5
	s_mov_b64 s[0:1], -1
	s_cbranch_scc1 .LBB127_1961
; %bb.1941:
	s_cmp_lt_i32 s4, 8
	s_cbranch_scc1 .LBB127_1951
; %bb.1942:
	s_cmp_lt_i32 s4, 9
	s_cbranch_scc1 .LBB127_1948
; %bb.1943:
	s_cmp_gt_i32 s4, 9
	s_cbranch_scc0 .LBB127_1945
; %bb.1944:
	v_and_b32_e32 v4, 0xffff, v3
	v_cvt_f64_u32_e32 v[4:5], v4
	v_mov_b32_e32 v6, 0
	v_mov_b32_e32 v7, v6
	s_mov_b64 s[0:1], 0
	global_store_dwordx4 v[1:2], v[4:7], off
.LBB127_1945:
	s_andn2_b64 vcc, exec, s[0:1]
	s_cbranch_vccnz .LBB127_1947
; %bb.1946:
	v_cvt_f32_ubyte0_e32 v4, v3
	v_mov_b32_e32 v5, 0
	global_store_dwordx2 v[1:2], v[4:5], off
.LBB127_1947:
	s_mov_b64 s[0:1], 0
.LBB127_1948:
	s_andn2_b64 vcc, exec, s[0:1]
	s_cbranch_vccnz .LBB127_1950
; %bb.1949:
	v_cvt_f16_u16_e32 v4, v3
	global_store_dword v[1:2], v4, off
.LBB127_1950:
	s_mov_b64 s[0:1], 0
.LBB127_1951:
	s_andn2_b64 vcc, exec, s[0:1]
	s_cbranch_vccnz .LBB127_1960
; %bb.1952:
	s_cmp_lt_i32 s4, 6
	s_mov_b64 s[0:1], -1
	s_cbranch_scc1 .LBB127_1958
; %bb.1953:
	s_cmp_gt_i32 s4, 6
	s_cbranch_scc0 .LBB127_1955
; %bb.1954:
	v_and_b32_e32 v4, 0xffff, v3
	v_cvt_f64_u32_e32 v[4:5], v4
	s_mov_b64 s[0:1], 0
	global_store_dwordx2 v[1:2], v[4:5], off
.LBB127_1955:
	s_andn2_b64 vcc, exec, s[0:1]
	s_cbranch_vccnz .LBB127_1957
; %bb.1956:
	v_cvt_f32_ubyte0_e32 v4, v3
	global_store_dword v[1:2], v4, off
.LBB127_1957:
	s_mov_b64 s[0:1], 0
.LBB127_1958:
	s_andn2_b64 vcc, exec, s[0:1]
	s_cbranch_vccnz .LBB127_1960
; %bb.1959:
	v_cvt_f16_u16_e32 v4, v3
	global_store_short v[1:2], v4, off
.LBB127_1960:
	s_mov_b64 s[0:1], 0
.LBB127_1961:
	s_andn2_b64 vcc, exec, s[0:1]
	s_cbranch_vccnz .LBB127_1977
; %bb.1962:
	s_cmp_lt_i32 s4, 2
	s_mov_b64 s[0:1], -1
	s_cbranch_scc1 .LBB127_1972
; %bb.1963:
	s_cmp_lt_i32 s4, 3
	s_cbranch_scc1 .LBB127_1969
; %bb.1964:
	s_cmp_gt_i32 s4, 3
	s_cbranch_scc0 .LBB127_1966
; %bb.1965:
	s_mov_b32 s0, 0
	v_and_b32_e32 v4, 0xffff, v3
	v_mov_b32_e32 v5, s0
	global_store_dwordx2 v[1:2], v[4:5], off
	s_mov_b64 s[0:1], 0
.LBB127_1966:
	s_andn2_b64 vcc, exec, s[0:1]
	s_cbranch_vccnz .LBB127_1968
; %bb.1967:
	v_and_b32_e32 v4, 0xffff, v3
	global_store_dword v[1:2], v4, off
.LBB127_1968:
	s_mov_b64 s[0:1], 0
.LBB127_1969:
	s_andn2_b64 vcc, exec, s[0:1]
	s_cbranch_vccnz .LBB127_1971
; %bb.1970:
	global_store_short v[1:2], v3, off
.LBB127_1971:
	s_mov_b64 s[0:1], 0
.LBB127_1972:
	s_andn2_b64 vcc, exec, s[0:1]
	s_cbranch_vccnz .LBB127_1977
; %bb.1973:
	s_cmp_gt_i32 s4, 0
	s_mov_b64 s[0:1], -1
	s_cbranch_scc0 .LBB127_1975
; %bb.1974:
	global_store_byte v[1:2], v3, off
	s_mov_b64 s[0:1], 0
.LBB127_1975:
	s_andn2_b64 vcc, exec, s[0:1]
	s_cbranch_vccnz .LBB127_1977
; %bb.1976:
	global_store_byte v[1:2], v3, off
.LBB127_1977:
	s_mov_b64 s[6:7], -1
.LBB127_1978:
	s_andn2_b64 vcc, exec, s[6:7]
	s_cbranch_vccnz .LBB127_2055
; %bb.1979:
	v_mov_b32_e32 v2, 8
	v_lshrrev_b16_sdwa v1, v10, s15 dst_sel:DWORD dst_unused:UNUSED_PAD src0_sel:BYTE_0 src1_sel:DWORD
	v_cmp_lt_u16_sdwa vcc, v10, v2 src0_sel:BYTE_0 src1_sel:DWORD
	v_cndmask_b32_e32 v2, 0, v1, vcc
	v_mov_b32_e32 v1, s9
	v_add_co_u32_e32 v0, vcc, s8, v0
	s_cmp_lt_i32 s14, 11
	v_addc_co_u32_e32 v1, vcc, 0, v1, vcc
	s_cbranch_scc1 .LBB127_2100
; %bb.1980:
	s_and_b32 s12, 0xffff, s14
	s_mov_b64 s[6:7], -1
	s_mov_b64 s[4:5], 0
	s_cmp_gt_i32 s12, 25
	s_mov_b64 s[0:1], 0
	s_cbranch_scc0 .LBB127_2013
; %bb.1981:
	s_cmp_gt_i32 s12, 28
	s_cbranch_scc0 .LBB127_1997
; %bb.1982:
	s_cmp_gt_i32 s12, 43
	;; [unrolled: 3-line block ×3, first 2 shown]
	s_cbranch_scc0 .LBB127_1987
; %bb.1984:
	s_cmp_eq_u32 s12, 46
	s_mov_b64 s[0:1], -1
	s_cbranch_scc0 .LBB127_1986
; %bb.1985:
	v_cvt_f32_ubyte0_e32 v3, v2
	v_bfe_u32 v4, v3, 16, 1
	s_movk_i32 s0, 0x7fff
	v_add3_u32 v3, v3, v4, s0
	v_lshrrev_b32_e32 v3, 16, v3
	global_store_dword v[0:1], v3, off
	s_mov_b64 s[0:1], 0
.LBB127_1986:
	s_mov_b64 s[6:7], 0
.LBB127_1987:
	s_and_b64 vcc, exec, s[6:7]
	s_cbranch_vccz .LBB127_1992
; %bb.1988:
	s_cmp_eq_u32 s12, 44
	s_mov_b64 s[0:1], -1
	s_cbranch_scc0 .LBB127_1992
; %bb.1989:
	v_cvt_f32_ubyte0_e32 v4, v2
	v_lshrrev_b32_e32 v3, 23, v4
	s_movk_i32 s0, 0xff
	v_cmp_ne_u32_e32 vcc, s0, v3
	v_mov_b32_e32 v5, 0xff
	s_and_saveexec_b64 s[6:7], vcc
; %bb.1990:
	s_mov_b32 s0, 0x3fffff
	v_and_b32_e32 v5, 0x400000, v4
	v_and_or_b32 v4, v4, s0, v3
	v_cmp_ne_u32_e32 vcc, 0, v5
	v_cmp_ne_u32_e64 s[0:1], 0, v4
	s_and_b64 s[0:1], vcc, s[0:1]
	v_cndmask_b32_e64 v4, 0, 1, s[0:1]
	v_add_u32_e32 v5, v3, v4
; %bb.1991:
	s_or_b64 exec, exec, s[6:7]
	s_mov_b64 s[0:1], 0
	global_store_byte v[0:1], v5, off
.LBB127_1992:
	s_mov_b64 s[6:7], 0
.LBB127_1993:
	s_and_b64 vcc, exec, s[6:7]
	s_cbranch_vccz .LBB127_1996
; %bb.1994:
	s_cmp_eq_u32 s12, 29
	s_mov_b64 s[0:1], -1
	s_cbranch_scc0 .LBB127_1996
; %bb.1995:
	s_mov_b32 s0, 0
	v_and_b32_e32 v3, 0xffff, v2
	v_mov_b32_e32 v4, s0
	global_store_dwordx2 v[0:1], v[3:4], off
	s_mov_b64 s[0:1], 0
.LBB127_1996:
	s_mov_b64 s[6:7], 0
.LBB127_1997:
	s_and_b64 vcc, exec, s[6:7]
	s_cbranch_vccz .LBB127_2012
; %bb.1998:
	s_cmp_lt_i32 s12, 27
	s_mov_b64 s[6:7], -1
	s_cbranch_scc1 .LBB127_2004
; %bb.1999:
	s_cmp_gt_i32 s12, 27
	s_cbranch_scc0 .LBB127_2001
; %bb.2000:
	v_and_b32_e32 v3, 0xffff, v2
	global_store_dword v[0:1], v3, off
	s_mov_b64 s[6:7], 0
.LBB127_2001:
	s_andn2_b64 vcc, exec, s[6:7]
	s_cbranch_vccnz .LBB127_2003
; %bb.2002:
	global_store_short v[0:1], v2, off
.LBB127_2003:
	s_mov_b64 s[6:7], 0
.LBB127_2004:
	s_andn2_b64 vcc, exec, s[6:7]
	s_cbranch_vccnz .LBB127_2012
; %bb.2005:
	v_cvt_f32_ubyte0_e32 v4, v2
	s_mov_b32 s6, 0x43800000
	v_cmp_gt_u32_e32 vcc, s6, v4
	v_mov_b32_e32 v5, 0x80
	s_and_saveexec_b64 s[6:7], vcc
	s_cbranch_execz .LBB127_2011
; %bb.2006:
	s_mov_b32 s8, 0x3bffffff
	v_cmp_lt_u32_e32 vcc, s8, v4
	s_mov_b64 s[8:9], 0
                                        ; implicit-def: $vgpr3
	s_and_saveexec_b64 s[10:11], vcc
	s_xor_b64 s[10:11], exec, s[10:11]
	s_cbranch_execz .LBB127_2117
; %bb.2007:
	v_bfe_u32 v3, v4, 20, 1
	s_mov_b32 s13, 0x487ffff
	v_add3_u32 v3, v4, v3, s13
	s_mov_b64 s[8:9], exec
	v_lshrrev_b32_e32 v3, 20, v3
                                        ; implicit-def: $vgpr4
	s_andn2_saveexec_b64 s[10:11], s[10:11]
	s_cbranch_execnz .LBB127_2118
.LBB127_2008:
	s_or_b64 exec, exec, s[10:11]
	v_mov_b32_e32 v5, 0
	s_and_saveexec_b64 s[10:11], s[8:9]
.LBB127_2009:
	v_mov_b32_e32 v5, v3
.LBB127_2010:
	s_or_b64 exec, exec, s[10:11]
.LBB127_2011:
	s_or_b64 exec, exec, s[6:7]
	global_store_byte v[0:1], v5, off
.LBB127_2012:
	s_mov_b64 s[6:7], 0
.LBB127_2013:
	s_and_b64 vcc, exec, s[6:7]
	s_cbranch_vccz .LBB127_2053
; %bb.2014:
	s_cmp_gt_i32 s12, 22
	s_mov_b64 s[4:5], -1
	s_cbranch_scc0 .LBB127_2046
; %bb.2015:
	s_cmp_lt_i32 s12, 24
	s_cbranch_scc1 .LBB127_2035
; %bb.2016:
	s_cmp_gt_i32 s12, 24
	s_cbranch_scc0 .LBB127_2024
; %bb.2017:
	v_cvt_f32_ubyte0_e32 v4, v2
	s_mov_b32 s4, 0x47800000
	v_cmp_gt_u32_e32 vcc, s4, v4
	v_mov_b32_e32 v5, 0x80
	s_and_saveexec_b64 s[4:5], vcc
	s_cbranch_execz .LBB127_2023
; %bb.2018:
	s_mov_b32 s6, 0x37ffffff
	v_cmp_lt_u32_e32 vcc, s6, v4
	s_mov_b64 s[6:7], 0
                                        ; implicit-def: $vgpr3
	s_and_saveexec_b64 s[8:9], vcc
	s_xor_b64 s[8:9], exec, s[8:9]
	s_cbranch_execz .LBB127_2120
; %bb.2019:
	v_bfe_u32 v3, v4, 21, 1
	s_mov_b32 s10, 0x88fffff
	v_add3_u32 v3, v4, v3, s10
	s_mov_b64 s[6:7], exec
	v_lshrrev_b32_e32 v3, 21, v3
                                        ; implicit-def: $vgpr4
	s_andn2_saveexec_b64 s[8:9], s[8:9]
	s_cbranch_execnz .LBB127_2121
.LBB127_2020:
	s_or_b64 exec, exec, s[8:9]
	v_mov_b32_e32 v5, 0
	s_and_saveexec_b64 s[8:9], s[6:7]
.LBB127_2021:
	v_mov_b32_e32 v5, v3
.LBB127_2022:
	s_or_b64 exec, exec, s[8:9]
.LBB127_2023:
	s_or_b64 exec, exec, s[4:5]
	s_mov_b64 s[4:5], 0
	global_store_byte v[0:1], v5, off
.LBB127_2024:
	s_and_b64 vcc, exec, s[4:5]
	s_cbranch_vccz .LBB127_2034
; %bb.2025:
	v_cvt_f32_ubyte0_e32 v3, v2
	s_mov_b32 s4, 0x43f00000
	v_cmp_gt_u32_e32 vcc, s4, v3
                                        ; implicit-def: $vgpr4
	s_and_saveexec_b64 s[4:5], vcc
	s_xor_b64 s[4:5], exec, s[4:5]
	s_cbranch_execz .LBB127_2031
; %bb.2026:
	s_mov_b32 s6, 0x3c7fffff
	v_cmp_lt_u32_e32 vcc, s6, v3
                                        ; implicit-def: $vgpr4
	s_and_saveexec_b64 s[6:7], vcc
	s_xor_b64 s[6:7], exec, s[6:7]
; %bb.2027:
	v_bfe_u32 v4, v3, 20, 1
	s_mov_b32 s8, 0x407ffff
	v_add3_u32 v3, v3, v4, s8
	v_lshrrev_b32_e32 v4, 20, v3
	v_and_b32_e32 v3, 0xff00000, v3
	s_mov_b32 s8, 0x7f00000
	v_mov_b32_e32 v5, 0x7e
	v_cmp_ne_u32_e32 vcc, s8, v3
	v_cndmask_b32_e32 v4, v5, v4, vcc
                                        ; implicit-def: $vgpr3
; %bb.2028:
	s_andn2_saveexec_b64 s[6:7], s[6:7]
; %bb.2029:
	v_add_f32_e32 v4, 0x46800000, v3
; %bb.2030:
	s_or_b64 exec, exec, s[6:7]
                                        ; implicit-def: $vgpr3
.LBB127_2031:
	s_andn2_saveexec_b64 s[4:5], s[4:5]
; %bb.2032:
	s_mov_b32 s6, 0x7f800000
	v_mov_b32_e32 v4, 0x7e
	v_mov_b32_e32 v5, 0x7f
	v_cmp_lt_u32_e32 vcc, s6, v3
	v_cndmask_b32_e32 v4, v4, v5, vcc
; %bb.2033:
	s_or_b64 exec, exec, s[4:5]
	global_store_byte v[0:1], v4, off
.LBB127_2034:
	s_mov_b64 s[4:5], 0
.LBB127_2035:
	s_andn2_b64 vcc, exec, s[4:5]
	s_cbranch_vccnz .LBB127_2045
; %bb.2036:
	v_cvt_f32_ubyte0_e32 v3, v2
	s_mov_b32 s4, 0x47800000
	v_cmp_gt_u32_e32 vcc, s4, v3
                                        ; implicit-def: $vgpr4
	s_and_saveexec_b64 s[4:5], vcc
	s_xor_b64 s[4:5], exec, s[4:5]
	s_cbranch_execz .LBB127_2042
; %bb.2037:
	s_mov_b32 s6, 0x387fffff
	v_cmp_lt_u32_e32 vcc, s6, v3
                                        ; implicit-def: $vgpr4
	s_and_saveexec_b64 s[6:7], vcc
	s_xor_b64 s[6:7], exec, s[6:7]
; %bb.2038:
	v_bfe_u32 v4, v3, 21, 1
	s_mov_b32 s8, 0x80fffff
	v_add3_u32 v3, v3, v4, s8
	v_lshrrev_b32_e32 v4, 21, v3
                                        ; implicit-def: $vgpr3
; %bb.2039:
	s_andn2_saveexec_b64 s[6:7], s[6:7]
; %bb.2040:
	v_add_f32_e32 v4, 0x43000000, v3
; %bb.2041:
	s_or_b64 exec, exec, s[6:7]
                                        ; implicit-def: $vgpr3
.LBB127_2042:
	s_andn2_saveexec_b64 s[4:5], s[4:5]
; %bb.2043:
	s_mov_b32 s6, 0x7f800000
	v_mov_b32_e32 v4, 0x7c
	v_mov_b32_e32 v5, 0x7f
	v_cmp_lt_u32_e32 vcc, s6, v3
	v_cndmask_b32_e32 v4, v4, v5, vcc
; %bb.2044:
	s_or_b64 exec, exec, s[4:5]
	global_store_byte v[0:1], v4, off
.LBB127_2045:
	s_mov_b64 s[4:5], 0
.LBB127_2046:
	s_andn2_b64 vcc, exec, s[4:5]
	s_mov_b64 s[4:5], 0
	s_cbranch_vccnz .LBB127_2053
; %bb.2047:
	s_cmp_gt_i32 s12, 14
	s_mov_b64 s[6:7], -1
	s_cbranch_scc0 .LBB127_2051
; %bb.2048:
	s_cmp_eq_u32 s12, 15
	s_mov_b64 s[0:1], -1
	s_cbranch_scc0 .LBB127_2050
; %bb.2049:
	v_cvt_f32_ubyte0_e32 v3, v2
	v_bfe_u32 v4, v3, 16, 1
	s_movk_i32 s0, 0x7fff
	v_add3_u32 v3, v3, v4, s0
	global_store_short_d16_hi v[0:1], v3, off
	s_mov_b64 s[0:1], 0
.LBB127_2050:
	s_mov_b64 s[6:7], 0
.LBB127_2051:
	s_and_b64 vcc, exec, s[6:7]
	s_cbranch_vccz .LBB127_2053
; %bb.2052:
	s_cmp_lg_u32 s12, 11
	s_mov_b64 s[4:5], -1
	s_cselect_b64 s[0:1], -1, 0
.LBB127_2053:
	s_and_b64 vcc, exec, s[0:1]
	s_cbranch_vccnz .LBB127_2119
.LBB127_2054:
	s_mov_b64 s[0:1], 0
	s_branch .LBB127_2056
.LBB127_2055:
	s_mov_b64 s[0:1], 0
	s_mov_b64 s[4:5], 0
                                        ; implicit-def: $vgpr0_vgpr1
                                        ; implicit-def: $sgpr14
                                        ; implicit-def: $vgpr2
.LBB127_2056:
	s_and_b64 s[6:7], s[4:5], exec
	s_andn2_b64 s[4:5], s[28:29], exec
	s_and_b64 s[2:3], s[2:3], exec
	s_and_b64 s[0:1], s[0:1], exec
	s_or_b64 s[28:29], s[4:5], s[2:3]
.LBB127_2057:
	s_or_b64 exec, exec, s[30:31]
	s_and_saveexec_b64 s[2:3], s[28:29]
	s_cbranch_execz .LBB127_2060
; %bb.2058:
	; divergent unreachable
	s_or_b64 exec, exec, s[2:3]
	s_and_saveexec_b64 s[2:3], s[6:7]
	s_xor_b64 s[2:3], exec, s[2:3]
	s_cbranch_execnz .LBB127_2061
.LBB127_2059:
	s_or_b64 exec, exec, s[2:3]
	s_and_saveexec_b64 s[2:3], s[0:1]
	s_cbranch_execnz .LBB127_2062
	s_branch .LBB127_2099
.LBB127_2060:
	s_or_b64 exec, exec, s[2:3]
	s_and_saveexec_b64 s[2:3], s[6:7]
	s_xor_b64 s[2:3], exec, s[2:3]
	s_cbranch_execz .LBB127_2059
.LBB127_2061:
	s_waitcnt vmcnt(0)
	v_mov_b32_e32 v3, 0
	v_cmp_ne_u16_sdwa s[4:5], v2, v3 src0_sel:BYTE_0 src1_sel:DWORD
	v_cndmask_b32_e64 v3, 0, 1, s[4:5]
	global_store_byte v[0:1], v3, off
	s_or_b64 exec, exec, s[2:3]
	s_and_saveexec_b64 s[2:3], s[0:1]
	s_cbranch_execz .LBB127_2099
.LBB127_2062:
	s_sext_i32_i16 s2, s14
	s_cmp_lt_i32 s2, 5
	s_mov_b64 s[0:1], -1
	s_cbranch_scc1 .LBB127_2083
; %bb.2063:
	s_cmp_lt_i32 s2, 8
	s_cbranch_scc1 .LBB127_2073
; %bb.2064:
	s_cmp_lt_i32 s2, 9
	s_cbranch_scc1 .LBB127_2070
; %bb.2065:
	s_cmp_gt_i32 s2, 9
	s_cbranch_scc0 .LBB127_2067
; %bb.2066:
	s_mov_b32 s0, 0xffff
	s_waitcnt vmcnt(0)
	v_and_b32_sdwa v3, s0, v2 dst_sel:DWORD dst_unused:UNUSED_PAD src0_sel:DWORD src1_sel:BYTE_0
	v_cvt_f64_u32_e32 v[3:4], v3
	v_mov_b32_e32 v5, 0
	v_mov_b32_e32 v6, v5
	s_mov_b64 s[0:1], 0
	global_store_dwordx4 v[0:1], v[3:6], off
.LBB127_2067:
	s_andn2_b64 vcc, exec, s[0:1]
	s_cbranch_vccnz .LBB127_2069
; %bb.2068:
	s_waitcnt vmcnt(0)
	v_cvt_f32_ubyte0_e32 v3, v2
	v_mov_b32_e32 v4, 0
	global_store_dwordx2 v[0:1], v[3:4], off
.LBB127_2069:
	s_mov_b64 s[0:1], 0
.LBB127_2070:
	s_andn2_b64 vcc, exec, s[0:1]
	s_cbranch_vccnz .LBB127_2072
; %bb.2071:
	s_waitcnt vmcnt(0)
	v_cvt_f16_u16_sdwa v3, v2 dst_sel:DWORD dst_unused:UNUSED_PAD src0_sel:BYTE_0
	global_store_dword v[0:1], v3, off
.LBB127_2072:
	s_mov_b64 s[0:1], 0
.LBB127_2073:
	s_andn2_b64 vcc, exec, s[0:1]
	s_cbranch_vccnz .LBB127_2082
; %bb.2074:
	s_sext_i32_i16 s2, s14
	s_cmp_lt_i32 s2, 6
	s_mov_b64 s[0:1], -1
	s_cbranch_scc1 .LBB127_2080
; %bb.2075:
	s_cmp_gt_i32 s2, 6
	s_cbranch_scc0 .LBB127_2077
; %bb.2076:
	s_mov_b32 s0, 0xffff
	s_waitcnt vmcnt(0)
	v_and_b32_sdwa v3, s0, v2 dst_sel:DWORD dst_unused:UNUSED_PAD src0_sel:DWORD src1_sel:BYTE_0
	v_cvt_f64_u32_e32 v[3:4], v3
	s_mov_b64 s[0:1], 0
	global_store_dwordx2 v[0:1], v[3:4], off
.LBB127_2077:
	s_andn2_b64 vcc, exec, s[0:1]
	s_cbranch_vccnz .LBB127_2079
; %bb.2078:
	s_waitcnt vmcnt(0)
	v_cvt_f32_ubyte0_e32 v3, v2
	global_store_dword v[0:1], v3, off
.LBB127_2079:
	s_mov_b64 s[0:1], 0
.LBB127_2080:
	s_andn2_b64 vcc, exec, s[0:1]
	s_cbranch_vccnz .LBB127_2082
; %bb.2081:
	s_waitcnt vmcnt(0)
	v_cvt_f16_u16_sdwa v3, v2 dst_sel:DWORD dst_unused:UNUSED_PAD src0_sel:BYTE_0
	global_store_short v[0:1], v3, off
.LBB127_2082:
	s_mov_b64 s[0:1], 0
.LBB127_2083:
	s_andn2_b64 vcc, exec, s[0:1]
	s_cbranch_vccnz .LBB127_2099
; %bb.2084:
	s_sext_i32_i16 s2, s14
	s_cmp_lt_i32 s2, 2
	s_mov_b64 s[0:1], -1
	s_cbranch_scc1 .LBB127_2094
; %bb.2085:
	s_cmp_lt_i32 s2, 3
	s_cbranch_scc1 .LBB127_2091
; %bb.2086:
	s_cmp_gt_i32 s2, 3
	s_cbranch_scc0 .LBB127_2088
; %bb.2087:
	s_waitcnt vmcnt(0)
	v_and_b32_e32 v3, 0xff, v2
	v_mov_b32_e32 v4, 0
	global_store_dwordx2 v[0:1], v[3:4], off
	s_mov_b64 s[0:1], 0
.LBB127_2088:
	s_andn2_b64 vcc, exec, s[0:1]
	s_cbranch_vccnz .LBB127_2090
; %bb.2089:
	s_waitcnt vmcnt(0)
	v_and_b32_e32 v3, 0xff, v2
	global_store_dword v[0:1], v3, off
.LBB127_2090:
	s_mov_b64 s[0:1], 0
.LBB127_2091:
	s_andn2_b64 vcc, exec, s[0:1]
	s_cbranch_vccnz .LBB127_2093
; %bb.2092:
	s_waitcnt vmcnt(0)
	v_and_b32_e32 v3, 0xff, v2
	global_store_short v[0:1], v3, off
.LBB127_2093:
	s_mov_b64 s[0:1], 0
.LBB127_2094:
	s_andn2_b64 vcc, exec, s[0:1]
	s_cbranch_vccnz .LBB127_2099
; %bb.2095:
	s_sext_i32_i16 s0, s14
	s_cmp_gt_i32 s0, 0
	s_mov_b64 s[0:1], -1
	s_cbranch_scc0 .LBB127_2097
; %bb.2096:
	global_store_byte v[0:1], v2, off
	s_mov_b64 s[0:1], 0
.LBB127_2097:
	s_andn2_b64 vcc, exec, s[0:1]
	s_cbranch_vccnz .LBB127_2099
; %bb.2098:
	global_store_byte v[0:1], v2, off
	s_endpgm
.LBB127_2099:
	s_endpgm
.LBB127_2100:
	s_mov_b64 s[4:5], 0
	s_mov_b64 s[0:1], -1
	s_branch .LBB127_2056
.LBB127_2101:
	s_trap 2
	s_or_b64 s[2:3], s[2:3], exec
	s_cbranch_execz .LBB127_1570
	s_branch .LBB127_1571
.LBB127_2102:
	s_andn2_saveexec_b64 s[12:13], s[12:13]
	s_cbranch_execz .LBB127_1650
.LBB127_2103:
	v_add_f32_e32 v3, 0x46000000, v7
	v_and_b32_e32 v3, 0xff, v3
	v_cmp_ne_u32_e32 vcc, 0, v3
	s_andn2_b64 s[10:11], s[10:11], exec
	s_and_b64 s[18:19], vcc, exec
	s_or_b64 s[10:11], s[10:11], s[18:19]
	s_or_b64 exec, exec, s[12:13]
	v_mov_b32_e32 v11, 0
	s_and_saveexec_b64 s[12:13], s[10:11]
	s_cbranch_execnz .LBB127_1651
	s_branch .LBB127_1652
.LBB127_2104:
	s_trap 2
	s_or_b64 s[2:3], s[2:3], exec
	s_cbranch_execz .LBB127_1698
	s_branch .LBB127_1699
.LBB127_2105:
	s_andn2_saveexec_b64 s[10:11], s[10:11]
	s_cbranch_execz .LBB127_1663
.LBB127_2106:
	v_add_f32_e32 v3, 0x42800000, v7
	v_and_b32_e32 v3, 0xff, v3
	v_cmp_ne_u32_e32 vcc, 0, v3
	s_andn2_b64 s[6:7], s[6:7], exec
	s_and_b64 s[12:13], vcc, exec
	s_or_b64 s[6:7], s[6:7], s[12:13]
	s_or_b64 exec, exec, s[10:11]
	v_mov_b32_e32 v11, 0
	s_and_saveexec_b64 s[10:11], s[6:7]
	s_cbranch_execnz .LBB127_1664
	s_branch .LBB127_1665
.LBB127_2107:
	s_andn2_saveexec_b64 s[12:13], s[12:13]
	s_cbranch_execz .LBB127_1769
.LBB127_2108:
	v_add_f32_e32 v5, 0x46000000, v6
	v_and_b32_e32 v5, 0xff, v5
	v_cmp_ne_u32_e32 vcc, 0, v5
	s_andn2_b64 s[10:11], s[10:11], exec
	s_and_b64 s[18:19], vcc, exec
	s_or_b64 s[10:11], s[10:11], s[18:19]
	s_or_b64 exec, exec, s[12:13]
	v_mov_b32_e32 v7, 0
	s_and_saveexec_b64 s[12:13], s[10:11]
	s_cbranch_execnz .LBB127_1770
	s_branch .LBB127_1771
.LBB127_2109:
	s_trap 2
	s_or_b64 s[2:3], s[2:3], exec
	s_cbranch_execz .LBB127_1817
	s_branch .LBB127_1818
.LBB127_2110:
	s_andn2_saveexec_b64 s[10:11], s[10:11]
	s_cbranch_execz .LBB127_1782
.LBB127_2111:
	v_add_f32_e32 v5, 0x42800000, v6
	v_and_b32_e32 v5, 0xff, v5
	v_cmp_ne_u32_e32 vcc, 0, v5
	s_andn2_b64 s[6:7], s[6:7], exec
	s_and_b64 s[12:13], vcc, exec
	s_or_b64 s[6:7], s[6:7], s[12:13]
	s_or_b64 exec, exec, s[10:11]
	v_mov_b32_e32 v7, 0
	s_and_saveexec_b64 s[10:11], s[6:7]
	s_cbranch_execnz .LBB127_1783
	s_branch .LBB127_1784
.LBB127_2112:
	s_andn2_saveexec_b64 s[12:13], s[12:13]
	s_cbranch_execz .LBB127_1888
.LBB127_2113:
	v_add_f32_e32 v4, 0x46000000, v5
	v_and_b32_e32 v4, 0xff, v4
	v_cmp_ne_u32_e32 vcc, 0, v4
	s_andn2_b64 s[10:11], s[10:11], exec
	s_and_b64 s[18:19], vcc, exec
	s_or_b64 s[10:11], s[10:11], s[18:19]
	s_or_b64 exec, exec, s[12:13]
	v_mov_b32_e32 v6, 0
	s_and_saveexec_b64 s[12:13], s[10:11]
	s_cbranch_execnz .LBB127_1889
	s_branch .LBB127_1890
.LBB127_2114:
	s_trap 2
	s_or_b64 s[2:3], s[2:3], exec
	s_cbranch_execz .LBB127_1936
	s_branch .LBB127_1937
.LBB127_2115:
	s_andn2_saveexec_b64 s[10:11], s[10:11]
	s_cbranch_execz .LBB127_1901
.LBB127_2116:
	v_add_f32_e32 v4, 0x42800000, v5
	v_and_b32_e32 v4, 0xff, v4
	v_cmp_ne_u32_e32 vcc, 0, v4
	s_andn2_b64 s[6:7], s[6:7], exec
	s_and_b64 s[12:13], vcc, exec
	s_or_b64 s[6:7], s[6:7], s[12:13]
	s_or_b64 exec, exec, s[10:11]
	v_mov_b32_e32 v6, 0
	s_and_saveexec_b64 s[10:11], s[6:7]
	s_cbranch_execnz .LBB127_1902
	s_branch .LBB127_1903
.LBB127_2117:
	s_andn2_saveexec_b64 s[10:11], s[10:11]
	s_cbranch_execz .LBB127_2008
.LBB127_2118:
	v_add_f32_e32 v3, 0x46000000, v4
	v_and_b32_e32 v3, 0xff, v3
	v_cmp_ne_u32_e32 vcc, 0, v3
	s_andn2_b64 s[8:9], s[8:9], exec
	s_and_b64 s[16:17], vcc, exec
	s_or_b64 s[8:9], s[8:9], s[16:17]
	s_or_b64 exec, exec, s[10:11]
	v_mov_b32_e32 v5, 0
	s_and_saveexec_b64 s[10:11], s[8:9]
	s_cbranch_execnz .LBB127_2009
	s_branch .LBB127_2010
.LBB127_2119:
	s_mov_b64 s[4:5], 0
	s_or_b64 s[2:3], s[2:3], exec
	s_trap 2
	s_branch .LBB127_2054
.LBB127_2120:
	s_andn2_saveexec_b64 s[8:9], s[8:9]
	s_cbranch_execz .LBB127_2020
.LBB127_2121:
	v_add_f32_e32 v3, 0x42800000, v4
	v_and_b32_e32 v3, 0xff, v3
	v_cmp_ne_u32_e32 vcc, 0, v3
	s_andn2_b64 s[6:7], s[6:7], exec
	s_and_b64 s[10:11], vcc, exec
	s_or_b64 s[6:7], s[6:7], s[10:11]
	s_or_b64 exec, exec, s[8:9]
	v_mov_b32_e32 v5, 0
	s_and_saveexec_b64 s[8:9], s[6:7]
	s_cbranch_execnz .LBB127_2021
	s_branch .LBB127_2022
	.section	.rodata,"a",@progbits
	.p2align	6, 0x0
	.amdhsa_kernel _ZN2at6native32elementwise_kernel_manual_unrollILi128ELi4EZNS0_15gpu_kernel_implINS0_13AUnaryFunctorIhhhZZZNS0_18rshift_kernel_cudaERNS_18TensorIteratorBaseEENKUlvE_clEvENKUlvE_clEvEUlhhE_EEEEvS5_RKT_EUlibE0_EEviT1_
		.amdhsa_group_segment_fixed_size 0
		.amdhsa_private_segment_fixed_size 0
		.amdhsa_kernarg_size 360
		.amdhsa_user_sgpr_count 6
		.amdhsa_user_sgpr_private_segment_buffer 1
		.amdhsa_user_sgpr_dispatch_ptr 0
		.amdhsa_user_sgpr_queue_ptr 0
		.amdhsa_user_sgpr_kernarg_segment_ptr 1
		.amdhsa_user_sgpr_dispatch_id 0
		.amdhsa_user_sgpr_flat_scratch_init 0
		.amdhsa_user_sgpr_private_segment_size 0
		.amdhsa_uses_dynamic_stack 0
		.amdhsa_system_sgpr_private_segment_wavefront_offset 0
		.amdhsa_system_sgpr_workgroup_id_x 1
		.amdhsa_system_sgpr_workgroup_id_y 0
		.amdhsa_system_sgpr_workgroup_id_z 0
		.amdhsa_system_sgpr_workgroup_info 0
		.amdhsa_system_vgpr_workitem_id 0
		.amdhsa_next_free_vgpr 18
		.amdhsa_next_free_sgpr 79
		.amdhsa_reserve_vcc 1
		.amdhsa_reserve_flat_scratch 0
		.amdhsa_float_round_mode_32 0
		.amdhsa_float_round_mode_16_64 0
		.amdhsa_float_denorm_mode_32 3
		.amdhsa_float_denorm_mode_16_64 3
		.amdhsa_dx10_clamp 1
		.amdhsa_ieee_mode 1
		.amdhsa_fp16_overflow 0
		.amdhsa_exception_fp_ieee_invalid_op 0
		.amdhsa_exception_fp_denorm_src 0
		.amdhsa_exception_fp_ieee_div_zero 0
		.amdhsa_exception_fp_ieee_overflow 0
		.amdhsa_exception_fp_ieee_underflow 0
		.amdhsa_exception_fp_ieee_inexact 0
		.amdhsa_exception_int_div_zero 0
	.end_amdhsa_kernel
	.section	.text._ZN2at6native32elementwise_kernel_manual_unrollILi128ELi4EZNS0_15gpu_kernel_implINS0_13AUnaryFunctorIhhhZZZNS0_18rshift_kernel_cudaERNS_18TensorIteratorBaseEENKUlvE_clEvENKUlvE_clEvEUlhhE_EEEEvS5_RKT_EUlibE0_EEviT1_,"axG",@progbits,_ZN2at6native32elementwise_kernel_manual_unrollILi128ELi4EZNS0_15gpu_kernel_implINS0_13AUnaryFunctorIhhhZZZNS0_18rshift_kernel_cudaERNS_18TensorIteratorBaseEENKUlvE_clEvENKUlvE_clEvEUlhhE_EEEEvS5_RKT_EUlibE0_EEviT1_,comdat
.Lfunc_end127:
	.size	_ZN2at6native32elementwise_kernel_manual_unrollILi128ELi4EZNS0_15gpu_kernel_implINS0_13AUnaryFunctorIhhhZZZNS0_18rshift_kernel_cudaERNS_18TensorIteratorBaseEENKUlvE_clEvENKUlvE_clEvEUlhhE_EEEEvS5_RKT_EUlibE0_EEviT1_, .Lfunc_end127-_ZN2at6native32elementwise_kernel_manual_unrollILi128ELi4EZNS0_15gpu_kernel_implINS0_13AUnaryFunctorIhhhZZZNS0_18rshift_kernel_cudaERNS_18TensorIteratorBaseEENKUlvE_clEvENKUlvE_clEvEUlhhE_EEEEvS5_RKT_EUlibE0_EEviT1_
                                        ; -- End function
	.set _ZN2at6native32elementwise_kernel_manual_unrollILi128ELi4EZNS0_15gpu_kernel_implINS0_13AUnaryFunctorIhhhZZZNS0_18rshift_kernel_cudaERNS_18TensorIteratorBaseEENKUlvE_clEvENKUlvE_clEvEUlhhE_EEEEvS5_RKT_EUlibE0_EEviT1_.num_vgpr, 18
	.set _ZN2at6native32elementwise_kernel_manual_unrollILi128ELi4EZNS0_15gpu_kernel_implINS0_13AUnaryFunctorIhhhZZZNS0_18rshift_kernel_cudaERNS_18TensorIteratorBaseEENKUlvE_clEvENKUlvE_clEvEUlhhE_EEEEvS5_RKT_EUlibE0_EEviT1_.num_agpr, 0
	.set _ZN2at6native32elementwise_kernel_manual_unrollILi128ELi4EZNS0_15gpu_kernel_implINS0_13AUnaryFunctorIhhhZZZNS0_18rshift_kernel_cudaERNS_18TensorIteratorBaseEENKUlvE_clEvENKUlvE_clEvEUlhhE_EEEEvS5_RKT_EUlibE0_EEviT1_.numbered_sgpr, 79
	.set _ZN2at6native32elementwise_kernel_manual_unrollILi128ELi4EZNS0_15gpu_kernel_implINS0_13AUnaryFunctorIhhhZZZNS0_18rshift_kernel_cudaERNS_18TensorIteratorBaseEENKUlvE_clEvENKUlvE_clEvEUlhhE_EEEEvS5_RKT_EUlibE0_EEviT1_.num_named_barrier, 0
	.set _ZN2at6native32elementwise_kernel_manual_unrollILi128ELi4EZNS0_15gpu_kernel_implINS0_13AUnaryFunctorIhhhZZZNS0_18rshift_kernel_cudaERNS_18TensorIteratorBaseEENKUlvE_clEvENKUlvE_clEvEUlhhE_EEEEvS5_RKT_EUlibE0_EEviT1_.private_seg_size, 0
	.set _ZN2at6native32elementwise_kernel_manual_unrollILi128ELi4EZNS0_15gpu_kernel_implINS0_13AUnaryFunctorIhhhZZZNS0_18rshift_kernel_cudaERNS_18TensorIteratorBaseEENKUlvE_clEvENKUlvE_clEvEUlhhE_EEEEvS5_RKT_EUlibE0_EEviT1_.uses_vcc, 1
	.set _ZN2at6native32elementwise_kernel_manual_unrollILi128ELi4EZNS0_15gpu_kernel_implINS0_13AUnaryFunctorIhhhZZZNS0_18rshift_kernel_cudaERNS_18TensorIteratorBaseEENKUlvE_clEvENKUlvE_clEvEUlhhE_EEEEvS5_RKT_EUlibE0_EEviT1_.uses_flat_scratch, 0
	.set _ZN2at6native32elementwise_kernel_manual_unrollILi128ELi4EZNS0_15gpu_kernel_implINS0_13AUnaryFunctorIhhhZZZNS0_18rshift_kernel_cudaERNS_18TensorIteratorBaseEENKUlvE_clEvENKUlvE_clEvEUlhhE_EEEEvS5_RKT_EUlibE0_EEviT1_.has_dyn_sized_stack, 0
	.set _ZN2at6native32elementwise_kernel_manual_unrollILi128ELi4EZNS0_15gpu_kernel_implINS0_13AUnaryFunctorIhhhZZZNS0_18rshift_kernel_cudaERNS_18TensorIteratorBaseEENKUlvE_clEvENKUlvE_clEvEUlhhE_EEEEvS5_RKT_EUlibE0_EEviT1_.has_recursion, 0
	.set _ZN2at6native32elementwise_kernel_manual_unrollILi128ELi4EZNS0_15gpu_kernel_implINS0_13AUnaryFunctorIhhhZZZNS0_18rshift_kernel_cudaERNS_18TensorIteratorBaseEENKUlvE_clEvENKUlvE_clEvEUlhhE_EEEEvS5_RKT_EUlibE0_EEviT1_.has_indirect_call, 0
	.section	.AMDGPU.csdata,"",@progbits
; Kernel info:
; codeLenInByte = 38656
; TotalNumSgprs: 83
; NumVgprs: 18
; ScratchSize: 0
; MemoryBound: 1
; FloatMode: 240
; IeeeMode: 1
; LDSByteSize: 0 bytes/workgroup (compile time only)
; SGPRBlocks: 10
; VGPRBlocks: 4
; NumSGPRsForWavesPerEU: 83
; NumVGPRsForWavesPerEU: 18
; Occupancy: 9
; WaveLimiterHint : 1
; COMPUTE_PGM_RSRC2:SCRATCH_EN: 0
; COMPUTE_PGM_RSRC2:USER_SGPR: 6
; COMPUTE_PGM_RSRC2:TRAP_HANDLER: 0
; COMPUTE_PGM_RSRC2:TGID_X_EN: 1
; COMPUTE_PGM_RSRC2:TGID_Y_EN: 0
; COMPUTE_PGM_RSRC2:TGID_Z_EN: 0
; COMPUTE_PGM_RSRC2:TIDIG_COMP_CNT: 0
	.section	.text._ZN2at6native29vectorized_elementwise_kernelILi16ENS0_13BUnaryFunctorIhhhZZZNS0_18rshift_kernel_cudaERNS_18TensorIteratorBaseEENKUlvE_clEvENKUlvE_clEvEUlhhE_EESt5arrayIPcLm2EEEEviT0_T1_,"axG",@progbits,_ZN2at6native29vectorized_elementwise_kernelILi16ENS0_13BUnaryFunctorIhhhZZZNS0_18rshift_kernel_cudaERNS_18TensorIteratorBaseEENKUlvE_clEvENKUlvE_clEvEUlhhE_EESt5arrayIPcLm2EEEEviT0_T1_,comdat
	.globl	_ZN2at6native29vectorized_elementwise_kernelILi16ENS0_13BUnaryFunctorIhhhZZZNS0_18rshift_kernel_cudaERNS_18TensorIteratorBaseEENKUlvE_clEvENKUlvE_clEvEUlhhE_EESt5arrayIPcLm2EEEEviT0_T1_ ; -- Begin function _ZN2at6native29vectorized_elementwise_kernelILi16ENS0_13BUnaryFunctorIhhhZZZNS0_18rshift_kernel_cudaERNS_18TensorIteratorBaseEENKUlvE_clEvENKUlvE_clEvEUlhhE_EESt5arrayIPcLm2EEEEviT0_T1_
	.p2align	8
	.type	_ZN2at6native29vectorized_elementwise_kernelILi16ENS0_13BUnaryFunctorIhhhZZZNS0_18rshift_kernel_cudaERNS_18TensorIteratorBaseEENKUlvE_clEvENKUlvE_clEvEUlhhE_EESt5arrayIPcLm2EEEEviT0_T1_,@function
_ZN2at6native29vectorized_elementwise_kernelILi16ENS0_13BUnaryFunctorIhhhZZZNS0_18rshift_kernel_cudaERNS_18TensorIteratorBaseEENKUlvE_clEvENKUlvE_clEvEUlhhE_EESt5arrayIPcLm2EEEEviT0_T1_: ; @_ZN2at6native29vectorized_elementwise_kernelILi16ENS0_13BUnaryFunctorIhhhZZZNS0_18rshift_kernel_cudaERNS_18TensorIteratorBaseEENKUlvE_clEvENKUlvE_clEvEUlhhE_EESt5arrayIPcLm2EEEEviT0_T1_
; %bb.0:
	v_mov_b32_e32 v1, 0
	global_load_ushort v1, v1, s[4:5] offset:4
	s_load_dword s0, s[4:5], 0x0
	s_load_dwordx4 s[28:31], s[4:5], 0x8
	s_lshl_b32 s38, s6, 12
	s_waitcnt lgkmcnt(0)
	s_sub_i32 s33, s0, s38
	s_cmpk_gt_i32 s33, 0xfff
	s_mov_b64 s[0:1], -1
	s_waitcnt vmcnt(0)
	v_readfirstlane_b32 s39, v1
	s_cbranch_scc0 .LBB128_2
; %bb.1:
	s_and_b32 s0, 0xffff, s39
	s_lshr_b32 s3, s0, 8
	s_ashr_i32 s4, s38, 31
	s_add_u32 s0, s30, s38
	s_addc_u32 s1, s31, s4
	v_lshlrev_b32_e32 v5, 4, v0
	global_load_dwordx4 v[1:4], v5, s[0:1]
	s_movk_i32 s0, 0xff
	s_cmp_gt_u32 s3, 7
	s_waitcnt vmcnt(0)
	v_lshrrev_b32_e32 v6, 8, v1
	v_lshrrev_b32_e32 v8, 8, v2
	;; [unrolled: 1-line block ×4, first 2 shown]
	v_and_b32_sdwa v7, v1, s0 dst_sel:DWORD dst_unused:UNUSED_PAD src0_sel:WORD_1 src1_sel:DWORD
	v_and_b32_sdwa v9, v2, s0 dst_sel:DWORD dst_unused:UNUSED_PAD src0_sel:WORD_1 src1_sel:DWORD
	;; [unrolled: 1-line block ×4, first 2 shown]
	v_lshrrev_b16_sdwa v14, s3, v1 dst_sel:DWORD dst_unused:UNUSED_PAD src0_sel:DWORD src1_sel:BYTE_0
	v_lshrrev_b16_sdwa v1, s3, v1 dst_sel:DWORD dst_unused:UNUSED_PAD src0_sel:DWORD src1_sel:BYTE_3
	v_lshrrev_b16_sdwa v15, s3, v2 dst_sel:DWORD dst_unused:UNUSED_PAD src0_sel:DWORD src1_sel:BYTE_0
	v_lshrrev_b16_sdwa v2, s3, v2 dst_sel:DWORD dst_unused:UNUSED_PAD src0_sel:DWORD src1_sel:BYTE_3
	;; [unrolled: 2-line block ×4, first 2 shown]
	s_cselect_b64 s[0:1], -1, 0
	v_lshrrev_b16_sdwa v6, s3, v6 dst_sel:DWORD dst_unused:UNUSED_PAD src0_sel:DWORD src1_sel:BYTE_0
	v_lshrrev_b16_sdwa v8, s3, v8 dst_sel:DWORD dst_unused:UNUSED_PAD src0_sel:DWORD src1_sel:BYTE_0
	;; [unrolled: 1-line block ×4, first 2 shown]
	v_lshrrev_b16_e32 v7, s3, v7
	v_cndmask_b32_e64 v1, v1, 0, s[0:1]
	v_lshrrev_b16_e32 v9, s3, v9
	v_cndmask_b32_e64 v2, v2, 0, s[0:1]
	;; [unrolled: 2-line block ×4, first 2 shown]
	v_cndmask_b32_e64 v6, v6, 0, s[0:1]
	v_cndmask_b32_e64 v8, v8, 0, s[0:1]
	;; [unrolled: 1-line block ×12, first 2 shown]
	v_lshlrev_b16_e32 v4, 8, v4
	v_lshlrev_b16_e32 v3, 8, v3
	;; [unrolled: 1-line block ×8, first 2 shown]
	s_add_u32 s2, s28, s38
	v_or_b32_sdwa v4, v13, v4 dst_sel:WORD_1 dst_unused:UNUSED_PAD src0_sel:DWORD src1_sel:DWORD
	v_or_b32_sdwa v3, v11, v3 dst_sel:WORD_1 dst_unused:UNUSED_PAD src0_sel:DWORD src1_sel:DWORD
	;; [unrolled: 1-line block ×4, first 2 shown]
	v_or_b32_e32 v7, v17, v12
	v_or_b32_e32 v9, v16, v10
	v_or_b32_e32 v8, v15, v8
	v_or_b32_e32 v6, v14, v6
	s_addc_u32 s3, s29, s4
	v_or_b32_sdwa v4, v7, v4 dst_sel:DWORD dst_unused:UNUSED_PAD src0_sel:WORD_0 src1_sel:DWORD
	v_or_b32_sdwa v3, v9, v3 dst_sel:DWORD dst_unused:UNUSED_PAD src0_sel:WORD_0 src1_sel:DWORD
	;; [unrolled: 1-line block ×4, first 2 shown]
	global_store_dwordx4 v5, v[1:4], s[2:3]
	s_mov_b64 s[0:1], 0
.LBB128_2:
	s_andn2_b64 vcc, exec, s[0:1]
	s_cbranch_vccnz .LBB128_52
; %bb.3:
	v_cmp_gt_i32_e32 vcc, s33, v0
	v_or_b32_e32 v5, 0x100, v0
	v_mov_b32_e32 v20, 0
	v_or_b32_e32 v3, s38, v0
	v_mov_b32_e32 v19, 0
	v_mov_b32_e32 v18, 0
	;; [unrolled: 1-line block ×15, first 2 shown]
	s_and_saveexec_b64 s[2:3], vcc
	s_cbranch_execz .LBB128_35
; %bb.4:
	global_load_ubyte v12, v3, s[30:31]
	v_cmp_gt_u32_e64 s[0:1], s33, v5
	v_mov_b32_e32 v11, 0
	v_mov_b32_e32 v14, 0
	;; [unrolled: 1-line block ×15, first 2 shown]
	s_and_saveexec_b64 s[4:5], s[0:1]
	s_cbranch_execz .LBB128_34
; %bb.5:
	v_add_u32_e32 v1, s38, v0
	global_load_ubyte v11, v1, s[30:31] offset:256
	v_or_b32_e32 v2, 0x200, v0
	v_mov_b32_e32 v14, 0
	v_cmp_gt_u32_e64 s[0:1], s33, v2
	v_mov_b32_e32 v13, 0
	v_mov_b32_e32 v4, 0
	;; [unrolled: 1-line block ×13, first 2 shown]
	s_and_saveexec_b64 s[6:7], s[0:1]
	s_cbranch_execz .LBB128_33
; %bb.6:
	v_mov_b32_e32 v2, s31
	v_add_co_u32_e64 v1, s[0:1], s30, v1
	v_addc_co_u32_e64 v2, s[0:1], 0, v2, s[0:1]
	global_load_ubyte v14, v[1:2], off offset:512
	v_or_b32_e32 v4, 0x300, v0
	v_cmp_gt_u32_e64 s[0:1], s33, v4
	v_mov_b32_e32 v13, 0
	v_mov_b32_e32 v4, 0
	;; [unrolled: 1-line block ×13, first 2 shown]
	s_and_saveexec_b64 s[8:9], s[0:1]
	s_cbranch_execz .LBB128_32
; %bb.7:
	global_load_ubyte v13, v[1:2], off offset:768
	v_or_b32_e32 v4, 0x400, v0
	v_cmp_gt_u32_e64 s[0:1], s33, v4
	v_mov_b32_e32 v4, 0
	v_mov_b32_e32 v6, 0
	;; [unrolled: 1-line block ×12, first 2 shown]
	s_and_saveexec_b64 s[10:11], s[0:1]
	s_cbranch_execz .LBB128_31
; %bb.8:
	global_load_ubyte v4, v[1:2], off offset:1024
	v_or_b32_e32 v6, 0x500, v0
	v_cmp_gt_u32_e64 s[0:1], s33, v6
	v_mov_b32_e32 v6, 0
	v_mov_b32_e32 v7, 0
	;; [unrolled: 1-line block ×11, first 2 shown]
	s_and_saveexec_b64 s[12:13], s[0:1]
	s_cbranch_execz .LBB128_30
; %bb.9:
	global_load_ubyte v6, v[1:2], off offset:1280
	v_or_b32_e32 v7, 0x600, v0
	v_cmp_gt_u32_e64 s[0:1], s33, v7
	v_mov_b32_e32 v7, 0
	v_mov_b32_e32 v8, 0
	;; [unrolled: 1-line block ×10, first 2 shown]
	s_and_saveexec_b64 s[14:15], s[0:1]
	s_cbranch_execz .LBB128_29
; %bb.10:
	global_load_ubyte v7, v[1:2], off offset:1536
	v_or_b32_e32 v8, 0x700, v0
	v_cmp_gt_u32_e64 s[0:1], s33, v8
	v_mov_b32_e32 v8, 0
	v_mov_b32_e32 v9, 0
	;; [unrolled: 1-line block ×9, first 2 shown]
	s_and_saveexec_b64 s[16:17], s[0:1]
	s_cbranch_execz .LBB128_28
; %bb.11:
	global_load_ubyte v8, v[1:2], off offset:1792
	v_or_b32_e32 v9, 0x800, v0
	v_cmp_gt_u32_e64 s[0:1], s33, v9
	v_mov_b32_e32 v9, 0
	v_mov_b32_e32 v10, 0
	;; [unrolled: 1-line block ×8, first 2 shown]
	s_and_saveexec_b64 s[18:19], s[0:1]
	s_cbranch_execz .LBB128_27
; %bb.12:
	global_load_ubyte v9, v[1:2], off offset:2048
	v_or_b32_e32 v10, 0x900, v0
	v_cmp_gt_u32_e64 s[0:1], s33, v10
	v_mov_b32_e32 v10, 0
	v_mov_b32_e32 v15, 0
	;; [unrolled: 1-line block ×7, first 2 shown]
	s_and_saveexec_b64 s[20:21], s[0:1]
	s_cbranch_execz .LBB128_26
; %bb.13:
	global_load_ubyte v10, v[1:2], off offset:2304
	v_or_b32_e32 v15, 0xa00, v0
	v_cmp_gt_u32_e64 s[0:1], s33, v15
	v_mov_b32_e32 v15, 0
	v_mov_b32_e32 v16, 0
	;; [unrolled: 1-line block ×6, first 2 shown]
	s_and_saveexec_b64 s[22:23], s[0:1]
	s_cbranch_execz .LBB128_25
; %bb.14:
	global_load_ubyte v15, v[1:2], off offset:2560
	v_or_b32_e32 v16, 0xb00, v0
	v_cmp_gt_u32_e64 s[0:1], s33, v16
	v_mov_b32_e32 v16, 0
	v_mov_b32_e32 v17, 0
	;; [unrolled: 1-line block ×5, first 2 shown]
	s_and_saveexec_b64 s[24:25], s[0:1]
	s_cbranch_execz .LBB128_24
; %bb.15:
	global_load_ubyte v16, v[1:2], off offset:2816
	v_or_b32_e32 v17, 0xc00, v0
	v_cmp_gt_u32_e64 s[0:1], s33, v17
	v_mov_b32_e32 v17, 0
	v_mov_b32_e32 v18, 0
	;; [unrolled: 1-line block ×4, first 2 shown]
	s_and_saveexec_b64 s[26:27], s[0:1]
	s_cbranch_execz .LBB128_23
; %bb.16:
	global_load_ubyte v17, v[1:2], off offset:3072
	v_or_b32_e32 v18, 0xd00, v0
	v_cmp_gt_u32_e64 s[0:1], s33, v18
	v_mov_b32_e32 v18, 0
	v_mov_b32_e32 v19, 0
	;; [unrolled: 1-line block ×3, first 2 shown]
	s_and_saveexec_b64 s[30:31], s[0:1]
	s_cbranch_execz .LBB128_22
; %bb.17:
	global_load_ubyte v18, v[1:2], off offset:3328
	v_or_b32_e32 v19, 0xe00, v0
	v_cmp_gt_u32_e64 s[0:1], s33, v19
	v_mov_b32_e32 v19, 0
	v_mov_b32_e32 v20, 0
	s_and_saveexec_b64 s[34:35], s[0:1]
	s_cbranch_execz .LBB128_21
; %bb.18:
	global_load_ubyte v19, v[1:2], off offset:3584
	v_or_b32_e32 v20, 0xf00, v0
	v_cmp_gt_u32_e64 s[0:1], s33, v20
	v_mov_b32_e32 v20, 0
	s_and_saveexec_b64 s[36:37], s[0:1]
	s_cbranch_execz .LBB128_20
; %bb.19:
	global_load_ubyte v20, v[1:2], off offset:3840
.LBB128_20:
	s_or_b64 exec, exec, s[36:37]
.LBB128_21:
	s_or_b64 exec, exec, s[34:35]
.LBB128_22:
	s_or_b64 exec, exec, s[30:31]
.LBB128_23:
	s_or_b64 exec, exec, s[26:27]
.LBB128_24:
	s_or_b64 exec, exec, s[24:25]
.LBB128_25:
	s_or_b64 exec, exec, s[22:23]
.LBB128_26:
	s_or_b64 exec, exec, s[20:21]
.LBB128_27:
	s_or_b64 exec, exec, s[18:19]
.LBB128_28:
	s_or_b64 exec, exec, s[16:17]
.LBB128_29:
	s_or_b64 exec, exec, s[14:15]
.LBB128_30:
	s_or_b64 exec, exec, s[12:13]
.LBB128_31:
	s_or_b64 exec, exec, s[10:11]
.LBB128_32:
	s_or_b64 exec, exec, s[8:9]
.LBB128_33:
	s_or_b64 exec, exec, s[6:7]
.LBB128_34:
	s_or_b64 exec, exec, s[4:5]
.LBB128_35:
	s_or_b64 exec, exec, s[2:3]
	s_and_saveexec_b64 s[0:1], vcc
	s_cbranch_execz .LBB128_52
; %bb.36:
	s_and_b32 s0, 0xffff, s39
	s_lshr_b32 s35, s0, 8
	s_cmp_gt_u32 s35, 7
	s_waitcnt vmcnt(0)
	v_lshrrev_b16_sdwa v1, s35, v12 dst_sel:DWORD dst_unused:UNUSED_PAD src0_sel:DWORD src1_sel:BYTE_0
	s_cselect_b64 s[30:31], -1, 0
	v_cndmask_b32_e64 v1, v1, 0, s[30:31]
	v_lshrrev_b16_sdwa v2, s35, v11 dst_sel:DWORD dst_unused:UNUSED_PAD src0_sel:DWORD src1_sel:BYTE_0
	v_and_b32_e32 v1, 0xffff, v1
	v_cndmask_b32_e64 v2, v2, 0, s[30:31]
	v_cndmask_b32_e32 v1, 0, v1, vcc
	v_lshlrev_b16_e32 v2, 8, v2
	v_or_b32_sdwa v2, v1, v2 dst_sel:DWORD dst_unused:UNUSED_PAD src0_sel:BYTE_0 src1_sel:DWORD
	v_cmp_gt_i32_e64 s[26:27], s33, v5
	v_lshrrev_b16_sdwa v5, s35, v14 dst_sel:DWORD dst_unused:UNUSED_PAD src0_sel:DWORD src1_sel:BYTE_0
	v_and_b32_e32 v2, 0xffff, v2
	v_cndmask_b32_e64 v5, v5, 0, s[30:31]
	v_cndmask_b32_e64 v1, v1, v2, s[26:27]
	v_or_b32_e32 v2, 0x200, v0
	v_lshlrev_b32_e32 v5, 16, v5
	v_or_b32_e32 v5, v1, v5
	v_cmp_gt_i32_e64 s[20:21], s33, v2
	v_lshrrev_b16_sdwa v11, s35, v13 dst_sel:DWORD dst_unused:UNUSED_PAD src0_sel:DWORD src1_sel:BYTE_0
	s_movk_i32 s36, 0xff
	v_cndmask_b32_e64 v1, v1, v5, s[20:21]
	v_cndmask_b32_e64 v11, v11, 0, s[30:31]
	v_and_b32_sdwa v2, v1, s36 dst_sel:DWORD dst_unused:UNUSED_PAD src0_sel:WORD_1 src1_sel:DWORD
	v_lshlrev_b16_e32 v11, 8, v11
	s_mov_b32 s34, 0xffff
	v_or_b32_e32 v5, 0x300, v0
	v_or_b32_sdwa v2, v2, v11 dst_sel:WORD_1 dst_unused:UNUSED_PAD src0_sel:DWORD src1_sel:DWORD
	v_and_or_b32 v2, v1, s34, v2
	v_cmp_gt_i32_e64 s[18:19], s33, v5
	v_cndmask_b32_e64 v12, v1, v2, s[18:19]
	v_or_b32_e32 v1, 0x500, v0
	v_cmp_gt_i32_e64 s[16:17], s33, v1
	v_or_b32_e32 v1, 0x600, v0
	v_cmp_gt_i32_e64 s[14:15], s33, v1
	v_or_b32_e32 v1, 0x700, v0
	v_cmp_gt_i32_e64 s[12:13], s33, v1
	v_or_b32_e32 v1, 0x900, v0
	v_cmp_gt_i32_e64 s[10:11], s33, v1
	v_or_b32_e32 v1, 0xa00, v0
	v_cmp_gt_i32_e64 s[8:9], s33, v1
	v_or_b32_e32 v1, 0xb00, v0
	v_cmp_gt_i32_e64 s[6:7], s33, v1
	v_or_b32_e32 v1, 0xd00, v0
	v_cmp_gt_i32_e64 s[4:5], s33, v1
	v_or_b32_e32 v1, 0xe00, v0
	v_or_b32_e32 v11, 0x400, v0
	;; [unrolled: 1-line block ×4, first 2 shown]
	v_cmp_gt_i32_e64 s[2:3], s33, v1
	v_or_b32_e32 v1, 0xf00, v0
	v_cmp_gt_i32_e32 vcc, s33, v11
	v_cmp_gt_i32_e64 s[24:25], s33, v5
	v_cmp_gt_i32_e64 s[22:23], s33, v2
	;; [unrolled: 1-line block ×3, first 2 shown]
	global_store_byte v3, v12, s[28:29]
	s_and_b64 exec, exec, s[26:27]
	s_cbranch_execz .LBB128_52
; %bb.37:
	v_lshrrev_b16_sdwa v1, s35, v4 dst_sel:DWORD dst_unused:UNUSED_PAD src0_sel:DWORD src1_sel:BYTE_0
	v_cndmask_b32_e64 v1, v1, 0, s[30:31]
	v_mov_b32_e32 v3, 0
	v_cndmask_b32_sdwa v1, v3, v1, vcc dst_sel:DWORD dst_unused:UNUSED_PAD src0_sel:DWORD src1_sel:WORD_0
	v_lshrrev_b16_sdwa v3, s35, v6 dst_sel:DWORD dst_unused:UNUSED_PAD src0_sel:DWORD src1_sel:BYTE_0
	v_cndmask_b32_e64 v3, v3, 0, s[30:31]
	v_lshlrev_b16_e32 v3, 8, v3
	v_or_b32_sdwa v3, v1, v3 dst_sel:DWORD dst_unused:UNUSED_PAD src0_sel:BYTE_0 src1_sel:DWORD
	v_and_b32_e32 v3, 0xffff, v3
	s_movk_i32 s26, 0xff00
	v_cndmask_b32_e64 v1, v1, v3, s[16:17]
	v_lshrrev_b16_sdwa v4, s35, v7 dst_sel:DWORD dst_unused:UNUSED_PAD src0_sel:DWORD src1_sel:BYTE_0
	v_and_b32_sdwa v3, v1, s26 dst_sel:DWORD dst_unused:UNUSED_PAD src0_sel:WORD_1 src1_sel:DWORD
	v_cndmask_b32_e64 v4, v4, 0, s[30:31]
	v_or_b32_sdwa v3, v4, v3 dst_sel:WORD_1 dst_unused:UNUSED_PAD src0_sel:DWORD src1_sel:DWORD
	v_and_or_b32 v3, v1, s34, v3
	v_lshrrev_b16_sdwa v4, s35, v8 dst_sel:DWORD dst_unused:UNUSED_PAD src0_sel:DWORD src1_sel:BYTE_0
	v_cndmask_b32_e64 v1, v1, v3, s[14:15]
	v_cndmask_b32_e64 v4, v4, 0, s[30:31]
	v_and_b32_sdwa v3, v1, s36 dst_sel:DWORD dst_unused:UNUSED_PAD src0_sel:WORD_1 src1_sel:DWORD
	v_lshlrev_b16_e32 v4, 8, v4
	v_or_b32_sdwa v3, v3, v4 dst_sel:WORD_1 dst_unused:UNUSED_PAD src0_sel:DWORD src1_sel:DWORD
	v_and_or_b32 v3, v1, s34, v3
	v_cndmask_b32_e64 v6, v1, v3, s[12:13]
	v_lshrrev_b16_sdwa v1, s35, v9 dst_sel:DWORD dst_unused:UNUSED_PAD src0_sel:DWORD src1_sel:BYTE_0
	v_cndmask_b32_e64 v1, v1, 0, s[30:31]
	v_lshrrev_b16_sdwa v3, s35, v10 dst_sel:DWORD dst_unused:UNUSED_PAD src0_sel:DWORD src1_sel:BYTE_0
	v_and_b32_e32 v1, 0xffff, v1
	v_cndmask_b32_e64 v3, v3, 0, s[30:31]
	v_cndmask_b32_e64 v1, 0, v1, s[24:25]
	v_lshlrev_b16_e32 v3, 8, v3
	v_or_b32_sdwa v3, v1, v3 dst_sel:DWORD dst_unused:UNUSED_PAD src0_sel:BYTE_0 src1_sel:DWORD
	v_and_b32_e32 v3, 0xffff, v3
	v_cndmask_b32_e64 v1, v1, v3, s[10:11]
	v_lshrrev_b16_sdwa v3, s35, v15 dst_sel:DWORD dst_unused:UNUSED_PAD src0_sel:DWORD src1_sel:BYTE_0
	v_cndmask_b32_e64 v3, v3, 0, s[30:31]
	v_lshlrev_b32_e32 v3, 16, v3
	v_or_b32_e32 v3, v1, v3
	v_lshrrev_b16_sdwa v4, s35, v16 dst_sel:DWORD dst_unused:UNUSED_PAD src0_sel:DWORD src1_sel:BYTE_0
	v_cndmask_b32_e64 v1, v1, v3, s[8:9]
	v_cndmask_b32_e64 v4, v4, 0, s[30:31]
	v_and_b32_sdwa v3, v1, s36 dst_sel:DWORD dst_unused:UNUSED_PAD src0_sel:WORD_1 src1_sel:DWORD
	v_lshlrev_b16_e32 v4, 8, v4
	v_or_b32_sdwa v3, v3, v4 dst_sel:WORD_1 dst_unused:UNUSED_PAD src0_sel:DWORD src1_sel:DWORD
	v_and_or_b32 v3, v1, s34, v3
	v_cndmask_b32_e64 v4, v1, v3, s[6:7]
	v_lshrrev_b16_sdwa v1, s35, v17 dst_sel:DWORD dst_unused:UNUSED_PAD src0_sel:DWORD src1_sel:BYTE_0
	v_cndmask_b32_e64 v1, v1, 0, s[30:31]
	v_lshrrev_b16_sdwa v3, s35, v18 dst_sel:DWORD dst_unused:UNUSED_PAD src0_sel:DWORD src1_sel:BYTE_0
	v_and_b32_e32 v1, 0xffff, v1
	v_cndmask_b32_e64 v3, v3, 0, s[30:31]
	v_cndmask_b32_e64 v1, 0, v1, s[22:23]
	v_lshlrev_b16_e32 v3, 8, v3
	v_or_b32_sdwa v3, v1, v3 dst_sel:DWORD dst_unused:UNUSED_PAD src0_sel:BYTE_0 src1_sel:DWORD
	v_and_b32_e32 v3, 0xffff, v3
	v_cndmask_b32_e64 v1, v1, v3, s[4:5]
	v_lshrrev_b16_sdwa v7, s35, v19 dst_sel:DWORD dst_unused:UNUSED_PAD src0_sel:DWORD src1_sel:BYTE_0
	v_and_b32_sdwa v3, v1, s26 dst_sel:DWORD dst_unused:UNUSED_PAD src0_sel:WORD_1 src1_sel:DWORD
	v_cndmask_b32_e64 v7, v7, 0, s[30:31]
	v_or_b32_sdwa v3, v7, v3 dst_sel:WORD_1 dst_unused:UNUSED_PAD src0_sel:DWORD src1_sel:DWORD
	v_and_or_b32 v3, v1, s34, v3
	v_lshrrev_b16_sdwa v7, s35, v20 dst_sel:DWORD dst_unused:UNUSED_PAD src0_sel:DWORD src1_sel:BYTE_0
	v_cndmask_b32_e64 v1, v1, v3, s[2:3]
	v_cndmask_b32_e64 v7, v7, 0, s[30:31]
	v_and_b32_sdwa v3, v1, s36 dst_sel:DWORD dst_unused:UNUSED_PAD src0_sel:WORD_1 src1_sel:DWORD
	v_lshlrev_b16_e32 v7, 8, v7
	v_or_b32_sdwa v3, v3, v7 dst_sel:WORD_1 dst_unused:UNUSED_PAD src0_sel:DWORD src1_sel:DWORD
	v_and_or_b32 v3, v1, s34, v3
	v_cndmask_b32_e64 v3, v1, v3, s[0:1]
	v_lshrrev_b32_e32 v1, 8, v12
	v_add_u32_e32 v0, s38, v0
	global_store_byte v0, v1, s[28:29] offset:256
	s_and_b64 exec, exec, s[20:21]
	s_cbranch_execz .LBB128_52
; %bb.38:
	v_mov_b32_e32 v1, s29
	v_add_co_u32_e32 v0, vcc, s28, v0
	v_addc_co_u32_e32 v1, vcc, 0, v1, vcc
	global_store_byte_d16_hi v[0:1], v12, off offset:512
	s_and_b64 exec, exec, s[18:19]
	s_cbranch_execz .LBB128_52
; %bb.39:
	v_lshrrev_b32_e32 v7, 24, v12
	v_cmp_gt_u32_e32 vcc, s33, v11
	global_store_byte v[0:1], v7, off offset:768
	s_and_b64 exec, exec, vcc
	s_cbranch_execz .LBB128_52
; %bb.40:
	global_store_byte v[0:1], v6, off offset:1024
	s_and_b64 exec, exec, s[16:17]
	s_cbranch_execz .LBB128_52
; %bb.41:
	v_lshrrev_b32_e32 v7, 8, v6
	global_store_byte v[0:1], v7, off offset:1280
	s_and_b64 exec, exec, s[14:15]
	s_cbranch_execz .LBB128_52
; %bb.42:
	global_store_byte_d16_hi v[0:1], v6, off offset:1536
	s_and_b64 exec, exec, s[12:13]
	s_cbranch_execz .LBB128_52
; %bb.43:
	v_lshrrev_b32_e32 v6, 24, v6
	v_cmp_gt_u32_e32 vcc, s33, v5
	global_store_byte v[0:1], v6, off offset:1792
	s_and_b64 exec, exec, vcc
	s_cbranch_execz .LBB128_52
; %bb.44:
	global_store_byte v[0:1], v4, off offset:2048
	s_and_b64 exec, exec, s[10:11]
	s_cbranch_execz .LBB128_52
; %bb.45:
	v_lshrrev_b32_e32 v5, 8, v4
	global_store_byte v[0:1], v5, off offset:2304
	s_and_b64 exec, exec, s[8:9]
	s_cbranch_execz .LBB128_52
; %bb.46:
	global_store_byte_d16_hi v[0:1], v4, off offset:2560
	s_and_b64 exec, exec, s[6:7]
	s_cbranch_execz .LBB128_52
; %bb.47:
	v_lshrrev_b32_e32 v4, 24, v4
	v_cmp_gt_u32_e32 vcc, s33, v2
	global_store_byte v[0:1], v4, off offset:2816
	s_and_b64 exec, exec, vcc
	s_cbranch_execz .LBB128_52
; %bb.48:
	global_store_byte v[0:1], v3, off offset:3072
	s_and_b64 exec, exec, s[4:5]
	s_cbranch_execz .LBB128_52
; %bb.49:
	v_lshrrev_b32_e32 v2, 8, v3
	global_store_byte v[0:1], v2, off offset:3328
	s_and_b64 exec, exec, s[2:3]
	s_cbranch_execz .LBB128_52
; %bb.50:
	global_store_byte_d16_hi v[0:1], v3, off offset:3584
	s_and_b64 exec, exec, s[0:1]
	s_cbranch_execz .LBB128_52
; %bb.51:
	v_lshrrev_b32_e32 v2, 24, v3
	global_store_byte v[0:1], v2, off offset:3840
.LBB128_52:
	s_endpgm
	.section	.rodata,"a",@progbits
	.p2align	6, 0x0
	.amdhsa_kernel _ZN2at6native29vectorized_elementwise_kernelILi16ENS0_13BUnaryFunctorIhhhZZZNS0_18rshift_kernel_cudaERNS_18TensorIteratorBaseEENKUlvE_clEvENKUlvE_clEvEUlhhE_EESt5arrayIPcLm2EEEEviT0_T1_
		.amdhsa_group_segment_fixed_size 0
		.amdhsa_private_segment_fixed_size 0
		.amdhsa_kernarg_size 24
		.amdhsa_user_sgpr_count 6
		.amdhsa_user_sgpr_private_segment_buffer 1
		.amdhsa_user_sgpr_dispatch_ptr 0
		.amdhsa_user_sgpr_queue_ptr 0
		.amdhsa_user_sgpr_kernarg_segment_ptr 1
		.amdhsa_user_sgpr_dispatch_id 0
		.amdhsa_user_sgpr_flat_scratch_init 0
		.amdhsa_user_sgpr_private_segment_size 0
		.amdhsa_uses_dynamic_stack 0
		.amdhsa_system_sgpr_private_segment_wavefront_offset 0
		.amdhsa_system_sgpr_workgroup_id_x 1
		.amdhsa_system_sgpr_workgroup_id_y 0
		.amdhsa_system_sgpr_workgroup_id_z 0
		.amdhsa_system_sgpr_workgroup_info 0
		.amdhsa_system_vgpr_workitem_id 0
		.amdhsa_next_free_vgpr 21
		.amdhsa_next_free_sgpr 40
		.amdhsa_reserve_vcc 1
		.amdhsa_reserve_flat_scratch 0
		.amdhsa_float_round_mode_32 0
		.amdhsa_float_round_mode_16_64 0
		.amdhsa_float_denorm_mode_32 3
		.amdhsa_float_denorm_mode_16_64 3
		.amdhsa_dx10_clamp 1
		.amdhsa_ieee_mode 1
		.amdhsa_fp16_overflow 0
		.amdhsa_exception_fp_ieee_invalid_op 0
		.amdhsa_exception_fp_denorm_src 0
		.amdhsa_exception_fp_ieee_div_zero 0
		.amdhsa_exception_fp_ieee_overflow 0
		.amdhsa_exception_fp_ieee_underflow 0
		.amdhsa_exception_fp_ieee_inexact 0
		.amdhsa_exception_int_div_zero 0
	.end_amdhsa_kernel
	.section	.text._ZN2at6native29vectorized_elementwise_kernelILi16ENS0_13BUnaryFunctorIhhhZZZNS0_18rshift_kernel_cudaERNS_18TensorIteratorBaseEENKUlvE_clEvENKUlvE_clEvEUlhhE_EESt5arrayIPcLm2EEEEviT0_T1_,"axG",@progbits,_ZN2at6native29vectorized_elementwise_kernelILi16ENS0_13BUnaryFunctorIhhhZZZNS0_18rshift_kernel_cudaERNS_18TensorIteratorBaseEENKUlvE_clEvENKUlvE_clEvEUlhhE_EESt5arrayIPcLm2EEEEviT0_T1_,comdat
.Lfunc_end128:
	.size	_ZN2at6native29vectorized_elementwise_kernelILi16ENS0_13BUnaryFunctorIhhhZZZNS0_18rshift_kernel_cudaERNS_18TensorIteratorBaseEENKUlvE_clEvENKUlvE_clEvEUlhhE_EESt5arrayIPcLm2EEEEviT0_T1_, .Lfunc_end128-_ZN2at6native29vectorized_elementwise_kernelILi16ENS0_13BUnaryFunctorIhhhZZZNS0_18rshift_kernel_cudaERNS_18TensorIteratorBaseEENKUlvE_clEvENKUlvE_clEvEUlhhE_EESt5arrayIPcLm2EEEEviT0_T1_
                                        ; -- End function
	.set _ZN2at6native29vectorized_elementwise_kernelILi16ENS0_13BUnaryFunctorIhhhZZZNS0_18rshift_kernel_cudaERNS_18TensorIteratorBaseEENKUlvE_clEvENKUlvE_clEvEUlhhE_EESt5arrayIPcLm2EEEEviT0_T1_.num_vgpr, 21
	.set _ZN2at6native29vectorized_elementwise_kernelILi16ENS0_13BUnaryFunctorIhhhZZZNS0_18rshift_kernel_cudaERNS_18TensorIteratorBaseEENKUlvE_clEvENKUlvE_clEvEUlhhE_EESt5arrayIPcLm2EEEEviT0_T1_.num_agpr, 0
	.set _ZN2at6native29vectorized_elementwise_kernelILi16ENS0_13BUnaryFunctorIhhhZZZNS0_18rshift_kernel_cudaERNS_18TensorIteratorBaseEENKUlvE_clEvENKUlvE_clEvEUlhhE_EESt5arrayIPcLm2EEEEviT0_T1_.numbered_sgpr, 40
	.set _ZN2at6native29vectorized_elementwise_kernelILi16ENS0_13BUnaryFunctorIhhhZZZNS0_18rshift_kernel_cudaERNS_18TensorIteratorBaseEENKUlvE_clEvENKUlvE_clEvEUlhhE_EESt5arrayIPcLm2EEEEviT0_T1_.num_named_barrier, 0
	.set _ZN2at6native29vectorized_elementwise_kernelILi16ENS0_13BUnaryFunctorIhhhZZZNS0_18rshift_kernel_cudaERNS_18TensorIteratorBaseEENKUlvE_clEvENKUlvE_clEvEUlhhE_EESt5arrayIPcLm2EEEEviT0_T1_.private_seg_size, 0
	.set _ZN2at6native29vectorized_elementwise_kernelILi16ENS0_13BUnaryFunctorIhhhZZZNS0_18rshift_kernel_cudaERNS_18TensorIteratorBaseEENKUlvE_clEvENKUlvE_clEvEUlhhE_EESt5arrayIPcLm2EEEEviT0_T1_.uses_vcc, 1
	.set _ZN2at6native29vectorized_elementwise_kernelILi16ENS0_13BUnaryFunctorIhhhZZZNS0_18rshift_kernel_cudaERNS_18TensorIteratorBaseEENKUlvE_clEvENKUlvE_clEvEUlhhE_EESt5arrayIPcLm2EEEEviT0_T1_.uses_flat_scratch, 0
	.set _ZN2at6native29vectorized_elementwise_kernelILi16ENS0_13BUnaryFunctorIhhhZZZNS0_18rshift_kernel_cudaERNS_18TensorIteratorBaseEENKUlvE_clEvENKUlvE_clEvEUlhhE_EESt5arrayIPcLm2EEEEviT0_T1_.has_dyn_sized_stack, 0
	.set _ZN2at6native29vectorized_elementwise_kernelILi16ENS0_13BUnaryFunctorIhhhZZZNS0_18rshift_kernel_cudaERNS_18TensorIteratorBaseEENKUlvE_clEvENKUlvE_clEvEUlhhE_EESt5arrayIPcLm2EEEEviT0_T1_.has_recursion, 0
	.set _ZN2at6native29vectorized_elementwise_kernelILi16ENS0_13BUnaryFunctorIhhhZZZNS0_18rshift_kernel_cudaERNS_18TensorIteratorBaseEENKUlvE_clEvENKUlvE_clEvEUlhhE_EESt5arrayIPcLm2EEEEviT0_T1_.has_indirect_call, 0
	.section	.AMDGPU.csdata,"",@progbits
; Kernel info:
; codeLenInByte = 2928
; TotalNumSgprs: 44
; NumVgprs: 21
; ScratchSize: 0
; MemoryBound: 0
; FloatMode: 240
; IeeeMode: 1
; LDSByteSize: 0 bytes/workgroup (compile time only)
; SGPRBlocks: 5
; VGPRBlocks: 5
; NumSGPRsForWavesPerEU: 44
; NumVGPRsForWavesPerEU: 21
; Occupancy: 10
; WaveLimiterHint : 0
; COMPUTE_PGM_RSRC2:SCRATCH_EN: 0
; COMPUTE_PGM_RSRC2:USER_SGPR: 6
; COMPUTE_PGM_RSRC2:TRAP_HANDLER: 0
; COMPUTE_PGM_RSRC2:TGID_X_EN: 1
; COMPUTE_PGM_RSRC2:TGID_Y_EN: 0
; COMPUTE_PGM_RSRC2:TGID_Z_EN: 0
; COMPUTE_PGM_RSRC2:TIDIG_COMP_CNT: 0
	.section	.text._ZN2at6native29vectorized_elementwise_kernelILi8ENS0_13BUnaryFunctorIhhhZZZNS0_18rshift_kernel_cudaERNS_18TensorIteratorBaseEENKUlvE_clEvENKUlvE_clEvEUlhhE_EESt5arrayIPcLm2EEEEviT0_T1_,"axG",@progbits,_ZN2at6native29vectorized_elementwise_kernelILi8ENS0_13BUnaryFunctorIhhhZZZNS0_18rshift_kernel_cudaERNS_18TensorIteratorBaseEENKUlvE_clEvENKUlvE_clEvEUlhhE_EESt5arrayIPcLm2EEEEviT0_T1_,comdat
	.globl	_ZN2at6native29vectorized_elementwise_kernelILi8ENS0_13BUnaryFunctorIhhhZZZNS0_18rshift_kernel_cudaERNS_18TensorIteratorBaseEENKUlvE_clEvENKUlvE_clEvEUlhhE_EESt5arrayIPcLm2EEEEviT0_T1_ ; -- Begin function _ZN2at6native29vectorized_elementwise_kernelILi8ENS0_13BUnaryFunctorIhhhZZZNS0_18rshift_kernel_cudaERNS_18TensorIteratorBaseEENKUlvE_clEvENKUlvE_clEvEUlhhE_EESt5arrayIPcLm2EEEEviT0_T1_
	.p2align	8
	.type	_ZN2at6native29vectorized_elementwise_kernelILi8ENS0_13BUnaryFunctorIhhhZZZNS0_18rshift_kernel_cudaERNS_18TensorIteratorBaseEENKUlvE_clEvENKUlvE_clEvEUlhhE_EESt5arrayIPcLm2EEEEviT0_T1_,@function
_ZN2at6native29vectorized_elementwise_kernelILi8ENS0_13BUnaryFunctorIhhhZZZNS0_18rshift_kernel_cudaERNS_18TensorIteratorBaseEENKUlvE_clEvENKUlvE_clEvEUlhhE_EESt5arrayIPcLm2EEEEviT0_T1_: ; @_ZN2at6native29vectorized_elementwise_kernelILi8ENS0_13BUnaryFunctorIhhhZZZNS0_18rshift_kernel_cudaERNS_18TensorIteratorBaseEENKUlvE_clEvENKUlvE_clEvEUlhhE_EESt5arrayIPcLm2EEEEviT0_T1_
; %bb.0:
	v_mov_b32_e32 v1, 0
	global_load_ushort v1, v1, s[4:5] offset:4
	s_load_dword s0, s[4:5], 0x0
	s_load_dwordx4 s[28:31], s[4:5], 0x8
	s_lshl_b32 s38, s6, 12
	s_waitcnt lgkmcnt(0)
	s_sub_i32 s33, s0, s38
	s_cmpk_gt_i32 s33, 0xfff
	s_mov_b64 s[0:1], -1
	s_waitcnt vmcnt(0)
	v_readfirstlane_b32 s39, v1
	s_cbranch_scc0 .LBB129_2
; %bb.1:
	s_and_b32 s0, 0xffff, s39
	s_lshr_b32 s3, s0, 8
	s_ashr_i32 s4, s38, 31
	s_add_u32 s0, s30, s38
	s_addc_u32 s1, s31, s4
	v_lshlrev_b32_e32 v5, 3, v0
	global_load_dwordx2 v[1:2], v5, s[0:1]
	global_load_dwordx2 v[3:4], v5, s[0:1] offset:2048
	s_movk_i32 s2, 0xff
	s_cmp_gt_u32 s3, 7
	s_cselect_b64 s[0:1], -1, 0
	s_waitcnt vmcnt(1)
	v_lshrrev_b32_e32 v7, 8, v1
	v_lshrrev_b16_sdwa v9, s3, v2 dst_sel:DWORD dst_unused:UNUSED_PAD src0_sel:DWORD src1_sel:BYTE_0
	v_lshrrev_b32_e32 v10, 8, v2
	v_and_b32_sdwa v11, v2, s2 dst_sel:DWORD dst_unused:UNUSED_PAD src0_sel:WORD_1 src1_sel:DWORD
	v_lshrrev_b16_sdwa v2, s3, v2 dst_sel:DWORD dst_unused:UNUSED_PAD src0_sel:DWORD src1_sel:BYTE_3
	s_waitcnt vmcnt(0)
	v_lshrrev_b32_e32 v13, 8, v3
	v_lshrrev_b32_e32 v16, 8, v4
	v_lshrrev_b16_sdwa v6, s3, v1 dst_sel:DWORD dst_unused:UNUSED_PAD src0_sel:DWORD src1_sel:BYTE_0
	v_and_b32_sdwa v8, v1, s2 dst_sel:DWORD dst_unused:UNUSED_PAD src0_sel:WORD_1 src1_sel:DWORD
	v_lshrrev_b16_sdwa v1, s3, v1 dst_sel:DWORD dst_unused:UNUSED_PAD src0_sel:DWORD src1_sel:BYTE_3
	v_lshrrev_b16_sdwa v12, s3, v3 dst_sel:DWORD dst_unused:UNUSED_PAD src0_sel:DWORD src1_sel:BYTE_0
	v_and_b32_sdwa v14, v3, s2 dst_sel:DWORD dst_unused:UNUSED_PAD src0_sel:WORD_1 src1_sel:DWORD
	v_lshrrev_b16_sdwa v3, s3, v3 dst_sel:DWORD dst_unused:UNUSED_PAD src0_sel:DWORD src1_sel:BYTE_3
	;; [unrolled: 3-line block ×3, first 2 shown]
	v_lshrrev_b16_sdwa v7, s3, v7 dst_sel:DWORD dst_unused:UNUSED_PAD src0_sel:DWORD src1_sel:BYTE_0
	v_lshrrev_b16_sdwa v10, s3, v10 dst_sel:DWORD dst_unused:UNUSED_PAD src0_sel:DWORD src1_sel:BYTE_0
	v_lshrrev_b16_e32 v11, s3, v11
	v_cndmask_b32_e64 v2, v2, 0, s[0:1]
	v_lshrrev_b16_sdwa v13, s3, v13 dst_sel:DWORD dst_unused:UNUSED_PAD src0_sel:DWORD src1_sel:BYTE_0
	v_lshrrev_b16_sdwa v16, s3, v16 dst_sel:DWORD dst_unused:UNUSED_PAD src0_sel:DWORD src1_sel:BYTE_0
	v_lshrrev_b16_e32 v8, s3, v8
	v_cndmask_b32_e64 v1, v1, 0, s[0:1]
	v_lshrrev_b16_e32 v14, s3, v14
	v_cndmask_b32_e64 v3, v3, 0, s[0:1]
	;; [unrolled: 2-line block ×3, first 2 shown]
	v_cndmask_b32_e64 v7, v7, 0, s[0:1]
	v_cndmask_b32_e64 v10, v10, 0, s[0:1]
	;; [unrolled: 1-line block ×5, first 2 shown]
	v_lshlrev_b16_e32 v2, 8, v2
	v_cndmask_b32_e64 v6, v6, 0, s[0:1]
	v_cndmask_b32_e64 v9, v9, 0, s[0:1]
	;; [unrolled: 1-line block ×7, first 2 shown]
	v_lshlrev_b16_e32 v4, 8, v4
	v_lshlrev_b16_e32 v3, 8, v3
	;; [unrolled: 1-line block ×6, first 2 shown]
	v_or_b32_sdwa v11, v11, v2 dst_sel:WORD_1 dst_unused:UNUSED_PAD src0_sel:DWORD src1_sel:DWORD
	v_lshlrev_b16_e32 v2, 8, v7
	s_add_u32 s2, s28, s38
	v_or_b32_sdwa v4, v17, v4 dst_sel:WORD_1 dst_unused:UNUSED_PAD src0_sel:DWORD src1_sel:DWORD
	v_or_b32_sdwa v3, v14, v3 dst_sel:WORD_1 dst_unused:UNUSED_PAD src0_sel:DWORD src1_sel:DWORD
	;; [unrolled: 1-line block ×3, first 2 shown]
	v_or_b32_e32 v1, v15, v16
	v_or_b32_e32 v8, v12, v13
	;; [unrolled: 1-line block ×4, first 2 shown]
	s_addc_u32 s3, s29, s4
	v_or_b32_sdwa v2, v1, v4 dst_sel:DWORD dst_unused:UNUSED_PAD src0_sel:WORD_0 src1_sel:DWORD
	v_or_b32_sdwa v1, v8, v3 dst_sel:DWORD dst_unused:UNUSED_PAD src0_sel:WORD_0 src1_sel:DWORD
	;; [unrolled: 1-line block ×4, first 2 shown]
	global_store_dwordx2 v5, v[3:4], s[2:3]
	global_store_dwordx2 v5, v[1:2], s[2:3] offset:2048
	s_mov_b64 s[0:1], 0
.LBB129_2:
	s_andn2_b64 vcc, exec, s[0:1]
	s_cbranch_vccnz .LBB129_52
; %bb.3:
	v_cmp_gt_i32_e32 vcc, s33, v0
	v_or_b32_e32 v5, 0x100, v0
	v_mov_b32_e32 v20, 0
	v_or_b32_e32 v3, s38, v0
	v_mov_b32_e32 v19, 0
	v_mov_b32_e32 v18, 0
	;; [unrolled: 1-line block ×15, first 2 shown]
	s_and_saveexec_b64 s[2:3], vcc
	s_cbranch_execz .LBB129_35
; %bb.4:
	global_load_ubyte v12, v3, s[30:31]
	v_cmp_gt_u32_e64 s[0:1], s33, v5
	v_mov_b32_e32 v11, 0
	v_mov_b32_e32 v14, 0
	;; [unrolled: 1-line block ×15, first 2 shown]
	s_and_saveexec_b64 s[4:5], s[0:1]
	s_cbranch_execz .LBB129_34
; %bb.5:
	v_add_u32_e32 v1, s38, v0
	global_load_ubyte v11, v1, s[30:31] offset:256
	v_or_b32_e32 v2, 0x200, v0
	v_mov_b32_e32 v14, 0
	v_cmp_gt_u32_e64 s[0:1], s33, v2
	v_mov_b32_e32 v13, 0
	v_mov_b32_e32 v4, 0
	;; [unrolled: 1-line block ×13, first 2 shown]
	s_and_saveexec_b64 s[6:7], s[0:1]
	s_cbranch_execz .LBB129_33
; %bb.6:
	v_mov_b32_e32 v2, s31
	v_add_co_u32_e64 v1, s[0:1], s30, v1
	v_addc_co_u32_e64 v2, s[0:1], 0, v2, s[0:1]
	global_load_ubyte v14, v[1:2], off offset:512
	v_or_b32_e32 v4, 0x300, v0
	v_cmp_gt_u32_e64 s[0:1], s33, v4
	v_mov_b32_e32 v13, 0
	v_mov_b32_e32 v4, 0
	;; [unrolled: 1-line block ×13, first 2 shown]
	s_and_saveexec_b64 s[8:9], s[0:1]
	s_cbranch_execz .LBB129_32
; %bb.7:
	global_load_ubyte v13, v[1:2], off offset:768
	v_or_b32_e32 v4, 0x400, v0
	v_cmp_gt_u32_e64 s[0:1], s33, v4
	v_mov_b32_e32 v4, 0
	v_mov_b32_e32 v6, 0
	;; [unrolled: 1-line block ×12, first 2 shown]
	s_and_saveexec_b64 s[10:11], s[0:1]
	s_cbranch_execz .LBB129_31
; %bb.8:
	global_load_ubyte v4, v[1:2], off offset:1024
	v_or_b32_e32 v6, 0x500, v0
	v_cmp_gt_u32_e64 s[0:1], s33, v6
	v_mov_b32_e32 v6, 0
	v_mov_b32_e32 v7, 0
	;; [unrolled: 1-line block ×11, first 2 shown]
	s_and_saveexec_b64 s[12:13], s[0:1]
	s_cbranch_execz .LBB129_30
; %bb.9:
	global_load_ubyte v6, v[1:2], off offset:1280
	v_or_b32_e32 v7, 0x600, v0
	v_cmp_gt_u32_e64 s[0:1], s33, v7
	v_mov_b32_e32 v7, 0
	v_mov_b32_e32 v8, 0
	;; [unrolled: 1-line block ×10, first 2 shown]
	s_and_saveexec_b64 s[14:15], s[0:1]
	s_cbranch_execz .LBB129_29
; %bb.10:
	global_load_ubyte v7, v[1:2], off offset:1536
	v_or_b32_e32 v8, 0x700, v0
	v_cmp_gt_u32_e64 s[0:1], s33, v8
	v_mov_b32_e32 v8, 0
	v_mov_b32_e32 v9, 0
	;; [unrolled: 1-line block ×9, first 2 shown]
	s_and_saveexec_b64 s[16:17], s[0:1]
	s_cbranch_execz .LBB129_28
; %bb.11:
	global_load_ubyte v8, v[1:2], off offset:1792
	v_or_b32_e32 v9, 0x800, v0
	v_cmp_gt_u32_e64 s[0:1], s33, v9
	v_mov_b32_e32 v9, 0
	v_mov_b32_e32 v10, 0
	;; [unrolled: 1-line block ×8, first 2 shown]
	s_and_saveexec_b64 s[18:19], s[0:1]
	s_cbranch_execz .LBB129_27
; %bb.12:
	global_load_ubyte v9, v[1:2], off offset:2048
	v_or_b32_e32 v10, 0x900, v0
	v_cmp_gt_u32_e64 s[0:1], s33, v10
	v_mov_b32_e32 v10, 0
	v_mov_b32_e32 v15, 0
	v_mov_b32_e32 v16, 0
	v_mov_b32_e32 v17, 0
	v_mov_b32_e32 v18, 0
	v_mov_b32_e32 v19, 0
	v_mov_b32_e32 v20, 0
	s_and_saveexec_b64 s[20:21], s[0:1]
	s_cbranch_execz .LBB129_26
; %bb.13:
	global_load_ubyte v10, v[1:2], off offset:2304
	v_or_b32_e32 v15, 0xa00, v0
	v_cmp_gt_u32_e64 s[0:1], s33, v15
	v_mov_b32_e32 v15, 0
	v_mov_b32_e32 v16, 0
	;; [unrolled: 1-line block ×6, first 2 shown]
	s_and_saveexec_b64 s[22:23], s[0:1]
	s_cbranch_execz .LBB129_25
; %bb.14:
	global_load_ubyte v15, v[1:2], off offset:2560
	v_or_b32_e32 v16, 0xb00, v0
	v_cmp_gt_u32_e64 s[0:1], s33, v16
	v_mov_b32_e32 v16, 0
	v_mov_b32_e32 v17, 0
	v_mov_b32_e32 v18, 0
	v_mov_b32_e32 v19, 0
	v_mov_b32_e32 v20, 0
	s_and_saveexec_b64 s[24:25], s[0:1]
	s_cbranch_execz .LBB129_24
; %bb.15:
	global_load_ubyte v16, v[1:2], off offset:2816
	v_or_b32_e32 v17, 0xc00, v0
	v_cmp_gt_u32_e64 s[0:1], s33, v17
	v_mov_b32_e32 v17, 0
	v_mov_b32_e32 v18, 0
	;; [unrolled: 1-line block ×4, first 2 shown]
	s_and_saveexec_b64 s[26:27], s[0:1]
	s_cbranch_execz .LBB129_23
; %bb.16:
	global_load_ubyte v17, v[1:2], off offset:3072
	v_or_b32_e32 v18, 0xd00, v0
	v_cmp_gt_u32_e64 s[0:1], s33, v18
	v_mov_b32_e32 v18, 0
	v_mov_b32_e32 v19, 0
	;; [unrolled: 1-line block ×3, first 2 shown]
	s_and_saveexec_b64 s[30:31], s[0:1]
	s_cbranch_execz .LBB129_22
; %bb.17:
	global_load_ubyte v18, v[1:2], off offset:3328
	v_or_b32_e32 v19, 0xe00, v0
	v_cmp_gt_u32_e64 s[0:1], s33, v19
	v_mov_b32_e32 v19, 0
	v_mov_b32_e32 v20, 0
	s_and_saveexec_b64 s[34:35], s[0:1]
	s_cbranch_execz .LBB129_21
; %bb.18:
	global_load_ubyte v19, v[1:2], off offset:3584
	v_or_b32_e32 v20, 0xf00, v0
	v_cmp_gt_u32_e64 s[0:1], s33, v20
	v_mov_b32_e32 v20, 0
	s_and_saveexec_b64 s[36:37], s[0:1]
	s_cbranch_execz .LBB129_20
; %bb.19:
	global_load_ubyte v20, v[1:2], off offset:3840
.LBB129_20:
	s_or_b64 exec, exec, s[36:37]
.LBB129_21:
	s_or_b64 exec, exec, s[34:35]
.LBB129_22:
	s_or_b64 exec, exec, s[30:31]
.LBB129_23:
	s_or_b64 exec, exec, s[26:27]
.LBB129_24:
	s_or_b64 exec, exec, s[24:25]
.LBB129_25:
	s_or_b64 exec, exec, s[22:23]
.LBB129_26:
	s_or_b64 exec, exec, s[20:21]
.LBB129_27:
	s_or_b64 exec, exec, s[18:19]
.LBB129_28:
	s_or_b64 exec, exec, s[16:17]
.LBB129_29:
	s_or_b64 exec, exec, s[14:15]
.LBB129_30:
	s_or_b64 exec, exec, s[12:13]
.LBB129_31:
	s_or_b64 exec, exec, s[10:11]
.LBB129_32:
	s_or_b64 exec, exec, s[8:9]
.LBB129_33:
	s_or_b64 exec, exec, s[6:7]
.LBB129_34:
	s_or_b64 exec, exec, s[4:5]
.LBB129_35:
	s_or_b64 exec, exec, s[2:3]
	s_and_saveexec_b64 s[0:1], vcc
	s_cbranch_execz .LBB129_52
; %bb.36:
	s_and_b32 s0, 0xffff, s39
	s_lshr_b32 s35, s0, 8
	s_cmp_gt_u32 s35, 7
	s_waitcnt vmcnt(0)
	v_lshrrev_b16_sdwa v1, s35, v12 dst_sel:DWORD dst_unused:UNUSED_PAD src0_sel:DWORD src1_sel:BYTE_0
	s_cselect_b64 s[30:31], -1, 0
	v_cndmask_b32_e64 v1, v1, 0, s[30:31]
	v_lshrrev_b16_sdwa v2, s35, v11 dst_sel:DWORD dst_unused:UNUSED_PAD src0_sel:DWORD src1_sel:BYTE_0
	v_and_b32_e32 v1, 0xffff, v1
	v_cndmask_b32_e64 v2, v2, 0, s[30:31]
	v_cndmask_b32_e32 v1, 0, v1, vcc
	v_lshlrev_b16_e32 v2, 8, v2
	v_or_b32_sdwa v2, v1, v2 dst_sel:DWORD dst_unused:UNUSED_PAD src0_sel:BYTE_0 src1_sel:DWORD
	v_cmp_gt_i32_e64 s[26:27], s33, v5
	v_lshrrev_b16_sdwa v5, s35, v14 dst_sel:DWORD dst_unused:UNUSED_PAD src0_sel:DWORD src1_sel:BYTE_0
	v_and_b32_e32 v2, 0xffff, v2
	v_cndmask_b32_e64 v5, v5, 0, s[30:31]
	v_cndmask_b32_e64 v1, v1, v2, s[26:27]
	v_or_b32_e32 v2, 0x200, v0
	v_lshlrev_b32_e32 v5, 16, v5
	v_or_b32_e32 v5, v1, v5
	v_cmp_gt_i32_e64 s[20:21], s33, v2
	v_lshrrev_b16_sdwa v11, s35, v13 dst_sel:DWORD dst_unused:UNUSED_PAD src0_sel:DWORD src1_sel:BYTE_0
	s_movk_i32 s36, 0xff
	v_cndmask_b32_e64 v1, v1, v5, s[20:21]
	v_cndmask_b32_e64 v11, v11, 0, s[30:31]
	v_and_b32_sdwa v2, v1, s36 dst_sel:DWORD dst_unused:UNUSED_PAD src0_sel:WORD_1 src1_sel:DWORD
	v_lshlrev_b16_e32 v11, 8, v11
	s_mov_b32 s34, 0xffff
	v_or_b32_e32 v5, 0x300, v0
	v_or_b32_sdwa v2, v2, v11 dst_sel:WORD_1 dst_unused:UNUSED_PAD src0_sel:DWORD src1_sel:DWORD
	v_and_or_b32 v2, v1, s34, v2
	v_cmp_gt_i32_e64 s[18:19], s33, v5
	v_cndmask_b32_e64 v12, v1, v2, s[18:19]
	v_or_b32_e32 v1, 0x500, v0
	v_cmp_gt_i32_e64 s[16:17], s33, v1
	v_or_b32_e32 v1, 0x600, v0
	v_cmp_gt_i32_e64 s[14:15], s33, v1
	;; [unrolled: 2-line block ×7, first 2 shown]
	v_or_b32_e32 v1, 0xe00, v0
	v_or_b32_e32 v11, 0x400, v0
	;; [unrolled: 1-line block ×4, first 2 shown]
	v_cmp_gt_i32_e64 s[2:3], s33, v1
	v_or_b32_e32 v1, 0xf00, v0
	v_cmp_gt_i32_e32 vcc, s33, v11
	v_cmp_gt_i32_e64 s[24:25], s33, v5
	v_cmp_gt_i32_e64 s[22:23], s33, v2
	;; [unrolled: 1-line block ×3, first 2 shown]
	global_store_byte v3, v12, s[28:29]
	s_and_b64 exec, exec, s[26:27]
	s_cbranch_execz .LBB129_52
; %bb.37:
	v_lshrrev_b16_sdwa v1, s35, v4 dst_sel:DWORD dst_unused:UNUSED_PAD src0_sel:DWORD src1_sel:BYTE_0
	v_cndmask_b32_e64 v1, v1, 0, s[30:31]
	v_mov_b32_e32 v3, 0
	v_cndmask_b32_sdwa v1, v3, v1, vcc dst_sel:DWORD dst_unused:UNUSED_PAD src0_sel:DWORD src1_sel:WORD_0
	v_lshrrev_b16_sdwa v3, s35, v6 dst_sel:DWORD dst_unused:UNUSED_PAD src0_sel:DWORD src1_sel:BYTE_0
	v_cndmask_b32_e64 v3, v3, 0, s[30:31]
	v_lshlrev_b16_e32 v3, 8, v3
	v_or_b32_sdwa v3, v1, v3 dst_sel:DWORD dst_unused:UNUSED_PAD src0_sel:BYTE_0 src1_sel:DWORD
	v_and_b32_e32 v3, 0xffff, v3
	s_movk_i32 s26, 0xff00
	v_cndmask_b32_e64 v1, v1, v3, s[16:17]
	v_lshrrev_b16_sdwa v4, s35, v7 dst_sel:DWORD dst_unused:UNUSED_PAD src0_sel:DWORD src1_sel:BYTE_0
	v_and_b32_sdwa v3, v1, s26 dst_sel:DWORD dst_unused:UNUSED_PAD src0_sel:WORD_1 src1_sel:DWORD
	v_cndmask_b32_e64 v4, v4, 0, s[30:31]
	v_or_b32_sdwa v3, v4, v3 dst_sel:WORD_1 dst_unused:UNUSED_PAD src0_sel:DWORD src1_sel:DWORD
	v_and_or_b32 v3, v1, s34, v3
	v_lshrrev_b16_sdwa v4, s35, v8 dst_sel:DWORD dst_unused:UNUSED_PAD src0_sel:DWORD src1_sel:BYTE_0
	v_cndmask_b32_e64 v1, v1, v3, s[14:15]
	v_cndmask_b32_e64 v4, v4, 0, s[30:31]
	v_and_b32_sdwa v3, v1, s36 dst_sel:DWORD dst_unused:UNUSED_PAD src0_sel:WORD_1 src1_sel:DWORD
	v_lshlrev_b16_e32 v4, 8, v4
	v_or_b32_sdwa v3, v3, v4 dst_sel:WORD_1 dst_unused:UNUSED_PAD src0_sel:DWORD src1_sel:DWORD
	v_and_or_b32 v3, v1, s34, v3
	v_cndmask_b32_e64 v6, v1, v3, s[12:13]
	v_lshrrev_b16_sdwa v1, s35, v9 dst_sel:DWORD dst_unused:UNUSED_PAD src0_sel:DWORD src1_sel:BYTE_0
	v_cndmask_b32_e64 v1, v1, 0, s[30:31]
	v_lshrrev_b16_sdwa v3, s35, v10 dst_sel:DWORD dst_unused:UNUSED_PAD src0_sel:DWORD src1_sel:BYTE_0
	v_and_b32_e32 v1, 0xffff, v1
	v_cndmask_b32_e64 v3, v3, 0, s[30:31]
	v_cndmask_b32_e64 v1, 0, v1, s[24:25]
	v_lshlrev_b16_e32 v3, 8, v3
	v_or_b32_sdwa v3, v1, v3 dst_sel:DWORD dst_unused:UNUSED_PAD src0_sel:BYTE_0 src1_sel:DWORD
	v_and_b32_e32 v3, 0xffff, v3
	v_cndmask_b32_e64 v1, v1, v3, s[10:11]
	v_lshrrev_b16_sdwa v3, s35, v15 dst_sel:DWORD dst_unused:UNUSED_PAD src0_sel:DWORD src1_sel:BYTE_0
	v_cndmask_b32_e64 v3, v3, 0, s[30:31]
	v_lshlrev_b32_e32 v3, 16, v3
	v_or_b32_e32 v3, v1, v3
	v_lshrrev_b16_sdwa v4, s35, v16 dst_sel:DWORD dst_unused:UNUSED_PAD src0_sel:DWORD src1_sel:BYTE_0
	v_cndmask_b32_e64 v1, v1, v3, s[8:9]
	v_cndmask_b32_e64 v4, v4, 0, s[30:31]
	v_and_b32_sdwa v3, v1, s36 dst_sel:DWORD dst_unused:UNUSED_PAD src0_sel:WORD_1 src1_sel:DWORD
	v_lshlrev_b16_e32 v4, 8, v4
	v_or_b32_sdwa v3, v3, v4 dst_sel:WORD_1 dst_unused:UNUSED_PAD src0_sel:DWORD src1_sel:DWORD
	v_and_or_b32 v3, v1, s34, v3
	v_cndmask_b32_e64 v4, v1, v3, s[6:7]
	v_lshrrev_b16_sdwa v1, s35, v17 dst_sel:DWORD dst_unused:UNUSED_PAD src0_sel:DWORD src1_sel:BYTE_0
	v_cndmask_b32_e64 v1, v1, 0, s[30:31]
	v_lshrrev_b16_sdwa v3, s35, v18 dst_sel:DWORD dst_unused:UNUSED_PAD src0_sel:DWORD src1_sel:BYTE_0
	v_and_b32_e32 v1, 0xffff, v1
	v_cndmask_b32_e64 v3, v3, 0, s[30:31]
	v_cndmask_b32_e64 v1, 0, v1, s[22:23]
	v_lshlrev_b16_e32 v3, 8, v3
	v_or_b32_sdwa v3, v1, v3 dst_sel:DWORD dst_unused:UNUSED_PAD src0_sel:BYTE_0 src1_sel:DWORD
	v_and_b32_e32 v3, 0xffff, v3
	v_cndmask_b32_e64 v1, v1, v3, s[4:5]
	v_lshrrev_b16_sdwa v7, s35, v19 dst_sel:DWORD dst_unused:UNUSED_PAD src0_sel:DWORD src1_sel:BYTE_0
	v_and_b32_sdwa v3, v1, s26 dst_sel:DWORD dst_unused:UNUSED_PAD src0_sel:WORD_1 src1_sel:DWORD
	v_cndmask_b32_e64 v7, v7, 0, s[30:31]
	v_or_b32_sdwa v3, v7, v3 dst_sel:WORD_1 dst_unused:UNUSED_PAD src0_sel:DWORD src1_sel:DWORD
	v_and_or_b32 v3, v1, s34, v3
	v_lshrrev_b16_sdwa v7, s35, v20 dst_sel:DWORD dst_unused:UNUSED_PAD src0_sel:DWORD src1_sel:BYTE_0
	v_cndmask_b32_e64 v1, v1, v3, s[2:3]
	v_cndmask_b32_e64 v7, v7, 0, s[30:31]
	v_and_b32_sdwa v3, v1, s36 dst_sel:DWORD dst_unused:UNUSED_PAD src0_sel:WORD_1 src1_sel:DWORD
	v_lshlrev_b16_e32 v7, 8, v7
	v_or_b32_sdwa v3, v3, v7 dst_sel:WORD_1 dst_unused:UNUSED_PAD src0_sel:DWORD src1_sel:DWORD
	v_and_or_b32 v3, v1, s34, v3
	v_cndmask_b32_e64 v3, v1, v3, s[0:1]
	v_lshrrev_b32_e32 v1, 8, v12
	v_add_u32_e32 v0, s38, v0
	global_store_byte v0, v1, s[28:29] offset:256
	s_and_b64 exec, exec, s[20:21]
	s_cbranch_execz .LBB129_52
; %bb.38:
	v_mov_b32_e32 v1, s29
	v_add_co_u32_e32 v0, vcc, s28, v0
	v_addc_co_u32_e32 v1, vcc, 0, v1, vcc
	global_store_byte_d16_hi v[0:1], v12, off offset:512
	s_and_b64 exec, exec, s[18:19]
	s_cbranch_execz .LBB129_52
; %bb.39:
	v_lshrrev_b32_e32 v7, 24, v12
	v_cmp_gt_u32_e32 vcc, s33, v11
	global_store_byte v[0:1], v7, off offset:768
	s_and_b64 exec, exec, vcc
	s_cbranch_execz .LBB129_52
; %bb.40:
	global_store_byte v[0:1], v6, off offset:1024
	s_and_b64 exec, exec, s[16:17]
	s_cbranch_execz .LBB129_52
; %bb.41:
	v_lshrrev_b32_e32 v7, 8, v6
	global_store_byte v[0:1], v7, off offset:1280
	s_and_b64 exec, exec, s[14:15]
	s_cbranch_execz .LBB129_52
; %bb.42:
	global_store_byte_d16_hi v[0:1], v6, off offset:1536
	s_and_b64 exec, exec, s[12:13]
	s_cbranch_execz .LBB129_52
; %bb.43:
	v_lshrrev_b32_e32 v6, 24, v6
	v_cmp_gt_u32_e32 vcc, s33, v5
	global_store_byte v[0:1], v6, off offset:1792
	s_and_b64 exec, exec, vcc
	s_cbranch_execz .LBB129_52
; %bb.44:
	global_store_byte v[0:1], v4, off offset:2048
	s_and_b64 exec, exec, s[10:11]
	s_cbranch_execz .LBB129_52
; %bb.45:
	v_lshrrev_b32_e32 v5, 8, v4
	global_store_byte v[0:1], v5, off offset:2304
	s_and_b64 exec, exec, s[8:9]
	s_cbranch_execz .LBB129_52
; %bb.46:
	global_store_byte_d16_hi v[0:1], v4, off offset:2560
	s_and_b64 exec, exec, s[6:7]
	s_cbranch_execz .LBB129_52
; %bb.47:
	v_lshrrev_b32_e32 v4, 24, v4
	v_cmp_gt_u32_e32 vcc, s33, v2
	global_store_byte v[0:1], v4, off offset:2816
	s_and_b64 exec, exec, vcc
	s_cbranch_execz .LBB129_52
; %bb.48:
	global_store_byte v[0:1], v3, off offset:3072
	s_and_b64 exec, exec, s[4:5]
	s_cbranch_execz .LBB129_52
; %bb.49:
	v_lshrrev_b32_e32 v2, 8, v3
	global_store_byte v[0:1], v2, off offset:3328
	s_and_b64 exec, exec, s[2:3]
	s_cbranch_execz .LBB129_52
; %bb.50:
	global_store_byte_d16_hi v[0:1], v3, off offset:3584
	s_and_b64 exec, exec, s[0:1]
	s_cbranch_execz .LBB129_52
; %bb.51:
	v_lshrrev_b32_e32 v2, 24, v3
	global_store_byte v[0:1], v2, off offset:3840
.LBB129_52:
	s_endpgm
	.section	.rodata,"a",@progbits
	.p2align	6, 0x0
	.amdhsa_kernel _ZN2at6native29vectorized_elementwise_kernelILi8ENS0_13BUnaryFunctorIhhhZZZNS0_18rshift_kernel_cudaERNS_18TensorIteratorBaseEENKUlvE_clEvENKUlvE_clEvEUlhhE_EESt5arrayIPcLm2EEEEviT0_T1_
		.amdhsa_group_segment_fixed_size 0
		.amdhsa_private_segment_fixed_size 0
		.amdhsa_kernarg_size 24
		.amdhsa_user_sgpr_count 6
		.amdhsa_user_sgpr_private_segment_buffer 1
		.amdhsa_user_sgpr_dispatch_ptr 0
		.amdhsa_user_sgpr_queue_ptr 0
		.amdhsa_user_sgpr_kernarg_segment_ptr 1
		.amdhsa_user_sgpr_dispatch_id 0
		.amdhsa_user_sgpr_flat_scratch_init 0
		.amdhsa_user_sgpr_private_segment_size 0
		.amdhsa_uses_dynamic_stack 0
		.amdhsa_system_sgpr_private_segment_wavefront_offset 0
		.amdhsa_system_sgpr_workgroup_id_x 1
		.amdhsa_system_sgpr_workgroup_id_y 0
		.amdhsa_system_sgpr_workgroup_id_z 0
		.amdhsa_system_sgpr_workgroup_info 0
		.amdhsa_system_vgpr_workitem_id 0
		.amdhsa_next_free_vgpr 21
		.amdhsa_next_free_sgpr 40
		.amdhsa_reserve_vcc 1
		.amdhsa_reserve_flat_scratch 0
		.amdhsa_float_round_mode_32 0
		.amdhsa_float_round_mode_16_64 0
		.amdhsa_float_denorm_mode_32 3
		.amdhsa_float_denorm_mode_16_64 3
		.amdhsa_dx10_clamp 1
		.amdhsa_ieee_mode 1
		.amdhsa_fp16_overflow 0
		.amdhsa_exception_fp_ieee_invalid_op 0
		.amdhsa_exception_fp_denorm_src 0
		.amdhsa_exception_fp_ieee_div_zero 0
		.amdhsa_exception_fp_ieee_overflow 0
		.amdhsa_exception_fp_ieee_underflow 0
		.amdhsa_exception_fp_ieee_inexact 0
		.amdhsa_exception_int_div_zero 0
	.end_amdhsa_kernel
	.section	.text._ZN2at6native29vectorized_elementwise_kernelILi8ENS0_13BUnaryFunctorIhhhZZZNS0_18rshift_kernel_cudaERNS_18TensorIteratorBaseEENKUlvE_clEvENKUlvE_clEvEUlhhE_EESt5arrayIPcLm2EEEEviT0_T1_,"axG",@progbits,_ZN2at6native29vectorized_elementwise_kernelILi8ENS0_13BUnaryFunctorIhhhZZZNS0_18rshift_kernel_cudaERNS_18TensorIteratorBaseEENKUlvE_clEvENKUlvE_clEvEUlhhE_EESt5arrayIPcLm2EEEEviT0_T1_,comdat
.Lfunc_end129:
	.size	_ZN2at6native29vectorized_elementwise_kernelILi8ENS0_13BUnaryFunctorIhhhZZZNS0_18rshift_kernel_cudaERNS_18TensorIteratorBaseEENKUlvE_clEvENKUlvE_clEvEUlhhE_EESt5arrayIPcLm2EEEEviT0_T1_, .Lfunc_end129-_ZN2at6native29vectorized_elementwise_kernelILi8ENS0_13BUnaryFunctorIhhhZZZNS0_18rshift_kernel_cudaERNS_18TensorIteratorBaseEENKUlvE_clEvENKUlvE_clEvEUlhhE_EESt5arrayIPcLm2EEEEviT0_T1_
                                        ; -- End function
	.set _ZN2at6native29vectorized_elementwise_kernelILi8ENS0_13BUnaryFunctorIhhhZZZNS0_18rshift_kernel_cudaERNS_18TensorIteratorBaseEENKUlvE_clEvENKUlvE_clEvEUlhhE_EESt5arrayIPcLm2EEEEviT0_T1_.num_vgpr, 21
	.set _ZN2at6native29vectorized_elementwise_kernelILi8ENS0_13BUnaryFunctorIhhhZZZNS0_18rshift_kernel_cudaERNS_18TensorIteratorBaseEENKUlvE_clEvENKUlvE_clEvEUlhhE_EESt5arrayIPcLm2EEEEviT0_T1_.num_agpr, 0
	.set _ZN2at6native29vectorized_elementwise_kernelILi8ENS0_13BUnaryFunctorIhhhZZZNS0_18rshift_kernel_cudaERNS_18TensorIteratorBaseEENKUlvE_clEvENKUlvE_clEvEUlhhE_EESt5arrayIPcLm2EEEEviT0_T1_.numbered_sgpr, 40
	.set _ZN2at6native29vectorized_elementwise_kernelILi8ENS0_13BUnaryFunctorIhhhZZZNS0_18rshift_kernel_cudaERNS_18TensorIteratorBaseEENKUlvE_clEvENKUlvE_clEvEUlhhE_EESt5arrayIPcLm2EEEEviT0_T1_.num_named_barrier, 0
	.set _ZN2at6native29vectorized_elementwise_kernelILi8ENS0_13BUnaryFunctorIhhhZZZNS0_18rshift_kernel_cudaERNS_18TensorIteratorBaseEENKUlvE_clEvENKUlvE_clEvEUlhhE_EESt5arrayIPcLm2EEEEviT0_T1_.private_seg_size, 0
	.set _ZN2at6native29vectorized_elementwise_kernelILi8ENS0_13BUnaryFunctorIhhhZZZNS0_18rshift_kernel_cudaERNS_18TensorIteratorBaseEENKUlvE_clEvENKUlvE_clEvEUlhhE_EESt5arrayIPcLm2EEEEviT0_T1_.uses_vcc, 1
	.set _ZN2at6native29vectorized_elementwise_kernelILi8ENS0_13BUnaryFunctorIhhhZZZNS0_18rshift_kernel_cudaERNS_18TensorIteratorBaseEENKUlvE_clEvENKUlvE_clEvEUlhhE_EESt5arrayIPcLm2EEEEviT0_T1_.uses_flat_scratch, 0
	.set _ZN2at6native29vectorized_elementwise_kernelILi8ENS0_13BUnaryFunctorIhhhZZZNS0_18rshift_kernel_cudaERNS_18TensorIteratorBaseEENKUlvE_clEvENKUlvE_clEvEUlhhE_EESt5arrayIPcLm2EEEEviT0_T1_.has_dyn_sized_stack, 0
	.set _ZN2at6native29vectorized_elementwise_kernelILi8ENS0_13BUnaryFunctorIhhhZZZNS0_18rshift_kernel_cudaERNS_18TensorIteratorBaseEENKUlvE_clEvENKUlvE_clEvEUlhhE_EESt5arrayIPcLm2EEEEviT0_T1_.has_recursion, 0
	.set _ZN2at6native29vectorized_elementwise_kernelILi8ENS0_13BUnaryFunctorIhhhZZZNS0_18rshift_kernel_cudaERNS_18TensorIteratorBaseEENKUlvE_clEvENKUlvE_clEvEUlhhE_EESt5arrayIPcLm2EEEEviT0_T1_.has_indirect_call, 0
	.section	.AMDGPU.csdata,"",@progbits
; Kernel info:
; codeLenInByte = 2948
; TotalNumSgprs: 44
; NumVgprs: 21
; ScratchSize: 0
; MemoryBound: 0
; FloatMode: 240
; IeeeMode: 1
; LDSByteSize: 0 bytes/workgroup (compile time only)
; SGPRBlocks: 5
; VGPRBlocks: 5
; NumSGPRsForWavesPerEU: 44
; NumVGPRsForWavesPerEU: 21
; Occupancy: 10
; WaveLimiterHint : 1
; COMPUTE_PGM_RSRC2:SCRATCH_EN: 0
; COMPUTE_PGM_RSRC2:USER_SGPR: 6
; COMPUTE_PGM_RSRC2:TRAP_HANDLER: 0
; COMPUTE_PGM_RSRC2:TGID_X_EN: 1
; COMPUTE_PGM_RSRC2:TGID_Y_EN: 0
; COMPUTE_PGM_RSRC2:TGID_Z_EN: 0
; COMPUTE_PGM_RSRC2:TIDIG_COMP_CNT: 0
	.section	.text._ZN2at6native29vectorized_elementwise_kernelILi4ENS0_13BUnaryFunctorIhhhZZZNS0_18rshift_kernel_cudaERNS_18TensorIteratorBaseEENKUlvE_clEvENKUlvE_clEvEUlhhE_EESt5arrayIPcLm2EEEEviT0_T1_,"axG",@progbits,_ZN2at6native29vectorized_elementwise_kernelILi4ENS0_13BUnaryFunctorIhhhZZZNS0_18rshift_kernel_cudaERNS_18TensorIteratorBaseEENKUlvE_clEvENKUlvE_clEvEUlhhE_EESt5arrayIPcLm2EEEEviT0_T1_,comdat
	.globl	_ZN2at6native29vectorized_elementwise_kernelILi4ENS0_13BUnaryFunctorIhhhZZZNS0_18rshift_kernel_cudaERNS_18TensorIteratorBaseEENKUlvE_clEvENKUlvE_clEvEUlhhE_EESt5arrayIPcLm2EEEEviT0_T1_ ; -- Begin function _ZN2at6native29vectorized_elementwise_kernelILi4ENS0_13BUnaryFunctorIhhhZZZNS0_18rshift_kernel_cudaERNS_18TensorIteratorBaseEENKUlvE_clEvENKUlvE_clEvEUlhhE_EESt5arrayIPcLm2EEEEviT0_T1_
	.p2align	8
	.type	_ZN2at6native29vectorized_elementwise_kernelILi4ENS0_13BUnaryFunctorIhhhZZZNS0_18rshift_kernel_cudaERNS_18TensorIteratorBaseEENKUlvE_clEvENKUlvE_clEvEUlhhE_EESt5arrayIPcLm2EEEEviT0_T1_,@function
_ZN2at6native29vectorized_elementwise_kernelILi4ENS0_13BUnaryFunctorIhhhZZZNS0_18rshift_kernel_cudaERNS_18TensorIteratorBaseEENKUlvE_clEvENKUlvE_clEvEUlhhE_EESt5arrayIPcLm2EEEEviT0_T1_: ; @_ZN2at6native29vectorized_elementwise_kernelILi4ENS0_13BUnaryFunctorIhhhZZZNS0_18rshift_kernel_cudaERNS_18TensorIteratorBaseEENKUlvE_clEvENKUlvE_clEvEUlhhE_EESt5arrayIPcLm2EEEEviT0_T1_
; %bb.0:
	v_mov_b32_e32 v1, 0
	global_load_ushort v1, v1, s[4:5] offset:4
	s_load_dword s0, s[4:5], 0x0
	s_load_dwordx4 s[28:31], s[4:5], 0x8
	s_lshl_b32 s38, s6, 12
	s_waitcnt lgkmcnt(0)
	s_sub_i32 s33, s0, s38
	s_cmpk_gt_i32 s33, 0xfff
	s_mov_b64 s[0:1], -1
	s_waitcnt vmcnt(0)
	v_readfirstlane_b32 s39, v1
	s_cbranch_scc0 .LBB130_2
; %bb.1:
	s_and_b32 s0, 0xffff, s39
	s_lshr_b32 s3, s0, 8
	s_ashr_i32 s4, s38, 31
	s_add_u32 s0, s30, s38
	s_addc_u32 s1, s31, s4
	v_lshlrev_b32_e32 v1, 2, v0
	global_load_dword v2, v1, s[0:1]
	global_load_dword v3, v1, s[0:1] offset:1024
	global_load_dword v4, v1, s[0:1] offset:2048
	;; [unrolled: 1-line block ×3, first 2 shown]
	s_movk_i32 s2, 0xff
	s_cmp_gt_u32 s3, 7
	s_cselect_b64 s[0:1], -1, 0
	s_waitcnt vmcnt(3)
	v_lshrrev_b32_e32 v7, 8, v2
	v_lshrrev_b16_sdwa v6, s3, v2 dst_sel:DWORD dst_unused:UNUSED_PAD src0_sel:DWORD src1_sel:BYTE_0
	v_and_b32_sdwa v8, v2, s2 dst_sel:DWORD dst_unused:UNUSED_PAD src0_sel:WORD_1 src1_sel:DWORD
	v_lshrrev_b16_sdwa v2, s3, v2 dst_sel:DWORD dst_unused:UNUSED_PAD src0_sel:DWORD src1_sel:BYTE_3
	s_waitcnt vmcnt(2)
	v_lshrrev_b32_e32 v10, 8, v3
	s_waitcnt vmcnt(1)
	v_lshrrev_b32_e32 v13, 8, v4
	;; [unrolled: 2-line block ×3, first 2 shown]
	v_lshrrev_b16_sdwa v7, s3, v7 dst_sel:DWORD dst_unused:UNUSED_PAD src0_sel:DWORD src1_sel:BYTE_0
	v_lshrrev_b16_sdwa v9, s3, v3 dst_sel:DWORD dst_unused:UNUSED_PAD src0_sel:DWORD src1_sel:BYTE_0
	v_and_b32_sdwa v11, v3, s2 dst_sel:DWORD dst_unused:UNUSED_PAD src0_sel:WORD_1 src1_sel:DWORD
	v_lshrrev_b16_sdwa v3, s3, v3 dst_sel:DWORD dst_unused:UNUSED_PAD src0_sel:DWORD src1_sel:BYTE_3
	v_lshrrev_b16_sdwa v12, s3, v4 dst_sel:DWORD dst_unused:UNUSED_PAD src0_sel:DWORD src1_sel:BYTE_0
	v_and_b32_sdwa v14, v4, s2 dst_sel:DWORD dst_unused:UNUSED_PAD src0_sel:WORD_1 src1_sel:DWORD
	v_lshrrev_b16_sdwa v4, s3, v4 dst_sel:DWORD dst_unused:UNUSED_PAD src0_sel:DWORD src1_sel:BYTE_3
	v_lshrrev_b16_sdwa v15, s3, v5 dst_sel:DWORD dst_unused:UNUSED_PAD src0_sel:DWORD src1_sel:BYTE_0
	v_and_b32_sdwa v17, v5, s2 dst_sel:DWORD dst_unused:UNUSED_PAD src0_sel:WORD_1 src1_sel:DWORD
	v_lshrrev_b16_sdwa v5, s3, v5 dst_sel:DWORD dst_unused:UNUSED_PAD src0_sel:DWORD src1_sel:BYTE_3
	v_lshrrev_b16_e32 v8, s3, v8
	v_cndmask_b32_e64 v2, v2, 0, s[0:1]
	v_lshrrev_b16_sdwa v10, s3, v10 dst_sel:DWORD dst_unused:UNUSED_PAD src0_sel:DWORD src1_sel:BYTE_0
	v_lshrrev_b16_sdwa v13, s3, v13 dst_sel:DWORD dst_unused:UNUSED_PAD src0_sel:DWORD src1_sel:BYTE_0
	;; [unrolled: 1-line block ×3, first 2 shown]
	v_cndmask_b32_e64 v7, v7, 0, s[0:1]
	v_cndmask_b32_e64 v6, v6, 0, s[0:1]
	v_lshrrev_b16_e32 v11, s3, v11
	v_cndmask_b32_e64 v3, v3, 0, s[0:1]
	v_lshrrev_b16_e32 v14, s3, v14
	;; [unrolled: 2-line block ×3, first 2 shown]
	v_cndmask_b32_e64 v5, v5, 0, s[0:1]
	v_cndmask_b32_e64 v8, v8, 0, s[0:1]
	;; [unrolled: 1-line block ×5, first 2 shown]
	v_lshlrev_b16_e32 v2, 8, v2
	v_lshlrev_b16_e32 v7, 8, v7
	s_add_u32 s2, s28, s38
	v_cndmask_b32_e64 v9, v9, 0, s[0:1]
	v_cndmask_b32_e64 v12, v12, 0, s[0:1]
	;; [unrolled: 1-line block ×6, first 2 shown]
	v_lshlrev_b16_e32 v5, 8, v5
	v_lshlrev_b16_e32 v4, 8, v4
	v_lshlrev_b16_e32 v3, 8, v3
	v_lshlrev_b16_e32 v16, 8, v16
	v_lshlrev_b16_e32 v13, 8, v13
	v_lshlrev_b16_e32 v10, 8, v10
	v_or_b32_sdwa v2, v8, v2 dst_sel:WORD_1 dst_unused:UNUSED_PAD src0_sel:DWORD src1_sel:DWORD
	v_or_b32_e32 v6, v6, v7
	s_addc_u32 s3, s29, s4
	v_or_b32_sdwa v5, v17, v5 dst_sel:WORD_1 dst_unused:UNUSED_PAD src0_sel:DWORD src1_sel:DWORD
	v_or_b32_sdwa v4, v14, v4 dst_sel:WORD_1 dst_unused:UNUSED_PAD src0_sel:DWORD src1_sel:DWORD
	;; [unrolled: 1-line block ×3, first 2 shown]
	v_or_b32_e32 v8, v15, v16
	v_or_b32_e32 v11, v12, v13
	;; [unrolled: 1-line block ×3, first 2 shown]
	v_or_b32_sdwa v2, v6, v2 dst_sel:DWORD dst_unused:UNUSED_PAD src0_sel:WORD_0 src1_sel:DWORD
	v_or_b32_sdwa v5, v8, v5 dst_sel:DWORD dst_unused:UNUSED_PAD src0_sel:WORD_0 src1_sel:DWORD
	;; [unrolled: 1-line block ×4, first 2 shown]
	global_store_dword v1, v2, s[2:3]
	global_store_dword v1, v3, s[2:3] offset:1024
	global_store_dword v1, v4, s[2:3] offset:2048
	;; [unrolled: 1-line block ×3, first 2 shown]
	s_mov_b64 s[0:1], 0
.LBB130_2:
	s_andn2_b64 vcc, exec, s[0:1]
	s_cbranch_vccnz .LBB130_52
; %bb.3:
	v_cmp_gt_i32_e32 vcc, s33, v0
	v_or_b32_e32 v5, 0x100, v0
	v_mov_b32_e32 v20, 0
	v_or_b32_e32 v3, s38, v0
	v_mov_b32_e32 v19, 0
	v_mov_b32_e32 v18, 0
	;; [unrolled: 1-line block ×15, first 2 shown]
	s_and_saveexec_b64 s[2:3], vcc
	s_cbranch_execz .LBB130_35
; %bb.4:
	global_load_ubyte v12, v3, s[30:31]
	v_cmp_gt_u32_e64 s[0:1], s33, v5
	v_mov_b32_e32 v11, 0
	v_mov_b32_e32 v14, 0
	;; [unrolled: 1-line block ×15, first 2 shown]
	s_and_saveexec_b64 s[4:5], s[0:1]
	s_cbranch_execz .LBB130_34
; %bb.5:
	v_add_u32_e32 v1, s38, v0
	global_load_ubyte v11, v1, s[30:31] offset:256
	v_or_b32_e32 v2, 0x200, v0
	v_mov_b32_e32 v14, 0
	v_cmp_gt_u32_e64 s[0:1], s33, v2
	v_mov_b32_e32 v13, 0
	v_mov_b32_e32 v4, 0
	;; [unrolled: 1-line block ×13, first 2 shown]
	s_and_saveexec_b64 s[6:7], s[0:1]
	s_cbranch_execz .LBB130_33
; %bb.6:
	v_mov_b32_e32 v2, s31
	v_add_co_u32_e64 v1, s[0:1], s30, v1
	v_addc_co_u32_e64 v2, s[0:1], 0, v2, s[0:1]
	global_load_ubyte v14, v[1:2], off offset:512
	v_or_b32_e32 v4, 0x300, v0
	v_cmp_gt_u32_e64 s[0:1], s33, v4
	v_mov_b32_e32 v13, 0
	v_mov_b32_e32 v4, 0
	v_mov_b32_e32 v6, 0
	v_mov_b32_e32 v7, 0
	v_mov_b32_e32 v8, 0
	v_mov_b32_e32 v9, 0
	v_mov_b32_e32 v10, 0
	v_mov_b32_e32 v15, 0
	v_mov_b32_e32 v16, 0
	v_mov_b32_e32 v17, 0
	v_mov_b32_e32 v18, 0
	v_mov_b32_e32 v19, 0
	v_mov_b32_e32 v20, 0
	s_and_saveexec_b64 s[8:9], s[0:1]
	s_cbranch_execz .LBB130_32
; %bb.7:
	global_load_ubyte v13, v[1:2], off offset:768
	v_or_b32_e32 v4, 0x400, v0
	v_cmp_gt_u32_e64 s[0:1], s33, v4
	v_mov_b32_e32 v4, 0
	v_mov_b32_e32 v6, 0
	v_mov_b32_e32 v7, 0
	v_mov_b32_e32 v8, 0
	v_mov_b32_e32 v9, 0
	v_mov_b32_e32 v10, 0
	v_mov_b32_e32 v15, 0
	v_mov_b32_e32 v16, 0
	v_mov_b32_e32 v17, 0
	v_mov_b32_e32 v18, 0
	v_mov_b32_e32 v19, 0
	v_mov_b32_e32 v20, 0
	s_and_saveexec_b64 s[10:11], s[0:1]
	s_cbranch_execz .LBB130_31
; %bb.8:
	global_load_ubyte v4, v[1:2], off offset:1024
	v_or_b32_e32 v6, 0x500, v0
	v_cmp_gt_u32_e64 s[0:1], s33, v6
	v_mov_b32_e32 v6, 0
	v_mov_b32_e32 v7, 0
	;; [unrolled: 1-line block ×11, first 2 shown]
	s_and_saveexec_b64 s[12:13], s[0:1]
	s_cbranch_execz .LBB130_30
; %bb.9:
	global_load_ubyte v6, v[1:2], off offset:1280
	v_or_b32_e32 v7, 0x600, v0
	v_cmp_gt_u32_e64 s[0:1], s33, v7
	v_mov_b32_e32 v7, 0
	v_mov_b32_e32 v8, 0
	;; [unrolled: 1-line block ×10, first 2 shown]
	s_and_saveexec_b64 s[14:15], s[0:1]
	s_cbranch_execz .LBB130_29
; %bb.10:
	global_load_ubyte v7, v[1:2], off offset:1536
	v_or_b32_e32 v8, 0x700, v0
	v_cmp_gt_u32_e64 s[0:1], s33, v8
	v_mov_b32_e32 v8, 0
	v_mov_b32_e32 v9, 0
	;; [unrolled: 1-line block ×9, first 2 shown]
	s_and_saveexec_b64 s[16:17], s[0:1]
	s_cbranch_execz .LBB130_28
; %bb.11:
	global_load_ubyte v8, v[1:2], off offset:1792
	v_or_b32_e32 v9, 0x800, v0
	v_cmp_gt_u32_e64 s[0:1], s33, v9
	v_mov_b32_e32 v9, 0
	v_mov_b32_e32 v10, 0
	;; [unrolled: 1-line block ×8, first 2 shown]
	s_and_saveexec_b64 s[18:19], s[0:1]
	s_cbranch_execz .LBB130_27
; %bb.12:
	global_load_ubyte v9, v[1:2], off offset:2048
	v_or_b32_e32 v10, 0x900, v0
	v_cmp_gt_u32_e64 s[0:1], s33, v10
	v_mov_b32_e32 v10, 0
	v_mov_b32_e32 v15, 0
	;; [unrolled: 1-line block ×7, first 2 shown]
	s_and_saveexec_b64 s[20:21], s[0:1]
	s_cbranch_execz .LBB130_26
; %bb.13:
	global_load_ubyte v10, v[1:2], off offset:2304
	v_or_b32_e32 v15, 0xa00, v0
	v_cmp_gt_u32_e64 s[0:1], s33, v15
	v_mov_b32_e32 v15, 0
	v_mov_b32_e32 v16, 0
	;; [unrolled: 1-line block ×6, first 2 shown]
	s_and_saveexec_b64 s[22:23], s[0:1]
	s_cbranch_execz .LBB130_25
; %bb.14:
	global_load_ubyte v15, v[1:2], off offset:2560
	v_or_b32_e32 v16, 0xb00, v0
	v_cmp_gt_u32_e64 s[0:1], s33, v16
	v_mov_b32_e32 v16, 0
	v_mov_b32_e32 v17, 0
	;; [unrolled: 1-line block ×5, first 2 shown]
	s_and_saveexec_b64 s[24:25], s[0:1]
	s_cbranch_execz .LBB130_24
; %bb.15:
	global_load_ubyte v16, v[1:2], off offset:2816
	v_or_b32_e32 v17, 0xc00, v0
	v_cmp_gt_u32_e64 s[0:1], s33, v17
	v_mov_b32_e32 v17, 0
	v_mov_b32_e32 v18, 0
	;; [unrolled: 1-line block ×4, first 2 shown]
	s_and_saveexec_b64 s[26:27], s[0:1]
	s_cbranch_execz .LBB130_23
; %bb.16:
	global_load_ubyte v17, v[1:2], off offset:3072
	v_or_b32_e32 v18, 0xd00, v0
	v_cmp_gt_u32_e64 s[0:1], s33, v18
	v_mov_b32_e32 v18, 0
	v_mov_b32_e32 v19, 0
	;; [unrolled: 1-line block ×3, first 2 shown]
	s_and_saveexec_b64 s[30:31], s[0:1]
	s_cbranch_execz .LBB130_22
; %bb.17:
	global_load_ubyte v18, v[1:2], off offset:3328
	v_or_b32_e32 v19, 0xe00, v0
	v_cmp_gt_u32_e64 s[0:1], s33, v19
	v_mov_b32_e32 v19, 0
	v_mov_b32_e32 v20, 0
	s_and_saveexec_b64 s[34:35], s[0:1]
	s_cbranch_execz .LBB130_21
; %bb.18:
	global_load_ubyte v19, v[1:2], off offset:3584
	v_or_b32_e32 v20, 0xf00, v0
	v_cmp_gt_u32_e64 s[0:1], s33, v20
	v_mov_b32_e32 v20, 0
	s_and_saveexec_b64 s[36:37], s[0:1]
	s_cbranch_execz .LBB130_20
; %bb.19:
	global_load_ubyte v20, v[1:2], off offset:3840
.LBB130_20:
	s_or_b64 exec, exec, s[36:37]
.LBB130_21:
	s_or_b64 exec, exec, s[34:35]
.LBB130_22:
	s_or_b64 exec, exec, s[30:31]
.LBB130_23:
	s_or_b64 exec, exec, s[26:27]
.LBB130_24:
	s_or_b64 exec, exec, s[24:25]
.LBB130_25:
	s_or_b64 exec, exec, s[22:23]
.LBB130_26:
	s_or_b64 exec, exec, s[20:21]
.LBB130_27:
	s_or_b64 exec, exec, s[18:19]
.LBB130_28:
	s_or_b64 exec, exec, s[16:17]
.LBB130_29:
	s_or_b64 exec, exec, s[14:15]
.LBB130_30:
	s_or_b64 exec, exec, s[12:13]
.LBB130_31:
	s_or_b64 exec, exec, s[10:11]
.LBB130_32:
	s_or_b64 exec, exec, s[8:9]
.LBB130_33:
	s_or_b64 exec, exec, s[6:7]
.LBB130_34:
	s_or_b64 exec, exec, s[4:5]
.LBB130_35:
	s_or_b64 exec, exec, s[2:3]
	s_and_saveexec_b64 s[0:1], vcc
	s_cbranch_execz .LBB130_52
; %bb.36:
	s_and_b32 s0, 0xffff, s39
	s_lshr_b32 s35, s0, 8
	s_cmp_gt_u32 s35, 7
	s_waitcnt vmcnt(0)
	v_lshrrev_b16_sdwa v1, s35, v12 dst_sel:DWORD dst_unused:UNUSED_PAD src0_sel:DWORD src1_sel:BYTE_0
	s_cselect_b64 s[30:31], -1, 0
	v_cndmask_b32_e64 v1, v1, 0, s[30:31]
	v_lshrrev_b16_sdwa v2, s35, v11 dst_sel:DWORD dst_unused:UNUSED_PAD src0_sel:DWORD src1_sel:BYTE_0
	v_and_b32_e32 v1, 0xffff, v1
	v_cndmask_b32_e64 v2, v2, 0, s[30:31]
	v_cndmask_b32_e32 v1, 0, v1, vcc
	v_lshlrev_b16_e32 v2, 8, v2
	v_or_b32_sdwa v2, v1, v2 dst_sel:DWORD dst_unused:UNUSED_PAD src0_sel:BYTE_0 src1_sel:DWORD
	v_cmp_gt_i32_e64 s[26:27], s33, v5
	v_lshrrev_b16_sdwa v5, s35, v14 dst_sel:DWORD dst_unused:UNUSED_PAD src0_sel:DWORD src1_sel:BYTE_0
	v_and_b32_e32 v2, 0xffff, v2
	v_cndmask_b32_e64 v5, v5, 0, s[30:31]
	v_cndmask_b32_e64 v1, v1, v2, s[26:27]
	v_or_b32_e32 v2, 0x200, v0
	v_lshlrev_b32_e32 v5, 16, v5
	v_or_b32_e32 v5, v1, v5
	v_cmp_gt_i32_e64 s[20:21], s33, v2
	v_lshrrev_b16_sdwa v11, s35, v13 dst_sel:DWORD dst_unused:UNUSED_PAD src0_sel:DWORD src1_sel:BYTE_0
	s_movk_i32 s36, 0xff
	v_cndmask_b32_e64 v1, v1, v5, s[20:21]
	v_cndmask_b32_e64 v11, v11, 0, s[30:31]
	v_and_b32_sdwa v2, v1, s36 dst_sel:DWORD dst_unused:UNUSED_PAD src0_sel:WORD_1 src1_sel:DWORD
	v_lshlrev_b16_e32 v11, 8, v11
	s_mov_b32 s34, 0xffff
	v_or_b32_e32 v5, 0x300, v0
	v_or_b32_sdwa v2, v2, v11 dst_sel:WORD_1 dst_unused:UNUSED_PAD src0_sel:DWORD src1_sel:DWORD
	v_and_or_b32 v2, v1, s34, v2
	v_cmp_gt_i32_e64 s[18:19], s33, v5
	v_cndmask_b32_e64 v12, v1, v2, s[18:19]
	v_or_b32_e32 v1, 0x500, v0
	v_cmp_gt_i32_e64 s[16:17], s33, v1
	v_or_b32_e32 v1, 0x600, v0
	v_cmp_gt_i32_e64 s[14:15], s33, v1
	v_or_b32_e32 v1, 0x700, v0
	v_cmp_gt_i32_e64 s[12:13], s33, v1
	v_or_b32_e32 v1, 0x900, v0
	v_cmp_gt_i32_e64 s[10:11], s33, v1
	v_or_b32_e32 v1, 0xa00, v0
	v_cmp_gt_i32_e64 s[8:9], s33, v1
	v_or_b32_e32 v1, 0xb00, v0
	v_cmp_gt_i32_e64 s[6:7], s33, v1
	v_or_b32_e32 v1, 0xd00, v0
	v_cmp_gt_i32_e64 s[4:5], s33, v1
	v_or_b32_e32 v1, 0xe00, v0
	v_or_b32_e32 v11, 0x400, v0
	;; [unrolled: 1-line block ×4, first 2 shown]
	v_cmp_gt_i32_e64 s[2:3], s33, v1
	v_or_b32_e32 v1, 0xf00, v0
	v_cmp_gt_i32_e32 vcc, s33, v11
	v_cmp_gt_i32_e64 s[24:25], s33, v5
	v_cmp_gt_i32_e64 s[22:23], s33, v2
	;; [unrolled: 1-line block ×3, first 2 shown]
	global_store_byte v3, v12, s[28:29]
	s_and_b64 exec, exec, s[26:27]
	s_cbranch_execz .LBB130_52
; %bb.37:
	v_lshrrev_b16_sdwa v1, s35, v4 dst_sel:DWORD dst_unused:UNUSED_PAD src0_sel:DWORD src1_sel:BYTE_0
	v_cndmask_b32_e64 v1, v1, 0, s[30:31]
	v_mov_b32_e32 v3, 0
	v_cndmask_b32_sdwa v1, v3, v1, vcc dst_sel:DWORD dst_unused:UNUSED_PAD src0_sel:DWORD src1_sel:WORD_0
	v_lshrrev_b16_sdwa v3, s35, v6 dst_sel:DWORD dst_unused:UNUSED_PAD src0_sel:DWORD src1_sel:BYTE_0
	v_cndmask_b32_e64 v3, v3, 0, s[30:31]
	v_lshlrev_b16_e32 v3, 8, v3
	v_or_b32_sdwa v3, v1, v3 dst_sel:DWORD dst_unused:UNUSED_PAD src0_sel:BYTE_0 src1_sel:DWORD
	v_and_b32_e32 v3, 0xffff, v3
	s_movk_i32 s26, 0xff00
	v_cndmask_b32_e64 v1, v1, v3, s[16:17]
	v_lshrrev_b16_sdwa v4, s35, v7 dst_sel:DWORD dst_unused:UNUSED_PAD src0_sel:DWORD src1_sel:BYTE_0
	v_and_b32_sdwa v3, v1, s26 dst_sel:DWORD dst_unused:UNUSED_PAD src0_sel:WORD_1 src1_sel:DWORD
	v_cndmask_b32_e64 v4, v4, 0, s[30:31]
	v_or_b32_sdwa v3, v4, v3 dst_sel:WORD_1 dst_unused:UNUSED_PAD src0_sel:DWORD src1_sel:DWORD
	v_and_or_b32 v3, v1, s34, v3
	v_lshrrev_b16_sdwa v4, s35, v8 dst_sel:DWORD dst_unused:UNUSED_PAD src0_sel:DWORD src1_sel:BYTE_0
	v_cndmask_b32_e64 v1, v1, v3, s[14:15]
	v_cndmask_b32_e64 v4, v4, 0, s[30:31]
	v_and_b32_sdwa v3, v1, s36 dst_sel:DWORD dst_unused:UNUSED_PAD src0_sel:WORD_1 src1_sel:DWORD
	v_lshlrev_b16_e32 v4, 8, v4
	v_or_b32_sdwa v3, v3, v4 dst_sel:WORD_1 dst_unused:UNUSED_PAD src0_sel:DWORD src1_sel:DWORD
	v_and_or_b32 v3, v1, s34, v3
	v_cndmask_b32_e64 v6, v1, v3, s[12:13]
	v_lshrrev_b16_sdwa v1, s35, v9 dst_sel:DWORD dst_unused:UNUSED_PAD src0_sel:DWORD src1_sel:BYTE_0
	v_cndmask_b32_e64 v1, v1, 0, s[30:31]
	v_lshrrev_b16_sdwa v3, s35, v10 dst_sel:DWORD dst_unused:UNUSED_PAD src0_sel:DWORD src1_sel:BYTE_0
	v_and_b32_e32 v1, 0xffff, v1
	v_cndmask_b32_e64 v3, v3, 0, s[30:31]
	v_cndmask_b32_e64 v1, 0, v1, s[24:25]
	v_lshlrev_b16_e32 v3, 8, v3
	v_or_b32_sdwa v3, v1, v3 dst_sel:DWORD dst_unused:UNUSED_PAD src0_sel:BYTE_0 src1_sel:DWORD
	v_and_b32_e32 v3, 0xffff, v3
	v_cndmask_b32_e64 v1, v1, v3, s[10:11]
	v_lshrrev_b16_sdwa v3, s35, v15 dst_sel:DWORD dst_unused:UNUSED_PAD src0_sel:DWORD src1_sel:BYTE_0
	v_cndmask_b32_e64 v3, v3, 0, s[30:31]
	v_lshlrev_b32_e32 v3, 16, v3
	v_or_b32_e32 v3, v1, v3
	v_lshrrev_b16_sdwa v4, s35, v16 dst_sel:DWORD dst_unused:UNUSED_PAD src0_sel:DWORD src1_sel:BYTE_0
	v_cndmask_b32_e64 v1, v1, v3, s[8:9]
	v_cndmask_b32_e64 v4, v4, 0, s[30:31]
	v_and_b32_sdwa v3, v1, s36 dst_sel:DWORD dst_unused:UNUSED_PAD src0_sel:WORD_1 src1_sel:DWORD
	v_lshlrev_b16_e32 v4, 8, v4
	v_or_b32_sdwa v3, v3, v4 dst_sel:WORD_1 dst_unused:UNUSED_PAD src0_sel:DWORD src1_sel:DWORD
	v_and_or_b32 v3, v1, s34, v3
	v_cndmask_b32_e64 v4, v1, v3, s[6:7]
	v_lshrrev_b16_sdwa v1, s35, v17 dst_sel:DWORD dst_unused:UNUSED_PAD src0_sel:DWORD src1_sel:BYTE_0
	v_cndmask_b32_e64 v1, v1, 0, s[30:31]
	v_lshrrev_b16_sdwa v3, s35, v18 dst_sel:DWORD dst_unused:UNUSED_PAD src0_sel:DWORD src1_sel:BYTE_0
	v_and_b32_e32 v1, 0xffff, v1
	v_cndmask_b32_e64 v3, v3, 0, s[30:31]
	v_cndmask_b32_e64 v1, 0, v1, s[22:23]
	v_lshlrev_b16_e32 v3, 8, v3
	v_or_b32_sdwa v3, v1, v3 dst_sel:DWORD dst_unused:UNUSED_PAD src0_sel:BYTE_0 src1_sel:DWORD
	v_and_b32_e32 v3, 0xffff, v3
	v_cndmask_b32_e64 v1, v1, v3, s[4:5]
	v_lshrrev_b16_sdwa v7, s35, v19 dst_sel:DWORD dst_unused:UNUSED_PAD src0_sel:DWORD src1_sel:BYTE_0
	v_and_b32_sdwa v3, v1, s26 dst_sel:DWORD dst_unused:UNUSED_PAD src0_sel:WORD_1 src1_sel:DWORD
	v_cndmask_b32_e64 v7, v7, 0, s[30:31]
	v_or_b32_sdwa v3, v7, v3 dst_sel:WORD_1 dst_unused:UNUSED_PAD src0_sel:DWORD src1_sel:DWORD
	v_and_or_b32 v3, v1, s34, v3
	v_lshrrev_b16_sdwa v7, s35, v20 dst_sel:DWORD dst_unused:UNUSED_PAD src0_sel:DWORD src1_sel:BYTE_0
	v_cndmask_b32_e64 v1, v1, v3, s[2:3]
	v_cndmask_b32_e64 v7, v7, 0, s[30:31]
	v_and_b32_sdwa v3, v1, s36 dst_sel:DWORD dst_unused:UNUSED_PAD src0_sel:WORD_1 src1_sel:DWORD
	v_lshlrev_b16_e32 v7, 8, v7
	v_or_b32_sdwa v3, v3, v7 dst_sel:WORD_1 dst_unused:UNUSED_PAD src0_sel:DWORD src1_sel:DWORD
	v_and_or_b32 v3, v1, s34, v3
	v_cndmask_b32_e64 v3, v1, v3, s[0:1]
	v_lshrrev_b32_e32 v1, 8, v12
	v_add_u32_e32 v0, s38, v0
	global_store_byte v0, v1, s[28:29] offset:256
	s_and_b64 exec, exec, s[20:21]
	s_cbranch_execz .LBB130_52
; %bb.38:
	v_mov_b32_e32 v1, s29
	v_add_co_u32_e32 v0, vcc, s28, v0
	v_addc_co_u32_e32 v1, vcc, 0, v1, vcc
	global_store_byte_d16_hi v[0:1], v12, off offset:512
	s_and_b64 exec, exec, s[18:19]
	s_cbranch_execz .LBB130_52
; %bb.39:
	v_lshrrev_b32_e32 v7, 24, v12
	v_cmp_gt_u32_e32 vcc, s33, v11
	global_store_byte v[0:1], v7, off offset:768
	s_and_b64 exec, exec, vcc
	s_cbranch_execz .LBB130_52
; %bb.40:
	global_store_byte v[0:1], v6, off offset:1024
	s_and_b64 exec, exec, s[16:17]
	s_cbranch_execz .LBB130_52
; %bb.41:
	v_lshrrev_b32_e32 v7, 8, v6
	global_store_byte v[0:1], v7, off offset:1280
	s_and_b64 exec, exec, s[14:15]
	s_cbranch_execz .LBB130_52
; %bb.42:
	global_store_byte_d16_hi v[0:1], v6, off offset:1536
	s_and_b64 exec, exec, s[12:13]
	s_cbranch_execz .LBB130_52
; %bb.43:
	v_lshrrev_b32_e32 v6, 24, v6
	v_cmp_gt_u32_e32 vcc, s33, v5
	global_store_byte v[0:1], v6, off offset:1792
	s_and_b64 exec, exec, vcc
	s_cbranch_execz .LBB130_52
; %bb.44:
	global_store_byte v[0:1], v4, off offset:2048
	s_and_b64 exec, exec, s[10:11]
	s_cbranch_execz .LBB130_52
; %bb.45:
	v_lshrrev_b32_e32 v5, 8, v4
	global_store_byte v[0:1], v5, off offset:2304
	s_and_b64 exec, exec, s[8:9]
	s_cbranch_execz .LBB130_52
; %bb.46:
	;; [unrolled: 19-line block ×3, first 2 shown]
	global_store_byte_d16_hi v[0:1], v3, off offset:3584
	s_and_b64 exec, exec, s[0:1]
	s_cbranch_execz .LBB130_52
; %bb.51:
	v_lshrrev_b32_e32 v2, 24, v3
	global_store_byte v[0:1], v2, off offset:3840
.LBB130_52:
	s_endpgm
	.section	.rodata,"a",@progbits
	.p2align	6, 0x0
	.amdhsa_kernel _ZN2at6native29vectorized_elementwise_kernelILi4ENS0_13BUnaryFunctorIhhhZZZNS0_18rshift_kernel_cudaERNS_18TensorIteratorBaseEENKUlvE_clEvENKUlvE_clEvEUlhhE_EESt5arrayIPcLm2EEEEviT0_T1_
		.amdhsa_group_segment_fixed_size 0
		.amdhsa_private_segment_fixed_size 0
		.amdhsa_kernarg_size 24
		.amdhsa_user_sgpr_count 6
		.amdhsa_user_sgpr_private_segment_buffer 1
		.amdhsa_user_sgpr_dispatch_ptr 0
		.amdhsa_user_sgpr_queue_ptr 0
		.amdhsa_user_sgpr_kernarg_segment_ptr 1
		.amdhsa_user_sgpr_dispatch_id 0
		.amdhsa_user_sgpr_flat_scratch_init 0
		.amdhsa_user_sgpr_private_segment_size 0
		.amdhsa_uses_dynamic_stack 0
		.amdhsa_system_sgpr_private_segment_wavefront_offset 0
		.amdhsa_system_sgpr_workgroup_id_x 1
		.amdhsa_system_sgpr_workgroup_id_y 0
		.amdhsa_system_sgpr_workgroup_id_z 0
		.amdhsa_system_sgpr_workgroup_info 0
		.amdhsa_system_vgpr_workitem_id 0
		.amdhsa_next_free_vgpr 21
		.amdhsa_next_free_sgpr 40
		.amdhsa_reserve_vcc 1
		.amdhsa_reserve_flat_scratch 0
		.amdhsa_float_round_mode_32 0
		.amdhsa_float_round_mode_16_64 0
		.amdhsa_float_denorm_mode_32 3
		.amdhsa_float_denorm_mode_16_64 3
		.amdhsa_dx10_clamp 1
		.amdhsa_ieee_mode 1
		.amdhsa_fp16_overflow 0
		.amdhsa_exception_fp_ieee_invalid_op 0
		.amdhsa_exception_fp_denorm_src 0
		.amdhsa_exception_fp_ieee_div_zero 0
		.amdhsa_exception_fp_ieee_overflow 0
		.amdhsa_exception_fp_ieee_underflow 0
		.amdhsa_exception_fp_ieee_inexact 0
		.amdhsa_exception_int_div_zero 0
	.end_amdhsa_kernel
	.section	.text._ZN2at6native29vectorized_elementwise_kernelILi4ENS0_13BUnaryFunctorIhhhZZZNS0_18rshift_kernel_cudaERNS_18TensorIteratorBaseEENKUlvE_clEvENKUlvE_clEvEUlhhE_EESt5arrayIPcLm2EEEEviT0_T1_,"axG",@progbits,_ZN2at6native29vectorized_elementwise_kernelILi4ENS0_13BUnaryFunctorIhhhZZZNS0_18rshift_kernel_cudaERNS_18TensorIteratorBaseEENKUlvE_clEvENKUlvE_clEvEUlhhE_EESt5arrayIPcLm2EEEEviT0_T1_,comdat
.Lfunc_end130:
	.size	_ZN2at6native29vectorized_elementwise_kernelILi4ENS0_13BUnaryFunctorIhhhZZZNS0_18rshift_kernel_cudaERNS_18TensorIteratorBaseEENKUlvE_clEvENKUlvE_clEvEUlhhE_EESt5arrayIPcLm2EEEEviT0_T1_, .Lfunc_end130-_ZN2at6native29vectorized_elementwise_kernelILi4ENS0_13BUnaryFunctorIhhhZZZNS0_18rshift_kernel_cudaERNS_18TensorIteratorBaseEENKUlvE_clEvENKUlvE_clEvEUlhhE_EESt5arrayIPcLm2EEEEviT0_T1_
                                        ; -- End function
	.set _ZN2at6native29vectorized_elementwise_kernelILi4ENS0_13BUnaryFunctorIhhhZZZNS0_18rshift_kernel_cudaERNS_18TensorIteratorBaseEENKUlvE_clEvENKUlvE_clEvEUlhhE_EESt5arrayIPcLm2EEEEviT0_T1_.num_vgpr, 21
	.set _ZN2at6native29vectorized_elementwise_kernelILi4ENS0_13BUnaryFunctorIhhhZZZNS0_18rshift_kernel_cudaERNS_18TensorIteratorBaseEENKUlvE_clEvENKUlvE_clEvEUlhhE_EESt5arrayIPcLm2EEEEviT0_T1_.num_agpr, 0
	.set _ZN2at6native29vectorized_elementwise_kernelILi4ENS0_13BUnaryFunctorIhhhZZZNS0_18rshift_kernel_cudaERNS_18TensorIteratorBaseEENKUlvE_clEvENKUlvE_clEvEUlhhE_EESt5arrayIPcLm2EEEEviT0_T1_.numbered_sgpr, 40
	.set _ZN2at6native29vectorized_elementwise_kernelILi4ENS0_13BUnaryFunctorIhhhZZZNS0_18rshift_kernel_cudaERNS_18TensorIteratorBaseEENKUlvE_clEvENKUlvE_clEvEUlhhE_EESt5arrayIPcLm2EEEEviT0_T1_.num_named_barrier, 0
	.set _ZN2at6native29vectorized_elementwise_kernelILi4ENS0_13BUnaryFunctorIhhhZZZNS0_18rshift_kernel_cudaERNS_18TensorIteratorBaseEENKUlvE_clEvENKUlvE_clEvEUlhhE_EESt5arrayIPcLm2EEEEviT0_T1_.private_seg_size, 0
	.set _ZN2at6native29vectorized_elementwise_kernelILi4ENS0_13BUnaryFunctorIhhhZZZNS0_18rshift_kernel_cudaERNS_18TensorIteratorBaseEENKUlvE_clEvENKUlvE_clEvEUlhhE_EESt5arrayIPcLm2EEEEviT0_T1_.uses_vcc, 1
	.set _ZN2at6native29vectorized_elementwise_kernelILi4ENS0_13BUnaryFunctorIhhhZZZNS0_18rshift_kernel_cudaERNS_18TensorIteratorBaseEENKUlvE_clEvENKUlvE_clEvEUlhhE_EESt5arrayIPcLm2EEEEviT0_T1_.uses_flat_scratch, 0
	.set _ZN2at6native29vectorized_elementwise_kernelILi4ENS0_13BUnaryFunctorIhhhZZZNS0_18rshift_kernel_cudaERNS_18TensorIteratorBaseEENKUlvE_clEvENKUlvE_clEvEUlhhE_EESt5arrayIPcLm2EEEEviT0_T1_.has_dyn_sized_stack, 0
	.set _ZN2at6native29vectorized_elementwise_kernelILi4ENS0_13BUnaryFunctorIhhhZZZNS0_18rshift_kernel_cudaERNS_18TensorIteratorBaseEENKUlvE_clEvENKUlvE_clEvEUlhhE_EESt5arrayIPcLm2EEEEviT0_T1_.has_recursion, 0
	.set _ZN2at6native29vectorized_elementwise_kernelILi4ENS0_13BUnaryFunctorIhhhZZZNS0_18rshift_kernel_cudaERNS_18TensorIteratorBaseEENKUlvE_clEvENKUlvE_clEvEUlhhE_EESt5arrayIPcLm2EEEEviT0_T1_.has_indirect_call, 0
	.section	.AMDGPU.csdata,"",@progbits
; Kernel info:
; codeLenInByte = 2988
; TotalNumSgprs: 44
; NumVgprs: 21
; ScratchSize: 0
; MemoryBound: 0
; FloatMode: 240
; IeeeMode: 1
; LDSByteSize: 0 bytes/workgroup (compile time only)
; SGPRBlocks: 5
; VGPRBlocks: 5
; NumSGPRsForWavesPerEU: 44
; NumVGPRsForWavesPerEU: 21
; Occupancy: 10
; WaveLimiterHint : 1
; COMPUTE_PGM_RSRC2:SCRATCH_EN: 0
; COMPUTE_PGM_RSRC2:USER_SGPR: 6
; COMPUTE_PGM_RSRC2:TRAP_HANDLER: 0
; COMPUTE_PGM_RSRC2:TGID_X_EN: 1
; COMPUTE_PGM_RSRC2:TGID_Y_EN: 0
; COMPUTE_PGM_RSRC2:TGID_Z_EN: 0
; COMPUTE_PGM_RSRC2:TIDIG_COMP_CNT: 0
	.section	.text._ZN2at6native29vectorized_elementwise_kernelILi2ENS0_13BUnaryFunctorIhhhZZZNS0_18rshift_kernel_cudaERNS_18TensorIteratorBaseEENKUlvE_clEvENKUlvE_clEvEUlhhE_EESt5arrayIPcLm2EEEEviT0_T1_,"axG",@progbits,_ZN2at6native29vectorized_elementwise_kernelILi2ENS0_13BUnaryFunctorIhhhZZZNS0_18rshift_kernel_cudaERNS_18TensorIteratorBaseEENKUlvE_clEvENKUlvE_clEvEUlhhE_EESt5arrayIPcLm2EEEEviT0_T1_,comdat
	.globl	_ZN2at6native29vectorized_elementwise_kernelILi2ENS0_13BUnaryFunctorIhhhZZZNS0_18rshift_kernel_cudaERNS_18TensorIteratorBaseEENKUlvE_clEvENKUlvE_clEvEUlhhE_EESt5arrayIPcLm2EEEEviT0_T1_ ; -- Begin function _ZN2at6native29vectorized_elementwise_kernelILi2ENS0_13BUnaryFunctorIhhhZZZNS0_18rshift_kernel_cudaERNS_18TensorIteratorBaseEENKUlvE_clEvENKUlvE_clEvEUlhhE_EESt5arrayIPcLm2EEEEviT0_T1_
	.p2align	8
	.type	_ZN2at6native29vectorized_elementwise_kernelILi2ENS0_13BUnaryFunctorIhhhZZZNS0_18rshift_kernel_cudaERNS_18TensorIteratorBaseEENKUlvE_clEvENKUlvE_clEvEUlhhE_EESt5arrayIPcLm2EEEEviT0_T1_,@function
_ZN2at6native29vectorized_elementwise_kernelILi2ENS0_13BUnaryFunctorIhhhZZZNS0_18rshift_kernel_cudaERNS_18TensorIteratorBaseEENKUlvE_clEvENKUlvE_clEvEUlhhE_EESt5arrayIPcLm2EEEEviT0_T1_: ; @_ZN2at6native29vectorized_elementwise_kernelILi2ENS0_13BUnaryFunctorIhhhZZZNS0_18rshift_kernel_cudaERNS_18TensorIteratorBaseEENKUlvE_clEvENKUlvE_clEvEUlhhE_EESt5arrayIPcLm2EEEEviT0_T1_
; %bb.0:
	v_mov_b32_e32 v1, 0
	global_load_ushort v1, v1, s[4:5] offset:4
	s_load_dword s0, s[4:5], 0x0
	s_load_dwordx4 s[28:31], s[4:5], 0x8
	s_lshl_b32 s38, s6, 12
	s_waitcnt lgkmcnt(0)
	s_sub_i32 s33, s0, s38
	s_cmpk_gt_i32 s33, 0xfff
	s_mov_b64 s[0:1], -1
	s_waitcnt vmcnt(0)
	v_readfirstlane_b32 s39, v1
	s_cbranch_scc0 .LBB131_2
; %bb.1:
	s_and_b32 s0, 0xffff, s39
	s_lshr_b32 s2, s0, 8
	s_ashr_i32 s3, s38, 31
	s_add_u32 s0, s30, s38
	s_addc_u32 s1, s31, s3
	v_lshlrev_b32_e32 v1, 1, v0
	global_load_ushort v2, v1, s[0:1]
	global_load_ushort v3, v1, s[0:1] offset:512
	global_load_ushort v4, v1, s[0:1] offset:1024
	;; [unrolled: 1-line block ×7, first 2 shown]
	s_cmp_gt_u32 s2, 7
	s_cselect_b64 s[0:1], -1, 0
	s_waitcnt vmcnt(7)
	v_lshrrev_b16_sdwa v10, s2, v2 dst_sel:DWORD dst_unused:UNUSED_PAD src0_sel:DWORD src1_sel:BYTE_0
	v_lshrrev_b16_sdwa v2, s2, v2 dst_sel:DWORD dst_unused:UNUSED_PAD src0_sel:DWORD src1_sel:BYTE_1
	s_waitcnt vmcnt(6)
	v_lshrrev_b16_sdwa v11, s2, v3 dst_sel:DWORD dst_unused:UNUSED_PAD src0_sel:DWORD src1_sel:BYTE_0
	v_lshrrev_b16_sdwa v3, s2, v3 dst_sel:DWORD dst_unused:UNUSED_PAD src0_sel:DWORD src1_sel:BYTE_1
	;; [unrolled: 3-line block ×8, first 2 shown]
	v_cndmask_b32_e64 v2, v2, 0, s[0:1]
	s_add_u32 s2, s28, s38
	v_cndmask_b32_e64 v10, v10, 0, s[0:1]
	v_cndmask_b32_e64 v3, v3, 0, s[0:1]
	;; [unrolled: 1-line block ×8, first 2 shown]
	v_lshlrev_b16_e32 v2, 8, v2
	v_cndmask_b32_e64 v11, v11, 0, s[0:1]
	v_cndmask_b32_e64 v12, v12, 0, s[0:1]
	v_cndmask_b32_e64 v13, v13, 0, s[0:1]
	v_cndmask_b32_e64 v14, v14, 0, s[0:1]
	v_cndmask_b32_e64 v15, v15, 0, s[0:1]
	v_cndmask_b32_e64 v16, v16, 0, s[0:1]
	v_cndmask_b32_e64 v17, v17, 0, s[0:1]
	s_addc_u32 s3, s29, s3
	v_lshlrev_b16_e32 v9, 8, v9
	v_lshlrev_b16_e32 v8, 8, v8
	;; [unrolled: 1-line block ×7, first 2 shown]
	v_or_b32_e32 v2, v10, v2
	v_or_b32_e32 v9, v17, v9
	;; [unrolled: 1-line block ×8, first 2 shown]
	global_store_short v1, v2, s[2:3]
	global_store_short v1, v3, s[2:3] offset:512
	global_store_short v1, v4, s[2:3] offset:1024
	;; [unrolled: 1-line block ×7, first 2 shown]
	s_mov_b64 s[0:1], 0
.LBB131_2:
	s_andn2_b64 vcc, exec, s[0:1]
	s_cbranch_vccnz .LBB131_52
; %bb.3:
	v_cmp_gt_i32_e32 vcc, s33, v0
	v_or_b32_e32 v5, 0x100, v0
	v_mov_b32_e32 v20, 0
	v_or_b32_e32 v3, s38, v0
	v_mov_b32_e32 v19, 0
	v_mov_b32_e32 v18, 0
	;; [unrolled: 1-line block ×15, first 2 shown]
	s_and_saveexec_b64 s[2:3], vcc
	s_cbranch_execz .LBB131_35
; %bb.4:
	global_load_ubyte v12, v3, s[30:31]
	v_cmp_gt_u32_e64 s[0:1], s33, v5
	v_mov_b32_e32 v11, 0
	v_mov_b32_e32 v14, 0
	v_mov_b32_e32 v13, 0
	v_mov_b32_e32 v4, 0
	v_mov_b32_e32 v6, 0
	v_mov_b32_e32 v7, 0
	v_mov_b32_e32 v8, 0
	v_mov_b32_e32 v9, 0
	v_mov_b32_e32 v10, 0
	v_mov_b32_e32 v15, 0
	v_mov_b32_e32 v16, 0
	v_mov_b32_e32 v17, 0
	v_mov_b32_e32 v18, 0
	v_mov_b32_e32 v19, 0
	v_mov_b32_e32 v20, 0
	s_and_saveexec_b64 s[4:5], s[0:1]
	s_cbranch_execz .LBB131_34
; %bb.5:
	v_add_u32_e32 v1, s38, v0
	global_load_ubyte v11, v1, s[30:31] offset:256
	v_or_b32_e32 v2, 0x200, v0
	v_mov_b32_e32 v14, 0
	v_cmp_gt_u32_e64 s[0:1], s33, v2
	v_mov_b32_e32 v13, 0
	v_mov_b32_e32 v4, 0
	;; [unrolled: 1-line block ×13, first 2 shown]
	s_and_saveexec_b64 s[6:7], s[0:1]
	s_cbranch_execz .LBB131_33
; %bb.6:
	v_mov_b32_e32 v2, s31
	v_add_co_u32_e64 v1, s[0:1], s30, v1
	v_addc_co_u32_e64 v2, s[0:1], 0, v2, s[0:1]
	global_load_ubyte v14, v[1:2], off offset:512
	v_or_b32_e32 v4, 0x300, v0
	v_cmp_gt_u32_e64 s[0:1], s33, v4
	v_mov_b32_e32 v13, 0
	v_mov_b32_e32 v4, 0
	v_mov_b32_e32 v6, 0
	v_mov_b32_e32 v7, 0
	v_mov_b32_e32 v8, 0
	v_mov_b32_e32 v9, 0
	v_mov_b32_e32 v10, 0
	v_mov_b32_e32 v15, 0
	v_mov_b32_e32 v16, 0
	v_mov_b32_e32 v17, 0
	v_mov_b32_e32 v18, 0
	v_mov_b32_e32 v19, 0
	v_mov_b32_e32 v20, 0
	s_and_saveexec_b64 s[8:9], s[0:1]
	s_cbranch_execz .LBB131_32
; %bb.7:
	global_load_ubyte v13, v[1:2], off offset:768
	v_or_b32_e32 v4, 0x400, v0
	v_cmp_gt_u32_e64 s[0:1], s33, v4
	v_mov_b32_e32 v4, 0
	v_mov_b32_e32 v6, 0
	;; [unrolled: 1-line block ×12, first 2 shown]
	s_and_saveexec_b64 s[10:11], s[0:1]
	s_cbranch_execz .LBB131_31
; %bb.8:
	global_load_ubyte v4, v[1:2], off offset:1024
	v_or_b32_e32 v6, 0x500, v0
	v_cmp_gt_u32_e64 s[0:1], s33, v6
	v_mov_b32_e32 v6, 0
	v_mov_b32_e32 v7, 0
	;; [unrolled: 1-line block ×11, first 2 shown]
	s_and_saveexec_b64 s[12:13], s[0:1]
	s_cbranch_execz .LBB131_30
; %bb.9:
	global_load_ubyte v6, v[1:2], off offset:1280
	v_or_b32_e32 v7, 0x600, v0
	v_cmp_gt_u32_e64 s[0:1], s33, v7
	v_mov_b32_e32 v7, 0
	v_mov_b32_e32 v8, 0
	;; [unrolled: 1-line block ×10, first 2 shown]
	s_and_saveexec_b64 s[14:15], s[0:1]
	s_cbranch_execz .LBB131_29
; %bb.10:
	global_load_ubyte v7, v[1:2], off offset:1536
	v_or_b32_e32 v8, 0x700, v0
	v_cmp_gt_u32_e64 s[0:1], s33, v8
	v_mov_b32_e32 v8, 0
	v_mov_b32_e32 v9, 0
	;; [unrolled: 1-line block ×9, first 2 shown]
	s_and_saveexec_b64 s[16:17], s[0:1]
	s_cbranch_execz .LBB131_28
; %bb.11:
	global_load_ubyte v8, v[1:2], off offset:1792
	v_or_b32_e32 v9, 0x800, v0
	v_cmp_gt_u32_e64 s[0:1], s33, v9
	v_mov_b32_e32 v9, 0
	v_mov_b32_e32 v10, 0
	;; [unrolled: 1-line block ×8, first 2 shown]
	s_and_saveexec_b64 s[18:19], s[0:1]
	s_cbranch_execz .LBB131_27
; %bb.12:
	global_load_ubyte v9, v[1:2], off offset:2048
	v_or_b32_e32 v10, 0x900, v0
	v_cmp_gt_u32_e64 s[0:1], s33, v10
	v_mov_b32_e32 v10, 0
	v_mov_b32_e32 v15, 0
	;; [unrolled: 1-line block ×7, first 2 shown]
	s_and_saveexec_b64 s[20:21], s[0:1]
	s_cbranch_execz .LBB131_26
; %bb.13:
	global_load_ubyte v10, v[1:2], off offset:2304
	v_or_b32_e32 v15, 0xa00, v0
	v_cmp_gt_u32_e64 s[0:1], s33, v15
	v_mov_b32_e32 v15, 0
	v_mov_b32_e32 v16, 0
	;; [unrolled: 1-line block ×6, first 2 shown]
	s_and_saveexec_b64 s[22:23], s[0:1]
	s_cbranch_execz .LBB131_25
; %bb.14:
	global_load_ubyte v15, v[1:2], off offset:2560
	v_or_b32_e32 v16, 0xb00, v0
	v_cmp_gt_u32_e64 s[0:1], s33, v16
	v_mov_b32_e32 v16, 0
	v_mov_b32_e32 v17, 0
	v_mov_b32_e32 v18, 0
	v_mov_b32_e32 v19, 0
	v_mov_b32_e32 v20, 0
	s_and_saveexec_b64 s[24:25], s[0:1]
	s_cbranch_execz .LBB131_24
; %bb.15:
	global_load_ubyte v16, v[1:2], off offset:2816
	v_or_b32_e32 v17, 0xc00, v0
	v_cmp_gt_u32_e64 s[0:1], s33, v17
	v_mov_b32_e32 v17, 0
	v_mov_b32_e32 v18, 0
	;; [unrolled: 1-line block ×4, first 2 shown]
	s_and_saveexec_b64 s[26:27], s[0:1]
	s_cbranch_execz .LBB131_23
; %bb.16:
	global_load_ubyte v17, v[1:2], off offset:3072
	v_or_b32_e32 v18, 0xd00, v0
	v_cmp_gt_u32_e64 s[0:1], s33, v18
	v_mov_b32_e32 v18, 0
	v_mov_b32_e32 v19, 0
	;; [unrolled: 1-line block ×3, first 2 shown]
	s_and_saveexec_b64 s[30:31], s[0:1]
	s_cbranch_execz .LBB131_22
; %bb.17:
	global_load_ubyte v18, v[1:2], off offset:3328
	v_or_b32_e32 v19, 0xe00, v0
	v_cmp_gt_u32_e64 s[0:1], s33, v19
	v_mov_b32_e32 v19, 0
	v_mov_b32_e32 v20, 0
	s_and_saveexec_b64 s[34:35], s[0:1]
	s_cbranch_execz .LBB131_21
; %bb.18:
	global_load_ubyte v19, v[1:2], off offset:3584
	v_or_b32_e32 v20, 0xf00, v0
	v_cmp_gt_u32_e64 s[0:1], s33, v20
	v_mov_b32_e32 v20, 0
	s_and_saveexec_b64 s[36:37], s[0:1]
	s_cbranch_execz .LBB131_20
; %bb.19:
	global_load_ubyte v20, v[1:2], off offset:3840
.LBB131_20:
	s_or_b64 exec, exec, s[36:37]
.LBB131_21:
	s_or_b64 exec, exec, s[34:35]
.LBB131_22:
	s_or_b64 exec, exec, s[30:31]
.LBB131_23:
	s_or_b64 exec, exec, s[26:27]
.LBB131_24:
	s_or_b64 exec, exec, s[24:25]
.LBB131_25:
	s_or_b64 exec, exec, s[22:23]
.LBB131_26:
	s_or_b64 exec, exec, s[20:21]
.LBB131_27:
	s_or_b64 exec, exec, s[18:19]
.LBB131_28:
	s_or_b64 exec, exec, s[16:17]
.LBB131_29:
	s_or_b64 exec, exec, s[14:15]
.LBB131_30:
	s_or_b64 exec, exec, s[12:13]
.LBB131_31:
	s_or_b64 exec, exec, s[10:11]
.LBB131_32:
	s_or_b64 exec, exec, s[8:9]
.LBB131_33:
	s_or_b64 exec, exec, s[6:7]
.LBB131_34:
	s_or_b64 exec, exec, s[4:5]
.LBB131_35:
	s_or_b64 exec, exec, s[2:3]
	s_and_saveexec_b64 s[0:1], vcc
	s_cbranch_execz .LBB131_52
; %bb.36:
	s_and_b32 s0, 0xffff, s39
	s_lshr_b32 s35, s0, 8
	s_cmp_gt_u32 s35, 7
	s_waitcnt vmcnt(0)
	v_lshrrev_b16_sdwa v1, s35, v12 dst_sel:DWORD dst_unused:UNUSED_PAD src0_sel:DWORD src1_sel:BYTE_0
	s_cselect_b64 s[30:31], -1, 0
	v_cndmask_b32_e64 v1, v1, 0, s[30:31]
	v_lshrrev_b16_sdwa v2, s35, v11 dst_sel:DWORD dst_unused:UNUSED_PAD src0_sel:DWORD src1_sel:BYTE_0
	v_and_b32_e32 v1, 0xffff, v1
	v_cndmask_b32_e64 v2, v2, 0, s[30:31]
	v_cndmask_b32_e32 v1, 0, v1, vcc
	v_lshlrev_b16_e32 v2, 8, v2
	v_or_b32_sdwa v2, v1, v2 dst_sel:DWORD dst_unused:UNUSED_PAD src0_sel:BYTE_0 src1_sel:DWORD
	v_cmp_gt_i32_e64 s[26:27], s33, v5
	v_lshrrev_b16_sdwa v5, s35, v14 dst_sel:DWORD dst_unused:UNUSED_PAD src0_sel:DWORD src1_sel:BYTE_0
	v_and_b32_e32 v2, 0xffff, v2
	v_cndmask_b32_e64 v5, v5, 0, s[30:31]
	v_cndmask_b32_e64 v1, v1, v2, s[26:27]
	v_or_b32_e32 v2, 0x200, v0
	v_lshlrev_b32_e32 v5, 16, v5
	v_or_b32_e32 v5, v1, v5
	v_cmp_gt_i32_e64 s[20:21], s33, v2
	v_lshrrev_b16_sdwa v11, s35, v13 dst_sel:DWORD dst_unused:UNUSED_PAD src0_sel:DWORD src1_sel:BYTE_0
	s_movk_i32 s36, 0xff
	v_cndmask_b32_e64 v1, v1, v5, s[20:21]
	v_cndmask_b32_e64 v11, v11, 0, s[30:31]
	v_and_b32_sdwa v2, v1, s36 dst_sel:DWORD dst_unused:UNUSED_PAD src0_sel:WORD_1 src1_sel:DWORD
	v_lshlrev_b16_e32 v11, 8, v11
	s_mov_b32 s34, 0xffff
	v_or_b32_e32 v5, 0x300, v0
	v_or_b32_sdwa v2, v2, v11 dst_sel:WORD_1 dst_unused:UNUSED_PAD src0_sel:DWORD src1_sel:DWORD
	v_and_or_b32 v2, v1, s34, v2
	v_cmp_gt_i32_e64 s[18:19], s33, v5
	v_cndmask_b32_e64 v12, v1, v2, s[18:19]
	v_or_b32_e32 v1, 0x500, v0
	v_cmp_gt_i32_e64 s[16:17], s33, v1
	v_or_b32_e32 v1, 0x600, v0
	v_cmp_gt_i32_e64 s[14:15], s33, v1
	;; [unrolled: 2-line block ×7, first 2 shown]
	v_or_b32_e32 v1, 0xe00, v0
	v_or_b32_e32 v11, 0x400, v0
	;; [unrolled: 1-line block ×4, first 2 shown]
	v_cmp_gt_i32_e64 s[2:3], s33, v1
	v_or_b32_e32 v1, 0xf00, v0
	v_cmp_gt_i32_e32 vcc, s33, v11
	v_cmp_gt_i32_e64 s[24:25], s33, v5
	v_cmp_gt_i32_e64 s[22:23], s33, v2
	;; [unrolled: 1-line block ×3, first 2 shown]
	global_store_byte v3, v12, s[28:29]
	s_and_b64 exec, exec, s[26:27]
	s_cbranch_execz .LBB131_52
; %bb.37:
	v_lshrrev_b16_sdwa v1, s35, v4 dst_sel:DWORD dst_unused:UNUSED_PAD src0_sel:DWORD src1_sel:BYTE_0
	v_cndmask_b32_e64 v1, v1, 0, s[30:31]
	v_mov_b32_e32 v3, 0
	v_cndmask_b32_sdwa v1, v3, v1, vcc dst_sel:DWORD dst_unused:UNUSED_PAD src0_sel:DWORD src1_sel:WORD_0
	v_lshrrev_b16_sdwa v3, s35, v6 dst_sel:DWORD dst_unused:UNUSED_PAD src0_sel:DWORD src1_sel:BYTE_0
	v_cndmask_b32_e64 v3, v3, 0, s[30:31]
	v_lshlrev_b16_e32 v3, 8, v3
	v_or_b32_sdwa v3, v1, v3 dst_sel:DWORD dst_unused:UNUSED_PAD src0_sel:BYTE_0 src1_sel:DWORD
	v_and_b32_e32 v3, 0xffff, v3
	s_movk_i32 s26, 0xff00
	v_cndmask_b32_e64 v1, v1, v3, s[16:17]
	v_lshrrev_b16_sdwa v4, s35, v7 dst_sel:DWORD dst_unused:UNUSED_PAD src0_sel:DWORD src1_sel:BYTE_0
	v_and_b32_sdwa v3, v1, s26 dst_sel:DWORD dst_unused:UNUSED_PAD src0_sel:WORD_1 src1_sel:DWORD
	v_cndmask_b32_e64 v4, v4, 0, s[30:31]
	v_or_b32_sdwa v3, v4, v3 dst_sel:WORD_1 dst_unused:UNUSED_PAD src0_sel:DWORD src1_sel:DWORD
	v_and_or_b32 v3, v1, s34, v3
	v_lshrrev_b16_sdwa v4, s35, v8 dst_sel:DWORD dst_unused:UNUSED_PAD src0_sel:DWORD src1_sel:BYTE_0
	v_cndmask_b32_e64 v1, v1, v3, s[14:15]
	v_cndmask_b32_e64 v4, v4, 0, s[30:31]
	v_and_b32_sdwa v3, v1, s36 dst_sel:DWORD dst_unused:UNUSED_PAD src0_sel:WORD_1 src1_sel:DWORD
	v_lshlrev_b16_e32 v4, 8, v4
	v_or_b32_sdwa v3, v3, v4 dst_sel:WORD_1 dst_unused:UNUSED_PAD src0_sel:DWORD src1_sel:DWORD
	v_and_or_b32 v3, v1, s34, v3
	v_cndmask_b32_e64 v6, v1, v3, s[12:13]
	v_lshrrev_b16_sdwa v1, s35, v9 dst_sel:DWORD dst_unused:UNUSED_PAD src0_sel:DWORD src1_sel:BYTE_0
	v_cndmask_b32_e64 v1, v1, 0, s[30:31]
	v_lshrrev_b16_sdwa v3, s35, v10 dst_sel:DWORD dst_unused:UNUSED_PAD src0_sel:DWORD src1_sel:BYTE_0
	v_and_b32_e32 v1, 0xffff, v1
	v_cndmask_b32_e64 v3, v3, 0, s[30:31]
	v_cndmask_b32_e64 v1, 0, v1, s[24:25]
	v_lshlrev_b16_e32 v3, 8, v3
	v_or_b32_sdwa v3, v1, v3 dst_sel:DWORD dst_unused:UNUSED_PAD src0_sel:BYTE_0 src1_sel:DWORD
	v_and_b32_e32 v3, 0xffff, v3
	v_cndmask_b32_e64 v1, v1, v3, s[10:11]
	v_lshrrev_b16_sdwa v3, s35, v15 dst_sel:DWORD dst_unused:UNUSED_PAD src0_sel:DWORD src1_sel:BYTE_0
	v_cndmask_b32_e64 v3, v3, 0, s[30:31]
	v_lshlrev_b32_e32 v3, 16, v3
	v_or_b32_e32 v3, v1, v3
	v_lshrrev_b16_sdwa v4, s35, v16 dst_sel:DWORD dst_unused:UNUSED_PAD src0_sel:DWORD src1_sel:BYTE_0
	v_cndmask_b32_e64 v1, v1, v3, s[8:9]
	v_cndmask_b32_e64 v4, v4, 0, s[30:31]
	v_and_b32_sdwa v3, v1, s36 dst_sel:DWORD dst_unused:UNUSED_PAD src0_sel:WORD_1 src1_sel:DWORD
	v_lshlrev_b16_e32 v4, 8, v4
	v_or_b32_sdwa v3, v3, v4 dst_sel:WORD_1 dst_unused:UNUSED_PAD src0_sel:DWORD src1_sel:DWORD
	v_and_or_b32 v3, v1, s34, v3
	v_cndmask_b32_e64 v4, v1, v3, s[6:7]
	v_lshrrev_b16_sdwa v1, s35, v17 dst_sel:DWORD dst_unused:UNUSED_PAD src0_sel:DWORD src1_sel:BYTE_0
	v_cndmask_b32_e64 v1, v1, 0, s[30:31]
	v_lshrrev_b16_sdwa v3, s35, v18 dst_sel:DWORD dst_unused:UNUSED_PAD src0_sel:DWORD src1_sel:BYTE_0
	v_and_b32_e32 v1, 0xffff, v1
	v_cndmask_b32_e64 v3, v3, 0, s[30:31]
	v_cndmask_b32_e64 v1, 0, v1, s[22:23]
	v_lshlrev_b16_e32 v3, 8, v3
	v_or_b32_sdwa v3, v1, v3 dst_sel:DWORD dst_unused:UNUSED_PAD src0_sel:BYTE_0 src1_sel:DWORD
	v_and_b32_e32 v3, 0xffff, v3
	v_cndmask_b32_e64 v1, v1, v3, s[4:5]
	v_lshrrev_b16_sdwa v7, s35, v19 dst_sel:DWORD dst_unused:UNUSED_PAD src0_sel:DWORD src1_sel:BYTE_0
	v_and_b32_sdwa v3, v1, s26 dst_sel:DWORD dst_unused:UNUSED_PAD src0_sel:WORD_1 src1_sel:DWORD
	v_cndmask_b32_e64 v7, v7, 0, s[30:31]
	v_or_b32_sdwa v3, v7, v3 dst_sel:WORD_1 dst_unused:UNUSED_PAD src0_sel:DWORD src1_sel:DWORD
	v_and_or_b32 v3, v1, s34, v3
	v_lshrrev_b16_sdwa v7, s35, v20 dst_sel:DWORD dst_unused:UNUSED_PAD src0_sel:DWORD src1_sel:BYTE_0
	v_cndmask_b32_e64 v1, v1, v3, s[2:3]
	v_cndmask_b32_e64 v7, v7, 0, s[30:31]
	v_and_b32_sdwa v3, v1, s36 dst_sel:DWORD dst_unused:UNUSED_PAD src0_sel:WORD_1 src1_sel:DWORD
	v_lshlrev_b16_e32 v7, 8, v7
	v_or_b32_sdwa v3, v3, v7 dst_sel:WORD_1 dst_unused:UNUSED_PAD src0_sel:DWORD src1_sel:DWORD
	v_and_or_b32 v3, v1, s34, v3
	v_cndmask_b32_e64 v3, v1, v3, s[0:1]
	v_lshrrev_b32_e32 v1, 8, v12
	v_add_u32_e32 v0, s38, v0
	global_store_byte v0, v1, s[28:29] offset:256
	s_and_b64 exec, exec, s[20:21]
	s_cbranch_execz .LBB131_52
; %bb.38:
	v_mov_b32_e32 v1, s29
	v_add_co_u32_e32 v0, vcc, s28, v0
	v_addc_co_u32_e32 v1, vcc, 0, v1, vcc
	global_store_byte_d16_hi v[0:1], v12, off offset:512
	s_and_b64 exec, exec, s[18:19]
	s_cbranch_execz .LBB131_52
; %bb.39:
	v_lshrrev_b32_e32 v7, 24, v12
	v_cmp_gt_u32_e32 vcc, s33, v11
	global_store_byte v[0:1], v7, off offset:768
	s_and_b64 exec, exec, vcc
	s_cbranch_execz .LBB131_52
; %bb.40:
	global_store_byte v[0:1], v6, off offset:1024
	s_and_b64 exec, exec, s[16:17]
	s_cbranch_execz .LBB131_52
; %bb.41:
	v_lshrrev_b32_e32 v7, 8, v6
	global_store_byte v[0:1], v7, off offset:1280
	s_and_b64 exec, exec, s[14:15]
	s_cbranch_execz .LBB131_52
; %bb.42:
	global_store_byte_d16_hi v[0:1], v6, off offset:1536
	s_and_b64 exec, exec, s[12:13]
	s_cbranch_execz .LBB131_52
; %bb.43:
	v_lshrrev_b32_e32 v6, 24, v6
	v_cmp_gt_u32_e32 vcc, s33, v5
	global_store_byte v[0:1], v6, off offset:1792
	s_and_b64 exec, exec, vcc
	s_cbranch_execz .LBB131_52
; %bb.44:
	global_store_byte v[0:1], v4, off offset:2048
	s_and_b64 exec, exec, s[10:11]
	s_cbranch_execz .LBB131_52
; %bb.45:
	v_lshrrev_b32_e32 v5, 8, v4
	global_store_byte v[0:1], v5, off offset:2304
	s_and_b64 exec, exec, s[8:9]
	s_cbranch_execz .LBB131_52
; %bb.46:
	;; [unrolled: 19-line block ×3, first 2 shown]
	global_store_byte_d16_hi v[0:1], v3, off offset:3584
	s_and_b64 exec, exec, s[0:1]
	s_cbranch_execz .LBB131_52
; %bb.51:
	v_lshrrev_b32_e32 v2, 24, v3
	global_store_byte v[0:1], v2, off offset:3840
.LBB131_52:
	s_endpgm
	.section	.rodata,"a",@progbits
	.p2align	6, 0x0
	.amdhsa_kernel _ZN2at6native29vectorized_elementwise_kernelILi2ENS0_13BUnaryFunctorIhhhZZZNS0_18rshift_kernel_cudaERNS_18TensorIteratorBaseEENKUlvE_clEvENKUlvE_clEvEUlhhE_EESt5arrayIPcLm2EEEEviT0_T1_
		.amdhsa_group_segment_fixed_size 0
		.amdhsa_private_segment_fixed_size 0
		.amdhsa_kernarg_size 24
		.amdhsa_user_sgpr_count 6
		.amdhsa_user_sgpr_private_segment_buffer 1
		.amdhsa_user_sgpr_dispatch_ptr 0
		.amdhsa_user_sgpr_queue_ptr 0
		.amdhsa_user_sgpr_kernarg_segment_ptr 1
		.amdhsa_user_sgpr_dispatch_id 0
		.amdhsa_user_sgpr_flat_scratch_init 0
		.amdhsa_user_sgpr_private_segment_size 0
		.amdhsa_uses_dynamic_stack 0
		.amdhsa_system_sgpr_private_segment_wavefront_offset 0
		.amdhsa_system_sgpr_workgroup_id_x 1
		.amdhsa_system_sgpr_workgroup_id_y 0
		.amdhsa_system_sgpr_workgroup_id_z 0
		.amdhsa_system_sgpr_workgroup_info 0
		.amdhsa_system_vgpr_workitem_id 0
		.amdhsa_next_free_vgpr 21
		.amdhsa_next_free_sgpr 40
		.amdhsa_reserve_vcc 1
		.amdhsa_reserve_flat_scratch 0
		.amdhsa_float_round_mode_32 0
		.amdhsa_float_round_mode_16_64 0
		.amdhsa_float_denorm_mode_32 3
		.amdhsa_float_denorm_mode_16_64 3
		.amdhsa_dx10_clamp 1
		.amdhsa_ieee_mode 1
		.amdhsa_fp16_overflow 0
		.amdhsa_exception_fp_ieee_invalid_op 0
		.amdhsa_exception_fp_denorm_src 0
		.amdhsa_exception_fp_ieee_div_zero 0
		.amdhsa_exception_fp_ieee_overflow 0
		.amdhsa_exception_fp_ieee_underflow 0
		.amdhsa_exception_fp_ieee_inexact 0
		.amdhsa_exception_int_div_zero 0
	.end_amdhsa_kernel
	.section	.text._ZN2at6native29vectorized_elementwise_kernelILi2ENS0_13BUnaryFunctorIhhhZZZNS0_18rshift_kernel_cudaERNS_18TensorIteratorBaseEENKUlvE_clEvENKUlvE_clEvEUlhhE_EESt5arrayIPcLm2EEEEviT0_T1_,"axG",@progbits,_ZN2at6native29vectorized_elementwise_kernelILi2ENS0_13BUnaryFunctorIhhhZZZNS0_18rshift_kernel_cudaERNS_18TensorIteratorBaseEENKUlvE_clEvENKUlvE_clEvEUlhhE_EESt5arrayIPcLm2EEEEviT0_T1_,comdat
.Lfunc_end131:
	.size	_ZN2at6native29vectorized_elementwise_kernelILi2ENS0_13BUnaryFunctorIhhhZZZNS0_18rshift_kernel_cudaERNS_18TensorIteratorBaseEENKUlvE_clEvENKUlvE_clEvEUlhhE_EESt5arrayIPcLm2EEEEviT0_T1_, .Lfunc_end131-_ZN2at6native29vectorized_elementwise_kernelILi2ENS0_13BUnaryFunctorIhhhZZZNS0_18rshift_kernel_cudaERNS_18TensorIteratorBaseEENKUlvE_clEvENKUlvE_clEvEUlhhE_EESt5arrayIPcLm2EEEEviT0_T1_
                                        ; -- End function
	.set _ZN2at6native29vectorized_elementwise_kernelILi2ENS0_13BUnaryFunctorIhhhZZZNS0_18rshift_kernel_cudaERNS_18TensorIteratorBaseEENKUlvE_clEvENKUlvE_clEvEUlhhE_EESt5arrayIPcLm2EEEEviT0_T1_.num_vgpr, 21
	.set _ZN2at6native29vectorized_elementwise_kernelILi2ENS0_13BUnaryFunctorIhhhZZZNS0_18rshift_kernel_cudaERNS_18TensorIteratorBaseEENKUlvE_clEvENKUlvE_clEvEUlhhE_EESt5arrayIPcLm2EEEEviT0_T1_.num_agpr, 0
	.set _ZN2at6native29vectorized_elementwise_kernelILi2ENS0_13BUnaryFunctorIhhhZZZNS0_18rshift_kernel_cudaERNS_18TensorIteratorBaseEENKUlvE_clEvENKUlvE_clEvEUlhhE_EESt5arrayIPcLm2EEEEviT0_T1_.numbered_sgpr, 40
	.set _ZN2at6native29vectorized_elementwise_kernelILi2ENS0_13BUnaryFunctorIhhhZZZNS0_18rshift_kernel_cudaERNS_18TensorIteratorBaseEENKUlvE_clEvENKUlvE_clEvEUlhhE_EESt5arrayIPcLm2EEEEviT0_T1_.num_named_barrier, 0
	.set _ZN2at6native29vectorized_elementwise_kernelILi2ENS0_13BUnaryFunctorIhhhZZZNS0_18rshift_kernel_cudaERNS_18TensorIteratorBaseEENKUlvE_clEvENKUlvE_clEvEUlhhE_EESt5arrayIPcLm2EEEEviT0_T1_.private_seg_size, 0
	.set _ZN2at6native29vectorized_elementwise_kernelILi2ENS0_13BUnaryFunctorIhhhZZZNS0_18rshift_kernel_cudaERNS_18TensorIteratorBaseEENKUlvE_clEvENKUlvE_clEvEUlhhE_EESt5arrayIPcLm2EEEEviT0_T1_.uses_vcc, 1
	.set _ZN2at6native29vectorized_elementwise_kernelILi2ENS0_13BUnaryFunctorIhhhZZZNS0_18rshift_kernel_cudaERNS_18TensorIteratorBaseEENKUlvE_clEvENKUlvE_clEvEUlhhE_EESt5arrayIPcLm2EEEEviT0_T1_.uses_flat_scratch, 0
	.set _ZN2at6native29vectorized_elementwise_kernelILi2ENS0_13BUnaryFunctorIhhhZZZNS0_18rshift_kernel_cudaERNS_18TensorIteratorBaseEENKUlvE_clEvENKUlvE_clEvEUlhhE_EESt5arrayIPcLm2EEEEviT0_T1_.has_dyn_sized_stack, 0
	.set _ZN2at6native29vectorized_elementwise_kernelILi2ENS0_13BUnaryFunctorIhhhZZZNS0_18rshift_kernel_cudaERNS_18TensorIteratorBaseEENKUlvE_clEvENKUlvE_clEvEUlhhE_EESt5arrayIPcLm2EEEEviT0_T1_.has_recursion, 0
	.set _ZN2at6native29vectorized_elementwise_kernelILi2ENS0_13BUnaryFunctorIhhhZZZNS0_18rshift_kernel_cudaERNS_18TensorIteratorBaseEENKUlvE_clEvENKUlvE_clEvEUlhhE_EESt5arrayIPcLm2EEEEviT0_T1_.has_indirect_call, 0
	.section	.AMDGPU.csdata,"",@progbits
; Kernel info:
; codeLenInByte = 2984
; TotalNumSgprs: 44
; NumVgprs: 21
; ScratchSize: 0
; MemoryBound: 0
; FloatMode: 240
; IeeeMode: 1
; LDSByteSize: 0 bytes/workgroup (compile time only)
; SGPRBlocks: 5
; VGPRBlocks: 5
; NumSGPRsForWavesPerEU: 44
; NumVGPRsForWavesPerEU: 21
; Occupancy: 10
; WaveLimiterHint : 1
; COMPUTE_PGM_RSRC2:SCRATCH_EN: 0
; COMPUTE_PGM_RSRC2:USER_SGPR: 6
; COMPUTE_PGM_RSRC2:TRAP_HANDLER: 0
; COMPUTE_PGM_RSRC2:TGID_X_EN: 1
; COMPUTE_PGM_RSRC2:TGID_Y_EN: 0
; COMPUTE_PGM_RSRC2:TGID_Z_EN: 0
; COMPUTE_PGM_RSRC2:TIDIG_COMP_CNT: 0
	.section	.text._ZN2at6native27unrolled_elementwise_kernelINS0_13BUnaryFunctorIhhhZZZNS0_18rshift_kernel_cudaERNS_18TensorIteratorBaseEENKUlvE_clEvENKUlvE_clEvEUlhhE_EESt5arrayIPcLm2EELi4E23TrivialOffsetCalculatorILi1EjESD_NS0_6memory15LoadWithoutCastENSE_16StoreWithoutCastEEEviT_T0_T2_T3_T4_T5_,"axG",@progbits,_ZN2at6native27unrolled_elementwise_kernelINS0_13BUnaryFunctorIhhhZZZNS0_18rshift_kernel_cudaERNS_18TensorIteratorBaseEENKUlvE_clEvENKUlvE_clEvEUlhhE_EESt5arrayIPcLm2EELi4E23TrivialOffsetCalculatorILi1EjESD_NS0_6memory15LoadWithoutCastENSE_16StoreWithoutCastEEEviT_T0_T2_T3_T4_T5_,comdat
	.globl	_ZN2at6native27unrolled_elementwise_kernelINS0_13BUnaryFunctorIhhhZZZNS0_18rshift_kernel_cudaERNS_18TensorIteratorBaseEENKUlvE_clEvENKUlvE_clEvEUlhhE_EESt5arrayIPcLm2EELi4E23TrivialOffsetCalculatorILi1EjESD_NS0_6memory15LoadWithoutCastENSE_16StoreWithoutCastEEEviT_T0_T2_T3_T4_T5_ ; -- Begin function _ZN2at6native27unrolled_elementwise_kernelINS0_13BUnaryFunctorIhhhZZZNS0_18rshift_kernel_cudaERNS_18TensorIteratorBaseEENKUlvE_clEvENKUlvE_clEvEUlhhE_EESt5arrayIPcLm2EELi4E23TrivialOffsetCalculatorILi1EjESD_NS0_6memory15LoadWithoutCastENSE_16StoreWithoutCastEEEviT_T0_T2_T3_T4_T5_
	.p2align	8
	.type	_ZN2at6native27unrolled_elementwise_kernelINS0_13BUnaryFunctorIhhhZZZNS0_18rshift_kernel_cudaERNS_18TensorIteratorBaseEENKUlvE_clEvENKUlvE_clEvEUlhhE_EESt5arrayIPcLm2EELi4E23TrivialOffsetCalculatorILi1EjESD_NS0_6memory15LoadWithoutCastENSE_16StoreWithoutCastEEEviT_T0_T2_T3_T4_T5_,@function
_ZN2at6native27unrolled_elementwise_kernelINS0_13BUnaryFunctorIhhhZZZNS0_18rshift_kernel_cudaERNS_18TensorIteratorBaseEENKUlvE_clEvENKUlvE_clEvEUlhhE_EESt5arrayIPcLm2EELi4E23TrivialOffsetCalculatorILi1EjESD_NS0_6memory15LoadWithoutCastENSE_16StoreWithoutCastEEEviT_T0_T2_T3_T4_T5_: ; @_ZN2at6native27unrolled_elementwise_kernelINS0_13BUnaryFunctorIhhhZZZNS0_18rshift_kernel_cudaERNS_18TensorIteratorBaseEENKUlvE_clEvENKUlvE_clEvEUlhhE_EESt5arrayIPcLm2EELi4E23TrivialOffsetCalculatorILi1EjESD_NS0_6memory15LoadWithoutCastENSE_16StoreWithoutCastEEEviT_T0_T2_T3_T4_T5_
; %bb.0:
	v_mov_b32_e32 v3, 0
	global_load_ushort v4, v3, s[4:5] offset:4
	s_load_dword s0, s[4:5], 0x0
	s_load_dwordx4 s[8:11], s[4:5], 0x8
	s_lshl_b32 s14, s6, 10
	v_or_b32_e32 v1, 0x100, v0
	v_or_b32_e32 v2, s14, v0
	s_waitcnt lgkmcnt(0)
	s_sub_i32 s15, s0, s14
	v_cmp_gt_i32_e32 vcc, s15, v0
	v_mov_b32_e32 v5, 0
	v_mov_b32_e32 v6, 0
	v_mov_b32_e32 v7, 0
	s_and_saveexec_b64 s[2:3], vcc
	s_cbranch_execz .LBB132_8
; %bb.1:
	global_load_ubyte v7, v2, s[10:11]
	v_cmp_gt_u32_e64 s[0:1], s15, v1
	v_mov_b32_e32 v6, 0
	v_mov_b32_e32 v5, 0
	;; [unrolled: 1-line block ×3, first 2 shown]
	s_and_saveexec_b64 s[4:5], s[0:1]
	s_cbranch_execz .LBB132_7
; %bb.2:
	v_add_u32_e32 v3, s14, v1
	global_load_ubyte v6, v3, s[10:11]
	v_or_b32_e32 v8, 0x200, v0
	v_cmp_gt_u32_e64 s[0:1], s15, v8
	v_mov_b32_e32 v5, 0
	v_mov_b32_e32 v3, 0
	s_and_saveexec_b64 s[6:7], s[0:1]
	s_cbranch_execz .LBB132_6
; %bb.3:
	v_add_u32_e32 v3, s14, v8
	global_load_ubyte v5, v3, s[10:11]
	v_or_b32_e32 v8, 0x300, v0
	v_cmp_gt_u32_e64 s[0:1], s15, v8
	v_mov_b32_e32 v3, 0
	s_and_saveexec_b64 s[12:13], s[0:1]
	s_cbranch_execz .LBB132_5
; %bb.4:
	v_add_u32_e32 v3, s14, v8
	global_load_ubyte v3, v3, s[10:11]
.LBB132_5:
	s_or_b64 exec, exec, s[12:13]
.LBB132_6:
	s_or_b64 exec, exec, s[6:7]
.LBB132_7:
	s_or_b64 exec, exec, s[4:5]
.LBB132_8:
	s_or_b64 exec, exec, s[2:3]
	s_and_saveexec_b64 s[0:1], vcc
	s_cbranch_execz .LBB132_13
; %bb.9:
	v_mov_b32_e32 v8, 8
	s_waitcnt vmcnt(0)
	v_lshrrev_b32_sdwa v8, v8, v4 dst_sel:DWORD dst_unused:UNUSED_PAD src0_sel:DWORD src1_sel:WORD_0
	v_lshrrev_b16_sdwa v4, v8, v7 dst_sel:DWORD dst_unused:UNUSED_PAD src0_sel:DWORD src1_sel:BYTE_0
	v_cmp_lt_u32_e64 s[0:1], 7, v8
	v_lshrrev_b16_sdwa v6, v8, v6 dst_sel:DWORD dst_unused:UNUSED_PAD src0_sel:DWORD src1_sel:BYTE_0
	v_cndmask_b32_e64 v4, v4, 0, s[0:1]
	v_mov_b32_e32 v7, 0
	v_cndmask_b32_e64 v6, v6, 0, s[0:1]
	v_cndmask_b32_sdwa v4, v7, v4, vcc dst_sel:DWORD dst_unused:UNUSED_PAD src0_sel:DWORD src1_sel:WORD_0
	v_lshlrev_b16_e32 v6, 8, v6
	v_or_b32_e32 v6, v4, v6
	v_lshrrev_b16_sdwa v5, v8, v5 dst_sel:DWORD dst_unused:UNUSED_PAD src0_sel:DWORD src1_sel:BYTE_0
	v_and_b32_e32 v6, 0xffff, v6
	v_cmp_gt_i32_e64 s[2:3], s15, v1
	v_cndmask_b32_e64 v5, v5, 0, s[0:1]
	v_cndmask_b32_e64 v6, v4, v6, s[2:3]
	v_or_b32_e32 v4, 0x200, v0
	v_lshlrev_b32_e32 v5, 16, v5
	v_or_b32_e32 v5, v6, v5
	v_cmp_gt_i32_e32 vcc, s15, v4
	v_lshrrev_b16_sdwa v3, v8, v3 dst_sel:DWORD dst_unused:UNUSED_PAD src0_sel:DWORD src1_sel:BYTE_0
	s_movk_i32 s5, 0xff
	v_cndmask_b32_e32 v5, v6, v5, vcc
	v_cndmask_b32_e64 v3, v3, 0, s[0:1]
	v_and_b32_sdwa v6, v5, s5 dst_sel:DWORD dst_unused:UNUSED_PAD src0_sel:WORD_1 src1_sel:DWORD
	v_lshlrev_b16_e32 v3, 8, v3
	s_mov_b32 s4, 0xffff
	v_or_b32_e32 v0, 0x300, v0
	v_or_b32_sdwa v3, v6, v3 dst_sel:WORD_1 dst_unused:UNUSED_PAD src0_sel:DWORD src1_sel:DWORD
	v_and_or_b32 v3, v5, s4, v3
	v_cmp_gt_i32_e64 s[0:1], s15, v0
	v_cndmask_b32_e64 v3, v5, v3, s[0:1]
	global_store_byte v2, v3, s[8:9]
	s_and_b64 exec, exec, s[2:3]
	s_cbranch_execz .LBB132_13
; %bb.10:
	v_add_u32_e32 v1, s14, v1
	v_lshrrev_b32_e32 v2, 8, v3
	global_store_byte v1, v2, s[8:9]
	s_and_b64 exec, exec, vcc
	s_cbranch_execz .LBB132_13
; %bb.11:
	v_add_u32_e32 v1, s14, v4
	global_store_byte_d16_hi v1, v3, s[8:9]
	s_and_b64 exec, exec, s[0:1]
	s_cbranch_execz .LBB132_13
; %bb.12:
	v_lshrrev_b32_e32 v1, 24, v3
	v_add_u32_e32 v0, s14, v0
	global_store_byte v0, v1, s[8:9]
.LBB132_13:
	s_endpgm
	.section	.rodata,"a",@progbits
	.p2align	6, 0x0
	.amdhsa_kernel _ZN2at6native27unrolled_elementwise_kernelINS0_13BUnaryFunctorIhhhZZZNS0_18rshift_kernel_cudaERNS_18TensorIteratorBaseEENKUlvE_clEvENKUlvE_clEvEUlhhE_EESt5arrayIPcLm2EELi4E23TrivialOffsetCalculatorILi1EjESD_NS0_6memory15LoadWithoutCastENSE_16StoreWithoutCastEEEviT_T0_T2_T3_T4_T5_
		.amdhsa_group_segment_fixed_size 0
		.amdhsa_private_segment_fixed_size 0
		.amdhsa_kernarg_size 28
		.amdhsa_user_sgpr_count 6
		.amdhsa_user_sgpr_private_segment_buffer 1
		.amdhsa_user_sgpr_dispatch_ptr 0
		.amdhsa_user_sgpr_queue_ptr 0
		.amdhsa_user_sgpr_kernarg_segment_ptr 1
		.amdhsa_user_sgpr_dispatch_id 0
		.amdhsa_user_sgpr_flat_scratch_init 0
		.amdhsa_user_sgpr_private_segment_size 0
		.amdhsa_uses_dynamic_stack 0
		.amdhsa_system_sgpr_private_segment_wavefront_offset 0
		.amdhsa_system_sgpr_workgroup_id_x 1
		.amdhsa_system_sgpr_workgroup_id_y 0
		.amdhsa_system_sgpr_workgroup_id_z 0
		.amdhsa_system_sgpr_workgroup_info 0
		.amdhsa_system_vgpr_workitem_id 0
		.amdhsa_next_free_vgpr 9
		.amdhsa_next_free_sgpr 16
		.amdhsa_reserve_vcc 1
		.amdhsa_reserve_flat_scratch 0
		.amdhsa_float_round_mode_32 0
		.amdhsa_float_round_mode_16_64 0
		.amdhsa_float_denorm_mode_32 3
		.amdhsa_float_denorm_mode_16_64 3
		.amdhsa_dx10_clamp 1
		.amdhsa_ieee_mode 1
		.amdhsa_fp16_overflow 0
		.amdhsa_exception_fp_ieee_invalid_op 0
		.amdhsa_exception_fp_denorm_src 0
		.amdhsa_exception_fp_ieee_div_zero 0
		.amdhsa_exception_fp_ieee_overflow 0
		.amdhsa_exception_fp_ieee_underflow 0
		.amdhsa_exception_fp_ieee_inexact 0
		.amdhsa_exception_int_div_zero 0
	.end_amdhsa_kernel
	.section	.text._ZN2at6native27unrolled_elementwise_kernelINS0_13BUnaryFunctorIhhhZZZNS0_18rshift_kernel_cudaERNS_18TensorIteratorBaseEENKUlvE_clEvENKUlvE_clEvEUlhhE_EESt5arrayIPcLm2EELi4E23TrivialOffsetCalculatorILi1EjESD_NS0_6memory15LoadWithoutCastENSE_16StoreWithoutCastEEEviT_T0_T2_T3_T4_T5_,"axG",@progbits,_ZN2at6native27unrolled_elementwise_kernelINS0_13BUnaryFunctorIhhhZZZNS0_18rshift_kernel_cudaERNS_18TensorIteratorBaseEENKUlvE_clEvENKUlvE_clEvEUlhhE_EESt5arrayIPcLm2EELi4E23TrivialOffsetCalculatorILi1EjESD_NS0_6memory15LoadWithoutCastENSE_16StoreWithoutCastEEEviT_T0_T2_T3_T4_T5_,comdat
.Lfunc_end132:
	.size	_ZN2at6native27unrolled_elementwise_kernelINS0_13BUnaryFunctorIhhhZZZNS0_18rshift_kernel_cudaERNS_18TensorIteratorBaseEENKUlvE_clEvENKUlvE_clEvEUlhhE_EESt5arrayIPcLm2EELi4E23TrivialOffsetCalculatorILi1EjESD_NS0_6memory15LoadWithoutCastENSE_16StoreWithoutCastEEEviT_T0_T2_T3_T4_T5_, .Lfunc_end132-_ZN2at6native27unrolled_elementwise_kernelINS0_13BUnaryFunctorIhhhZZZNS0_18rshift_kernel_cudaERNS_18TensorIteratorBaseEENKUlvE_clEvENKUlvE_clEvEUlhhE_EESt5arrayIPcLm2EELi4E23TrivialOffsetCalculatorILi1EjESD_NS0_6memory15LoadWithoutCastENSE_16StoreWithoutCastEEEviT_T0_T2_T3_T4_T5_
                                        ; -- End function
	.set _ZN2at6native27unrolled_elementwise_kernelINS0_13BUnaryFunctorIhhhZZZNS0_18rshift_kernel_cudaERNS_18TensorIteratorBaseEENKUlvE_clEvENKUlvE_clEvEUlhhE_EESt5arrayIPcLm2EELi4E23TrivialOffsetCalculatorILi1EjESD_NS0_6memory15LoadWithoutCastENSE_16StoreWithoutCastEEEviT_T0_T2_T3_T4_T5_.num_vgpr, 9
	.set _ZN2at6native27unrolled_elementwise_kernelINS0_13BUnaryFunctorIhhhZZZNS0_18rshift_kernel_cudaERNS_18TensorIteratorBaseEENKUlvE_clEvENKUlvE_clEvEUlhhE_EESt5arrayIPcLm2EELi4E23TrivialOffsetCalculatorILi1EjESD_NS0_6memory15LoadWithoutCastENSE_16StoreWithoutCastEEEviT_T0_T2_T3_T4_T5_.num_agpr, 0
	.set _ZN2at6native27unrolled_elementwise_kernelINS0_13BUnaryFunctorIhhhZZZNS0_18rshift_kernel_cudaERNS_18TensorIteratorBaseEENKUlvE_clEvENKUlvE_clEvEUlhhE_EESt5arrayIPcLm2EELi4E23TrivialOffsetCalculatorILi1EjESD_NS0_6memory15LoadWithoutCastENSE_16StoreWithoutCastEEEviT_T0_T2_T3_T4_T5_.numbered_sgpr, 16
	.set _ZN2at6native27unrolled_elementwise_kernelINS0_13BUnaryFunctorIhhhZZZNS0_18rshift_kernel_cudaERNS_18TensorIteratorBaseEENKUlvE_clEvENKUlvE_clEvEUlhhE_EESt5arrayIPcLm2EELi4E23TrivialOffsetCalculatorILi1EjESD_NS0_6memory15LoadWithoutCastENSE_16StoreWithoutCastEEEviT_T0_T2_T3_T4_T5_.num_named_barrier, 0
	.set _ZN2at6native27unrolled_elementwise_kernelINS0_13BUnaryFunctorIhhhZZZNS0_18rshift_kernel_cudaERNS_18TensorIteratorBaseEENKUlvE_clEvENKUlvE_clEvEUlhhE_EESt5arrayIPcLm2EELi4E23TrivialOffsetCalculatorILi1EjESD_NS0_6memory15LoadWithoutCastENSE_16StoreWithoutCastEEEviT_T0_T2_T3_T4_T5_.private_seg_size, 0
	.set _ZN2at6native27unrolled_elementwise_kernelINS0_13BUnaryFunctorIhhhZZZNS0_18rshift_kernel_cudaERNS_18TensorIteratorBaseEENKUlvE_clEvENKUlvE_clEvEUlhhE_EESt5arrayIPcLm2EELi4E23TrivialOffsetCalculatorILi1EjESD_NS0_6memory15LoadWithoutCastENSE_16StoreWithoutCastEEEviT_T0_T2_T3_T4_T5_.uses_vcc, 1
	.set _ZN2at6native27unrolled_elementwise_kernelINS0_13BUnaryFunctorIhhhZZZNS0_18rshift_kernel_cudaERNS_18TensorIteratorBaseEENKUlvE_clEvENKUlvE_clEvEUlhhE_EESt5arrayIPcLm2EELi4E23TrivialOffsetCalculatorILi1EjESD_NS0_6memory15LoadWithoutCastENSE_16StoreWithoutCastEEEviT_T0_T2_T3_T4_T5_.uses_flat_scratch, 0
	.set _ZN2at6native27unrolled_elementwise_kernelINS0_13BUnaryFunctorIhhhZZZNS0_18rshift_kernel_cudaERNS_18TensorIteratorBaseEENKUlvE_clEvENKUlvE_clEvEUlhhE_EESt5arrayIPcLm2EELi4E23TrivialOffsetCalculatorILi1EjESD_NS0_6memory15LoadWithoutCastENSE_16StoreWithoutCastEEEviT_T0_T2_T3_T4_T5_.has_dyn_sized_stack, 0
	.set _ZN2at6native27unrolled_elementwise_kernelINS0_13BUnaryFunctorIhhhZZZNS0_18rshift_kernel_cudaERNS_18TensorIteratorBaseEENKUlvE_clEvENKUlvE_clEvEUlhhE_EESt5arrayIPcLm2EELi4E23TrivialOffsetCalculatorILi1EjESD_NS0_6memory15LoadWithoutCastENSE_16StoreWithoutCastEEEviT_T0_T2_T3_T4_T5_.has_recursion, 0
	.set _ZN2at6native27unrolled_elementwise_kernelINS0_13BUnaryFunctorIhhhZZZNS0_18rshift_kernel_cudaERNS_18TensorIteratorBaseEENKUlvE_clEvENKUlvE_clEvEUlhhE_EESt5arrayIPcLm2EELi4E23TrivialOffsetCalculatorILi1EjESD_NS0_6memory15LoadWithoutCastENSE_16StoreWithoutCastEEEviT_T0_T2_T3_T4_T5_.has_indirect_call, 0
	.section	.AMDGPU.csdata,"",@progbits
; Kernel info:
; codeLenInByte = 532
; TotalNumSgprs: 20
; NumVgprs: 9
; ScratchSize: 0
; MemoryBound: 0
; FloatMode: 240
; IeeeMode: 1
; LDSByteSize: 0 bytes/workgroup (compile time only)
; SGPRBlocks: 2
; VGPRBlocks: 2
; NumSGPRsForWavesPerEU: 20
; NumVGPRsForWavesPerEU: 9
; Occupancy: 10
; WaveLimiterHint : 0
; COMPUTE_PGM_RSRC2:SCRATCH_EN: 0
; COMPUTE_PGM_RSRC2:USER_SGPR: 6
; COMPUTE_PGM_RSRC2:TRAP_HANDLER: 0
; COMPUTE_PGM_RSRC2:TGID_X_EN: 1
; COMPUTE_PGM_RSRC2:TGID_Y_EN: 0
; COMPUTE_PGM_RSRC2:TGID_Z_EN: 0
; COMPUTE_PGM_RSRC2:TIDIG_COMP_CNT: 0
	.section	.text._ZN2at6native32elementwise_kernel_manual_unrollILi128ELi8EZNS0_22gpu_kernel_impl_nocastINS0_13BUnaryFunctorIhhhZZZNS0_18rshift_kernel_cudaERNS_18TensorIteratorBaseEENKUlvE_clEvENKUlvE_clEvEUlhhE_EEEEvS5_RKT_EUlibE_EEviT1_,"axG",@progbits,_ZN2at6native32elementwise_kernel_manual_unrollILi128ELi8EZNS0_22gpu_kernel_impl_nocastINS0_13BUnaryFunctorIhhhZZZNS0_18rshift_kernel_cudaERNS_18TensorIteratorBaseEENKUlvE_clEvENKUlvE_clEvEUlhhE_EEEEvS5_RKT_EUlibE_EEviT1_,comdat
	.globl	_ZN2at6native32elementwise_kernel_manual_unrollILi128ELi8EZNS0_22gpu_kernel_impl_nocastINS0_13BUnaryFunctorIhhhZZZNS0_18rshift_kernel_cudaERNS_18TensorIteratorBaseEENKUlvE_clEvENKUlvE_clEvEUlhhE_EEEEvS5_RKT_EUlibE_EEviT1_ ; -- Begin function _ZN2at6native32elementwise_kernel_manual_unrollILi128ELi8EZNS0_22gpu_kernel_impl_nocastINS0_13BUnaryFunctorIhhhZZZNS0_18rshift_kernel_cudaERNS_18TensorIteratorBaseEENKUlvE_clEvENKUlvE_clEvEUlhhE_EEEEvS5_RKT_EUlibE_EEviT1_
	.p2align	8
	.type	_ZN2at6native32elementwise_kernel_manual_unrollILi128ELi8EZNS0_22gpu_kernel_impl_nocastINS0_13BUnaryFunctorIhhhZZZNS0_18rshift_kernel_cudaERNS_18TensorIteratorBaseEENKUlvE_clEvENKUlvE_clEvEUlhhE_EEEEvS5_RKT_EUlibE_EEviT1_,@function
_ZN2at6native32elementwise_kernel_manual_unrollILi128ELi8EZNS0_22gpu_kernel_impl_nocastINS0_13BUnaryFunctorIhhhZZZNS0_18rshift_kernel_cudaERNS_18TensorIteratorBaseEENKUlvE_clEvENKUlvE_clEvEUlhhE_EEEEvS5_RKT_EUlibE_EEviT1_: ; @_ZN2at6native32elementwise_kernel_manual_unrollILi128ELi8EZNS0_22gpu_kernel_impl_nocastINS0_13BUnaryFunctorIhhhZZZNS0_18rshift_kernel_cudaERNS_18TensorIteratorBaseEENKUlvE_clEvENKUlvE_clEvEUlhhE_EEEEvS5_RKT_EUlibE_EEviT1_
; %bb.0:
	s_load_dword s60, s[4:5], 0x0
	s_load_dword s33, s[4:5], 0x8
	s_add_u32 s34, s4, 8
	s_addc_u32 s35, s5, 0
	v_lshl_or_b32 v19, s6, 10, v0
	v_or_b32_e32 v25, 0x380, v19
	s_waitcnt lgkmcnt(0)
	s_add_i32 s58, s33, -1
	s_cmp_gt_u32 s58, 1
	v_cmp_le_i32_e32 vcc, s60, v25
	s_cselect_b64 s[6:7], -1, 0
	s_and_saveexec_b64 s[0:1], vcc
	s_xor_b64 s[40:41], exec, s[0:1]
	s_cbranch_execz .LBB133_7
; %bb.1:
	s_load_dwordx4 s[24:27], s[34:35], 0x4
	s_load_dwordx2 s[44:45], s[34:35], 0x14
	s_load_dword s8, s[4:5], 0x160
	s_cmp_lg_u32 s33, 0
	s_cselect_b64 s[50:51], -1, 0
	s_add_u32 s48, s34, 0xc4
	s_addc_u32 s49, s35, 0
	s_min_u32 s61, s58, 15
	s_load_dwordx4 s[28:31], s[34:35], 0xc4
	s_load_dwordx4 s[0:3], s[34:35], 0x148
	s_cmp_gt_u32 s33, 1
	s_cselect_b64 s[46:47], -1, 0
	s_waitcnt lgkmcnt(0)
	s_lshr_b32 s59, s8, 8
	s_bfe_u32 s8, s8, 0x80008
	s_cmp_gt_u32 s8, 7
	s_cselect_b64 s[42:43], -1, 0
	v_cmp_gt_i32_e32 vcc, s60, v19
	s_and_saveexec_b64 s[52:53], vcc
	s_cbranch_execz .LBB133_14
; %bb.2:
	s_andn2_b64 vcc, exec, s[6:7]
	s_cbranch_vccnz .LBB133_21
; %bb.3:
	s_andn2_b64 vcc, exec, s[50:51]
	s_cbranch_vccnz .LBB133_129
; %bb.4:
	s_add_i32 s63, s61, 1
	s_cmp_eq_u32 s58, 2
	s_cbranch_scc1 .LBB133_131
; %bb.5:
	s_and_b32 s62, s63, 28
	v_mov_b32_e32 v2, 0
	s_mov_b32 s64, 0
	s_mov_b64 s[54:55], s[34:35]
	s_mov_b64 s[56:57], s[48:49]
	v_mov_b32_e32 v0, 0
	v_mov_b32_e32 v1, v19
.LBB133_6:                              ; =>This Inner Loop Header: Depth=1
	s_load_dwordx8 s[16:23], s[54:55], 0x4
	s_load_dwordx4 s[36:39], s[54:55], 0x24
	s_load_dwordx8 s[8:15], s[56:57], 0x0
	s_add_u32 s54, s54, 48
	s_addc_u32 s55, s55, 0
	s_waitcnt lgkmcnt(0)
	v_mul_hi_u32 v3, s17, v1
	s_add_i32 s64, s64, 4
	s_add_u32 s56, s56, 32
	s_addc_u32 s57, s57, 0
	v_add_u32_e32 v3, v1, v3
	v_lshrrev_b32_e32 v3, s18, v3
	v_mul_lo_u32 v4, v3, s16
	v_mul_hi_u32 v5, s20, v3
	s_cmp_lg_u32 s62, s64
	v_sub_u32_e32 v1, v1, v4
	v_add_u32_e32 v4, v3, v5
	v_mul_lo_u32 v5, v1, s8
	v_mul_lo_u32 v6, v1, s9
	v_lshrrev_b32_e32 v1, s21, v4
	v_mul_lo_u32 v4, v1, s19
	v_mul_hi_u32 v7, s23, v1
	v_sub_u32_e32 v3, v3, v4
	v_add_u32_e32 v4, v1, v7
	v_lshrrev_b32_e32 v4, s36, v4
	v_mul_hi_u32 v8, s38, v4
	v_mul_lo_u32 v9, v4, s22
	v_mul_lo_u32 v7, v3, s10
	;; [unrolled: 1-line block ×3, first 2 shown]
	v_sub_u32_e32 v9, v1, v9
	v_add_u32_e32 v1, v4, v8
	v_lshrrev_b32_e32 v1, s39, v1
	v_mul_lo_u32 v8, v1, s37
	v_mul_lo_u32 v10, v9, s12
	;; [unrolled: 1-line block ×3, first 2 shown]
	v_add3_u32 v0, v5, v0, v7
	v_sub_u32_e32 v4, v4, v8
	v_mul_lo_u32 v8, v4, s14
	v_mul_lo_u32 v4, v4, s15
	v_add3_u32 v2, v6, v2, v3
	v_add3_u32 v0, v10, v0, v8
	;; [unrolled: 1-line block ×3, first 2 shown]
	s_cbranch_scc1 .LBB133_6
	s_branch .LBB133_132
.LBB133_7:
	s_andn2_saveexec_b64 s[0:1], s[40:41]
	s_cbranch_execz .LBB133_221
.LBB133_8:
	v_cndmask_b32_e64 v0, 0, 1, s[6:7]
	v_cmp_ne_u32_e64 s[0:1], 1, v0
	s_andn2_b64 vcc, exec, s[6:7]
	s_cbranch_vccnz .LBB133_20
; %bb.9:
	s_cmp_lg_u32 s33, 0
	s_mov_b32 s28, 0
	s_cbranch_scc0 .LBB133_23
; %bb.10:
	s_min_u32 s29, s58, 15
	s_add_i32 s29, s29, 1
	s_cmp_eq_u32 s58, 2
	s_cbranch_scc1 .LBB133_24
; %bb.11:
	s_and_b32 s28, s29, 28
	s_add_u32 s2, s34, 0xc4
	s_addc_u32 s3, s35, 0
	v_mov_b32_e32 v2, 0
	s_mov_b32 s30, 0
	s_mov_b64 s[6:7], s[34:35]
	v_mov_b32_e32 v0, 0
	v_mov_b32_e32 v1, v19
.LBB133_12:                             ; =>This Inner Loop Header: Depth=1
	s_load_dwordx8 s[16:23], s[6:7], 0x4
	s_load_dwordx4 s[24:27], s[6:7], 0x24
	s_load_dwordx8 s[8:15], s[2:3], 0x0
	s_add_u32 s6, s6, 48
	s_addc_u32 s7, s7, 0
	s_waitcnt lgkmcnt(0)
	v_mul_hi_u32 v3, s17, v1
	s_add_i32 s30, s30, 4
	s_add_u32 s2, s2, 32
	s_addc_u32 s3, s3, 0
	v_add_u32_e32 v3, v1, v3
	v_lshrrev_b32_e32 v3, s18, v3
	v_mul_lo_u32 v4, v3, s16
	v_mul_hi_u32 v5, s20, v3
	s_cmp_lg_u32 s28, s30
	v_sub_u32_e32 v1, v1, v4
	v_add_u32_e32 v4, v3, v5
	v_mul_lo_u32 v5, v1, s8
	v_mul_lo_u32 v6, v1, s9
	v_lshrrev_b32_e32 v1, s21, v4
	v_mul_lo_u32 v4, v1, s19
	v_mul_hi_u32 v7, s23, v1
	v_sub_u32_e32 v3, v3, v4
	v_add_u32_e32 v4, v1, v7
	v_lshrrev_b32_e32 v4, s24, v4
	v_mul_hi_u32 v8, s26, v4
	v_mul_lo_u32 v9, v4, s22
	v_mul_lo_u32 v7, v3, s10
	;; [unrolled: 1-line block ×3, first 2 shown]
	v_sub_u32_e32 v9, v1, v9
	v_add_u32_e32 v1, v4, v8
	v_lshrrev_b32_e32 v1, s27, v1
	v_mul_lo_u32 v8, v1, s25
	v_mul_lo_u32 v10, v9, s12
	;; [unrolled: 1-line block ×3, first 2 shown]
	v_add3_u32 v0, v5, v0, v7
	v_sub_u32_e32 v4, v4, v8
	v_mul_lo_u32 v8, v4, s14
	v_mul_lo_u32 v4, v4, s15
	v_add3_u32 v2, v6, v2, v3
	v_add3_u32 v0, v10, v0, v8
	;; [unrolled: 1-line block ×3, first 2 shown]
	s_cbranch_scc1 .LBB133_12
; %bb.13:
	s_and_b32 s8, s29, 3
	s_cmp_eq_u32 s8, 0
	s_cbranch_scc0 .LBB133_25
	s_branch .LBB133_27
.LBB133_14:
	s_or_b64 exec, exec, s[52:53]
	v_cmp_gt_i32_e32 vcc, s60, v19
	s_and_saveexec_b64 s[52:53], vcc
	s_cbranch_execz .LBB133_139
.LBB133_15:
	s_andn2_b64 vcc, exec, s[6:7]
	s_cbranch_vccnz .LBB133_22
; %bb.16:
	s_andn2_b64 vcc, exec, s[50:51]
	s_cbranch_vccnz .LBB133_130
; %bb.17:
	s_add_i32 s63, s61, 1
	s_cmp_eq_u32 s58, 2
	s_cbranch_scc1 .LBB133_147
; %bb.18:
	s_and_b32 s62, s63, 28
	v_mov_b32_e32 v2, 0
	s_mov_b32 s64, 0
	s_mov_b64 s[54:55], s[34:35]
	s_mov_b64 s[56:57], s[48:49]
	v_mov_b32_e32 v0, 0
	v_mov_b32_e32 v1, v19
.LBB133_19:                             ; =>This Inner Loop Header: Depth=1
	s_load_dwordx8 s[16:23], s[54:55], 0x4
	s_load_dwordx4 s[36:39], s[54:55], 0x24
	s_load_dwordx8 s[8:15], s[56:57], 0x0
	s_add_u32 s54, s54, 48
	s_addc_u32 s55, s55, 0
	s_waitcnt lgkmcnt(0)
	v_mul_hi_u32 v3, s17, v1
	s_add_i32 s64, s64, 4
	s_add_u32 s56, s56, 32
	s_addc_u32 s57, s57, 0
	v_add_u32_e32 v3, v1, v3
	v_lshrrev_b32_e32 v3, s18, v3
	v_mul_lo_u32 v4, v3, s16
	v_mul_hi_u32 v5, s20, v3
	s_cmp_eq_u32 s62, s64
	v_sub_u32_e32 v1, v1, v4
	v_add_u32_e32 v4, v3, v5
	v_mul_lo_u32 v5, v1, s8
	v_mul_lo_u32 v6, v1, s9
	v_lshrrev_b32_e32 v1, s21, v4
	v_mul_lo_u32 v4, v1, s19
	v_mul_hi_u32 v7, s23, v1
	v_sub_u32_e32 v3, v3, v4
	v_add_u32_e32 v4, v1, v7
	v_lshrrev_b32_e32 v4, s36, v4
	v_mul_hi_u32 v8, s38, v4
	v_mul_lo_u32 v9, v4, s22
	v_mul_lo_u32 v7, v3, s10
	;; [unrolled: 1-line block ×3, first 2 shown]
	v_sub_u32_e32 v9, v1, v9
	v_add_u32_e32 v1, v4, v8
	v_lshrrev_b32_e32 v1, s39, v1
	v_mul_lo_u32 v8, v1, s37
	v_mul_lo_u32 v10, v9, s12
	;; [unrolled: 1-line block ×3, first 2 shown]
	v_add3_u32 v0, v5, v0, v7
	v_sub_u32_e32 v4, v4, v8
	v_mul_lo_u32 v8, v4, s14
	v_mul_lo_u32 v4, v4, s15
	v_add3_u32 v2, v6, v2, v3
	v_add3_u32 v0, v10, v0, v8
	;; [unrolled: 1-line block ×3, first 2 shown]
	s_cbranch_scc0 .LBB133_19
	s_branch .LBB133_148
.LBB133_20:
                                        ; implicit-def: $vgpr0
                                        ; implicit-def: $vgpr2
	s_branch .LBB133_28
.LBB133_21:
                                        ; implicit-def: $vgpr0
                                        ; implicit-def: $vgpr2
	s_branch .LBB133_136
.LBB133_22:
                                        ; implicit-def: $vgpr0
                                        ; implicit-def: $vgpr2
	s_branch .LBB133_152
.LBB133_23:
	v_mov_b32_e32 v0, 0
	v_mov_b32_e32 v2, 0
	s_branch .LBB133_27
.LBB133_24:
	v_mov_b32_e32 v0, 0
	v_mov_b32_e32 v2, 0
	;; [unrolled: 1-line block ×3, first 2 shown]
	s_and_b32 s8, s29, 3
	s_cmp_eq_u32 s8, 0
	s_cbranch_scc1 .LBB133_27
.LBB133_25:
	s_lshl_b32 s2, s28, 3
	s_add_u32 s2, s34, s2
	s_addc_u32 s3, s35, 0
	s_add_u32 s2, s2, 0xc4
	s_addc_u32 s3, s3, 0
	s_mul_i32 s6, s28, 12
	s_add_u32 s6, s34, s6
	s_addc_u32 s7, s35, 0
.LBB133_26:                             ; =>This Inner Loop Header: Depth=1
	s_load_dwordx2 s[10:11], s[6:7], 0x4
	s_load_dword s9, s[6:7], 0xc
	s_load_dwordx2 s[12:13], s[2:3], 0x0
	s_add_u32 s6, s6, 12
	s_addc_u32 s7, s7, 0
	s_waitcnt lgkmcnt(0)
	v_mul_hi_u32 v4, s11, v1
	s_add_u32 s2, s2, 8
	s_addc_u32 s3, s3, 0
	s_add_i32 s8, s8, -1
	v_add_u32_e32 v4, v1, v4
	v_lshrrev_b32_e32 v4, s9, v4
	v_mul_lo_u32 v5, v4, s10
	s_cmp_lg_u32 s8, 0
	v_sub_u32_e32 v5, v1, v5
	v_mad_u64_u32 v[0:1], s[10:11], v5, s12, v[0:1]
	v_mad_u64_u32 v[2:3], s[10:11], v5, s13, v[2:3]
	v_mov_b32_e32 v1, v4
	s_cbranch_scc1 .LBB133_26
.LBB133_27:
	s_cbranch_execnz .LBB133_30
.LBB133_28:
	s_load_dwordx4 s[8:11], s[34:35], 0x4
	s_load_dwordx2 s[2:3], s[34:35], 0xc4
	s_cmp_lt_u32 s33, 2
	s_waitcnt lgkmcnt(0)
	v_mul_hi_u32 v0, s9, v19
	v_add_u32_e32 v0, v19, v0
	v_lshrrev_b32_e32 v1, s10, v0
	v_mul_lo_u32 v0, v1, s8
	v_sub_u32_e32 v2, v19, v0
	v_mul_lo_u32 v0, v2, s2
	v_mul_lo_u32 v2, v2, s3
	s_cbranch_scc1 .LBB133_30
; %bb.29:
	s_load_dwordx4 s[8:11], s[34:35], 0x10
	s_load_dwordx2 s[2:3], s[34:35], 0xcc
	s_waitcnt lgkmcnt(0)
	v_mul_hi_u32 v3, s9, v1
	v_add_u32_e32 v3, v1, v3
	v_lshrrev_b32_e32 v3, s10, v3
	v_mul_lo_u32 v3, v3, s8
	v_sub_u32_e32 v3, v1, v3
	v_mad_u64_u32 v[0:1], s[6:7], v3, s2, v[0:1]
	v_mad_u64_u32 v[2:3], s[2:3], v3, s3, v[2:3]
.LBB133_30:
	s_and_b64 vcc, exec, s[0:1]
	v_add_u32_e32 v1, 0x80, v19
	s_cbranch_vccnz .LBB133_36
; %bb.31:
	s_cmp_lg_u32 s33, 0
	s_mov_b32 s28, 0
	s_cbranch_scc0 .LBB133_37
; %bb.32:
	s_min_u32 s29, s58, 15
	s_add_i32 s29, s29, 1
	s_cmp_eq_u32 s58, 2
	s_cbranch_scc1 .LBB133_38
; %bb.33:
	s_and_b32 s28, s29, 28
	s_add_u32 s2, s34, 0xc4
	s_addc_u32 s3, s35, 0
	v_mov_b32_e32 v5, 0
	s_mov_b32 s30, 0
	s_mov_b64 s[6:7], s[34:35]
	v_mov_b32_e32 v3, 0
	v_mov_b32_e32 v4, v1
.LBB133_34:                             ; =>This Inner Loop Header: Depth=1
	s_load_dwordx8 s[16:23], s[6:7], 0x4
	s_load_dwordx4 s[24:27], s[6:7], 0x24
	s_load_dwordx8 s[8:15], s[2:3], 0x0
	s_add_u32 s6, s6, 48
	s_addc_u32 s7, s7, 0
	s_waitcnt lgkmcnt(0)
	v_mul_hi_u32 v6, s17, v4
	s_add_i32 s30, s30, 4
	s_add_u32 s2, s2, 32
	s_addc_u32 s3, s3, 0
	v_add_u32_e32 v6, v4, v6
	v_lshrrev_b32_e32 v6, s18, v6
	v_mul_lo_u32 v7, v6, s16
	v_mul_hi_u32 v8, s20, v6
	s_cmp_lg_u32 s28, s30
	v_sub_u32_e32 v4, v4, v7
	v_add_u32_e32 v7, v6, v8
	v_mul_lo_u32 v8, v4, s8
	v_mul_lo_u32 v9, v4, s9
	v_lshrrev_b32_e32 v4, s21, v7
	v_mul_lo_u32 v7, v4, s19
	v_mul_hi_u32 v10, s23, v4
	v_sub_u32_e32 v6, v6, v7
	v_add_u32_e32 v7, v4, v10
	v_lshrrev_b32_e32 v7, s24, v7
	v_mul_hi_u32 v11, s26, v7
	v_mul_lo_u32 v12, v7, s22
	v_mul_lo_u32 v10, v6, s10
	;; [unrolled: 1-line block ×3, first 2 shown]
	v_sub_u32_e32 v12, v4, v12
	v_add_u32_e32 v4, v7, v11
	v_lshrrev_b32_e32 v4, s27, v4
	v_mul_lo_u32 v11, v4, s25
	v_mul_lo_u32 v13, v12, s12
	v_mul_lo_u32 v12, v12, s13
	v_add3_u32 v3, v8, v3, v10
	v_sub_u32_e32 v7, v7, v11
	v_mul_lo_u32 v11, v7, s14
	v_mul_lo_u32 v7, v7, s15
	v_add3_u32 v5, v9, v5, v6
	v_add3_u32 v3, v13, v3, v11
	;; [unrolled: 1-line block ×3, first 2 shown]
	s_cbranch_scc1 .LBB133_34
; %bb.35:
	s_and_b32 s8, s29, 3
	s_cmp_eq_u32 s8, 0
	s_cbranch_scc0 .LBB133_39
	s_branch .LBB133_41
.LBB133_36:
                                        ; implicit-def: $vgpr3
                                        ; implicit-def: $vgpr5
	s_branch .LBB133_42
.LBB133_37:
	v_mov_b32_e32 v3, 0
	v_mov_b32_e32 v5, 0
	s_branch .LBB133_41
.LBB133_38:
	v_mov_b32_e32 v3, 0
	v_mov_b32_e32 v5, 0
	;; [unrolled: 1-line block ×3, first 2 shown]
	s_and_b32 s8, s29, 3
	s_cmp_eq_u32 s8, 0
	s_cbranch_scc1 .LBB133_41
.LBB133_39:
	s_lshl_b32 s2, s28, 3
	s_add_u32 s2, s34, s2
	s_addc_u32 s3, s35, 0
	s_add_u32 s2, s2, 0xc4
	s_addc_u32 s3, s3, 0
	s_mul_i32 s6, s28, 12
	s_add_u32 s6, s34, s6
	s_addc_u32 s7, s35, 0
.LBB133_40:                             ; =>This Inner Loop Header: Depth=1
	s_load_dwordx2 s[10:11], s[6:7], 0x4
	s_load_dword s9, s[6:7], 0xc
	s_load_dwordx2 s[12:13], s[2:3], 0x0
	s_add_u32 s6, s6, 12
	s_addc_u32 s7, s7, 0
	s_waitcnt lgkmcnt(0)
	v_mul_hi_u32 v7, s11, v4
	s_add_u32 s2, s2, 8
	s_addc_u32 s3, s3, 0
	s_add_i32 s8, s8, -1
	v_add_u32_e32 v7, v4, v7
	v_lshrrev_b32_e32 v7, s9, v7
	v_mul_lo_u32 v8, v7, s10
	s_cmp_lg_u32 s8, 0
	v_sub_u32_e32 v8, v4, v8
	v_mad_u64_u32 v[3:4], s[10:11], v8, s12, v[3:4]
	v_mad_u64_u32 v[5:6], s[10:11], v8, s13, v[5:6]
	v_mov_b32_e32 v4, v7
	s_cbranch_scc1 .LBB133_40
.LBB133_41:
	s_cbranch_execnz .LBB133_44
.LBB133_42:
	s_load_dwordx4 s[8:11], s[34:35], 0x4
	s_load_dwordx2 s[2:3], s[34:35], 0xc4
	s_cmp_lt_u32 s33, 2
	s_waitcnt lgkmcnt(0)
	v_mul_hi_u32 v3, s9, v1
	v_add_u32_e32 v3, v1, v3
	v_lshrrev_b32_e32 v4, s10, v3
	v_mul_lo_u32 v3, v4, s8
	v_sub_u32_e32 v1, v1, v3
	v_mul_lo_u32 v3, v1, s2
	v_mul_lo_u32 v5, v1, s3
	s_cbranch_scc1 .LBB133_44
; %bb.43:
	s_load_dwordx4 s[8:11], s[34:35], 0x10
	s_load_dwordx2 s[2:3], s[34:35], 0xcc
	s_waitcnt lgkmcnt(0)
	v_mul_hi_u32 v1, s9, v4
	v_add_u32_e32 v1, v4, v1
	v_lshrrev_b32_e32 v1, s10, v1
	v_mul_lo_u32 v1, v1, s8
	v_sub_u32_e32 v1, v4, v1
	v_mad_u64_u32 v[3:4], s[6:7], v1, s2, v[3:4]
	v_mad_u64_u32 v[5:6], s[2:3], v1, s3, v[5:6]
.LBB133_44:
	s_and_b64 vcc, exec, s[0:1]
	v_add_u32_e32 v1, 0x100, v19
	s_cbranch_vccnz .LBB133_50
; %bb.45:
	s_cmp_lg_u32 s33, 0
	s_mov_b32 s28, 0
	s_cbranch_scc0 .LBB133_51
; %bb.46:
	s_min_u32 s29, s58, 15
	s_add_i32 s29, s29, 1
	s_cmp_eq_u32 s58, 2
	s_cbranch_scc1 .LBB133_52
; %bb.47:
	s_and_b32 s28, s29, 28
	s_add_u32 s2, s34, 0xc4
	s_addc_u32 s3, s35, 0
	v_mov_b32_e32 v8, 0
	s_mov_b32 s30, 0
	s_mov_b64 s[6:7], s[34:35]
	v_mov_b32_e32 v6, 0
	v_mov_b32_e32 v4, v1
.LBB133_48:                             ; =>This Inner Loop Header: Depth=1
	s_load_dwordx8 s[16:23], s[6:7], 0x4
	s_load_dwordx4 s[24:27], s[6:7], 0x24
	s_load_dwordx8 s[8:15], s[2:3], 0x0
	s_add_u32 s6, s6, 48
	s_addc_u32 s7, s7, 0
	s_waitcnt lgkmcnt(0)
	v_mul_hi_u32 v7, s17, v4
	s_add_i32 s30, s30, 4
	s_add_u32 s2, s2, 32
	s_addc_u32 s3, s3, 0
	v_add_u32_e32 v7, v4, v7
	v_lshrrev_b32_e32 v7, s18, v7
	v_mul_lo_u32 v9, v7, s16
	v_mul_hi_u32 v10, s20, v7
	s_cmp_lg_u32 s28, s30
	v_sub_u32_e32 v4, v4, v9
	v_add_u32_e32 v9, v7, v10
	v_mul_lo_u32 v10, v4, s8
	v_mul_lo_u32 v11, v4, s9
	v_lshrrev_b32_e32 v4, s21, v9
	v_mul_lo_u32 v9, v4, s19
	v_mul_hi_u32 v12, s23, v4
	v_sub_u32_e32 v7, v7, v9
	v_add_u32_e32 v9, v4, v12
	v_lshrrev_b32_e32 v9, s24, v9
	v_mul_hi_u32 v13, s26, v9
	v_mul_lo_u32 v14, v9, s22
	v_mul_lo_u32 v12, v7, s10
	;; [unrolled: 1-line block ×3, first 2 shown]
	v_sub_u32_e32 v14, v4, v14
	v_add_u32_e32 v4, v9, v13
	v_lshrrev_b32_e32 v4, s27, v4
	v_mul_lo_u32 v13, v4, s25
	v_mul_lo_u32 v15, v14, s12
	;; [unrolled: 1-line block ×3, first 2 shown]
	v_add3_u32 v6, v10, v6, v12
	v_sub_u32_e32 v9, v9, v13
	v_mul_lo_u32 v13, v9, s14
	v_mul_lo_u32 v9, v9, s15
	v_add3_u32 v7, v11, v8, v7
	v_add3_u32 v6, v15, v6, v13
	;; [unrolled: 1-line block ×3, first 2 shown]
	s_cbranch_scc1 .LBB133_48
; %bb.49:
	s_and_b32 s8, s29, 3
	s_cmp_eq_u32 s8, 0
	s_cbranch_scc0 .LBB133_53
	s_branch .LBB133_55
.LBB133_50:
                                        ; implicit-def: $vgpr6
                                        ; implicit-def: $vgpr8
	s_branch .LBB133_56
.LBB133_51:
	v_mov_b32_e32 v6, 0
	v_mov_b32_e32 v8, 0
	s_branch .LBB133_55
.LBB133_52:
	v_mov_b32_e32 v6, 0
	v_mov_b32_e32 v8, 0
	;; [unrolled: 1-line block ×3, first 2 shown]
	s_and_b32 s8, s29, 3
	s_cmp_eq_u32 s8, 0
	s_cbranch_scc1 .LBB133_55
.LBB133_53:
	s_lshl_b32 s2, s28, 3
	s_add_u32 s2, s34, s2
	s_addc_u32 s3, s35, 0
	s_add_u32 s2, s2, 0xc4
	s_addc_u32 s3, s3, 0
	s_mul_i32 s6, s28, 12
	s_add_u32 s6, s34, s6
	s_addc_u32 s7, s35, 0
.LBB133_54:                             ; =>This Inner Loop Header: Depth=1
	s_load_dwordx2 s[10:11], s[6:7], 0x4
	s_load_dword s9, s[6:7], 0xc
	s_load_dwordx2 s[12:13], s[2:3], 0x0
	s_add_u32 s6, s6, 12
	s_addc_u32 s7, s7, 0
	s_waitcnt lgkmcnt(0)
	v_mul_hi_u32 v7, s11, v4
	s_add_u32 s2, s2, 8
	s_addc_u32 s3, s3, 0
	s_add_i32 s8, s8, -1
	v_add_u32_e32 v7, v4, v7
	v_lshrrev_b32_e32 v10, s9, v7
	v_mul_lo_u32 v7, v10, s10
	s_cmp_lg_u32 s8, 0
	v_sub_u32_e32 v4, v4, v7
	v_mad_u64_u32 v[6:7], s[10:11], v4, s12, v[6:7]
	v_mad_u64_u32 v[8:9], s[10:11], v4, s13, v[8:9]
	v_mov_b32_e32 v4, v10
	s_cbranch_scc1 .LBB133_54
.LBB133_55:
	s_cbranch_execnz .LBB133_58
.LBB133_56:
	s_load_dwordx4 s[8:11], s[34:35], 0x4
	s_load_dwordx2 s[2:3], s[34:35], 0xc4
	s_cmp_lt_u32 s33, 2
	s_waitcnt lgkmcnt(0)
	v_mul_hi_u32 v4, s9, v1
	v_add_u32_e32 v4, v1, v4
	v_lshrrev_b32_e32 v4, s10, v4
	v_mul_lo_u32 v6, v4, s8
	v_sub_u32_e32 v1, v1, v6
	v_mul_lo_u32 v6, v1, s2
	v_mul_lo_u32 v8, v1, s3
	s_cbranch_scc1 .LBB133_58
; %bb.57:
	s_load_dwordx4 s[8:11], s[34:35], 0x10
	s_load_dwordx2 s[2:3], s[34:35], 0xcc
	s_waitcnt lgkmcnt(0)
	v_mul_hi_u32 v1, s9, v4
	v_add_u32_e32 v1, v4, v1
	v_lshrrev_b32_e32 v1, s10, v1
	v_mul_lo_u32 v1, v1, s8
	v_sub_u32_e32 v1, v4, v1
	v_mad_u64_u32 v[6:7], s[6:7], v1, s2, v[6:7]
	v_mad_u64_u32 v[8:9], s[2:3], v1, s3, v[8:9]
.LBB133_58:
	s_and_b64 vcc, exec, s[0:1]
	v_add_u32_e32 v1, 0x180, v19
	s_cbranch_vccnz .LBB133_64
; %bb.59:
	s_cmp_lg_u32 s33, 0
	s_mov_b32 s28, 0
	s_cbranch_scc0 .LBB133_65
; %bb.60:
	s_min_u32 s29, s58, 15
	s_add_i32 s29, s29, 1
	s_cmp_eq_u32 s58, 2
	s_cbranch_scc1 .LBB133_66
; %bb.61:
	s_and_b32 s28, s29, 28
	s_add_u32 s2, s34, 0xc4
	s_addc_u32 s3, s35, 0
	v_mov_b32_e32 v11, 0
	s_mov_b32 s30, 0
	s_mov_b64 s[6:7], s[34:35]
	v_mov_b32_e32 v9, 0
	v_mov_b32_e32 v4, v1
.LBB133_62:                             ; =>This Inner Loop Header: Depth=1
	s_load_dwordx8 s[16:23], s[6:7], 0x4
	s_load_dwordx4 s[24:27], s[6:7], 0x24
	s_load_dwordx8 s[8:15], s[2:3], 0x0
	s_add_u32 s6, s6, 48
	s_addc_u32 s7, s7, 0
	s_waitcnt lgkmcnt(0)
	v_mul_hi_u32 v7, s17, v4
	s_add_i32 s30, s30, 4
	s_add_u32 s2, s2, 32
	s_addc_u32 s3, s3, 0
	v_add_u32_e32 v7, v4, v7
	v_lshrrev_b32_e32 v7, s18, v7
	v_mul_lo_u32 v10, v7, s16
	v_mul_hi_u32 v12, s20, v7
	s_cmp_lg_u32 s28, s30
	v_sub_u32_e32 v4, v4, v10
	v_add_u32_e32 v10, v7, v12
	v_mul_lo_u32 v12, v4, s8
	v_mul_lo_u32 v13, v4, s9
	v_lshrrev_b32_e32 v4, s21, v10
	v_mul_lo_u32 v10, v4, s19
	v_mul_hi_u32 v14, s23, v4
	v_sub_u32_e32 v7, v7, v10
	v_add_u32_e32 v10, v4, v14
	v_lshrrev_b32_e32 v10, s24, v10
	v_mul_hi_u32 v15, s26, v10
	v_mul_lo_u32 v16, v10, s22
	v_mul_lo_u32 v14, v7, s10
	;; [unrolled: 1-line block ×3, first 2 shown]
	v_sub_u32_e32 v16, v4, v16
	v_add_u32_e32 v4, v10, v15
	v_lshrrev_b32_e32 v4, s27, v4
	v_mul_lo_u32 v15, v4, s25
	v_mul_lo_u32 v17, v16, s12
	;; [unrolled: 1-line block ×3, first 2 shown]
	v_add3_u32 v9, v12, v9, v14
	v_sub_u32_e32 v10, v10, v15
	v_mul_lo_u32 v15, v10, s14
	v_mul_lo_u32 v10, v10, s15
	v_add3_u32 v7, v13, v11, v7
	v_add3_u32 v9, v17, v9, v15
	;; [unrolled: 1-line block ×3, first 2 shown]
	s_cbranch_scc1 .LBB133_62
; %bb.63:
	s_and_b32 s8, s29, 3
	s_cmp_eq_u32 s8, 0
	s_cbranch_scc0 .LBB133_67
	s_branch .LBB133_69
.LBB133_64:
                                        ; implicit-def: $vgpr9
                                        ; implicit-def: $vgpr11
	s_branch .LBB133_70
.LBB133_65:
	v_mov_b32_e32 v9, 0
	v_mov_b32_e32 v11, 0
	s_branch .LBB133_69
.LBB133_66:
	v_mov_b32_e32 v9, 0
	v_mov_b32_e32 v11, 0
	;; [unrolled: 1-line block ×3, first 2 shown]
	s_and_b32 s8, s29, 3
	s_cmp_eq_u32 s8, 0
	s_cbranch_scc1 .LBB133_69
.LBB133_67:
	s_lshl_b32 s2, s28, 3
	s_add_u32 s2, s34, s2
	s_addc_u32 s3, s35, 0
	s_add_u32 s2, s2, 0xc4
	s_addc_u32 s3, s3, 0
	s_mul_i32 s6, s28, 12
	s_add_u32 s6, s34, s6
	s_addc_u32 s7, s35, 0
.LBB133_68:                             ; =>This Inner Loop Header: Depth=1
	s_load_dwordx2 s[10:11], s[6:7], 0x4
	s_load_dword s9, s[6:7], 0xc
	s_load_dwordx2 s[12:13], s[2:3], 0x0
	s_add_u32 s6, s6, 12
	s_addc_u32 s7, s7, 0
	s_waitcnt lgkmcnt(0)
	v_mul_hi_u32 v7, s11, v4
	s_add_u32 s2, s2, 8
	s_addc_u32 s3, s3, 0
	s_add_i32 s8, s8, -1
	v_add_u32_e32 v7, v4, v7
	v_lshrrev_b32_e32 v7, s9, v7
	v_mul_lo_u32 v10, v7, s10
	s_cmp_lg_u32 s8, 0
	v_sub_u32_e32 v4, v4, v10
	v_mad_u64_u32 v[9:10], s[10:11], v4, s12, v[9:10]
	v_mad_u64_u32 v[11:12], s[10:11], v4, s13, v[11:12]
	v_mov_b32_e32 v4, v7
	s_cbranch_scc1 .LBB133_68
.LBB133_69:
	s_cbranch_execnz .LBB133_72
.LBB133_70:
	s_load_dwordx4 s[8:11], s[34:35], 0x4
	s_load_dwordx2 s[2:3], s[34:35], 0xc4
	s_cmp_lt_u32 s33, 2
	s_waitcnt lgkmcnt(0)
	v_mul_hi_u32 v4, s9, v1
	v_add_u32_e32 v4, v1, v4
	v_lshrrev_b32_e32 v4, s10, v4
	v_mul_lo_u32 v7, v4, s8
	v_sub_u32_e32 v1, v1, v7
	v_mul_lo_u32 v9, v1, s2
	v_mul_lo_u32 v11, v1, s3
	s_cbranch_scc1 .LBB133_72
; %bb.71:
	s_load_dwordx4 s[8:11], s[34:35], 0x10
	s_load_dwordx2 s[2:3], s[34:35], 0xcc
	s_waitcnt lgkmcnt(0)
	v_mul_hi_u32 v1, s9, v4
	v_add_u32_e32 v1, v4, v1
	v_lshrrev_b32_e32 v1, s10, v1
	v_mul_lo_u32 v1, v1, s8
	v_sub_u32_e32 v1, v4, v1
	v_mad_u64_u32 v[9:10], s[6:7], v1, s2, v[9:10]
	v_mad_u64_u32 v[11:12], s[2:3], v1, s3, v[11:12]
.LBB133_72:
	s_and_b64 vcc, exec, s[0:1]
	v_add_u32_e32 v1, 0x200, v19
	s_cbranch_vccnz .LBB133_78
; %bb.73:
	s_cmp_lg_u32 s33, 0
	s_mov_b32 s28, 0
	s_cbranch_scc0 .LBB133_79
; %bb.74:
	s_min_u32 s29, s58, 15
	s_add_i32 s29, s29, 1
	s_cmp_eq_u32 s58, 2
	s_cbranch_scc1 .LBB133_80
; %bb.75:
	s_and_b32 s28, s29, 28
	s_add_u32 s2, s34, 0xc4
	s_addc_u32 s3, s35, 0
	v_mov_b32_e32 v14, 0
	s_mov_b32 s30, 0
	s_mov_b64 s[6:7], s[34:35]
	v_mov_b32_e32 v12, 0
	v_mov_b32_e32 v4, v1
.LBB133_76:                             ; =>This Inner Loop Header: Depth=1
	s_load_dwordx8 s[16:23], s[6:7], 0x4
	s_load_dwordx4 s[24:27], s[6:7], 0x24
	s_load_dwordx8 s[8:15], s[2:3], 0x0
	s_add_u32 s6, s6, 48
	s_addc_u32 s7, s7, 0
	s_waitcnt lgkmcnt(0)
	v_mul_hi_u32 v7, s17, v4
	s_add_i32 s30, s30, 4
	s_add_u32 s2, s2, 32
	s_addc_u32 s3, s3, 0
	v_add_u32_e32 v7, v4, v7
	v_lshrrev_b32_e32 v7, s18, v7
	v_mul_lo_u32 v10, v7, s16
	v_mul_hi_u32 v13, s20, v7
	s_cmp_lg_u32 s28, s30
	v_sub_u32_e32 v4, v4, v10
	v_add_u32_e32 v10, v7, v13
	v_mul_lo_u32 v13, v4, s8
	v_mul_lo_u32 v15, v4, s9
	v_lshrrev_b32_e32 v4, s21, v10
	v_mul_lo_u32 v10, v4, s19
	v_mul_hi_u32 v16, s23, v4
	v_sub_u32_e32 v7, v7, v10
	v_add_u32_e32 v10, v4, v16
	v_lshrrev_b32_e32 v10, s24, v10
	v_mul_hi_u32 v17, s26, v10
	v_mul_lo_u32 v18, v10, s22
	v_mul_lo_u32 v16, v7, s10
	;; [unrolled: 1-line block ×3, first 2 shown]
	v_sub_u32_e32 v18, v4, v18
	v_add_u32_e32 v4, v10, v17
	v_lshrrev_b32_e32 v4, s27, v4
	v_mul_lo_u32 v17, v4, s25
	v_mul_lo_u32 v20, v18, s12
	;; [unrolled: 1-line block ×3, first 2 shown]
	v_add3_u32 v12, v13, v12, v16
	v_sub_u32_e32 v10, v10, v17
	v_mul_lo_u32 v17, v10, s14
	v_mul_lo_u32 v10, v10, s15
	v_add3_u32 v7, v15, v14, v7
	v_add3_u32 v12, v20, v12, v17
	;; [unrolled: 1-line block ×3, first 2 shown]
	s_cbranch_scc1 .LBB133_76
; %bb.77:
	s_and_b32 s8, s29, 3
	s_cmp_eq_u32 s8, 0
	s_cbranch_scc0 .LBB133_81
	s_branch .LBB133_83
.LBB133_78:
                                        ; implicit-def: $vgpr12
                                        ; implicit-def: $vgpr14
	s_branch .LBB133_84
.LBB133_79:
	v_mov_b32_e32 v12, 0
	v_mov_b32_e32 v14, 0
	s_branch .LBB133_83
.LBB133_80:
	v_mov_b32_e32 v12, 0
	v_mov_b32_e32 v14, 0
	;; [unrolled: 1-line block ×3, first 2 shown]
	s_and_b32 s8, s29, 3
	s_cmp_eq_u32 s8, 0
	s_cbranch_scc1 .LBB133_83
.LBB133_81:
	s_lshl_b32 s2, s28, 3
	s_add_u32 s2, s34, s2
	s_addc_u32 s3, s35, 0
	s_add_u32 s2, s2, 0xc4
	s_addc_u32 s3, s3, 0
	s_mul_i32 s6, s28, 12
	s_add_u32 s6, s34, s6
	s_addc_u32 s7, s35, 0
.LBB133_82:                             ; =>This Inner Loop Header: Depth=1
	s_load_dwordx2 s[10:11], s[6:7], 0x4
	s_load_dword s9, s[6:7], 0xc
	s_load_dwordx2 s[12:13], s[2:3], 0x0
	s_add_u32 s6, s6, 12
	s_addc_u32 s7, s7, 0
	s_waitcnt lgkmcnt(0)
	v_mul_hi_u32 v7, s11, v4
	s_add_u32 s2, s2, 8
	s_addc_u32 s3, s3, 0
	s_add_i32 s8, s8, -1
	v_add_u32_e32 v7, v4, v7
	v_lshrrev_b32_e32 v7, s9, v7
	v_mul_lo_u32 v10, v7, s10
	s_cmp_lg_u32 s8, 0
	v_sub_u32_e32 v4, v4, v10
	v_mad_u64_u32 v[12:13], s[10:11], v4, s12, v[12:13]
	v_mad_u64_u32 v[14:15], s[10:11], v4, s13, v[14:15]
	v_mov_b32_e32 v4, v7
	s_cbranch_scc1 .LBB133_82
.LBB133_83:
	s_cbranch_execnz .LBB133_86
.LBB133_84:
	s_load_dwordx4 s[8:11], s[34:35], 0x4
	s_load_dwordx2 s[2:3], s[34:35], 0xc4
	s_cmp_lt_u32 s33, 2
	s_waitcnt lgkmcnt(0)
	v_mul_hi_u32 v4, s9, v1
	v_add_u32_e32 v4, v1, v4
	v_lshrrev_b32_e32 v4, s10, v4
	v_mul_lo_u32 v7, v4, s8
	v_sub_u32_e32 v1, v1, v7
	v_mul_lo_u32 v12, v1, s2
	v_mul_lo_u32 v14, v1, s3
	s_cbranch_scc1 .LBB133_86
; %bb.85:
	s_load_dwordx4 s[8:11], s[34:35], 0x10
	s_load_dwordx2 s[2:3], s[34:35], 0xcc
	s_waitcnt lgkmcnt(0)
	v_mul_hi_u32 v1, s9, v4
	v_add_u32_e32 v1, v4, v1
	v_lshrrev_b32_e32 v1, s10, v1
	v_mul_lo_u32 v1, v1, s8
	v_sub_u32_e32 v1, v4, v1
	v_mad_u64_u32 v[12:13], s[6:7], v1, s2, v[12:13]
	v_mad_u64_u32 v[14:15], s[2:3], v1, s3, v[14:15]
.LBB133_86:
	s_and_b64 vcc, exec, s[0:1]
	v_add_u32_e32 v1, 0x280, v19
	s_cbranch_vccnz .LBB133_92
; %bb.87:
	s_cmp_lg_u32 s33, 0
	s_mov_b32 s28, 0
	s_cbranch_scc0 .LBB133_93
; %bb.88:
	s_min_u32 s29, s58, 15
	s_add_i32 s29, s29, 1
	s_cmp_eq_u32 s58, 2
	s_cbranch_scc1 .LBB133_94
; %bb.89:
	s_and_b32 s28, s29, 28
	s_add_u32 s2, s34, 0xc4
	s_addc_u32 s3, s35, 0
	v_mov_b32_e32 v17, 0
	s_mov_b32 s30, 0
	s_mov_b64 s[6:7], s[34:35]
	v_mov_b32_e32 v15, 0
	v_mov_b32_e32 v4, v1
.LBB133_90:                             ; =>This Inner Loop Header: Depth=1
	s_load_dwordx8 s[16:23], s[6:7], 0x4
	s_load_dwordx4 s[24:27], s[6:7], 0x24
	s_load_dwordx8 s[8:15], s[2:3], 0x0
	s_add_u32 s6, s6, 48
	s_addc_u32 s7, s7, 0
	s_waitcnt lgkmcnt(0)
	v_mul_hi_u32 v7, s17, v4
	s_add_i32 s30, s30, 4
	s_add_u32 s2, s2, 32
	s_addc_u32 s3, s3, 0
	v_add_u32_e32 v7, v4, v7
	v_lshrrev_b32_e32 v7, s18, v7
	v_mul_lo_u32 v10, v7, s16
	v_mul_hi_u32 v13, s20, v7
	s_cmp_lg_u32 s28, s30
	v_sub_u32_e32 v4, v4, v10
	v_add_u32_e32 v10, v7, v13
	v_mul_lo_u32 v13, v4, s8
	v_mul_lo_u32 v16, v4, s9
	v_lshrrev_b32_e32 v4, s21, v10
	v_mul_lo_u32 v10, v4, s19
	v_mul_hi_u32 v18, s23, v4
	v_sub_u32_e32 v7, v7, v10
	v_add_u32_e32 v10, v4, v18
	v_lshrrev_b32_e32 v10, s24, v10
	v_mul_hi_u32 v20, s26, v10
	v_mul_lo_u32 v21, v10, s22
	v_mul_lo_u32 v18, v7, s10
	;; [unrolled: 1-line block ×3, first 2 shown]
	v_sub_u32_e32 v21, v4, v21
	v_add_u32_e32 v4, v10, v20
	v_lshrrev_b32_e32 v4, s27, v4
	v_mul_lo_u32 v20, v4, s25
	v_mul_lo_u32 v22, v21, s12
	;; [unrolled: 1-line block ×3, first 2 shown]
	v_add3_u32 v13, v13, v15, v18
	v_sub_u32_e32 v10, v10, v20
	v_mul_lo_u32 v20, v10, s14
	v_mul_lo_u32 v10, v10, s15
	v_add3_u32 v7, v16, v17, v7
	v_add3_u32 v15, v22, v13, v20
	;; [unrolled: 1-line block ×3, first 2 shown]
	s_cbranch_scc1 .LBB133_90
; %bb.91:
	s_and_b32 s8, s29, 3
	s_cmp_eq_u32 s8, 0
	s_cbranch_scc0 .LBB133_95
	s_branch .LBB133_97
.LBB133_92:
                                        ; implicit-def: $vgpr15
                                        ; implicit-def: $vgpr17
	s_branch .LBB133_98
.LBB133_93:
	v_mov_b32_e32 v15, 0
	v_mov_b32_e32 v17, 0
	s_branch .LBB133_97
.LBB133_94:
	v_mov_b32_e32 v15, 0
	v_mov_b32_e32 v17, 0
	;; [unrolled: 1-line block ×3, first 2 shown]
	s_and_b32 s8, s29, 3
	s_cmp_eq_u32 s8, 0
	s_cbranch_scc1 .LBB133_97
.LBB133_95:
	s_lshl_b32 s2, s28, 3
	s_add_u32 s2, s34, s2
	s_addc_u32 s3, s35, 0
	s_add_u32 s2, s2, 0xc4
	s_addc_u32 s3, s3, 0
	s_mul_i32 s6, s28, 12
	s_add_u32 s6, s34, s6
	s_addc_u32 s7, s35, 0
.LBB133_96:                             ; =>This Inner Loop Header: Depth=1
	s_load_dwordx2 s[10:11], s[6:7], 0x4
	s_load_dword s9, s[6:7], 0xc
	s_load_dwordx2 s[12:13], s[2:3], 0x0
	s_add_u32 s6, s6, 12
	s_addc_u32 s7, s7, 0
	s_waitcnt lgkmcnt(0)
	v_mul_hi_u32 v7, s11, v4
	s_add_u32 s2, s2, 8
	s_addc_u32 s3, s3, 0
	s_add_i32 s8, s8, -1
	v_add_u32_e32 v7, v4, v7
	v_lshrrev_b32_e32 v7, s9, v7
	v_mul_lo_u32 v10, v7, s10
	s_cmp_lg_u32 s8, 0
	v_sub_u32_e32 v4, v4, v10
	v_mad_u64_u32 v[15:16], s[10:11], v4, s12, v[15:16]
	v_mad_u64_u32 v[17:18], s[10:11], v4, s13, v[17:18]
	v_mov_b32_e32 v4, v7
	s_cbranch_scc1 .LBB133_96
.LBB133_97:
	s_cbranch_execnz .LBB133_100
.LBB133_98:
	s_load_dwordx4 s[8:11], s[34:35], 0x4
	s_load_dwordx2 s[2:3], s[34:35], 0xc4
	s_cmp_lt_u32 s33, 2
	s_waitcnt lgkmcnt(0)
	v_mul_hi_u32 v4, s9, v1
	v_add_u32_e32 v4, v1, v4
	v_lshrrev_b32_e32 v4, s10, v4
	v_mul_lo_u32 v7, v4, s8
	v_sub_u32_e32 v1, v1, v7
	v_mul_lo_u32 v15, v1, s2
	v_mul_lo_u32 v17, v1, s3
	s_cbranch_scc1 .LBB133_100
; %bb.99:
	s_load_dwordx4 s[8:11], s[34:35], 0x10
	s_load_dwordx2 s[2:3], s[34:35], 0xcc
	s_waitcnt lgkmcnt(0)
	v_mul_hi_u32 v1, s9, v4
	v_add_u32_e32 v1, v4, v1
	v_lshrrev_b32_e32 v1, s10, v1
	v_mul_lo_u32 v1, v1, s8
	v_sub_u32_e32 v1, v4, v1
	v_mad_u64_u32 v[15:16], s[6:7], v1, s2, v[15:16]
	v_mad_u64_u32 v[17:18], s[2:3], v1, s3, v[17:18]
.LBB133_100:
	s_and_b64 vcc, exec, s[0:1]
	v_add_u32_e32 v1, 0x300, v19
	s_cbranch_vccnz .LBB133_106
; %bb.101:
	s_cmp_lg_u32 s33, 0
	s_mov_b32 s28, 0
	s_cbranch_scc0 .LBB133_107
; %bb.102:
	s_min_u32 s29, s58, 15
	s_add_i32 s29, s29, 1
	s_cmp_eq_u32 s58, 2
	s_cbranch_scc1 .LBB133_108
; %bb.103:
	s_and_b32 s28, s29, 28
	s_add_u32 s2, s34, 0xc4
	s_addc_u32 s3, s35, 0
	v_mov_b32_e32 v20, 0
	s_mov_b32 s30, 0
	s_mov_b64 s[6:7], s[34:35]
	v_mov_b32_e32 v18, 0
	v_mov_b32_e32 v4, v1
.LBB133_104:                            ; =>This Inner Loop Header: Depth=1
	s_load_dwordx8 s[16:23], s[6:7], 0x4
	s_load_dwordx4 s[24:27], s[6:7], 0x24
	s_load_dwordx8 s[8:15], s[2:3], 0x0
	s_add_u32 s6, s6, 48
	s_addc_u32 s7, s7, 0
	s_waitcnt lgkmcnt(0)
	v_mul_hi_u32 v7, s17, v4
	s_add_i32 s30, s30, 4
	s_add_u32 s2, s2, 32
	s_addc_u32 s3, s3, 0
	v_add_u32_e32 v7, v4, v7
	v_lshrrev_b32_e32 v7, s18, v7
	v_mul_lo_u32 v10, v7, s16
	v_mul_hi_u32 v13, s20, v7
	s_cmp_lg_u32 s28, s30
	v_sub_u32_e32 v4, v4, v10
	v_add_u32_e32 v10, v7, v13
	v_mul_lo_u32 v13, v4, s8
	v_mul_lo_u32 v16, v4, s9
	v_lshrrev_b32_e32 v4, s21, v10
	v_mul_lo_u32 v10, v4, s19
	v_mul_hi_u32 v19, s23, v4
	v_sub_u32_e32 v7, v7, v10
	v_add_u32_e32 v10, v4, v19
	v_lshrrev_b32_e32 v10, s24, v10
	v_mul_hi_u32 v21, s26, v10
	v_mul_lo_u32 v22, v10, s22
	v_mul_lo_u32 v19, v7, s10
	;; [unrolled: 1-line block ×3, first 2 shown]
	v_sub_u32_e32 v22, v4, v22
	v_add_u32_e32 v4, v10, v21
	v_lshrrev_b32_e32 v4, s27, v4
	v_mul_lo_u32 v21, v4, s25
	v_mul_lo_u32 v23, v22, s12
	;; [unrolled: 1-line block ×3, first 2 shown]
	v_add3_u32 v13, v13, v18, v19
	v_sub_u32_e32 v10, v10, v21
	v_mul_lo_u32 v21, v10, s14
	v_mul_lo_u32 v10, v10, s15
	v_add3_u32 v7, v16, v20, v7
	v_add3_u32 v18, v23, v13, v21
	;; [unrolled: 1-line block ×3, first 2 shown]
	s_cbranch_scc1 .LBB133_104
; %bb.105:
	s_and_b32 s8, s29, 3
	s_cmp_eq_u32 s8, 0
	s_cbranch_scc0 .LBB133_109
	s_branch .LBB133_111
.LBB133_106:
                                        ; implicit-def: $vgpr18
                                        ; implicit-def: $vgpr20
	s_branch .LBB133_112
.LBB133_107:
	v_mov_b32_e32 v18, 0
	v_mov_b32_e32 v20, 0
	s_branch .LBB133_111
.LBB133_108:
	v_mov_b32_e32 v18, 0
	v_mov_b32_e32 v20, 0
	;; [unrolled: 1-line block ×3, first 2 shown]
	s_and_b32 s8, s29, 3
	s_cmp_eq_u32 s8, 0
	s_cbranch_scc1 .LBB133_111
.LBB133_109:
	s_lshl_b32 s2, s28, 3
	s_add_u32 s2, s34, s2
	s_addc_u32 s3, s35, 0
	s_add_u32 s2, s2, 0xc4
	s_addc_u32 s3, s3, 0
	s_mul_i32 s6, s28, 12
	s_add_u32 s6, s34, s6
	s_addc_u32 s7, s35, 0
.LBB133_110:                            ; =>This Inner Loop Header: Depth=1
	s_load_dwordx2 s[10:11], s[6:7], 0x4
	s_load_dword s9, s[6:7], 0xc
	s_load_dwordx2 s[12:13], s[2:3], 0x0
	s_add_u32 s6, s6, 12
	s_addc_u32 s7, s7, 0
	s_waitcnt lgkmcnt(0)
	v_mul_hi_u32 v7, s11, v4
	s_add_u32 s2, s2, 8
	s_addc_u32 s3, s3, 0
	s_add_i32 s8, s8, -1
	v_add_u32_e32 v7, v4, v7
	v_lshrrev_b32_e32 v7, s9, v7
	v_mul_lo_u32 v10, v7, s10
	s_cmp_lg_u32 s8, 0
	v_sub_u32_e32 v4, v4, v10
	v_mad_u64_u32 v[18:19], s[10:11], v4, s12, v[18:19]
	v_mad_u64_u32 v[20:21], s[10:11], v4, s13, v[20:21]
	v_mov_b32_e32 v4, v7
	s_cbranch_scc1 .LBB133_110
.LBB133_111:
	s_cbranch_execnz .LBB133_114
.LBB133_112:
	s_load_dwordx4 s[8:11], s[34:35], 0x4
	s_load_dwordx2 s[2:3], s[34:35], 0xc4
	s_cmp_lt_u32 s33, 2
	s_waitcnt lgkmcnt(0)
	v_mul_hi_u32 v4, s9, v1
	v_add_u32_e32 v4, v1, v4
	v_lshrrev_b32_e32 v4, s10, v4
	v_mul_lo_u32 v7, v4, s8
	v_sub_u32_e32 v1, v1, v7
	v_mul_lo_u32 v18, v1, s2
	v_mul_lo_u32 v20, v1, s3
	s_cbranch_scc1 .LBB133_114
; %bb.113:
	s_load_dwordx4 s[8:11], s[34:35], 0x10
	s_load_dwordx2 s[2:3], s[34:35], 0xcc
	s_waitcnt lgkmcnt(0)
	v_mul_hi_u32 v1, s9, v4
	v_add_u32_e32 v1, v4, v1
	v_lshrrev_b32_e32 v1, s10, v1
	v_mul_lo_u32 v1, v1, s8
	v_sub_u32_e32 v1, v4, v1
	v_mad_u64_u32 v[18:19], s[6:7], v1, s2, v[18:19]
	v_mad_u64_u32 v[20:21], s[2:3], v1, s3, v[20:21]
.LBB133_114:
	s_and_b64 vcc, exec, s[0:1]
	s_cbranch_vccnz .LBB133_120
; %bb.115:
	s_cmp_lg_u32 s33, 0
	s_mov_b32 s26, 0
	s_cbranch_scc0 .LBB133_121
; %bb.116:
	s_min_u32 s27, s58, 15
	s_add_i32 s27, s27, 1
	s_cmp_eq_u32 s58, 2
	s_cbranch_scc1 .LBB133_122
; %bb.117:
	s_and_b32 s26, s27, 28
	s_add_u32 s6, s34, 0xc4
	s_addc_u32 s7, s35, 0
	v_mov_b32_e32 v23, 0
	s_mov_b32 s28, 0
	s_mov_b64 s[24:25], s[34:35]
	v_mov_b32_e32 v21, 0
	v_mov_b32_e32 v1, v25
.LBB133_118:                            ; =>This Inner Loop Header: Depth=1
	s_load_dwordx8 s[16:23], s[24:25], 0x4
	s_load_dwordx4 s[0:3], s[24:25], 0x24
	s_load_dwordx8 s[8:15], s[6:7], 0x0
	s_add_u32 s24, s24, 48
	s_addc_u32 s25, s25, 0
	s_waitcnt lgkmcnt(0)
	v_mul_hi_u32 v4, s17, v1
	s_add_i32 s28, s28, 4
	s_add_u32 s6, s6, 32
	s_addc_u32 s7, s7, 0
	v_add_u32_e32 v4, v1, v4
	v_lshrrev_b32_e32 v4, s18, v4
	v_mul_lo_u32 v7, v4, s16
	v_mul_hi_u32 v10, s20, v4
	s_cmp_lg_u32 s26, s28
	v_sub_u32_e32 v1, v1, v7
	v_add_u32_e32 v7, v4, v10
	v_mul_lo_u32 v10, v1, s8
	v_mul_lo_u32 v13, v1, s9
	v_lshrrev_b32_e32 v1, s21, v7
	v_mul_lo_u32 v7, v1, s19
	v_mul_hi_u32 v16, s23, v1
	v_sub_u32_e32 v4, v4, v7
	v_add_u32_e32 v7, v1, v16
	v_lshrrev_b32_e32 v7, s0, v7
	v_mul_hi_u32 v19, s2, v7
	v_mul_lo_u32 v22, v7, s22
	v_mul_lo_u32 v16, v4, s10
	;; [unrolled: 1-line block ×3, first 2 shown]
	v_sub_u32_e32 v22, v1, v22
	v_add_u32_e32 v1, v7, v19
	v_lshrrev_b32_e32 v1, s3, v1
	v_mul_lo_u32 v19, v1, s1
	v_mul_lo_u32 v24, v22, s12
	;; [unrolled: 1-line block ×3, first 2 shown]
	v_add3_u32 v10, v10, v21, v16
	v_sub_u32_e32 v7, v7, v19
	v_mul_lo_u32 v19, v7, s14
	v_mul_lo_u32 v7, v7, s15
	v_add3_u32 v4, v13, v23, v4
	v_add3_u32 v21, v24, v10, v19
	;; [unrolled: 1-line block ×3, first 2 shown]
	s_cbranch_scc1 .LBB133_118
; %bb.119:
	s_and_b32 s6, s27, 3
	s_cmp_eq_u32 s6, 0
	s_cbranch_scc0 .LBB133_123
	s_branch .LBB133_125
.LBB133_120:
                                        ; implicit-def: $vgpr21
                                        ; implicit-def: $vgpr23
	s_branch .LBB133_126
.LBB133_121:
	v_mov_b32_e32 v21, 0
	v_mov_b32_e32 v23, 0
	s_branch .LBB133_125
.LBB133_122:
	v_mov_b32_e32 v21, 0
	v_mov_b32_e32 v23, 0
	;; [unrolled: 1-line block ×3, first 2 shown]
	s_and_b32 s6, s27, 3
	s_cmp_eq_u32 s6, 0
	s_cbranch_scc1 .LBB133_125
.LBB133_123:
	s_lshl_b32 s0, s26, 3
	s_add_u32 s0, s34, s0
	s_addc_u32 s1, s35, 0
	s_add_u32 s0, s0, 0xc4
	s_addc_u32 s1, s1, 0
	s_mul_i32 s2, s26, 12
	s_add_u32 s2, s34, s2
	s_addc_u32 s3, s35, 0
.LBB133_124:                            ; =>This Inner Loop Header: Depth=1
	s_load_dwordx2 s[8:9], s[2:3], 0x4
	s_load_dword s7, s[2:3], 0xc
	s_load_dwordx2 s[10:11], s[0:1], 0x0
	s_add_u32 s2, s2, 12
	s_addc_u32 s3, s3, 0
	s_waitcnt lgkmcnt(0)
	v_mul_hi_u32 v4, s9, v1
	s_add_u32 s0, s0, 8
	s_addc_u32 s1, s1, 0
	s_add_i32 s6, s6, -1
	v_add_u32_e32 v4, v1, v4
	v_lshrrev_b32_e32 v4, s7, v4
	v_mul_lo_u32 v7, v4, s8
	s_cmp_lg_u32 s6, 0
	v_sub_u32_e32 v1, v1, v7
	v_mad_u64_u32 v[21:22], s[8:9], v1, s10, v[21:22]
	v_mad_u64_u32 v[23:24], s[8:9], v1, s11, v[23:24]
	v_mov_b32_e32 v1, v4
	s_cbranch_scc1 .LBB133_124
.LBB133_125:
	s_cbranch_execnz .LBB133_128
.LBB133_126:
	s_load_dwordx4 s[0:3], s[34:35], 0x4
	s_load_dwordx2 s[6:7], s[34:35], 0xc4
	s_cmp_lt_u32 s33, 2
	s_waitcnt lgkmcnt(0)
	v_mul_hi_u32 v1, s1, v25
	v_add_u32_e32 v1, v25, v1
	v_lshrrev_b32_e32 v1, s2, v1
	v_mul_lo_u32 v4, v1, s0
	v_sub_u32_e32 v4, v25, v4
	v_mul_lo_u32 v21, v4, s6
	v_mul_lo_u32 v23, v4, s7
	s_cbranch_scc1 .LBB133_128
; %bb.127:
	s_load_dwordx4 s[0:3], s[34:35], 0x10
	s_load_dwordx2 s[6:7], s[34:35], 0xcc
	s_waitcnt lgkmcnt(0)
	v_mul_hi_u32 v4, s1, v1
	v_add_u32_e32 v4, v1, v4
	v_lshrrev_b32_e32 v4, s2, v4
	v_mul_lo_u32 v4, v4, s0
	v_sub_u32_e32 v1, v1, v4
	v_mad_u64_u32 v[21:22], s[0:1], v1, s6, v[21:22]
	v_mad_u64_u32 v[23:24], s[0:1], v1, s7, v[23:24]
.LBB133_128:
	s_load_dwordx4 s[0:3], s[34:35], 0x148
	s_load_dword s6, s[4:5], 0x160
	s_waitcnt lgkmcnt(0)
	global_load_ubyte v1, v2, s[2:3]
	global_load_ubyte v4, v5, s[2:3]
	;; [unrolled: 1-line block ×8, first 2 shown]
	s_bfe_u32 s2, s6, 0x80008
	s_cmp_gt_u32 s2, 7
	s_waitcnt vmcnt(7)
	v_lshrrev_b16_e32 v1, s2, v1
	s_waitcnt vmcnt(6)
	v_lshrrev_b16_e32 v2, s2, v4
	;; [unrolled: 2-line block ×8, first 2 shown]
	s_cselect_b64 s[2:3], -1, 0
	v_cndmask_b32_e64 v1, v1, 0, s[2:3]
	v_cndmask_b32_e64 v2, v2, 0, s[2:3]
	;; [unrolled: 1-line block ×8, first 2 shown]
	global_store_byte v0, v1, s[0:1]
	global_store_byte v3, v2, s[0:1]
	;; [unrolled: 1-line block ×8, first 2 shown]
	s_endpgm
.LBB133_129:
	v_mov_b32_e32 v0, 0
	v_mov_b32_e32 v2, 0
	s_branch .LBB133_135
.LBB133_130:
	v_mov_b32_e32 v0, 0
	v_mov_b32_e32 v2, 0
	s_branch .LBB133_151
.LBB133_131:
	s_mov_b32 s62, 0
	v_mov_b32_e32 v0, 0
	v_mov_b32_e32 v2, 0
	;; [unrolled: 1-line block ×3, first 2 shown]
.LBB133_132:
	s_and_b32 s12, s63, 3
	s_cmp_eq_u32 s12, 0
	s_cbranch_scc1 .LBB133_135
; %bb.133:
	s_lshl_b32 s8, s62, 3
	s_add_u32 s8, s34, s8
	s_addc_u32 s9, s35, 0
	s_add_u32 s8, s8, 0xc4
	s_addc_u32 s9, s9, 0
	s_mul_i32 s10, s62, 12
	s_add_u32 s10, s34, s10
	s_addc_u32 s11, s35, 0
.LBB133_134:                            ; =>This Inner Loop Header: Depth=1
	s_load_dwordx2 s[14:15], s[10:11], 0x4
	s_load_dword s13, s[10:11], 0xc
	s_load_dwordx2 s[16:17], s[8:9], 0x0
	s_add_u32 s10, s10, 12
	s_addc_u32 s11, s11, 0
	s_waitcnt lgkmcnt(0)
	v_mul_hi_u32 v3, s15, v1
	s_add_u32 s8, s8, 8
	s_addc_u32 s9, s9, 0
	s_add_i32 s12, s12, -1
	v_add_u32_e32 v3, v1, v3
	v_lshrrev_b32_e32 v4, s13, v3
	v_mul_lo_u32 v3, v4, s14
	s_cmp_lg_u32 s12, 0
	v_sub_u32_e32 v3, v1, v3
	v_mad_u64_u32 v[0:1], s[14:15], v3, s16, v[0:1]
	v_mad_u64_u32 v[2:3], s[14:15], v3, s17, v[2:3]
	v_mov_b32_e32 v1, v4
	s_cbranch_scc1 .LBB133_134
.LBB133_135:
	s_cbranch_execnz .LBB133_138
.LBB133_136:
	v_mul_hi_u32 v0, s25, v19
	s_andn2_b64 vcc, exec, s[46:47]
	v_add_u32_e32 v0, v19, v0
	v_lshrrev_b32_e32 v1, s26, v0
	v_mul_lo_u32 v0, v1, s24
	v_sub_u32_e32 v2, v19, v0
	v_mul_lo_u32 v0, v2, s28
	v_mul_lo_u32 v2, v2, s29
	s_cbranch_vccnz .LBB133_138
; %bb.137:
	v_mul_hi_u32 v3, s44, v1
	v_add_u32_e32 v3, v1, v3
	v_lshrrev_b32_e32 v3, s45, v3
	v_mul_lo_u32 v3, v3, s27
	v_sub_u32_e32 v3, v1, v3
	v_mad_u64_u32 v[0:1], s[8:9], v3, s30, v[0:1]
	v_mad_u64_u32 v[2:3], s[8:9], v3, s31, v[2:3]
.LBB133_138:
	global_load_ubyte v1, v2, s[2:3]
	s_and_b32 s8, s59, 0xff
	v_add_u32_e32 v19, 0x80, v19
	s_waitcnt vmcnt(0)
	v_lshrrev_b16_e32 v1, s8, v1
	v_cndmask_b32_e64 v1, v1, 0, s[42:43]
	global_store_byte v0, v1, s[0:1]
	s_or_b64 exec, exec, s[52:53]
	v_cmp_gt_i32_e32 vcc, s60, v19
	s_and_saveexec_b64 s[52:53], vcc
	s_cbranch_execnz .LBB133_15
.LBB133_139:
	s_or_b64 exec, exec, s[52:53]
	v_cmp_gt_i32_e32 vcc, s60, v19
	s_and_saveexec_b64 s[52:53], vcc
	s_cbranch_execz .LBB133_155
.LBB133_140:
	s_andn2_b64 vcc, exec, s[6:7]
	s_cbranch_vccnz .LBB133_145
; %bb.141:
	s_andn2_b64 vcc, exec, s[50:51]
	s_cbranch_vccnz .LBB133_146
; %bb.142:
	s_add_i32 s63, s61, 1
	s_cmp_eq_u32 s58, 2
	s_cbranch_scc1 .LBB133_163
; %bb.143:
	s_and_b32 s62, s63, 28
	v_mov_b32_e32 v2, 0
	s_mov_b32 s64, 0
	s_mov_b64 s[54:55], s[34:35]
	s_mov_b64 s[56:57], s[48:49]
	v_mov_b32_e32 v0, 0
	v_mov_b32_e32 v1, v19
.LBB133_144:                            ; =>This Inner Loop Header: Depth=1
	s_load_dwordx8 s[16:23], s[54:55], 0x4
	s_load_dwordx4 s[36:39], s[54:55], 0x24
	s_load_dwordx8 s[8:15], s[56:57], 0x0
	s_add_u32 s54, s54, 48
	s_addc_u32 s55, s55, 0
	s_waitcnt lgkmcnt(0)
	v_mul_hi_u32 v3, s17, v1
	s_add_i32 s64, s64, 4
	s_add_u32 s56, s56, 32
	s_addc_u32 s57, s57, 0
	v_add_u32_e32 v3, v1, v3
	v_lshrrev_b32_e32 v3, s18, v3
	v_mul_lo_u32 v4, v3, s16
	v_mul_hi_u32 v5, s20, v3
	s_cmp_eq_u32 s62, s64
	v_sub_u32_e32 v1, v1, v4
	v_add_u32_e32 v4, v3, v5
	v_mul_lo_u32 v5, v1, s8
	v_mul_lo_u32 v6, v1, s9
	v_lshrrev_b32_e32 v1, s21, v4
	v_mul_lo_u32 v4, v1, s19
	v_mul_hi_u32 v7, s23, v1
	v_sub_u32_e32 v3, v3, v4
	v_add_u32_e32 v4, v1, v7
	v_lshrrev_b32_e32 v4, s36, v4
	v_mul_hi_u32 v8, s38, v4
	v_mul_lo_u32 v9, v4, s22
	v_mul_lo_u32 v7, v3, s10
	;; [unrolled: 1-line block ×3, first 2 shown]
	v_sub_u32_e32 v9, v1, v9
	v_add_u32_e32 v1, v4, v8
	v_lshrrev_b32_e32 v1, s39, v1
	v_mul_lo_u32 v8, v1, s37
	v_mul_lo_u32 v10, v9, s12
	;; [unrolled: 1-line block ×3, first 2 shown]
	v_add3_u32 v0, v5, v0, v7
	v_sub_u32_e32 v4, v4, v8
	v_mul_lo_u32 v8, v4, s14
	v_mul_lo_u32 v4, v4, s15
	v_add3_u32 v2, v6, v2, v3
	v_add3_u32 v0, v10, v0, v8
	;; [unrolled: 1-line block ×3, first 2 shown]
	s_cbranch_scc0 .LBB133_144
	s_branch .LBB133_164
.LBB133_145:
                                        ; implicit-def: $vgpr0
                                        ; implicit-def: $vgpr2
	s_branch .LBB133_168
.LBB133_146:
	v_mov_b32_e32 v0, 0
	v_mov_b32_e32 v2, 0
	s_branch .LBB133_167
.LBB133_147:
	s_mov_b32 s62, 0
	v_mov_b32_e32 v0, 0
	v_mov_b32_e32 v2, 0
	;; [unrolled: 1-line block ×3, first 2 shown]
.LBB133_148:
	s_and_b32 s12, s63, 3
	s_cmp_eq_u32 s12, 0
	s_cbranch_scc1 .LBB133_151
; %bb.149:
	s_lshl_b32 s8, s62, 3
	s_add_u32 s8, s34, s8
	s_addc_u32 s9, s35, 0
	s_add_u32 s8, s8, 0xc4
	s_addc_u32 s9, s9, 0
	s_mul_i32 s10, s62, 12
	s_add_u32 s10, s34, s10
	s_addc_u32 s11, s35, 0
.LBB133_150:                            ; =>This Inner Loop Header: Depth=1
	s_load_dwordx2 s[14:15], s[10:11], 0x4
	s_load_dword s13, s[10:11], 0xc
	s_load_dwordx2 s[16:17], s[8:9], 0x0
	s_add_u32 s10, s10, 12
	s_addc_u32 s11, s11, 0
	s_waitcnt lgkmcnt(0)
	v_mul_hi_u32 v3, s15, v1
	s_add_u32 s8, s8, 8
	s_addc_u32 s9, s9, 0
	s_add_i32 s12, s12, -1
	v_add_u32_e32 v3, v1, v3
	v_lshrrev_b32_e32 v4, s13, v3
	v_mul_lo_u32 v3, v4, s14
	s_cmp_lg_u32 s12, 0
	v_sub_u32_e32 v3, v1, v3
	v_mad_u64_u32 v[0:1], s[14:15], v3, s16, v[0:1]
	v_mad_u64_u32 v[2:3], s[14:15], v3, s17, v[2:3]
	v_mov_b32_e32 v1, v4
	s_cbranch_scc1 .LBB133_150
.LBB133_151:
	s_cbranch_execnz .LBB133_154
.LBB133_152:
	v_mul_hi_u32 v0, s25, v19
	s_andn2_b64 vcc, exec, s[46:47]
	v_add_u32_e32 v0, v19, v0
	v_lshrrev_b32_e32 v1, s26, v0
	v_mul_lo_u32 v0, v1, s24
	v_sub_u32_e32 v2, v19, v0
	v_mul_lo_u32 v0, v2, s28
	v_mul_lo_u32 v2, v2, s29
	s_cbranch_vccnz .LBB133_154
; %bb.153:
	v_mul_hi_u32 v3, s44, v1
	v_add_u32_e32 v3, v1, v3
	v_lshrrev_b32_e32 v3, s45, v3
	v_mul_lo_u32 v3, v3, s27
	v_sub_u32_e32 v3, v1, v3
	v_mad_u64_u32 v[0:1], s[8:9], v3, s30, v[0:1]
	v_mad_u64_u32 v[2:3], s[8:9], v3, s31, v[2:3]
.LBB133_154:
	global_load_ubyte v1, v2, s[2:3]
	s_and_b32 s8, s59, 0xff
	v_add_u32_e32 v19, 0x80, v19
	s_waitcnt vmcnt(0)
	v_lshrrev_b16_e32 v1, s8, v1
	v_cndmask_b32_e64 v1, v1, 0, s[42:43]
	global_store_byte v0, v1, s[0:1]
	s_or_b64 exec, exec, s[52:53]
	v_cmp_gt_i32_e32 vcc, s60, v19
	s_and_saveexec_b64 s[52:53], vcc
	s_cbranch_execnz .LBB133_140
.LBB133_155:
	s_or_b64 exec, exec, s[52:53]
	v_cmp_gt_i32_e32 vcc, s60, v19
	s_and_saveexec_b64 s[52:53], vcc
	s_cbranch_execz .LBB133_171
.LBB133_156:
	s_andn2_b64 vcc, exec, s[6:7]
	s_cbranch_vccnz .LBB133_161
; %bb.157:
	s_andn2_b64 vcc, exec, s[50:51]
	s_cbranch_vccnz .LBB133_162
; %bb.158:
	s_add_i32 s63, s61, 1
	s_cmp_eq_u32 s58, 2
	s_cbranch_scc1 .LBB133_179
; %bb.159:
	s_and_b32 s62, s63, 28
	v_mov_b32_e32 v2, 0
	s_mov_b32 s64, 0
	s_mov_b64 s[54:55], s[34:35]
	s_mov_b64 s[56:57], s[48:49]
	v_mov_b32_e32 v0, 0
	v_mov_b32_e32 v1, v19
.LBB133_160:                            ; =>This Inner Loop Header: Depth=1
	s_load_dwordx8 s[16:23], s[54:55], 0x4
	s_load_dwordx4 s[36:39], s[54:55], 0x24
	s_load_dwordx8 s[8:15], s[56:57], 0x0
	s_add_u32 s54, s54, 48
	s_addc_u32 s55, s55, 0
	s_waitcnt lgkmcnt(0)
	v_mul_hi_u32 v3, s17, v1
	s_add_i32 s64, s64, 4
	s_add_u32 s56, s56, 32
	s_addc_u32 s57, s57, 0
	v_add_u32_e32 v3, v1, v3
	v_lshrrev_b32_e32 v3, s18, v3
	v_mul_lo_u32 v4, v3, s16
	v_mul_hi_u32 v5, s20, v3
	s_cmp_eq_u32 s62, s64
	v_sub_u32_e32 v1, v1, v4
	v_add_u32_e32 v4, v3, v5
	v_mul_lo_u32 v5, v1, s8
	v_mul_lo_u32 v6, v1, s9
	v_lshrrev_b32_e32 v1, s21, v4
	v_mul_lo_u32 v4, v1, s19
	v_mul_hi_u32 v7, s23, v1
	v_sub_u32_e32 v3, v3, v4
	v_add_u32_e32 v4, v1, v7
	v_lshrrev_b32_e32 v4, s36, v4
	v_mul_hi_u32 v8, s38, v4
	v_mul_lo_u32 v9, v4, s22
	v_mul_lo_u32 v7, v3, s10
	;; [unrolled: 1-line block ×3, first 2 shown]
	v_sub_u32_e32 v9, v1, v9
	v_add_u32_e32 v1, v4, v8
	v_lshrrev_b32_e32 v1, s39, v1
	v_mul_lo_u32 v8, v1, s37
	v_mul_lo_u32 v10, v9, s12
	;; [unrolled: 1-line block ×3, first 2 shown]
	v_add3_u32 v0, v5, v0, v7
	v_sub_u32_e32 v4, v4, v8
	v_mul_lo_u32 v8, v4, s14
	v_mul_lo_u32 v4, v4, s15
	v_add3_u32 v2, v6, v2, v3
	v_add3_u32 v0, v10, v0, v8
	;; [unrolled: 1-line block ×3, first 2 shown]
	s_cbranch_scc0 .LBB133_160
	s_branch .LBB133_180
.LBB133_161:
                                        ; implicit-def: $vgpr0
                                        ; implicit-def: $vgpr2
	s_branch .LBB133_184
.LBB133_162:
	v_mov_b32_e32 v0, 0
	v_mov_b32_e32 v2, 0
	s_branch .LBB133_183
.LBB133_163:
	s_mov_b32 s62, 0
	v_mov_b32_e32 v0, 0
	v_mov_b32_e32 v2, 0
	;; [unrolled: 1-line block ×3, first 2 shown]
.LBB133_164:
	s_and_b32 s12, s63, 3
	s_cmp_eq_u32 s12, 0
	s_cbranch_scc1 .LBB133_167
; %bb.165:
	s_lshl_b32 s8, s62, 3
	s_add_u32 s8, s34, s8
	s_addc_u32 s9, s35, 0
	s_add_u32 s8, s8, 0xc4
	s_addc_u32 s9, s9, 0
	s_mul_i32 s10, s62, 12
	s_add_u32 s10, s34, s10
	s_addc_u32 s11, s35, 0
.LBB133_166:                            ; =>This Inner Loop Header: Depth=1
	s_load_dwordx2 s[14:15], s[10:11], 0x4
	s_load_dword s13, s[10:11], 0xc
	s_load_dwordx2 s[16:17], s[8:9], 0x0
	s_add_u32 s10, s10, 12
	s_addc_u32 s11, s11, 0
	s_waitcnt lgkmcnt(0)
	v_mul_hi_u32 v3, s15, v1
	s_add_u32 s8, s8, 8
	s_addc_u32 s9, s9, 0
	s_add_i32 s12, s12, -1
	v_add_u32_e32 v3, v1, v3
	v_lshrrev_b32_e32 v4, s13, v3
	v_mul_lo_u32 v3, v4, s14
	s_cmp_lg_u32 s12, 0
	v_sub_u32_e32 v3, v1, v3
	v_mad_u64_u32 v[0:1], s[14:15], v3, s16, v[0:1]
	v_mad_u64_u32 v[2:3], s[14:15], v3, s17, v[2:3]
	v_mov_b32_e32 v1, v4
	s_cbranch_scc1 .LBB133_166
.LBB133_167:
	s_cbranch_execnz .LBB133_170
.LBB133_168:
	v_mul_hi_u32 v0, s25, v19
	s_andn2_b64 vcc, exec, s[46:47]
	v_add_u32_e32 v0, v19, v0
	v_lshrrev_b32_e32 v1, s26, v0
	v_mul_lo_u32 v0, v1, s24
	v_sub_u32_e32 v2, v19, v0
	v_mul_lo_u32 v0, v2, s28
	v_mul_lo_u32 v2, v2, s29
	s_cbranch_vccnz .LBB133_170
; %bb.169:
	v_mul_hi_u32 v3, s44, v1
	v_add_u32_e32 v3, v1, v3
	v_lshrrev_b32_e32 v3, s45, v3
	v_mul_lo_u32 v3, v3, s27
	v_sub_u32_e32 v3, v1, v3
	v_mad_u64_u32 v[0:1], s[8:9], v3, s30, v[0:1]
	v_mad_u64_u32 v[2:3], s[8:9], v3, s31, v[2:3]
.LBB133_170:
	global_load_ubyte v1, v2, s[2:3]
	s_and_b32 s8, s59, 0xff
	v_add_u32_e32 v19, 0x80, v19
	s_waitcnt vmcnt(0)
	v_lshrrev_b16_e32 v1, s8, v1
	v_cndmask_b32_e64 v1, v1, 0, s[42:43]
	global_store_byte v0, v1, s[0:1]
	s_or_b64 exec, exec, s[52:53]
	v_cmp_gt_i32_e32 vcc, s60, v19
	s_and_saveexec_b64 s[52:53], vcc
	s_cbranch_execnz .LBB133_156
.LBB133_171:
	s_or_b64 exec, exec, s[52:53]
	v_cmp_gt_i32_e32 vcc, s60, v19
	s_and_saveexec_b64 s[52:53], vcc
	s_cbranch_execz .LBB133_187
.LBB133_172:
	s_andn2_b64 vcc, exec, s[6:7]
	s_cbranch_vccnz .LBB133_177
; %bb.173:
	s_andn2_b64 vcc, exec, s[50:51]
	s_cbranch_vccnz .LBB133_178
; %bb.174:
	s_add_i32 s63, s61, 1
	s_cmp_eq_u32 s58, 2
	s_cbranch_scc1 .LBB133_195
; %bb.175:
	s_and_b32 s62, s63, 28
	v_mov_b32_e32 v2, 0
	s_mov_b32 s64, 0
	s_mov_b64 s[54:55], s[34:35]
	s_mov_b64 s[56:57], s[48:49]
	v_mov_b32_e32 v0, 0
	v_mov_b32_e32 v1, v19
.LBB133_176:                            ; =>This Inner Loop Header: Depth=1
	s_load_dwordx8 s[16:23], s[54:55], 0x4
	s_load_dwordx4 s[36:39], s[54:55], 0x24
	s_load_dwordx8 s[8:15], s[56:57], 0x0
	s_add_u32 s54, s54, 48
	s_addc_u32 s55, s55, 0
	s_waitcnt lgkmcnt(0)
	v_mul_hi_u32 v3, s17, v1
	s_add_i32 s64, s64, 4
	s_add_u32 s56, s56, 32
	s_addc_u32 s57, s57, 0
	v_add_u32_e32 v3, v1, v3
	v_lshrrev_b32_e32 v3, s18, v3
	v_mul_lo_u32 v4, v3, s16
	v_mul_hi_u32 v5, s20, v3
	s_cmp_eq_u32 s62, s64
	v_sub_u32_e32 v1, v1, v4
	v_add_u32_e32 v4, v3, v5
	v_mul_lo_u32 v5, v1, s8
	v_mul_lo_u32 v6, v1, s9
	v_lshrrev_b32_e32 v1, s21, v4
	v_mul_lo_u32 v4, v1, s19
	v_mul_hi_u32 v7, s23, v1
	v_sub_u32_e32 v3, v3, v4
	v_add_u32_e32 v4, v1, v7
	v_lshrrev_b32_e32 v4, s36, v4
	v_mul_hi_u32 v8, s38, v4
	v_mul_lo_u32 v9, v4, s22
	v_mul_lo_u32 v7, v3, s10
	v_mul_lo_u32 v3, v3, s11
	v_sub_u32_e32 v9, v1, v9
	v_add_u32_e32 v1, v4, v8
	v_lshrrev_b32_e32 v1, s39, v1
	v_mul_lo_u32 v8, v1, s37
	v_mul_lo_u32 v10, v9, s12
	;; [unrolled: 1-line block ×3, first 2 shown]
	v_add3_u32 v0, v5, v0, v7
	v_sub_u32_e32 v4, v4, v8
	v_mul_lo_u32 v8, v4, s14
	v_mul_lo_u32 v4, v4, s15
	v_add3_u32 v2, v6, v2, v3
	v_add3_u32 v0, v10, v0, v8
	;; [unrolled: 1-line block ×3, first 2 shown]
	s_cbranch_scc0 .LBB133_176
	s_branch .LBB133_196
.LBB133_177:
                                        ; implicit-def: $vgpr0
                                        ; implicit-def: $vgpr2
	s_branch .LBB133_200
.LBB133_178:
	v_mov_b32_e32 v0, 0
	v_mov_b32_e32 v2, 0
	s_branch .LBB133_199
.LBB133_179:
	s_mov_b32 s62, 0
	v_mov_b32_e32 v0, 0
	v_mov_b32_e32 v2, 0
	;; [unrolled: 1-line block ×3, first 2 shown]
.LBB133_180:
	s_and_b32 s12, s63, 3
	s_cmp_eq_u32 s12, 0
	s_cbranch_scc1 .LBB133_183
; %bb.181:
	s_lshl_b32 s8, s62, 3
	s_add_u32 s8, s34, s8
	s_addc_u32 s9, s35, 0
	s_add_u32 s8, s8, 0xc4
	s_addc_u32 s9, s9, 0
	s_mul_i32 s10, s62, 12
	s_add_u32 s10, s34, s10
	s_addc_u32 s11, s35, 0
.LBB133_182:                            ; =>This Inner Loop Header: Depth=1
	s_load_dwordx2 s[14:15], s[10:11], 0x4
	s_load_dword s13, s[10:11], 0xc
	s_load_dwordx2 s[16:17], s[8:9], 0x0
	s_add_u32 s10, s10, 12
	s_addc_u32 s11, s11, 0
	s_waitcnt lgkmcnt(0)
	v_mul_hi_u32 v3, s15, v1
	s_add_u32 s8, s8, 8
	s_addc_u32 s9, s9, 0
	s_add_i32 s12, s12, -1
	v_add_u32_e32 v3, v1, v3
	v_lshrrev_b32_e32 v4, s13, v3
	v_mul_lo_u32 v3, v4, s14
	s_cmp_lg_u32 s12, 0
	v_sub_u32_e32 v3, v1, v3
	v_mad_u64_u32 v[0:1], s[14:15], v3, s16, v[0:1]
	v_mad_u64_u32 v[2:3], s[14:15], v3, s17, v[2:3]
	v_mov_b32_e32 v1, v4
	s_cbranch_scc1 .LBB133_182
.LBB133_183:
	s_cbranch_execnz .LBB133_186
.LBB133_184:
	v_mul_hi_u32 v0, s25, v19
	s_andn2_b64 vcc, exec, s[46:47]
	v_add_u32_e32 v0, v19, v0
	v_lshrrev_b32_e32 v1, s26, v0
	v_mul_lo_u32 v0, v1, s24
	v_sub_u32_e32 v2, v19, v0
	v_mul_lo_u32 v0, v2, s28
	v_mul_lo_u32 v2, v2, s29
	s_cbranch_vccnz .LBB133_186
; %bb.185:
	v_mul_hi_u32 v3, s44, v1
	v_add_u32_e32 v3, v1, v3
	v_lshrrev_b32_e32 v3, s45, v3
	v_mul_lo_u32 v3, v3, s27
	v_sub_u32_e32 v3, v1, v3
	v_mad_u64_u32 v[0:1], s[8:9], v3, s30, v[0:1]
	v_mad_u64_u32 v[2:3], s[8:9], v3, s31, v[2:3]
.LBB133_186:
	global_load_ubyte v1, v2, s[2:3]
	s_and_b32 s8, s59, 0xff
	v_add_u32_e32 v19, 0x80, v19
	s_waitcnt vmcnt(0)
	v_lshrrev_b16_e32 v1, s8, v1
	v_cndmask_b32_e64 v1, v1, 0, s[42:43]
	global_store_byte v0, v1, s[0:1]
	s_or_b64 exec, exec, s[52:53]
	v_cmp_gt_i32_e32 vcc, s60, v19
	s_and_saveexec_b64 s[52:53], vcc
	s_cbranch_execnz .LBB133_172
.LBB133_187:
	s_or_b64 exec, exec, s[52:53]
	v_cmp_gt_i32_e32 vcc, s60, v19
	s_and_saveexec_b64 s[52:53], vcc
	s_cbranch_execz .LBB133_203
.LBB133_188:
	s_andn2_b64 vcc, exec, s[6:7]
	s_cbranch_vccnz .LBB133_193
; %bb.189:
	s_andn2_b64 vcc, exec, s[50:51]
	s_cbranch_vccnz .LBB133_194
; %bb.190:
	s_add_i32 s63, s61, 1
	s_cmp_eq_u32 s58, 2
	s_cbranch_scc1 .LBB133_211
; %bb.191:
	s_and_b32 s62, s63, 28
	v_mov_b32_e32 v2, 0
	s_mov_b32 s64, 0
	s_mov_b64 s[54:55], s[34:35]
	s_mov_b64 s[56:57], s[48:49]
	v_mov_b32_e32 v0, 0
	v_mov_b32_e32 v1, v19
.LBB133_192:                            ; =>This Inner Loop Header: Depth=1
	s_load_dwordx8 s[16:23], s[54:55], 0x4
	s_load_dwordx4 s[36:39], s[54:55], 0x24
	s_load_dwordx8 s[8:15], s[56:57], 0x0
	s_add_u32 s54, s54, 48
	s_addc_u32 s55, s55, 0
	s_waitcnt lgkmcnt(0)
	v_mul_hi_u32 v3, s17, v1
	s_add_i32 s64, s64, 4
	s_add_u32 s56, s56, 32
	s_addc_u32 s57, s57, 0
	v_add_u32_e32 v3, v1, v3
	v_lshrrev_b32_e32 v3, s18, v3
	v_mul_lo_u32 v4, v3, s16
	v_mul_hi_u32 v5, s20, v3
	s_cmp_eq_u32 s62, s64
	v_sub_u32_e32 v1, v1, v4
	v_add_u32_e32 v4, v3, v5
	v_mul_lo_u32 v5, v1, s8
	v_mul_lo_u32 v6, v1, s9
	v_lshrrev_b32_e32 v1, s21, v4
	v_mul_lo_u32 v4, v1, s19
	v_mul_hi_u32 v7, s23, v1
	v_sub_u32_e32 v3, v3, v4
	v_add_u32_e32 v4, v1, v7
	v_lshrrev_b32_e32 v4, s36, v4
	v_mul_hi_u32 v8, s38, v4
	v_mul_lo_u32 v9, v4, s22
	v_mul_lo_u32 v7, v3, s10
	;; [unrolled: 1-line block ×3, first 2 shown]
	v_sub_u32_e32 v9, v1, v9
	v_add_u32_e32 v1, v4, v8
	v_lshrrev_b32_e32 v1, s39, v1
	v_mul_lo_u32 v8, v1, s37
	v_mul_lo_u32 v10, v9, s12
	;; [unrolled: 1-line block ×3, first 2 shown]
	v_add3_u32 v0, v5, v0, v7
	v_sub_u32_e32 v4, v4, v8
	v_mul_lo_u32 v8, v4, s14
	v_mul_lo_u32 v4, v4, s15
	v_add3_u32 v2, v6, v2, v3
	v_add3_u32 v0, v10, v0, v8
	;; [unrolled: 1-line block ×3, first 2 shown]
	s_cbranch_scc0 .LBB133_192
	s_branch .LBB133_212
.LBB133_193:
                                        ; implicit-def: $vgpr0
                                        ; implicit-def: $vgpr2
	s_branch .LBB133_216
.LBB133_194:
	v_mov_b32_e32 v0, 0
	v_mov_b32_e32 v2, 0
	s_branch .LBB133_215
.LBB133_195:
	s_mov_b32 s62, 0
	v_mov_b32_e32 v0, 0
	v_mov_b32_e32 v2, 0
	;; [unrolled: 1-line block ×3, first 2 shown]
.LBB133_196:
	s_and_b32 s12, s63, 3
	s_cmp_eq_u32 s12, 0
	s_cbranch_scc1 .LBB133_199
; %bb.197:
	s_lshl_b32 s8, s62, 3
	s_add_u32 s8, s34, s8
	s_addc_u32 s9, s35, 0
	s_add_u32 s8, s8, 0xc4
	s_addc_u32 s9, s9, 0
	s_mul_i32 s10, s62, 12
	s_add_u32 s10, s34, s10
	s_addc_u32 s11, s35, 0
.LBB133_198:                            ; =>This Inner Loop Header: Depth=1
	s_load_dwordx2 s[14:15], s[10:11], 0x4
	s_load_dword s13, s[10:11], 0xc
	s_load_dwordx2 s[16:17], s[8:9], 0x0
	s_add_u32 s10, s10, 12
	s_addc_u32 s11, s11, 0
	s_waitcnt lgkmcnt(0)
	v_mul_hi_u32 v3, s15, v1
	s_add_u32 s8, s8, 8
	s_addc_u32 s9, s9, 0
	s_add_i32 s12, s12, -1
	v_add_u32_e32 v3, v1, v3
	v_lshrrev_b32_e32 v4, s13, v3
	v_mul_lo_u32 v3, v4, s14
	s_cmp_lg_u32 s12, 0
	v_sub_u32_e32 v3, v1, v3
	v_mad_u64_u32 v[0:1], s[14:15], v3, s16, v[0:1]
	v_mad_u64_u32 v[2:3], s[14:15], v3, s17, v[2:3]
	v_mov_b32_e32 v1, v4
	s_cbranch_scc1 .LBB133_198
.LBB133_199:
	s_cbranch_execnz .LBB133_202
.LBB133_200:
	v_mul_hi_u32 v0, s25, v19
	s_andn2_b64 vcc, exec, s[46:47]
	v_add_u32_e32 v0, v19, v0
	v_lshrrev_b32_e32 v1, s26, v0
	v_mul_lo_u32 v0, v1, s24
	v_sub_u32_e32 v2, v19, v0
	v_mul_lo_u32 v0, v2, s28
	v_mul_lo_u32 v2, v2, s29
	s_cbranch_vccnz .LBB133_202
; %bb.201:
	v_mul_hi_u32 v3, s44, v1
	v_add_u32_e32 v3, v1, v3
	v_lshrrev_b32_e32 v3, s45, v3
	v_mul_lo_u32 v3, v3, s27
	v_sub_u32_e32 v3, v1, v3
	v_mad_u64_u32 v[0:1], s[8:9], v3, s30, v[0:1]
	v_mad_u64_u32 v[2:3], s[8:9], v3, s31, v[2:3]
.LBB133_202:
	global_load_ubyte v1, v2, s[2:3]
	s_and_b32 s8, s59, 0xff
	v_add_u32_e32 v19, 0x80, v19
	s_waitcnt vmcnt(0)
	v_lshrrev_b16_e32 v1, s8, v1
	v_cndmask_b32_e64 v1, v1, 0, s[42:43]
	global_store_byte v0, v1, s[0:1]
	s_or_b64 exec, exec, s[52:53]
	v_cmp_gt_i32_e32 vcc, s60, v19
	s_and_saveexec_b64 s[52:53], vcc
	s_cbranch_execnz .LBB133_188
.LBB133_203:
	s_or_b64 exec, exec, s[52:53]
	v_cmp_gt_i32_e32 vcc, s60, v19
	s_and_saveexec_b64 s[52:53], vcc
	s_cbranch_execz .LBB133_219
.LBB133_204:
	s_andn2_b64 vcc, exec, s[6:7]
	s_cbranch_vccnz .LBB133_209
; %bb.205:
	s_andn2_b64 vcc, exec, s[50:51]
	s_cbranch_vccnz .LBB133_210
; %bb.206:
	s_add_i32 s63, s61, 1
	s_cmp_eq_u32 s58, 2
	s_cbranch_scc1 .LBB133_222
; %bb.207:
	s_and_b32 s62, s63, 28
	v_mov_b32_e32 v2, 0
	s_mov_b32 s64, 0
	s_mov_b64 s[54:55], s[34:35]
	s_mov_b64 s[56:57], s[48:49]
	v_mov_b32_e32 v0, 0
	v_mov_b32_e32 v1, v19
.LBB133_208:                            ; =>This Inner Loop Header: Depth=1
	s_load_dwordx8 s[16:23], s[54:55], 0x4
	s_load_dwordx4 s[36:39], s[54:55], 0x24
	s_load_dwordx8 s[8:15], s[56:57], 0x0
	s_add_u32 s54, s54, 48
	s_addc_u32 s55, s55, 0
	s_waitcnt lgkmcnt(0)
	v_mul_hi_u32 v3, s17, v1
	s_add_i32 s64, s64, 4
	s_add_u32 s56, s56, 32
	s_addc_u32 s57, s57, 0
	v_add_u32_e32 v3, v1, v3
	v_lshrrev_b32_e32 v3, s18, v3
	v_mul_lo_u32 v4, v3, s16
	v_mul_hi_u32 v5, s20, v3
	s_cmp_eq_u32 s62, s64
	v_sub_u32_e32 v1, v1, v4
	v_add_u32_e32 v4, v3, v5
	v_mul_lo_u32 v5, v1, s8
	v_mul_lo_u32 v6, v1, s9
	v_lshrrev_b32_e32 v1, s21, v4
	v_mul_lo_u32 v4, v1, s19
	v_mul_hi_u32 v7, s23, v1
	v_sub_u32_e32 v3, v3, v4
	v_add_u32_e32 v4, v1, v7
	v_lshrrev_b32_e32 v4, s36, v4
	v_mul_hi_u32 v8, s38, v4
	v_mul_lo_u32 v9, v4, s22
	v_mul_lo_u32 v7, v3, s10
	;; [unrolled: 1-line block ×3, first 2 shown]
	v_sub_u32_e32 v9, v1, v9
	v_add_u32_e32 v1, v4, v8
	v_lshrrev_b32_e32 v1, s39, v1
	v_mul_lo_u32 v8, v1, s37
	v_mul_lo_u32 v10, v9, s12
	;; [unrolled: 1-line block ×3, first 2 shown]
	v_add3_u32 v0, v5, v0, v7
	v_sub_u32_e32 v4, v4, v8
	v_mul_lo_u32 v8, v4, s14
	v_mul_lo_u32 v4, v4, s15
	v_add3_u32 v2, v6, v2, v3
	v_add3_u32 v0, v10, v0, v8
	;; [unrolled: 1-line block ×3, first 2 shown]
	s_cbranch_scc0 .LBB133_208
	s_branch .LBB133_223
.LBB133_209:
                                        ; implicit-def: $vgpr0
                                        ; implicit-def: $vgpr2
	s_branch .LBB133_227
.LBB133_210:
	v_mov_b32_e32 v0, 0
	v_mov_b32_e32 v2, 0
	s_branch .LBB133_226
.LBB133_211:
	s_mov_b32 s62, 0
	v_mov_b32_e32 v0, 0
	v_mov_b32_e32 v2, 0
	;; [unrolled: 1-line block ×3, first 2 shown]
.LBB133_212:
	s_and_b32 s12, s63, 3
	s_cmp_eq_u32 s12, 0
	s_cbranch_scc1 .LBB133_215
; %bb.213:
	s_lshl_b32 s8, s62, 3
	s_add_u32 s8, s34, s8
	s_addc_u32 s9, s35, 0
	s_add_u32 s8, s8, 0xc4
	s_addc_u32 s9, s9, 0
	s_mul_i32 s10, s62, 12
	s_add_u32 s10, s34, s10
	s_addc_u32 s11, s35, 0
.LBB133_214:                            ; =>This Inner Loop Header: Depth=1
	s_load_dwordx2 s[14:15], s[10:11], 0x4
	s_load_dword s13, s[10:11], 0xc
	s_load_dwordx2 s[16:17], s[8:9], 0x0
	s_add_u32 s10, s10, 12
	s_addc_u32 s11, s11, 0
	s_waitcnt lgkmcnt(0)
	v_mul_hi_u32 v3, s15, v1
	s_add_u32 s8, s8, 8
	s_addc_u32 s9, s9, 0
	s_add_i32 s12, s12, -1
	v_add_u32_e32 v3, v1, v3
	v_lshrrev_b32_e32 v4, s13, v3
	v_mul_lo_u32 v3, v4, s14
	s_cmp_lg_u32 s12, 0
	v_sub_u32_e32 v3, v1, v3
	v_mad_u64_u32 v[0:1], s[14:15], v3, s16, v[0:1]
	v_mad_u64_u32 v[2:3], s[14:15], v3, s17, v[2:3]
	v_mov_b32_e32 v1, v4
	s_cbranch_scc1 .LBB133_214
.LBB133_215:
	s_cbranch_execnz .LBB133_218
.LBB133_216:
	v_mul_hi_u32 v0, s25, v19
	s_andn2_b64 vcc, exec, s[46:47]
	v_add_u32_e32 v0, v19, v0
	v_lshrrev_b32_e32 v1, s26, v0
	v_mul_lo_u32 v0, v1, s24
	v_sub_u32_e32 v2, v19, v0
	v_mul_lo_u32 v0, v2, s28
	v_mul_lo_u32 v2, v2, s29
	s_cbranch_vccnz .LBB133_218
; %bb.217:
	v_mul_hi_u32 v3, s44, v1
	v_add_u32_e32 v3, v1, v3
	v_lshrrev_b32_e32 v3, s45, v3
	v_mul_lo_u32 v3, v3, s27
	v_sub_u32_e32 v3, v1, v3
	v_mad_u64_u32 v[0:1], s[8:9], v3, s30, v[0:1]
	v_mad_u64_u32 v[2:3], s[8:9], v3, s31, v[2:3]
.LBB133_218:
	global_load_ubyte v1, v2, s[2:3]
	s_and_b32 s8, s59, 0xff
	v_add_u32_e32 v19, 0x80, v19
	s_waitcnt vmcnt(0)
	v_lshrrev_b16_e32 v1, s8, v1
	v_cndmask_b32_e64 v1, v1, 0, s[42:43]
	global_store_byte v0, v1, s[0:1]
	s_or_b64 exec, exec, s[52:53]
	v_cmp_gt_i32_e32 vcc, s60, v19
	s_and_saveexec_b64 s[52:53], vcc
	s_cbranch_execnz .LBB133_204
.LBB133_219:
	s_or_b64 exec, exec, s[52:53]
	v_cmp_gt_i32_e32 vcc, s60, v19
	s_and_saveexec_b64 s[52:53], vcc
	s_cbranch_execnz .LBB133_230
.LBB133_220:
	s_or_b64 exec, exec, s[52:53]
                                        ; implicit-def: $vgpr25
                                        ; implicit-def: $vgpr19
	s_andn2_saveexec_b64 s[0:1], s[40:41]
	s_cbranch_execnz .LBB133_8
.LBB133_221:
	s_endpgm
.LBB133_222:
	s_mov_b32 s62, 0
	v_mov_b32_e32 v0, 0
	v_mov_b32_e32 v2, 0
	;; [unrolled: 1-line block ×3, first 2 shown]
.LBB133_223:
	s_and_b32 s12, s63, 3
	s_cmp_eq_u32 s12, 0
	s_cbranch_scc1 .LBB133_226
; %bb.224:
	s_lshl_b32 s8, s62, 3
	s_add_u32 s8, s34, s8
	s_addc_u32 s9, s35, 0
	s_add_u32 s8, s8, 0xc4
	s_addc_u32 s9, s9, 0
	s_mul_i32 s10, s62, 12
	s_add_u32 s10, s34, s10
	s_addc_u32 s11, s35, 0
.LBB133_225:                            ; =>This Inner Loop Header: Depth=1
	s_load_dwordx2 s[14:15], s[10:11], 0x4
	s_load_dword s13, s[10:11], 0xc
	s_load_dwordx2 s[16:17], s[8:9], 0x0
	s_add_u32 s10, s10, 12
	s_addc_u32 s11, s11, 0
	s_waitcnt lgkmcnt(0)
	v_mul_hi_u32 v3, s15, v1
	s_add_u32 s8, s8, 8
	s_addc_u32 s9, s9, 0
	s_add_i32 s12, s12, -1
	v_add_u32_e32 v3, v1, v3
	v_lshrrev_b32_e32 v4, s13, v3
	v_mul_lo_u32 v3, v4, s14
	s_cmp_lg_u32 s12, 0
	v_sub_u32_e32 v3, v1, v3
	v_mad_u64_u32 v[0:1], s[14:15], v3, s16, v[0:1]
	v_mad_u64_u32 v[2:3], s[14:15], v3, s17, v[2:3]
	v_mov_b32_e32 v1, v4
	s_cbranch_scc1 .LBB133_225
.LBB133_226:
	s_cbranch_execnz .LBB133_229
.LBB133_227:
	v_mul_hi_u32 v0, s25, v19
	s_andn2_b64 vcc, exec, s[46:47]
	v_add_u32_e32 v0, v19, v0
	v_lshrrev_b32_e32 v1, s26, v0
	v_mul_lo_u32 v0, v1, s24
	v_sub_u32_e32 v2, v19, v0
	v_mul_lo_u32 v0, v2, s28
	v_mul_lo_u32 v2, v2, s29
	s_cbranch_vccnz .LBB133_229
; %bb.228:
	v_mul_hi_u32 v3, s44, v1
	v_add_u32_e32 v3, v1, v3
	v_lshrrev_b32_e32 v3, s45, v3
	v_mul_lo_u32 v3, v3, s27
	v_sub_u32_e32 v3, v1, v3
	v_mad_u64_u32 v[0:1], s[8:9], v3, s30, v[0:1]
	v_mad_u64_u32 v[2:3], s[8:9], v3, s31, v[2:3]
.LBB133_229:
	global_load_ubyte v1, v2, s[2:3]
	s_and_b32 s8, s59, 0xff
	v_add_u32_e32 v19, 0x80, v19
	s_waitcnt vmcnt(0)
	v_lshrrev_b16_e32 v1, s8, v1
	v_cndmask_b32_e64 v1, v1, 0, s[42:43]
	global_store_byte v0, v1, s[0:1]
	s_or_b64 exec, exec, s[52:53]
	v_cmp_gt_i32_e32 vcc, s60, v19
	s_and_saveexec_b64 s[52:53], vcc
	s_cbranch_execz .LBB133_220
.LBB133_230:
	s_andn2_b64 vcc, exec, s[6:7]
	s_cbranch_vccnz .LBB133_235
; %bb.231:
	s_andn2_b64 vcc, exec, s[50:51]
	s_cbranch_vccnz .LBB133_236
; %bb.232:
	s_add_i32 s61, s61, 1
	s_cmp_eq_u32 s58, 2
	s_cbranch_scc1 .LBB133_237
; %bb.233:
	s_and_b32 s54, s61, 28
	v_mov_b32_e32 v2, 0
	s_mov_b32 s55, 0
	s_mov_b64 s[50:51], s[34:35]
	v_mov_b32_e32 v0, 0
	v_mov_b32_e32 v1, v19
.LBB133_234:                            ; =>This Inner Loop Header: Depth=1
	s_load_dwordx8 s[16:23], s[50:51], 0x4
	s_load_dwordx4 s[36:39], s[50:51], 0x24
	s_load_dwordx8 s[8:15], s[48:49], 0x0
	s_add_u32 s50, s50, 48
	s_addc_u32 s51, s51, 0
	s_waitcnt lgkmcnt(0)
	v_mul_hi_u32 v3, s17, v1
	s_add_i32 s55, s55, 4
	s_add_u32 s48, s48, 32
	s_addc_u32 s49, s49, 0
	v_add_u32_e32 v3, v1, v3
	v_lshrrev_b32_e32 v3, s18, v3
	v_mul_lo_u32 v4, v3, s16
	v_mul_hi_u32 v5, s20, v3
	s_cmp_eq_u32 s54, s55
	v_sub_u32_e32 v1, v1, v4
	v_add_u32_e32 v4, v3, v5
	v_mul_lo_u32 v5, v1, s8
	v_mul_lo_u32 v6, v1, s9
	v_lshrrev_b32_e32 v1, s21, v4
	v_mul_lo_u32 v4, v1, s19
	v_mul_hi_u32 v7, s23, v1
	v_sub_u32_e32 v3, v3, v4
	v_add_u32_e32 v4, v1, v7
	v_lshrrev_b32_e32 v4, s36, v4
	v_mul_hi_u32 v8, s38, v4
	v_mul_lo_u32 v9, v4, s22
	v_mul_lo_u32 v7, v3, s10
	;; [unrolled: 1-line block ×3, first 2 shown]
	v_sub_u32_e32 v9, v1, v9
	v_add_u32_e32 v1, v4, v8
	v_lshrrev_b32_e32 v1, s39, v1
	v_mul_lo_u32 v8, v1, s37
	v_mul_lo_u32 v10, v9, s12
	;; [unrolled: 1-line block ×3, first 2 shown]
	v_add3_u32 v0, v5, v0, v7
	v_sub_u32_e32 v4, v4, v8
	v_mul_lo_u32 v8, v4, s14
	v_mul_lo_u32 v4, v4, s15
	v_add3_u32 v2, v6, v2, v3
	v_add3_u32 v0, v10, v0, v8
	;; [unrolled: 1-line block ×3, first 2 shown]
	s_cbranch_scc0 .LBB133_234
	s_branch .LBB133_238
.LBB133_235:
                                        ; implicit-def: $vgpr0
                                        ; implicit-def: $vgpr2
	s_branch .LBB133_242
.LBB133_236:
	v_mov_b32_e32 v0, 0
	v_mov_b32_e32 v2, 0
	s_branch .LBB133_241
.LBB133_237:
	s_mov_b32 s54, 0
	v_mov_b32_e32 v0, 0
	v_mov_b32_e32 v2, 0
	;; [unrolled: 1-line block ×3, first 2 shown]
.LBB133_238:
	s_and_b32 s12, s61, 3
	s_cmp_eq_u32 s12, 0
	s_cbranch_scc1 .LBB133_241
; %bb.239:
	s_lshl_b32 s8, s54, 3
	s_add_u32 s8, s34, s8
	s_addc_u32 s9, s35, 0
	s_add_u32 s8, s8, 0xc4
	s_addc_u32 s9, s9, 0
	s_mul_i32 s10, s54, 12
	s_add_u32 s10, s34, s10
	s_addc_u32 s11, s35, 0
.LBB133_240:                            ; =>This Inner Loop Header: Depth=1
	s_load_dwordx2 s[14:15], s[10:11], 0x4
	s_load_dword s13, s[10:11], 0xc
	s_load_dwordx2 s[16:17], s[8:9], 0x0
	s_add_u32 s10, s10, 12
	s_addc_u32 s11, s11, 0
	s_waitcnt lgkmcnt(0)
	v_mul_hi_u32 v3, s15, v1
	s_add_u32 s8, s8, 8
	s_addc_u32 s9, s9, 0
	s_add_i32 s12, s12, -1
	v_add_u32_e32 v3, v1, v3
	v_lshrrev_b32_e32 v4, s13, v3
	v_mul_lo_u32 v3, v4, s14
	s_cmp_lg_u32 s12, 0
	v_sub_u32_e32 v3, v1, v3
	v_mad_u64_u32 v[0:1], s[14:15], v3, s16, v[0:1]
	v_mad_u64_u32 v[2:3], s[14:15], v3, s17, v[2:3]
	v_mov_b32_e32 v1, v4
	s_cbranch_scc1 .LBB133_240
.LBB133_241:
	s_cbranch_execnz .LBB133_244
.LBB133_242:
	v_mul_hi_u32 v0, s25, v19
	s_andn2_b64 vcc, exec, s[46:47]
	v_add_u32_e32 v0, v19, v0
	v_lshrrev_b32_e32 v1, s26, v0
	v_mul_lo_u32 v0, v1, s24
	v_sub_u32_e32 v2, v19, v0
	v_mul_lo_u32 v0, v2, s28
	v_mul_lo_u32 v2, v2, s29
	s_cbranch_vccnz .LBB133_244
; %bb.243:
	v_mul_hi_u32 v3, s44, v1
	v_add_u32_e32 v3, v1, v3
	v_lshrrev_b32_e32 v3, s45, v3
	v_mul_lo_u32 v3, v3, s27
	v_sub_u32_e32 v3, v1, v3
	v_mad_u64_u32 v[0:1], s[8:9], v3, s30, v[0:1]
	v_mad_u64_u32 v[2:3], s[8:9], v3, s31, v[2:3]
.LBB133_244:
	global_load_ubyte v1, v2, s[2:3]
	s_and_b32 s2, s59, 0xff
	s_waitcnt vmcnt(0)
	v_lshrrev_b16_e32 v1, s2, v1
	v_cndmask_b32_e64 v1, v1, 0, s[42:43]
	global_store_byte v0, v1, s[0:1]
	s_or_b64 exec, exec, s[52:53]
                                        ; implicit-def: $vgpr25
                                        ; implicit-def: $vgpr19
	s_andn2_saveexec_b64 s[0:1], s[40:41]
	s_cbranch_execz .LBB133_221
	s_branch .LBB133_8
	.section	.rodata,"a",@progbits
	.p2align	6, 0x0
	.amdhsa_kernel _ZN2at6native32elementwise_kernel_manual_unrollILi128ELi8EZNS0_22gpu_kernel_impl_nocastINS0_13BUnaryFunctorIhhhZZZNS0_18rshift_kernel_cudaERNS_18TensorIteratorBaseEENKUlvE_clEvENKUlvE_clEvEUlhhE_EEEEvS5_RKT_EUlibE_EEviT1_
		.amdhsa_group_segment_fixed_size 0
		.amdhsa_private_segment_fixed_size 0
		.amdhsa_kernarg_size 360
		.amdhsa_user_sgpr_count 6
		.amdhsa_user_sgpr_private_segment_buffer 1
		.amdhsa_user_sgpr_dispatch_ptr 0
		.amdhsa_user_sgpr_queue_ptr 0
		.amdhsa_user_sgpr_kernarg_segment_ptr 1
		.amdhsa_user_sgpr_dispatch_id 0
		.amdhsa_user_sgpr_flat_scratch_init 0
		.amdhsa_user_sgpr_private_segment_size 0
		.amdhsa_uses_dynamic_stack 0
		.amdhsa_system_sgpr_private_segment_wavefront_offset 0
		.amdhsa_system_sgpr_workgroup_id_x 1
		.amdhsa_system_sgpr_workgroup_id_y 0
		.amdhsa_system_sgpr_workgroup_id_z 0
		.amdhsa_system_sgpr_workgroup_info 0
		.amdhsa_system_vgpr_workitem_id 0
		.amdhsa_next_free_vgpr 26
		.amdhsa_next_free_sgpr 65
		.amdhsa_reserve_vcc 1
		.amdhsa_reserve_flat_scratch 0
		.amdhsa_float_round_mode_32 0
		.amdhsa_float_round_mode_16_64 0
		.amdhsa_float_denorm_mode_32 3
		.amdhsa_float_denorm_mode_16_64 3
		.amdhsa_dx10_clamp 1
		.amdhsa_ieee_mode 1
		.amdhsa_fp16_overflow 0
		.amdhsa_exception_fp_ieee_invalid_op 0
		.amdhsa_exception_fp_denorm_src 0
		.amdhsa_exception_fp_ieee_div_zero 0
		.amdhsa_exception_fp_ieee_overflow 0
		.amdhsa_exception_fp_ieee_underflow 0
		.amdhsa_exception_fp_ieee_inexact 0
		.amdhsa_exception_int_div_zero 0
	.end_amdhsa_kernel
	.section	.text._ZN2at6native32elementwise_kernel_manual_unrollILi128ELi8EZNS0_22gpu_kernel_impl_nocastINS0_13BUnaryFunctorIhhhZZZNS0_18rshift_kernel_cudaERNS_18TensorIteratorBaseEENKUlvE_clEvENKUlvE_clEvEUlhhE_EEEEvS5_RKT_EUlibE_EEviT1_,"axG",@progbits,_ZN2at6native32elementwise_kernel_manual_unrollILi128ELi8EZNS0_22gpu_kernel_impl_nocastINS0_13BUnaryFunctorIhhhZZZNS0_18rshift_kernel_cudaERNS_18TensorIteratorBaseEENKUlvE_clEvENKUlvE_clEvEUlhhE_EEEEvS5_RKT_EUlibE_EEviT1_,comdat
.Lfunc_end133:
	.size	_ZN2at6native32elementwise_kernel_manual_unrollILi128ELi8EZNS0_22gpu_kernel_impl_nocastINS0_13BUnaryFunctorIhhhZZZNS0_18rshift_kernel_cudaERNS_18TensorIteratorBaseEENKUlvE_clEvENKUlvE_clEvEUlhhE_EEEEvS5_RKT_EUlibE_EEviT1_, .Lfunc_end133-_ZN2at6native32elementwise_kernel_manual_unrollILi128ELi8EZNS0_22gpu_kernel_impl_nocastINS0_13BUnaryFunctorIhhhZZZNS0_18rshift_kernel_cudaERNS_18TensorIteratorBaseEENKUlvE_clEvENKUlvE_clEvEUlhhE_EEEEvS5_RKT_EUlibE_EEviT1_
                                        ; -- End function
	.set _ZN2at6native32elementwise_kernel_manual_unrollILi128ELi8EZNS0_22gpu_kernel_impl_nocastINS0_13BUnaryFunctorIhhhZZZNS0_18rshift_kernel_cudaERNS_18TensorIteratorBaseEENKUlvE_clEvENKUlvE_clEvEUlhhE_EEEEvS5_RKT_EUlibE_EEviT1_.num_vgpr, 26
	.set _ZN2at6native32elementwise_kernel_manual_unrollILi128ELi8EZNS0_22gpu_kernel_impl_nocastINS0_13BUnaryFunctorIhhhZZZNS0_18rshift_kernel_cudaERNS_18TensorIteratorBaseEENKUlvE_clEvENKUlvE_clEvEUlhhE_EEEEvS5_RKT_EUlibE_EEviT1_.num_agpr, 0
	.set _ZN2at6native32elementwise_kernel_manual_unrollILi128ELi8EZNS0_22gpu_kernel_impl_nocastINS0_13BUnaryFunctorIhhhZZZNS0_18rshift_kernel_cudaERNS_18TensorIteratorBaseEENKUlvE_clEvENKUlvE_clEvEUlhhE_EEEEvS5_RKT_EUlibE_EEviT1_.numbered_sgpr, 65
	.set _ZN2at6native32elementwise_kernel_manual_unrollILi128ELi8EZNS0_22gpu_kernel_impl_nocastINS0_13BUnaryFunctorIhhhZZZNS0_18rshift_kernel_cudaERNS_18TensorIteratorBaseEENKUlvE_clEvENKUlvE_clEvEUlhhE_EEEEvS5_RKT_EUlibE_EEviT1_.num_named_barrier, 0
	.set _ZN2at6native32elementwise_kernel_manual_unrollILi128ELi8EZNS0_22gpu_kernel_impl_nocastINS0_13BUnaryFunctorIhhhZZZNS0_18rshift_kernel_cudaERNS_18TensorIteratorBaseEENKUlvE_clEvENKUlvE_clEvEUlhhE_EEEEvS5_RKT_EUlibE_EEviT1_.private_seg_size, 0
	.set _ZN2at6native32elementwise_kernel_manual_unrollILi128ELi8EZNS0_22gpu_kernel_impl_nocastINS0_13BUnaryFunctorIhhhZZZNS0_18rshift_kernel_cudaERNS_18TensorIteratorBaseEENKUlvE_clEvENKUlvE_clEvEUlhhE_EEEEvS5_RKT_EUlibE_EEviT1_.uses_vcc, 1
	.set _ZN2at6native32elementwise_kernel_manual_unrollILi128ELi8EZNS0_22gpu_kernel_impl_nocastINS0_13BUnaryFunctorIhhhZZZNS0_18rshift_kernel_cudaERNS_18TensorIteratorBaseEENKUlvE_clEvENKUlvE_clEvEUlhhE_EEEEvS5_RKT_EUlibE_EEviT1_.uses_flat_scratch, 0
	.set _ZN2at6native32elementwise_kernel_manual_unrollILi128ELi8EZNS0_22gpu_kernel_impl_nocastINS0_13BUnaryFunctorIhhhZZZNS0_18rshift_kernel_cudaERNS_18TensorIteratorBaseEENKUlvE_clEvENKUlvE_clEvEUlhhE_EEEEvS5_RKT_EUlibE_EEviT1_.has_dyn_sized_stack, 0
	.set _ZN2at6native32elementwise_kernel_manual_unrollILi128ELi8EZNS0_22gpu_kernel_impl_nocastINS0_13BUnaryFunctorIhhhZZZNS0_18rshift_kernel_cudaERNS_18TensorIteratorBaseEENKUlvE_clEvENKUlvE_clEvEUlhhE_EEEEvS5_RKT_EUlibE_EEviT1_.has_recursion, 0
	.set _ZN2at6native32elementwise_kernel_manual_unrollILi128ELi8EZNS0_22gpu_kernel_impl_nocastINS0_13BUnaryFunctorIhhhZZZNS0_18rshift_kernel_cudaERNS_18TensorIteratorBaseEENKUlvE_clEvENKUlvE_clEvEUlhhE_EEEEvS5_RKT_EUlibE_EEviT1_.has_indirect_call, 0
	.section	.AMDGPU.csdata,"",@progbits
; Kernel info:
; codeLenInByte = 11416
; TotalNumSgprs: 69
; NumVgprs: 26
; ScratchSize: 0
; MemoryBound: 0
; FloatMode: 240
; IeeeMode: 1
; LDSByteSize: 0 bytes/workgroup (compile time only)
; SGPRBlocks: 8
; VGPRBlocks: 6
; NumSGPRsForWavesPerEU: 69
; NumVGPRsForWavesPerEU: 26
; Occupancy: 9
; WaveLimiterHint : 1
; COMPUTE_PGM_RSRC2:SCRATCH_EN: 0
; COMPUTE_PGM_RSRC2:USER_SGPR: 6
; COMPUTE_PGM_RSRC2:TRAP_HANDLER: 0
; COMPUTE_PGM_RSRC2:TGID_X_EN: 1
; COMPUTE_PGM_RSRC2:TGID_Y_EN: 0
; COMPUTE_PGM_RSRC2:TGID_Z_EN: 0
; COMPUTE_PGM_RSRC2:TIDIG_COMP_CNT: 0
	.section	.text._ZN2at6native32elementwise_kernel_manual_unrollILi128ELi4EZNS0_15gpu_kernel_implINS0_13BUnaryFunctorIhhhZZZNS0_18rshift_kernel_cudaERNS_18TensorIteratorBaseEENKUlvE_clEvENKUlvE_clEvEUlhhE_EEEEvS5_RKT_EUlibE_EEviT1_,"axG",@progbits,_ZN2at6native32elementwise_kernel_manual_unrollILi128ELi4EZNS0_15gpu_kernel_implINS0_13BUnaryFunctorIhhhZZZNS0_18rshift_kernel_cudaERNS_18TensorIteratorBaseEENKUlvE_clEvENKUlvE_clEvEUlhhE_EEEEvS5_RKT_EUlibE_EEviT1_,comdat
	.globl	_ZN2at6native32elementwise_kernel_manual_unrollILi128ELi4EZNS0_15gpu_kernel_implINS0_13BUnaryFunctorIhhhZZZNS0_18rshift_kernel_cudaERNS_18TensorIteratorBaseEENKUlvE_clEvENKUlvE_clEvEUlhhE_EEEEvS5_RKT_EUlibE_EEviT1_ ; -- Begin function _ZN2at6native32elementwise_kernel_manual_unrollILi128ELi4EZNS0_15gpu_kernel_implINS0_13BUnaryFunctorIhhhZZZNS0_18rshift_kernel_cudaERNS_18TensorIteratorBaseEENKUlvE_clEvENKUlvE_clEvEUlhhE_EEEEvS5_RKT_EUlibE_EEviT1_
	.p2align	8
	.type	_ZN2at6native32elementwise_kernel_manual_unrollILi128ELi4EZNS0_15gpu_kernel_implINS0_13BUnaryFunctorIhhhZZZNS0_18rshift_kernel_cudaERNS_18TensorIteratorBaseEENKUlvE_clEvENKUlvE_clEvEUlhhE_EEEEvS5_RKT_EUlibE_EEviT1_,@function
_ZN2at6native32elementwise_kernel_manual_unrollILi128ELi4EZNS0_15gpu_kernel_implINS0_13BUnaryFunctorIhhhZZZNS0_18rshift_kernel_cudaERNS_18TensorIteratorBaseEENKUlvE_clEvENKUlvE_clEvEUlhhE_EEEEvS5_RKT_EUlibE_EEviT1_: ; @_ZN2at6native32elementwise_kernel_manual_unrollILi128ELi4EZNS0_15gpu_kernel_implINS0_13BUnaryFunctorIhhhZZZNS0_18rshift_kernel_cudaERNS_18TensorIteratorBaseEENKUlvE_clEvENKUlvE_clEvEUlhhE_EEEEvS5_RKT_EUlibE_EEviT1_
; %bb.0:
	v_mov_b32_e32 v1, 0
	global_load_ushort v2, v1, s[4:5] offset:33
	global_load_sbyte v3, v1, s[4:5] offset:35
	s_load_dwordx2 s[2:3], s[4:5], 0x18
	s_load_dword s40, s[4:5], 0x0
	s_load_dwordx4 s[8:11], s[4:5], 0x8
	v_lshl_or_b32 v7, s6, 9, v0
	v_or_b32_e32 v0, 0x180, v7
	s_mov_b64 s[12:13], 0
	s_waitcnt lgkmcnt(0)
	v_cmp_le_i32_e32 vcc, s40, v0
	s_mov_b64 s[6:7], 0
	s_waitcnt vmcnt(1)
	v_readfirstlane_b32 s44, v2
	s_waitcnt vmcnt(0)
	v_readfirstlane_b32 s45, v3
	s_lshr_b32 s33, s44, 8
	s_and_saveexec_b64 s[0:1], vcc
	s_xor_b64 s[4:5], exec, s[0:1]
	s_cbranch_execz .LBB134_1011
; %bb.1:
	s_and_b32 s46, s44, 0xff
	s_cmp_gt_u32 s46, 7
	s_cselect_b64 s[6:7], -1, 0
	v_cmp_gt_i32_e32 vcc, s40, v7
	s_mov_b64 s[20:21], -1
	s_mov_b64 s[22:23], 0
	s_mov_b64 s[16:17], 0
	;; [unrolled: 1-line block ×3, first 2 shown]
	s_and_saveexec_b64 s[18:19], vcc
	s_cbranch_execz .LBB134_248
; %bb.2:
	v_mul_lo_u32 v0, v7, s3
	v_mov_b32_e32 v1, s11
	s_and_b32 s20, s45, 0xff
	s_cmp_lt_i32 s20, 11
	v_ashrrev_i32_e32 v2, 31, v0
	v_add_co_u32_e32 v0, vcc, s10, v0
	v_addc_co_u32_e32 v1, vcc, v1, v2, vcc
	s_cbranch_scc1 .LBB134_9
; %bb.3:
	s_and_b32 s21, 0xffff, s20
	s_cmp_gt_i32 s21, 25
	s_cbranch_scc0 .LBB134_18
; %bb.4:
	s_cmp_gt_i32 s21, 28
	s_cbranch_scc0 .LBB134_22
; %bb.5:
	;; [unrolled: 3-line block ×4, first 2 shown]
	s_cmp_eq_u32 s21, 46
	s_cbranch_scc0 .LBB134_28
; %bb.8:
	global_load_dword v2, v[0:1], off
	s_mov_b32 s0, 0x2f800000
	s_mov_b32 s1, 0xcf800000
	s_waitcnt vmcnt(0)
	v_lshlrev_b32_e32 v2, 16, v2
	v_trunc_f32_e32 v2, v2
	v_mul_f32_e64 v3, |v2|, s0
	v_floor_f32_e32 v3, v3
	v_fma_f32 v3, v3, s1, |v2|
	v_cvt_u32_f32_e32 v3, v3
	v_ashrrev_i32_e32 v2, 31, v2
	s_mov_b64 s[0:1], -1
	v_xor_b32_e32 v3, v3, v2
	v_sub_u32_e32 v2, v3, v2
	s_branch .LBB134_30
.LBB134_9:
                                        ; implicit-def: $vgpr2
	s_mov_b64 s[0:1], 0
	s_cbranch_execnz .LBB134_199
.LBB134_10:
	s_andn2_b64 vcc, exec, s[0:1]
	s_cbranch_vccnz .LBB134_246
.LBB134_11:
	v_mul_lo_u32 v0, v7, s2
	s_waitcnt vmcnt(0)
	v_lshrrev_b16_sdwa v1, s46, v2 dst_sel:DWORD dst_unused:UNUSED_PAD src0_sel:DWORD src1_sel:BYTE_0
	v_mov_b32_e32 v3, s9
	v_cndmask_b32_e64 v2, v1, 0, s[6:7]
	v_ashrrev_i32_e32 v1, 31, v0
	s_and_b32 s26, s33, 0xff
	v_add_co_u32_e32 v0, vcc, s8, v0
	s_cmp_lt_i32 s26, 11
	v_addc_co_u32_e32 v1, vcc, v3, v1, vcc
	s_cbranch_scc1 .LBB134_19
; %bb.12:
	s_and_b32 s27, 0xffff, s26
	s_cmp_gt_i32 s27, 25
	s_cbranch_scc0 .LBB134_23
; %bb.13:
	s_cmp_gt_i32 s27, 28
	s_cbranch_scc0 .LBB134_25
; %bb.14:
	;; [unrolled: 3-line block ×4, first 2 shown]
	s_mov_b64 s[20:21], 0
	s_mov_b64 s[0:1], -1
	s_cmp_eq_u32 s27, 46
	s_mov_b64 s[14:15], 0
	s_cbranch_scc0 .LBB134_34
; %bb.17:
	v_cvt_f32_ubyte0_e32 v3, v2
	v_bfe_u32 v4, v3, 16, 1
	s_movk_i32 s0, 0x7fff
	v_add3_u32 v3, v3, v4, s0
	v_lshrrev_b32_e32 v3, 16, v3
	global_store_dword v[0:1], v3, off
	s_mov_b64 s[14:15], -1
	s_mov_b64 s[0:1], 0
	s_branch .LBB134_34
.LBB134_18:
	s_mov_b64 s[0:1], 0
                                        ; implicit-def: $vgpr2
	s_cbranch_execnz .LBB134_166
	s_branch .LBB134_198
.LBB134_19:
	s_mov_b64 s[0:1], 0
	s_mov_b64 s[14:15], 0
	s_cbranch_execnz .LBB134_103
.LBB134_20:
	s_andn2_b64 vcc, exec, s[14:15]
	s_cbranch_vccnz .LBB134_141
.LBB134_21:
	v_add_u32_e32 v7, 0x80, v7
	s_mov_b64 s[20:21], -1
	s_branch .LBB134_247
.LBB134_22:
	s_mov_b64 s[14:15], -1
	s_mov_b64 s[0:1], 0
                                        ; implicit-def: $vgpr2
	s_branch .LBB134_149
.LBB134_23:
	s_mov_b64 s[20:21], -1
	s_mov_b64 s[0:1], 0
	s_mov_b64 s[14:15], 0
	s_branch .LBB134_61
.LBB134_24:
	s_mov_b64 s[14:15], -1
	s_mov_b64 s[0:1], 0
                                        ; implicit-def: $vgpr2
	s_branch .LBB134_144
.LBB134_25:
	s_mov_b64 s[20:21], -1
	s_mov_b64 s[0:1], 0
	s_mov_b64 s[14:15], 0
	s_branch .LBB134_44
.LBB134_26:
	s_mov_b64 s[14:15], -1
	s_branch .LBB134_29
.LBB134_27:
	s_mov_b64 s[20:21], -1
	s_mov_b64 s[0:1], 0
	s_mov_b64 s[14:15], 0
	s_branch .LBB134_40
.LBB134_28:
	s_mov_b64 s[16:17], -1
.LBB134_29:
	s_mov_b64 s[0:1], 0
                                        ; implicit-def: $vgpr2
.LBB134_30:
	s_and_b64 vcc, exec, s[14:15]
	s_cbranch_vccz .LBB134_143
; %bb.31:
	s_cmp_eq_u32 s21, 44
	s_cbranch_scc0 .LBB134_142
; %bb.32:
	global_load_ubyte v2, v[0:1], off
	s_mov_b32 s0, 0x2f800000
	s_mov_b32 s1, 0xcf800000
	s_mov_b64 s[16:17], 0
	s_waitcnt vmcnt(0)
	v_lshlrev_b32_e32 v3, 23, v2
	v_trunc_f32_e32 v3, v3
	v_mul_f32_e64 v4, |v3|, s0
	v_floor_f32_e32 v4, v4
	v_fma_f32 v4, v4, s1, |v3|
	v_cvt_u32_f32_e32 v4, v4
	v_ashrrev_i32_e32 v3, 31, v3
	v_cmp_ne_u32_e32 vcc, 0, v2
	s_mov_b64 s[0:1], -1
	v_xor_b32_e32 v4, v4, v3
	v_sub_u32_e32 v3, v4, v3
	v_cndmask_b32_e32 v2, 0, v3, vcc
	s_branch .LBB134_143
.LBB134_33:
	s_mov_b64 s[20:21], -1
	s_mov_b64 s[0:1], 0
	s_mov_b64 s[14:15], 0
.LBB134_34:
	s_and_b64 vcc, exec, s[20:21]
	s_cbranch_vccz .LBB134_39
; %bb.35:
	s_cmp_eq_u32 s27, 44
	s_mov_b64 s[0:1], -1
	s_cbranch_scc0 .LBB134_39
; %bb.36:
	v_cvt_f32_ubyte0_e32 v4, v2
	v_lshrrev_b32_e32 v3, 23, v4
	s_movk_i32 s0, 0xff
	v_cmp_ne_u32_e32 vcc, s0, v3
	v_mov_b32_e32 v5, 0xff
	s_and_saveexec_b64 s[14:15], vcc
; %bb.37:
	s_mov_b32 s0, 0x3fffff
	v_and_b32_e32 v5, 0x400000, v4
	v_and_or_b32 v4, v4, s0, v3
	v_cmp_ne_u32_e32 vcc, 0, v5
	v_cmp_ne_u32_e64 s[0:1], 0, v4
	s_and_b64 s[0:1], vcc, s[0:1]
	v_cndmask_b32_e64 v4, 0, 1, s[0:1]
	v_add_u32_e32 v5, v3, v4
; %bb.38:
	s_or_b64 exec, exec, s[14:15]
	s_mov_b64 s[14:15], -1
	s_mov_b64 s[0:1], 0
	global_store_byte v[0:1], v5, off
.LBB134_39:
	s_mov_b64 s[20:21], 0
.LBB134_40:
	s_and_b64 vcc, exec, s[20:21]
	s_cbranch_vccz .LBB134_43
; %bb.41:
	s_cmp_eq_u32 s27, 29
	s_mov_b64 s[0:1], -1
	s_cbranch_scc0 .LBB134_43
; %bb.42:
	s_mov_b32 s0, 0
	v_and_b32_e32 v3, 0xffff, v2
	v_mov_b32_e32 v4, s0
	global_store_dwordx2 v[0:1], v[3:4], off
	s_mov_b64 s[14:15], -1
	s_mov_b64 s[0:1], 0
.LBB134_43:
	s_mov_b64 s[20:21], 0
.LBB134_44:
	s_and_b64 vcc, exec, s[20:21]
	s_cbranch_vccz .LBB134_60
; %bb.45:
	s_cmp_lt_i32 s27, 27
	s_mov_b64 s[14:15], -1
	s_cbranch_scc1 .LBB134_51
; %bb.46:
	s_cmp_gt_i32 s27, 27
	s_cbranch_scc0 .LBB134_48
; %bb.47:
	v_and_b32_e32 v3, 0xffff, v2
	s_mov_b64 s[14:15], 0
	global_store_dword v[0:1], v3, off
.LBB134_48:
	s_andn2_b64 vcc, exec, s[14:15]
	s_cbranch_vccnz .LBB134_50
; %bb.49:
	global_store_short v[0:1], v2, off
.LBB134_50:
	s_mov_b64 s[14:15], 0
.LBB134_51:
	s_andn2_b64 vcc, exec, s[14:15]
	s_cbranch_vccnz .LBB134_59
; %bb.52:
	v_cvt_f32_ubyte0_e32 v4, v2
	s_mov_b32 s14, 0x43800000
	v_cmp_gt_u32_e32 vcc, s14, v4
	v_mov_b32_e32 v5, 0x80
	s_and_saveexec_b64 s[14:15], vcc
	s_cbranch_execz .LBB134_58
; %bb.53:
	s_mov_b32 s20, 0x3bffffff
	v_cmp_lt_u32_e32 vcc, s20, v4
	s_mov_b64 s[20:21], 0
                                        ; implicit-def: $vgpr3
	s_and_saveexec_b64 s[24:25], vcc
	s_xor_b64 s[24:25], exec, s[24:25]
	s_cbranch_execz .LBB134_275
; %bb.54:
	v_bfe_u32 v3, v4, 20, 1
	s_mov_b32 s28, 0x487ffff
	v_add3_u32 v3, v4, v3, s28
	s_mov_b64 s[20:21], exec
	v_lshrrev_b32_e32 v3, 20, v3
                                        ; implicit-def: $vgpr4
	s_andn2_saveexec_b64 s[24:25], s[24:25]
	s_cbranch_execnz .LBB134_276
.LBB134_55:
	s_or_b64 exec, exec, s[24:25]
	v_mov_b32_e32 v5, 0
	s_and_saveexec_b64 s[24:25], s[20:21]
.LBB134_56:
	v_mov_b32_e32 v5, v3
.LBB134_57:
	s_or_b64 exec, exec, s[24:25]
.LBB134_58:
	s_or_b64 exec, exec, s[14:15]
	global_store_byte v[0:1], v5, off
.LBB134_59:
	s_mov_b64 s[14:15], -1
.LBB134_60:
	s_mov_b64 s[20:21], 0
.LBB134_61:
	s_and_b64 vcc, exec, s[20:21]
	s_cbranch_vccz .LBB134_102
; %bb.62:
	s_cmp_gt_i32 s27, 22
	s_mov_b64 s[20:21], -1
	s_cbranch_scc0 .LBB134_94
; %bb.63:
	s_cmp_lt_i32 s27, 24
	s_mov_b64 s[14:15], -1
	s_cbranch_scc1 .LBB134_83
; %bb.64:
	s_cmp_gt_i32 s27, 24
	s_cbranch_scc0 .LBB134_72
; %bb.65:
	v_cvt_f32_ubyte0_e32 v4, v2
	s_mov_b32 s14, 0x47800000
	v_cmp_gt_u32_e32 vcc, s14, v4
	v_mov_b32_e32 v5, 0x80
	s_and_saveexec_b64 s[14:15], vcc
	s_cbranch_execz .LBB134_71
; %bb.66:
	s_mov_b32 s20, 0x37ffffff
	v_cmp_lt_u32_e32 vcc, s20, v4
	s_mov_b64 s[20:21], 0
                                        ; implicit-def: $vgpr3
	s_and_saveexec_b64 s[24:25], vcc
	s_xor_b64 s[24:25], exec, s[24:25]
	s_cbranch_execz .LBB134_279
; %bb.67:
	v_bfe_u32 v3, v4, 21, 1
	s_mov_b32 s28, 0x88fffff
	v_add3_u32 v3, v4, v3, s28
	s_mov_b64 s[20:21], exec
	v_lshrrev_b32_e32 v3, 21, v3
                                        ; implicit-def: $vgpr4
	s_andn2_saveexec_b64 s[24:25], s[24:25]
	s_cbranch_execnz .LBB134_280
.LBB134_68:
	s_or_b64 exec, exec, s[24:25]
	v_mov_b32_e32 v5, 0
	s_and_saveexec_b64 s[24:25], s[20:21]
.LBB134_69:
	v_mov_b32_e32 v5, v3
.LBB134_70:
	s_or_b64 exec, exec, s[24:25]
.LBB134_71:
	s_or_b64 exec, exec, s[14:15]
	s_mov_b64 s[14:15], 0
	global_store_byte v[0:1], v5, off
.LBB134_72:
	s_and_b64 vcc, exec, s[14:15]
	s_cbranch_vccz .LBB134_82
; %bb.73:
	v_cvt_f32_ubyte0_e32 v3, v2
	s_mov_b32 s14, 0x43f00000
	v_cmp_gt_u32_e32 vcc, s14, v3
                                        ; implicit-def: $vgpr4
	s_and_saveexec_b64 s[14:15], vcc
	s_xor_b64 s[14:15], exec, s[14:15]
	s_cbranch_execz .LBB134_79
; %bb.74:
	s_mov_b32 s20, 0x3c7fffff
	v_cmp_lt_u32_e32 vcc, s20, v3
                                        ; implicit-def: $vgpr4
	s_and_saveexec_b64 s[20:21], vcc
	s_xor_b64 s[20:21], exec, s[20:21]
; %bb.75:
	v_bfe_u32 v4, v3, 20, 1
	s_mov_b32 s24, 0x407ffff
	v_add3_u32 v3, v3, v4, s24
	v_lshrrev_b32_e32 v4, 20, v3
	v_and_b32_e32 v3, 0xff00000, v3
	s_mov_b32 s24, 0x7f00000
	v_mov_b32_e32 v5, 0x7e
	v_cmp_ne_u32_e32 vcc, s24, v3
	v_cndmask_b32_e32 v4, v5, v4, vcc
                                        ; implicit-def: $vgpr3
; %bb.76:
	s_andn2_saveexec_b64 s[20:21], s[20:21]
; %bb.77:
	v_add_f32_e32 v4, 0x46800000, v3
; %bb.78:
	s_or_b64 exec, exec, s[20:21]
                                        ; implicit-def: $vgpr3
.LBB134_79:
	s_andn2_saveexec_b64 s[14:15], s[14:15]
; %bb.80:
	s_mov_b32 s20, 0x7f800000
	v_mov_b32_e32 v4, 0x7e
	v_mov_b32_e32 v5, 0x7f
	v_cmp_lt_u32_e32 vcc, s20, v3
	v_cndmask_b32_e32 v4, v4, v5, vcc
; %bb.81:
	s_or_b64 exec, exec, s[14:15]
	global_store_byte v[0:1], v4, off
.LBB134_82:
	s_mov_b64 s[14:15], 0
.LBB134_83:
	s_andn2_b64 vcc, exec, s[14:15]
	s_cbranch_vccnz .LBB134_93
; %bb.84:
	v_cvt_f32_ubyte0_e32 v3, v2
	s_mov_b32 s14, 0x47800000
	v_cmp_gt_u32_e32 vcc, s14, v3
                                        ; implicit-def: $vgpr4
	s_and_saveexec_b64 s[14:15], vcc
	s_xor_b64 s[14:15], exec, s[14:15]
	s_cbranch_execz .LBB134_90
; %bb.85:
	s_mov_b32 s20, 0x387fffff
	v_cmp_lt_u32_e32 vcc, s20, v3
                                        ; implicit-def: $vgpr4
	s_and_saveexec_b64 s[20:21], vcc
	s_xor_b64 s[20:21], exec, s[20:21]
; %bb.86:
	v_bfe_u32 v4, v3, 21, 1
	s_mov_b32 s24, 0x80fffff
	v_add3_u32 v3, v3, v4, s24
	v_lshrrev_b32_e32 v4, 21, v3
                                        ; implicit-def: $vgpr3
; %bb.87:
	s_andn2_saveexec_b64 s[20:21], s[20:21]
; %bb.88:
	v_add_f32_e32 v4, 0x43000000, v3
; %bb.89:
	s_or_b64 exec, exec, s[20:21]
                                        ; implicit-def: $vgpr3
.LBB134_90:
	s_andn2_saveexec_b64 s[14:15], s[14:15]
; %bb.91:
	s_mov_b32 s20, 0x7f800000
	v_mov_b32_e32 v4, 0x7c
	v_mov_b32_e32 v5, 0x7f
	v_cmp_lt_u32_e32 vcc, s20, v3
	v_cndmask_b32_e32 v4, v4, v5, vcc
; %bb.92:
	s_or_b64 exec, exec, s[14:15]
	global_store_byte v[0:1], v4, off
.LBB134_93:
	s_mov_b64 s[20:21], 0
	s_mov_b64 s[14:15], -1
.LBB134_94:
	s_andn2_b64 vcc, exec, s[20:21]
	s_cbranch_vccnz .LBB134_102
; %bb.95:
	s_cmp_gt_i32 s27, 14
	s_mov_b64 s[20:21], -1
	s_cbranch_scc0 .LBB134_99
; %bb.96:
	s_cmp_eq_u32 s27, 15
	s_mov_b64 s[0:1], -1
	s_cbranch_scc0 .LBB134_98
; %bb.97:
	v_cvt_f32_ubyte0_e32 v3, v2
	v_bfe_u32 v4, v3, 16, 1
	s_movk_i32 s0, 0x7fff
	v_add3_u32 v3, v3, v4, s0
	global_store_short_d16_hi v[0:1], v3, off
	s_mov_b64 s[14:15], -1
	s_mov_b64 s[0:1], 0
.LBB134_98:
	s_mov_b64 s[20:21], 0
.LBB134_99:
	s_and_b64 vcc, exec, s[20:21]
	s_cbranch_vccz .LBB134_102
; %bb.100:
	s_cmp_eq_u32 s27, 11
	s_mov_b64 s[0:1], -1
	s_cbranch_scc0 .LBB134_102
; %bb.101:
	v_cmp_ne_u16_e32 vcc, 0, v2
	v_cndmask_b32_e64 v3, 0, 1, vcc
	s_mov_b64 s[14:15], -1
	s_mov_b64 s[0:1], 0
	global_store_byte v[0:1], v3, off
.LBB134_102:
	s_branch .LBB134_20
.LBB134_103:
	s_and_b32 s20, 0xffff, s26
	s_cmp_lt_i32 s20, 5
	s_mov_b64 s[14:15], -1
	s_cbranch_scc1 .LBB134_124
; %bb.104:
	s_cmp_lt_i32 s20, 8
	s_cbranch_scc1 .LBB134_114
; %bb.105:
	s_cmp_lt_i32 s20, 9
	s_cbranch_scc1 .LBB134_111
; %bb.106:
	s_cmp_gt_i32 s20, 9
	s_cbranch_scc0 .LBB134_108
; %bb.107:
	v_and_b32_e32 v3, 0xffff, v2
	v_cvt_f64_u32_e32 v[3:4], v3
	v_mov_b32_e32 v5, 0
	v_mov_b32_e32 v6, v5
	s_mov_b64 s[14:15], 0
	global_store_dwordx4 v[0:1], v[3:6], off
.LBB134_108:
	s_andn2_b64 vcc, exec, s[14:15]
	s_cbranch_vccnz .LBB134_110
; %bb.109:
	v_cvt_f32_ubyte0_e32 v3, v2
	v_mov_b32_e32 v4, 0
	global_store_dwordx2 v[0:1], v[3:4], off
.LBB134_110:
	s_mov_b64 s[14:15], 0
.LBB134_111:
	s_andn2_b64 vcc, exec, s[14:15]
	s_cbranch_vccnz .LBB134_113
; %bb.112:
	v_cvt_f16_u16_e32 v3, v2
	global_store_dword v[0:1], v3, off
.LBB134_113:
	s_mov_b64 s[14:15], 0
.LBB134_114:
	s_andn2_b64 vcc, exec, s[14:15]
	s_cbranch_vccnz .LBB134_123
; %bb.115:
	s_cmp_lt_i32 s20, 6
	s_mov_b64 s[14:15], -1
	s_cbranch_scc1 .LBB134_121
; %bb.116:
	s_cmp_gt_i32 s20, 6
	s_cbranch_scc0 .LBB134_118
; %bb.117:
	v_and_b32_e32 v3, 0xffff, v2
	v_cvt_f64_u32_e32 v[3:4], v3
	s_mov_b64 s[14:15], 0
	global_store_dwordx2 v[0:1], v[3:4], off
.LBB134_118:
	s_andn2_b64 vcc, exec, s[14:15]
	s_cbranch_vccnz .LBB134_120
; %bb.119:
	v_cvt_f32_ubyte0_e32 v3, v2
	global_store_dword v[0:1], v3, off
.LBB134_120:
	s_mov_b64 s[14:15], 0
.LBB134_121:
	s_andn2_b64 vcc, exec, s[14:15]
	s_cbranch_vccnz .LBB134_123
; %bb.122:
	v_cvt_f16_u16_e32 v3, v2
	global_store_short v[0:1], v3, off
.LBB134_123:
	s_mov_b64 s[14:15], 0
.LBB134_124:
	s_andn2_b64 vcc, exec, s[14:15]
	s_cbranch_vccnz .LBB134_140
; %bb.125:
	s_cmp_lt_i32 s20, 2
	s_mov_b64 s[14:15], -1
	s_cbranch_scc1 .LBB134_135
; %bb.126:
	s_cmp_lt_i32 s20, 3
	s_cbranch_scc1 .LBB134_132
; %bb.127:
	s_cmp_gt_i32 s20, 3
	s_cbranch_scc0 .LBB134_129
; %bb.128:
	s_mov_b32 s14, 0
	v_and_b32_e32 v3, 0xffff, v2
	v_mov_b32_e32 v4, s14
	global_store_dwordx2 v[0:1], v[3:4], off
	s_mov_b64 s[14:15], 0
.LBB134_129:
	s_andn2_b64 vcc, exec, s[14:15]
	s_cbranch_vccnz .LBB134_131
; %bb.130:
	v_and_b32_e32 v3, 0xffff, v2
	global_store_dword v[0:1], v3, off
.LBB134_131:
	s_mov_b64 s[14:15], 0
.LBB134_132:
	s_andn2_b64 vcc, exec, s[14:15]
	s_cbranch_vccnz .LBB134_134
; %bb.133:
	global_store_short v[0:1], v2, off
.LBB134_134:
	s_mov_b64 s[14:15], 0
.LBB134_135:
	s_andn2_b64 vcc, exec, s[14:15]
	s_cbranch_vccnz .LBB134_140
; %bb.136:
	s_cmp_gt_i32 s20, 0
	s_mov_b64 s[14:15], -1
	s_cbranch_scc0 .LBB134_138
; %bb.137:
	global_store_byte v[0:1], v2, off
	s_mov_b64 s[14:15], 0
.LBB134_138:
	s_andn2_b64 vcc, exec, s[14:15]
	s_cbranch_vccnz .LBB134_140
; %bb.139:
	global_store_byte v[0:1], v2, off
.LBB134_140:
	s_branch .LBB134_21
.LBB134_141:
	s_mov_b64 s[20:21], 0
                                        ; implicit-def: $vgpr7
	s_branch .LBB134_247
.LBB134_142:
	s_mov_b64 s[16:17], -1
                                        ; implicit-def: $vgpr2
.LBB134_143:
	s_mov_b64 s[14:15], 0
.LBB134_144:
	s_and_b64 vcc, exec, s[14:15]
	s_cbranch_vccz .LBB134_148
; %bb.145:
	s_cmp_eq_u32 s21, 29
	s_cbranch_scc0 .LBB134_147
; %bb.146:
	global_load_dwordx2 v[2:3], v[0:1], off
	s_mov_b64 s[0:1], -1
	s_mov_b64 s[16:17], 0
	s_branch .LBB134_148
.LBB134_147:
	s_mov_b64 s[16:17], -1
                                        ; implicit-def: $vgpr2
.LBB134_148:
	s_mov_b64 s[14:15], 0
.LBB134_149:
	s_and_b64 vcc, exec, s[14:15]
	s_cbranch_vccz .LBB134_165
; %bb.150:
	s_cmp_lt_i32 s21, 27
	s_cbranch_scc1 .LBB134_153
; %bb.151:
	s_cmp_gt_i32 s21, 27
	s_cbranch_scc0 .LBB134_154
; %bb.152:
	global_load_dword v2, v[0:1], off
	s_mov_b64 s[0:1], 0
	s_branch .LBB134_155
.LBB134_153:
	s_mov_b64 s[0:1], -1
                                        ; implicit-def: $vgpr2
	s_branch .LBB134_158
.LBB134_154:
	s_mov_b64 s[0:1], -1
                                        ; implicit-def: $vgpr2
.LBB134_155:
	s_andn2_b64 vcc, exec, s[0:1]
	s_cbranch_vccnz .LBB134_157
; %bb.156:
	global_load_ushort v2, v[0:1], off
.LBB134_157:
	s_mov_b64 s[0:1], 0
.LBB134_158:
	s_andn2_b64 vcc, exec, s[0:1]
	s_cbranch_vccnz .LBB134_164
; %bb.159:
	global_load_ubyte v3, v[0:1], off
	s_movk_i32 s0, 0x7f
	s_mov_b64 s[14:15], 0
	s_waitcnt vmcnt(0)
	v_cmp_lt_i16_e32 vcc, s0, v3
	s_and_saveexec_b64 s[0:1], vcc
	s_xor_b64 s[0:1], exec, s[0:1]
	s_cbranch_execz .LBB134_175
; %bb.160:
	s_movk_i32 s14, 0x80
	v_cmp_ne_u16_e32 vcc, s14, v3
	s_and_b64 s[14:15], vcc, exec
	s_andn2_saveexec_b64 s[0:1], s[0:1]
	s_cbranch_execnz .LBB134_176
.LBB134_161:
	s_or_b64 exec, exec, s[0:1]
	v_mov_b32_e32 v2, 0
	s_and_saveexec_b64 s[0:1], s[14:15]
	s_cbranch_execz .LBB134_163
.LBB134_162:
	v_lshlrev_b32_e32 v2, 24, v3
	v_and_b32_e32 v3, 0xffff, v3
	v_and_b32_e32 v4, 7, v3
	v_ffbh_u32_e32 v6, v4
	v_min_u32_e32 v6, 32, v6
	v_subrev_u32_e32 v8, 28, v6
	v_bfe_u32 v5, v3, 3, 4
	v_lshlrev_b32_e32 v3, v8, v3
	v_sub_u32_e32 v6, 29, v6
	v_and_b32_e32 v3, 7, v3
	v_cmp_eq_u32_e32 vcc, 0, v5
	v_cndmask_b32_e32 v5, v5, v6, vcc
	v_cndmask_b32_e32 v3, v4, v3, vcc
	v_mov_b32_e32 v4, 0x3b800000
	v_lshlrev_b32_e32 v3, 20, v3
	v_and_b32_e32 v2, 0x80000000, v2
	v_lshl_add_u32 v4, v5, 23, v4
	v_or3_b32 v2, v2, v4, v3
	v_trunc_f32_e32 v2, v2
	s_mov_b32 s14, 0x2f800000
	v_mul_f32_e64 v3, |v2|, s14
	v_floor_f32_e32 v3, v3
	s_mov_b32 s14, 0xcf800000
	v_fma_f32 v3, v3, s14, |v2|
	v_cvt_u32_f32_e32 v3, v3
	v_ashrrev_i32_e32 v2, 31, v2
	v_xor_b32_e32 v3, v3, v2
	v_sub_u32_e32 v2, v3, v2
.LBB134_163:
	s_or_b64 exec, exec, s[0:1]
.LBB134_164:
	s_mov_b64 s[0:1], -1
.LBB134_165:
	s_branch .LBB134_198
.LBB134_166:
	s_cmp_gt_i32 s21, 22
	s_cbranch_scc0 .LBB134_174
; %bb.167:
	s_cmp_lt_i32 s21, 24
	s_cbranch_scc1 .LBB134_177
; %bb.168:
	s_cmp_gt_i32 s21, 24
	s_cbranch_scc0 .LBB134_178
; %bb.169:
	global_load_ubyte v3, v[0:1], off
	s_movk_i32 s0, 0x7f
	s_mov_b64 s[14:15], 0
	s_waitcnt vmcnt(0)
	v_cmp_lt_i16_e32 vcc, s0, v3
	s_and_saveexec_b64 s[0:1], vcc
	s_xor_b64 s[0:1], exec, s[0:1]
	s_cbranch_execz .LBB134_190
; %bb.170:
	s_movk_i32 s14, 0x80
	v_cmp_ne_u16_e32 vcc, s14, v3
	s_and_b64 s[14:15], vcc, exec
	s_andn2_saveexec_b64 s[0:1], s[0:1]
	s_cbranch_execnz .LBB134_191
.LBB134_171:
	s_or_b64 exec, exec, s[0:1]
	v_mov_b32_e32 v2, 0
	s_and_saveexec_b64 s[0:1], s[14:15]
	s_cbranch_execz .LBB134_173
.LBB134_172:
	v_lshlrev_b32_e32 v2, 24, v3
	v_and_b32_e32 v3, 0xffff, v3
	v_and_b32_e32 v4, 3, v3
	v_ffbh_u32_e32 v6, v4
	v_min_u32_e32 v6, 32, v6
	v_subrev_u32_e32 v8, 29, v6
	v_bfe_u32 v5, v3, 2, 5
	v_lshlrev_b32_e32 v3, v8, v3
	v_sub_u32_e32 v6, 30, v6
	v_and_b32_e32 v3, 3, v3
	v_cmp_eq_u32_e32 vcc, 0, v5
	v_cndmask_b32_e32 v5, v5, v6, vcc
	v_cndmask_b32_e32 v3, v4, v3, vcc
	v_mov_b32_e32 v4, 0x37800000
	v_lshlrev_b32_e32 v3, 21, v3
	v_and_b32_e32 v2, 0x80000000, v2
	v_lshl_add_u32 v4, v5, 23, v4
	v_or3_b32 v2, v2, v4, v3
	v_trunc_f32_e32 v2, v2
	s_mov_b32 s14, 0x2f800000
	v_mul_f32_e64 v3, |v2|, s14
	v_floor_f32_e32 v3, v3
	s_mov_b32 s14, 0xcf800000
	v_fma_f32 v3, v3, s14, |v2|
	v_cvt_u32_f32_e32 v3, v3
	v_ashrrev_i32_e32 v2, 31, v2
	v_xor_b32_e32 v3, v3, v2
	v_sub_u32_e32 v2, v3, v2
.LBB134_173:
	s_or_b64 exec, exec, s[0:1]
	s_mov_b64 s[0:1], 0
	s_branch .LBB134_179
.LBB134_174:
	s_mov_b64 s[14:15], -1
                                        ; implicit-def: $vgpr2
	s_branch .LBB134_185
.LBB134_175:
	s_andn2_saveexec_b64 s[0:1], s[0:1]
	s_cbranch_execz .LBB134_161
.LBB134_176:
	v_cmp_ne_u16_e32 vcc, 0, v3
	s_andn2_b64 s[14:15], s[14:15], exec
	s_and_b64 s[24:25], vcc, exec
	s_or_b64 s[14:15], s[14:15], s[24:25]
	s_or_b64 exec, exec, s[0:1]
	v_mov_b32_e32 v2, 0
	s_and_saveexec_b64 s[0:1], s[14:15]
	s_cbranch_execnz .LBB134_162
	s_branch .LBB134_163
.LBB134_177:
	s_mov_b64 s[0:1], -1
                                        ; implicit-def: $vgpr2
	s_branch .LBB134_182
.LBB134_178:
	s_mov_b64 s[0:1], -1
                                        ; implicit-def: $vgpr2
.LBB134_179:
	s_and_b64 vcc, exec, s[0:1]
	s_cbranch_vccz .LBB134_181
; %bb.180:
	global_load_ubyte v2, v[0:1], off
	s_mov_b32 s0, 0x7f800000
	s_brev_b32 s1, 1
	s_mov_b32 s14, 0x2f800000
	s_waitcnt vmcnt(0)
	v_lshlrev_b32_e32 v2, 24, v2
	v_and_b32_e32 v3, 0x7f000000, v2
	v_ffbh_u32_e32 v4, v3
	v_min_u32_e32 v4, 32, v4
	v_sub_u32_e64 v4, v4, 4 clamp
	v_lshlrev_b32_e32 v6, v4, v3
	v_lshlrev_b32_e32 v4, 23, v4
	v_lshrrev_b32_e32 v6, 4, v6
	v_add_u32_e32 v5, 0x1000000, v3
	v_sub_u32_e32 v4, v6, v4
	v_ashrrev_i32_e32 v5, 8, v5
	v_add_u32_e32 v4, 0x3c000000, v4
	v_and_or_b32 v4, v5, s0, v4
	v_cmp_ne_u32_e32 vcc, 0, v3
	v_cndmask_b32_e32 v3, 0, v4, vcc
	v_and_or_b32 v2, v2, s1, v3
	v_trunc_f32_e32 v2, v2
	v_mul_f32_e64 v3, |v2|, s14
	v_floor_f32_e32 v3, v3
	s_mov_b32 s0, 0xcf800000
	v_fma_f32 v3, v3, s0, |v2|
	v_cvt_u32_f32_e32 v3, v3
	v_ashrrev_i32_e32 v2, 31, v2
	v_xor_b32_e32 v3, v3, v2
	v_sub_u32_e32 v2, v3, v2
.LBB134_181:
	s_mov_b64 s[0:1], 0
.LBB134_182:
	s_andn2_b64 vcc, exec, s[0:1]
	s_cbranch_vccnz .LBB134_184
; %bb.183:
	global_load_ubyte v2, v[0:1], off
	s_movk_i32 s0, 0x7f00
	s_brev_b32 s1, 16
	s_brev_b32 s14, 1
	s_mov_b32 s15, 0x2f800000
	s_waitcnt vmcnt(0)
	v_lshlrev_b16_e32 v3, 8, v2
	v_lshlrev_b32_e32 v2, 25, v2
	v_lshrrev_b32_e32 v4, 4, v2
	v_and_or_b32 v5, v3, s0, 0.5
	v_or_b32_e32 v4, 0x70000000, v4
	v_add_f32_e32 v5, -0.5, v5
	v_mul_f32_e32 v4, 0x7800000, v4
	v_cmp_gt_u32_e32 vcc, s1, v2
	v_bfe_i32 v3, v3, 0, 16
	v_cndmask_b32_e32 v2, v4, v5, vcc
	v_and_or_b32 v2, v3, s14, v2
	v_trunc_f32_e32 v2, v2
	v_mul_f32_e64 v3, |v2|, s15
	v_floor_f32_e32 v3, v3
	s_mov_b32 s0, 0xcf800000
	v_fma_f32 v3, v3, s0, |v2|
	v_cvt_u32_f32_e32 v3, v3
	v_ashrrev_i32_e32 v2, 31, v2
	v_xor_b32_e32 v3, v3, v2
	v_sub_u32_e32 v2, v3, v2
.LBB134_184:
	s_mov_b64 s[14:15], 0
	s_mov_b64 s[0:1], -1
.LBB134_185:
	s_andn2_b64 vcc, exec, s[14:15]
	s_cbranch_vccnz .LBB134_198
; %bb.186:
	s_cmp_gt_i32 s21, 14
	s_cbranch_scc0 .LBB134_189
; %bb.187:
	s_cmp_eq_u32 s21, 15
	s_cbranch_scc0 .LBB134_192
; %bb.188:
	global_load_ushort v2, v[0:1], off
	s_mov_b32 s0, 0x2f800000
	s_mov_b32 s1, 0xcf800000
	s_mov_b64 s[16:17], 0
	s_waitcnt vmcnt(0)
	v_lshlrev_b32_e32 v2, 16, v2
	v_trunc_f32_e32 v2, v2
	v_mul_f32_e64 v3, |v2|, s0
	v_floor_f32_e32 v3, v3
	v_fma_f32 v3, v3, s1, |v2|
	v_cvt_u32_f32_e32 v3, v3
	v_ashrrev_i32_e32 v2, 31, v2
	s_mov_b64 s[0:1], -1
	v_xor_b32_e32 v3, v3, v2
	v_sub_u32_e32 v2, v3, v2
	s_branch .LBB134_193
.LBB134_189:
	s_mov_b64 s[14:15], -1
                                        ; implicit-def: $vgpr2
	s_branch .LBB134_194
.LBB134_190:
	s_andn2_saveexec_b64 s[0:1], s[0:1]
	s_cbranch_execz .LBB134_171
.LBB134_191:
	v_cmp_ne_u16_e32 vcc, 0, v3
	s_andn2_b64 s[14:15], s[14:15], exec
	s_and_b64 s[24:25], vcc, exec
	s_or_b64 s[14:15], s[14:15], s[24:25]
	s_or_b64 exec, exec, s[0:1]
	v_mov_b32_e32 v2, 0
	s_and_saveexec_b64 s[0:1], s[14:15]
	s_cbranch_execnz .LBB134_172
	s_branch .LBB134_173
.LBB134_192:
	s_mov_b64 s[16:17], -1
                                        ; implicit-def: $vgpr2
.LBB134_193:
	s_mov_b64 s[14:15], 0
.LBB134_194:
	s_and_b64 vcc, exec, s[14:15]
	s_cbranch_vccz .LBB134_198
; %bb.195:
	s_cmp_eq_u32 s21, 11
	s_cbranch_scc0 .LBB134_197
; %bb.196:
	global_load_ubyte v2, v[0:1], off
	s_mov_b64 s[0:1], -1
	s_mov_b64 s[16:17], 0
	s_waitcnt vmcnt(0)
	v_cmp_ne_u16_e32 vcc, 0, v2
	v_cndmask_b32_e64 v2, 0, 1, vcc
	s_branch .LBB134_198
.LBB134_197:
	s_mov_b64 s[16:17], -1
                                        ; implicit-def: $vgpr2
.LBB134_198:
	s_branch .LBB134_10
.LBB134_199:
	s_and_b32 s14, 0xffff, s20
	s_cmp_lt_i32 s14, 5
	s_cbranch_scc1 .LBB134_204
; %bb.200:
	s_cmp_lt_i32 s14, 8
	s_cbranch_scc1 .LBB134_205
; %bb.201:
	;; [unrolled: 3-line block ×3, first 2 shown]
	s_cmp_gt_i32 s14, 9
	s_cbranch_scc0 .LBB134_207
; %bb.203:
	global_load_dwordx2 v[2:3], v[0:1], off
	s_movk_i32 s0, 0xffe0
	s_waitcnt vmcnt(0)
	v_trunc_f64_e32 v[2:3], v[2:3]
	v_ldexp_f64 v[4:5], v[2:3], s0
	s_mov_b32 s0, 0
	s_mov_b32 s1, 0xc1f00000
	v_floor_f64_e32 v[4:5], v[4:5]
	v_fma_f64 v[2:3], v[4:5], s[0:1], v[2:3]
	s_mov_b64 s[0:1], 0
	v_cvt_u32_f64_e32 v2, v[2:3]
	s_branch .LBB134_208
.LBB134_204:
                                        ; implicit-def: $vgpr2
	s_branch .LBB134_226
.LBB134_205:
	s_mov_b64 s[0:1], -1
                                        ; implicit-def: $vgpr2
	s_branch .LBB134_214
.LBB134_206:
	s_mov_b64 s[0:1], -1
                                        ; implicit-def: $vgpr2
	s_branch .LBB134_211
.LBB134_207:
	s_mov_b64 s[0:1], -1
                                        ; implicit-def: $vgpr2
.LBB134_208:
	s_andn2_b64 vcc, exec, s[0:1]
	s_cbranch_vccnz .LBB134_210
; %bb.209:
	global_load_dword v2, v[0:1], off
	s_mov_b32 s0, 0x2f800000
	s_waitcnt vmcnt(0)
	v_trunc_f32_e32 v2, v2
	v_mul_f32_e64 v3, |v2|, s0
	v_floor_f32_e32 v3, v3
	s_mov_b32 s0, 0xcf800000
	v_fma_f32 v3, v3, s0, |v2|
	v_cvt_u32_f32_e32 v3, v3
	v_ashrrev_i32_e32 v2, 31, v2
	v_xor_b32_e32 v3, v3, v2
	v_sub_u32_e32 v2, v3, v2
.LBB134_210:
	s_mov_b64 s[0:1], 0
.LBB134_211:
	s_andn2_b64 vcc, exec, s[0:1]
	s_cbranch_vccnz .LBB134_213
; %bb.212:
	global_load_dword v2, v[0:1], off
	s_waitcnt vmcnt(0)
	v_cvt_f32_f16_e32 v2, v2
	v_cvt_i32_f32_e32 v2, v2
.LBB134_213:
	s_mov_b64 s[0:1], 0
.LBB134_214:
	s_andn2_b64 vcc, exec, s[0:1]
	s_cbranch_vccnz .LBB134_225
; %bb.215:
	s_cmp_lt_i32 s14, 6
	s_cbranch_scc1 .LBB134_218
; %bb.216:
	s_cmp_gt_i32 s14, 6
	s_cbranch_scc0 .LBB134_219
; %bb.217:
	global_load_dwordx2 v[2:3], v[0:1], off
	s_movk_i32 s0, 0xffe0
	s_waitcnt vmcnt(0)
	v_trunc_f64_e32 v[2:3], v[2:3]
	v_ldexp_f64 v[4:5], v[2:3], s0
	s_mov_b32 s0, 0
	s_mov_b32 s1, 0xc1f00000
	v_floor_f64_e32 v[4:5], v[4:5]
	v_fma_f64 v[2:3], v[4:5], s[0:1], v[2:3]
	s_mov_b64 s[0:1], 0
	v_cvt_u32_f64_e32 v2, v[2:3]
	s_branch .LBB134_220
.LBB134_218:
	s_mov_b64 s[0:1], -1
                                        ; implicit-def: $vgpr2
	s_branch .LBB134_223
.LBB134_219:
	s_mov_b64 s[0:1], -1
                                        ; implicit-def: $vgpr2
.LBB134_220:
	s_andn2_b64 vcc, exec, s[0:1]
	s_cbranch_vccnz .LBB134_222
; %bb.221:
	global_load_dword v2, v[0:1], off
	s_mov_b32 s0, 0x2f800000
	s_waitcnt vmcnt(0)
	v_trunc_f32_e32 v2, v2
	v_mul_f32_e64 v3, |v2|, s0
	v_floor_f32_e32 v3, v3
	s_mov_b32 s0, 0xcf800000
	v_fma_f32 v3, v3, s0, |v2|
	v_cvt_u32_f32_e32 v3, v3
	v_ashrrev_i32_e32 v2, 31, v2
	v_xor_b32_e32 v3, v3, v2
	v_sub_u32_e32 v2, v3, v2
.LBB134_222:
	s_mov_b64 s[0:1], 0
.LBB134_223:
	s_andn2_b64 vcc, exec, s[0:1]
	s_cbranch_vccnz .LBB134_225
; %bb.224:
	global_load_ushort v2, v[0:1], off
	s_waitcnt vmcnt(0)
	v_cvt_f32_f16_e32 v2, v2
	v_cvt_i32_f32_e32 v2, v2
.LBB134_225:
	s_cbranch_execnz .LBB134_245
.LBB134_226:
	s_cmp_lt_i32 s14, 2
	s_cbranch_scc1 .LBB134_230
; %bb.227:
	s_cmp_lt_i32 s14, 3
	s_cbranch_scc1 .LBB134_231
; %bb.228:
	s_cmp_gt_i32 s14, 3
	s_cbranch_scc0 .LBB134_232
; %bb.229:
	global_load_dwordx2 v[2:3], v[0:1], off
	s_mov_b64 s[0:1], 0
	s_branch .LBB134_233
.LBB134_230:
	s_mov_b64 s[0:1], -1
                                        ; implicit-def: $vgpr2
	s_branch .LBB134_239
.LBB134_231:
	s_mov_b64 s[0:1], -1
                                        ; implicit-def: $vgpr2
	s_branch .LBB134_236
.LBB134_232:
	s_mov_b64 s[0:1], -1
                                        ; implicit-def: $vgpr2
.LBB134_233:
	s_andn2_b64 vcc, exec, s[0:1]
	s_cbranch_vccnz .LBB134_235
; %bb.234:
	global_load_dword v2, v[0:1], off
.LBB134_235:
	s_mov_b64 s[0:1], 0
.LBB134_236:
	s_andn2_b64 vcc, exec, s[0:1]
	s_cbranch_vccnz .LBB134_238
; %bb.237:
	global_load_ushort v2, v[0:1], off
.LBB134_238:
	s_mov_b64 s[0:1], 0
.LBB134_239:
	s_andn2_b64 vcc, exec, s[0:1]
	s_cbranch_vccnz .LBB134_245
; %bb.240:
	s_cmp_gt_i32 s14, 0
	s_cbranch_scc0 .LBB134_242
; %bb.241:
	global_load_ubyte v2, v[0:1], off
	s_mov_b64 s[0:1], 0
	s_branch .LBB134_243
.LBB134_242:
	s_mov_b64 s[0:1], -1
                                        ; implicit-def: $vgpr2
.LBB134_243:
	s_andn2_b64 vcc, exec, s[0:1]
	s_cbranch_vccnz .LBB134_245
; %bb.244:
	global_load_ubyte v2, v[0:1], off
.LBB134_245:
	s_branch .LBB134_11
.LBB134_246:
	s_mov_b64 s[0:1], 0
                                        ; implicit-def: $vgpr7
	s_mov_b64 s[20:21], 0
.LBB134_247:
	s_and_b64 s[14:15], s[0:1], exec
	s_and_b64 s[16:17], s[16:17], exec
	s_orn2_b64 s[20:21], s[20:21], exec
.LBB134_248:
	s_or_b64 exec, exec, s[18:19]
	s_mov_b64 s[24:25], 0
	s_mov_b64 s[0:1], 0
                                        ; implicit-def: $sgpr47
                                        ; implicit-def: $vgpr0_vgpr1
                                        ; implicit-def: $vgpr2
	s_and_saveexec_b64 s[18:19], s[20:21]
	s_cbranch_execz .LBB134_257
; %bb.249:
	v_cmp_gt_i32_e32 vcc, s40, v7
	s_mov_b64 s[0:1], -1
	s_mov_b64 s[20:21], s[16:17]
	s_mov_b64 s[22:23], s[14:15]
	s_and_saveexec_b64 s[24:25], vcc
	s_cbranch_execz .LBB134_505
; %bb.250:
	v_mul_lo_u32 v0, v7, s3
	v_mov_b32_e32 v1, s11
	s_and_b32 s26, s45, 0xff
	s_cmp_lt_i32 s26, 11
	s_waitcnt vmcnt(0)
	v_ashrrev_i32_e32 v2, 31, v0
	v_add_co_u32_e32 v0, vcc, s10, v0
	v_addc_co_u32_e32 v1, vcc, v1, v2, vcc
	s_cbranch_scc1 .LBB134_260
; %bb.251:
	s_and_b32 s27, 0xffff, s26
	s_cmp_gt_i32 s27, 25
	s_cbranch_scc0 .LBB134_269
; %bb.252:
	s_cmp_gt_i32 s27, 28
	s_cbranch_scc0 .LBB134_271
; %bb.253:
	;; [unrolled: 3-line block ×4, first 2 shown]
	s_cmp_eq_u32 s27, 46
	s_mov_b64 s[22:23], 0
	s_cbranch_scc0 .LBB134_281
; %bb.256:
	global_load_dword v2, v[0:1], off
	s_mov_b32 s0, 0x2f800000
	s_mov_b32 s1, 0xcf800000
	s_mov_b64 s[20:21], 0
	s_waitcnt vmcnt(0)
	v_lshlrev_b32_e32 v2, 16, v2
	v_trunc_f32_e32 v2, v2
	v_mul_f32_e64 v3, |v2|, s0
	v_floor_f32_e32 v3, v3
	v_fma_f32 v3, v3, s1, |v2|
	v_cvt_u32_f32_e32 v3, v3
	v_ashrrev_i32_e32 v2, 31, v2
	s_mov_b64 s[0:1], -1
	v_xor_b32_e32 v3, v3, v2
	v_sub_u32_e32 v2, v3, v2
	s_branch .LBB134_282
.LBB134_257:
	s_or_b64 exec, exec, s[18:19]
	s_mov_b64 s[18:19], 0
	s_and_saveexec_b64 s[20:21], s[16:17]
	s_cbranch_execnz .LBB134_843
.LBB134_258:
	s_or_b64 exec, exec, s[20:21]
	s_and_saveexec_b64 s[16:17], s[22:23]
	s_xor_b64 s[16:17], exec, s[16:17]
	s_cbranch_execz .LBB134_844
.LBB134_259:
	global_load_ubyte v2, v[0:1], off
	s_or_b64 s[0:1], s[0:1], exec
	s_waitcnt vmcnt(0)
	v_cmp_ne_u16_e32 vcc, 0, v2
	v_cndmask_b32_e64 v2, 0, 1, vcc
	s_or_b64 exec, exec, s[16:17]
	s_and_saveexec_b64 s[16:17], s[24:25]
	s_cbranch_execz .LBB134_890
	s_branch .LBB134_845
.LBB134_260:
	s_mov_b64 s[0:1], 0
                                        ; implicit-def: $vgpr2
	s_mov_b64 s[20:21], s[16:17]
	s_cbranch_execnz .LBB134_455
.LBB134_261:
	s_andn2_b64 vcc, exec, s[0:1]
	s_cbranch_vccnz .LBB134_503
.LBB134_262:
	v_mul_lo_u32 v0, v7, s2
	s_waitcnt vmcnt(0)
	v_lshrrev_b16_sdwa v1, s46, v2 dst_sel:DWORD dst_unused:UNUSED_PAD src0_sel:DWORD src1_sel:BYTE_0
	v_mov_b32_e32 v3, s9
	v_cndmask_b32_e64 v2, v1, 0, s[6:7]
	v_ashrrev_i32_e32 v1, 31, v0
	s_and_b32 s30, s33, 0xff
	v_add_co_u32_e32 v0, vcc, s8, v0
	s_cmp_lt_i32 s30, 11
	v_addc_co_u32_e32 v1, vcc, v3, v1, vcc
	s_cbranch_scc1 .LBB134_270
; %bb.263:
	s_and_b32 s31, 0xffff, s30
	s_cmp_gt_i32 s31, 25
	s_cbranch_scc0 .LBB134_272
; %bb.264:
	s_cmp_gt_i32 s31, 28
	s_cbranch_scc0 .LBB134_274
; %bb.265:
	s_cmp_gt_i32 s31, 43
	s_cbranch_scc0 .LBB134_278
; %bb.266:
	s_cmp_gt_i32 s31, 45
	s_cbranch_scc0 .LBB134_285
; %bb.267:
	s_mov_b64 s[26:27], 0
	s_mov_b64 s[0:1], -1
	s_cmp_eq_u32 s31, 46
	s_mov_b64 s[22:23], 0
	s_cbranch_scc0 .LBB134_286
; %bb.268:
	v_cvt_f32_ubyte0_e32 v3, v2
	v_bfe_u32 v4, v3, 16, 1
	s_movk_i32 s0, 0x7fff
	v_add3_u32 v3, v3, v4, s0
	v_lshrrev_b32_e32 v3, 16, v3
	global_store_dword v[0:1], v3, off
	s_mov_b64 s[22:23], -1
	s_mov_b64 s[0:1], 0
	s_branch .LBB134_286
.LBB134_269:
	s_mov_b64 s[22:23], -1
	s_mov_b64 s[0:1], 0
	s_mov_b64 s[20:21], s[16:17]
                                        ; implicit-def: $vgpr2
	s_branch .LBB134_421
.LBB134_270:
	s_mov_b64 s[26:27], -1
	s_mov_b64 s[22:23], 0
	s_mov_b64 s[0:1], s[14:15]
	s_branch .LBB134_355
.LBB134_271:
	s_mov_b64 s[22:23], -1
	s_mov_b64 s[0:1], 0
	s_mov_b64 s[20:21], s[16:17]
                                        ; implicit-def: $vgpr2
	s_branch .LBB134_404
.LBB134_272:
	s_mov_b64 s[26:27], -1
	s_mov_b64 s[22:23], 0
	s_mov_b64 s[0:1], s[14:15]
	s_branch .LBB134_313
.LBB134_273:
	s_mov_b64 s[22:23], -1
	s_mov_b64 s[0:1], 0
	s_mov_b64 s[20:21], s[16:17]
                                        ; implicit-def: $vgpr2
	s_branch .LBB134_399
.LBB134_274:
	s_mov_b64 s[26:27], -1
	s_mov_b64 s[22:23], 0
	s_mov_b64 s[0:1], s[14:15]
	s_branch .LBB134_296
.LBB134_275:
	s_andn2_saveexec_b64 s[24:25], s[24:25]
	s_cbranch_execz .LBB134_55
.LBB134_276:
	v_add_f32_e32 v3, 0x46000000, v4
	v_and_b32_e32 v3, 0xff, v3
	v_cmp_ne_u32_e32 vcc, 0, v3
	s_andn2_b64 s[20:21], s[20:21], exec
	s_and_b64 s[28:29], vcc, exec
	s_or_b64 s[20:21], s[20:21], s[28:29]
	s_or_b64 exec, exec, s[24:25]
	v_mov_b32_e32 v5, 0
	s_and_saveexec_b64 s[24:25], s[20:21]
	s_cbranch_execnz .LBB134_56
	s_branch .LBB134_57
.LBB134_277:
	s_mov_b64 s[22:23], -1
	s_mov_b64 s[0:1], 0
	s_mov_b64 s[20:21], s[16:17]
                                        ; implicit-def: $vgpr2
	s_branch .LBB134_282
.LBB134_278:
	s_mov_b64 s[26:27], -1
	s_mov_b64 s[22:23], 0
	s_mov_b64 s[0:1], s[14:15]
	s_branch .LBB134_292
.LBB134_279:
	s_andn2_saveexec_b64 s[24:25], s[24:25]
	s_cbranch_execz .LBB134_68
.LBB134_280:
	v_add_f32_e32 v3, 0x42800000, v4
	v_and_b32_e32 v3, 0xff, v3
	v_cmp_ne_u32_e32 vcc, 0, v3
	s_andn2_b64 s[20:21], s[20:21], exec
	s_and_b64 s[28:29], vcc, exec
	s_or_b64 s[20:21], s[20:21], s[28:29]
	s_or_b64 exec, exec, s[24:25]
	v_mov_b32_e32 v5, 0
	s_and_saveexec_b64 s[24:25], s[20:21]
	s_cbranch_execnz .LBB134_69
	s_branch .LBB134_70
.LBB134_281:
	s_mov_b64 s[20:21], -1
                                        ; implicit-def: $vgpr2
	s_mov_b64 s[0:1], 0
.LBB134_282:
	s_and_b64 vcc, exec, s[22:23]
	s_cbranch_vccz .LBB134_398
; %bb.283:
	s_cmp_eq_u32 s27, 44
	s_cbranch_scc0 .LBB134_397
; %bb.284:
	global_load_ubyte v2, v[0:1], off
	s_mov_b32 s0, 0x2f800000
	s_mov_b32 s1, 0xcf800000
	s_mov_b64 s[20:21], 0
	s_waitcnt vmcnt(0)
	v_lshlrev_b32_e32 v3, 23, v2
	v_trunc_f32_e32 v3, v3
	v_mul_f32_e64 v4, |v3|, s0
	v_floor_f32_e32 v4, v4
	v_fma_f32 v4, v4, s1, |v3|
	v_cvt_u32_f32_e32 v4, v4
	v_ashrrev_i32_e32 v3, 31, v3
	v_cmp_ne_u32_e32 vcc, 0, v2
	s_mov_b64 s[0:1], -1
	v_xor_b32_e32 v4, v4, v3
	v_sub_u32_e32 v3, v4, v3
	v_cndmask_b32_e32 v2, 0, v3, vcc
	s_branch .LBB134_398
.LBB134_285:
	s_mov_b64 s[26:27], -1
	s_mov_b64 s[22:23], 0
	s_mov_b64 s[0:1], s[14:15]
.LBB134_286:
	s_and_b64 vcc, exec, s[26:27]
	s_cbranch_vccz .LBB134_291
; %bb.287:
	s_cmp_eq_u32 s31, 44
	s_mov_b64 s[0:1], -1
	s_cbranch_scc0 .LBB134_291
; %bb.288:
	v_cvt_f32_ubyte0_e32 v4, v2
	v_lshrrev_b32_e32 v3, 23, v4
	s_movk_i32 s0, 0xff
	v_cmp_ne_u32_e32 vcc, s0, v3
	v_mov_b32_e32 v5, 0xff
	s_and_saveexec_b64 s[22:23], vcc
; %bb.289:
	s_mov_b32 s0, 0x3fffff
	v_and_b32_e32 v5, 0x400000, v4
	v_and_or_b32 v4, v4, s0, v3
	v_cmp_ne_u32_e32 vcc, 0, v5
	v_cmp_ne_u32_e64 s[0:1], 0, v4
	s_and_b64 s[0:1], vcc, s[0:1]
	v_cndmask_b32_e64 v4, 0, 1, s[0:1]
	v_add_u32_e32 v5, v3, v4
; %bb.290:
	s_or_b64 exec, exec, s[22:23]
	s_mov_b64 s[22:23], -1
	s_mov_b64 s[0:1], 0
	global_store_byte v[0:1], v5, off
.LBB134_291:
	s_mov_b64 s[26:27], 0
.LBB134_292:
	s_and_b64 vcc, exec, s[26:27]
	s_cbranch_vccz .LBB134_295
; %bb.293:
	s_cmp_eq_u32 s31, 29
	s_mov_b64 s[0:1], -1
	s_cbranch_scc0 .LBB134_295
; %bb.294:
	s_mov_b32 s0, 0
	v_and_b32_e32 v3, 0xffff, v2
	v_mov_b32_e32 v4, s0
	global_store_dwordx2 v[0:1], v[3:4], off
	s_mov_b64 s[22:23], -1
	s_mov_b64 s[0:1], 0
.LBB134_295:
	s_mov_b64 s[26:27], 0
.LBB134_296:
	s_and_b64 vcc, exec, s[26:27]
	s_cbranch_vccz .LBB134_312
; %bb.297:
	s_cmp_lt_i32 s31, 27
	s_mov_b64 s[22:23], -1
	s_cbranch_scc1 .LBB134_303
; %bb.298:
	s_cmp_gt_i32 s31, 27
	s_cbranch_scc0 .LBB134_300
; %bb.299:
	v_and_b32_e32 v3, 0xffff, v2
	s_mov_b64 s[22:23], 0
	global_store_dword v[0:1], v3, off
.LBB134_300:
	s_andn2_b64 vcc, exec, s[22:23]
	s_cbranch_vccnz .LBB134_302
; %bb.301:
	global_store_short v[0:1], v2, off
.LBB134_302:
	s_mov_b64 s[22:23], 0
.LBB134_303:
	s_andn2_b64 vcc, exec, s[22:23]
	s_cbranch_vccnz .LBB134_311
; %bb.304:
	v_cvt_f32_ubyte0_e32 v4, v2
	s_mov_b32 s22, 0x43800000
	v_cmp_gt_u32_e32 vcc, s22, v4
	v_mov_b32_e32 v5, 0x80
	s_and_saveexec_b64 s[22:23], vcc
	s_cbranch_execz .LBB134_310
; %bb.305:
	s_mov_b32 s26, 0x3bffffff
	v_cmp_lt_u32_e32 vcc, s26, v4
	s_mov_b64 s[26:27], 0
                                        ; implicit-def: $vgpr3
	s_and_saveexec_b64 s[28:29], vcc
	s_xor_b64 s[28:29], exec, s[28:29]
	s_cbranch_execz .LBB134_518
; %bb.306:
	v_bfe_u32 v3, v4, 20, 1
	s_mov_b32 s34, 0x487ffff
	v_add3_u32 v3, v4, v3, s34
	s_mov_b64 s[26:27], exec
	v_lshrrev_b32_e32 v3, 20, v3
                                        ; implicit-def: $vgpr4
	s_andn2_saveexec_b64 s[28:29], s[28:29]
	s_cbranch_execnz .LBB134_519
.LBB134_307:
	s_or_b64 exec, exec, s[28:29]
	v_mov_b32_e32 v5, 0
	s_and_saveexec_b64 s[28:29], s[26:27]
.LBB134_308:
	v_mov_b32_e32 v5, v3
.LBB134_309:
	s_or_b64 exec, exec, s[28:29]
.LBB134_310:
	s_or_b64 exec, exec, s[22:23]
	global_store_byte v[0:1], v5, off
.LBB134_311:
	s_mov_b64 s[22:23], -1
.LBB134_312:
	s_mov_b64 s[26:27], 0
.LBB134_313:
	s_and_b64 vcc, exec, s[26:27]
	s_cbranch_vccz .LBB134_354
; %bb.314:
	s_cmp_gt_i32 s31, 22
	s_mov_b64 s[26:27], -1
	s_cbranch_scc0 .LBB134_346
; %bb.315:
	s_cmp_lt_i32 s31, 24
	s_mov_b64 s[22:23], -1
	s_cbranch_scc1 .LBB134_335
; %bb.316:
	s_cmp_gt_i32 s31, 24
	s_cbranch_scc0 .LBB134_324
; %bb.317:
	v_cvt_f32_ubyte0_e32 v4, v2
	s_mov_b32 s22, 0x47800000
	v_cmp_gt_u32_e32 vcc, s22, v4
	v_mov_b32_e32 v5, 0x80
	s_and_saveexec_b64 s[22:23], vcc
	s_cbranch_execz .LBB134_323
; %bb.318:
	s_mov_b32 s26, 0x37ffffff
	v_cmp_lt_u32_e32 vcc, s26, v4
	s_mov_b64 s[26:27], 0
                                        ; implicit-def: $vgpr3
	s_and_saveexec_b64 s[28:29], vcc
	s_xor_b64 s[28:29], exec, s[28:29]
	s_cbranch_execz .LBB134_521
; %bb.319:
	v_bfe_u32 v3, v4, 21, 1
	s_mov_b32 s34, 0x88fffff
	v_add3_u32 v3, v4, v3, s34
	s_mov_b64 s[26:27], exec
	v_lshrrev_b32_e32 v3, 21, v3
                                        ; implicit-def: $vgpr4
	s_andn2_saveexec_b64 s[28:29], s[28:29]
	s_cbranch_execnz .LBB134_522
.LBB134_320:
	s_or_b64 exec, exec, s[28:29]
	v_mov_b32_e32 v5, 0
	s_and_saveexec_b64 s[28:29], s[26:27]
.LBB134_321:
	v_mov_b32_e32 v5, v3
.LBB134_322:
	s_or_b64 exec, exec, s[28:29]
.LBB134_323:
	s_or_b64 exec, exec, s[22:23]
	s_mov_b64 s[22:23], 0
	global_store_byte v[0:1], v5, off
.LBB134_324:
	s_and_b64 vcc, exec, s[22:23]
	s_cbranch_vccz .LBB134_334
; %bb.325:
	v_cvt_f32_ubyte0_e32 v3, v2
	s_mov_b32 s22, 0x43f00000
	v_cmp_gt_u32_e32 vcc, s22, v3
                                        ; implicit-def: $vgpr4
	s_and_saveexec_b64 s[22:23], vcc
	s_xor_b64 s[22:23], exec, s[22:23]
	s_cbranch_execz .LBB134_331
; %bb.326:
	s_mov_b32 s26, 0x3c7fffff
	v_cmp_lt_u32_e32 vcc, s26, v3
                                        ; implicit-def: $vgpr4
	s_and_saveexec_b64 s[26:27], vcc
	s_xor_b64 s[26:27], exec, s[26:27]
; %bb.327:
	v_bfe_u32 v4, v3, 20, 1
	s_mov_b32 s28, 0x407ffff
	v_add3_u32 v3, v3, v4, s28
	v_lshrrev_b32_e32 v4, 20, v3
	v_and_b32_e32 v3, 0xff00000, v3
	s_mov_b32 s28, 0x7f00000
	v_mov_b32_e32 v5, 0x7e
	v_cmp_ne_u32_e32 vcc, s28, v3
	v_cndmask_b32_e32 v4, v5, v4, vcc
                                        ; implicit-def: $vgpr3
; %bb.328:
	s_andn2_saveexec_b64 s[26:27], s[26:27]
; %bb.329:
	v_add_f32_e32 v4, 0x46800000, v3
; %bb.330:
	s_or_b64 exec, exec, s[26:27]
                                        ; implicit-def: $vgpr3
.LBB134_331:
	s_andn2_saveexec_b64 s[22:23], s[22:23]
; %bb.332:
	s_mov_b32 s26, 0x7f800000
	v_mov_b32_e32 v4, 0x7e
	v_mov_b32_e32 v5, 0x7f
	v_cmp_lt_u32_e32 vcc, s26, v3
	v_cndmask_b32_e32 v4, v4, v5, vcc
; %bb.333:
	s_or_b64 exec, exec, s[22:23]
	global_store_byte v[0:1], v4, off
.LBB134_334:
	s_mov_b64 s[22:23], 0
.LBB134_335:
	s_andn2_b64 vcc, exec, s[22:23]
	s_cbranch_vccnz .LBB134_345
; %bb.336:
	v_cvt_f32_ubyte0_e32 v3, v2
	s_mov_b32 s22, 0x47800000
	v_cmp_gt_u32_e32 vcc, s22, v3
                                        ; implicit-def: $vgpr4
	s_and_saveexec_b64 s[22:23], vcc
	s_xor_b64 s[22:23], exec, s[22:23]
	s_cbranch_execz .LBB134_342
; %bb.337:
	s_mov_b32 s26, 0x387fffff
	v_cmp_lt_u32_e32 vcc, s26, v3
                                        ; implicit-def: $vgpr4
	s_and_saveexec_b64 s[26:27], vcc
	s_xor_b64 s[26:27], exec, s[26:27]
; %bb.338:
	v_bfe_u32 v4, v3, 21, 1
	s_mov_b32 s28, 0x80fffff
	v_add3_u32 v3, v3, v4, s28
	v_lshrrev_b32_e32 v4, 21, v3
                                        ; implicit-def: $vgpr3
; %bb.339:
	s_andn2_saveexec_b64 s[26:27], s[26:27]
; %bb.340:
	v_add_f32_e32 v4, 0x43000000, v3
; %bb.341:
	s_or_b64 exec, exec, s[26:27]
                                        ; implicit-def: $vgpr3
.LBB134_342:
	s_andn2_saveexec_b64 s[22:23], s[22:23]
; %bb.343:
	s_mov_b32 s26, 0x7f800000
	v_mov_b32_e32 v4, 0x7c
	v_mov_b32_e32 v5, 0x7f
	v_cmp_lt_u32_e32 vcc, s26, v3
	v_cndmask_b32_e32 v4, v4, v5, vcc
; %bb.344:
	s_or_b64 exec, exec, s[22:23]
	global_store_byte v[0:1], v4, off
.LBB134_345:
	s_mov_b64 s[26:27], 0
	s_mov_b64 s[22:23], -1
.LBB134_346:
	s_andn2_b64 vcc, exec, s[26:27]
	s_cbranch_vccnz .LBB134_354
; %bb.347:
	s_cmp_gt_i32 s31, 14
	s_mov_b64 s[26:27], -1
	s_cbranch_scc0 .LBB134_351
; %bb.348:
	s_cmp_eq_u32 s31, 15
	s_mov_b64 s[0:1], -1
	s_cbranch_scc0 .LBB134_350
; %bb.349:
	v_cvt_f32_ubyte0_e32 v3, v2
	v_bfe_u32 v4, v3, 16, 1
	s_movk_i32 s0, 0x7fff
	v_add3_u32 v3, v3, v4, s0
	global_store_short_d16_hi v[0:1], v3, off
	s_mov_b64 s[22:23], -1
	s_mov_b64 s[0:1], 0
.LBB134_350:
	s_mov_b64 s[26:27], 0
.LBB134_351:
	s_and_b64 vcc, exec, s[26:27]
	s_cbranch_vccz .LBB134_354
; %bb.352:
	s_cmp_eq_u32 s31, 11
	s_mov_b64 s[0:1], -1
	s_cbranch_scc0 .LBB134_354
; %bb.353:
	v_cmp_ne_u16_e32 vcc, 0, v2
	v_cndmask_b32_e64 v3, 0, 1, vcc
	s_mov_b64 s[22:23], -1
	s_mov_b64 s[0:1], 0
	global_store_byte v[0:1], v3, off
.LBB134_354:
	s_mov_b64 s[26:27], 0
.LBB134_355:
	s_and_b64 vcc, exec, s[26:27]
	s_cbranch_vccz .LBB134_394
; %bb.356:
	s_and_b32 s26, 0xffff, s30
	s_cmp_lt_i32 s26, 5
	s_mov_b64 s[22:23], -1
	s_cbranch_scc1 .LBB134_377
; %bb.357:
	s_cmp_lt_i32 s26, 8
	s_cbranch_scc1 .LBB134_367
; %bb.358:
	s_cmp_lt_i32 s26, 9
	s_cbranch_scc1 .LBB134_364
; %bb.359:
	s_cmp_gt_i32 s26, 9
	s_cbranch_scc0 .LBB134_361
; %bb.360:
	v_and_b32_e32 v3, 0xffff, v2
	v_cvt_f64_u32_e32 v[3:4], v3
	v_mov_b32_e32 v5, 0
	v_mov_b32_e32 v6, v5
	s_mov_b64 s[22:23], 0
	global_store_dwordx4 v[0:1], v[3:6], off
.LBB134_361:
	s_andn2_b64 vcc, exec, s[22:23]
	s_cbranch_vccnz .LBB134_363
; %bb.362:
	v_cvt_f32_ubyte0_e32 v3, v2
	v_mov_b32_e32 v4, 0
	global_store_dwordx2 v[0:1], v[3:4], off
.LBB134_363:
	s_mov_b64 s[22:23], 0
.LBB134_364:
	s_andn2_b64 vcc, exec, s[22:23]
	s_cbranch_vccnz .LBB134_366
; %bb.365:
	v_cvt_f16_u16_e32 v3, v2
	global_store_dword v[0:1], v3, off
.LBB134_366:
	s_mov_b64 s[22:23], 0
.LBB134_367:
	s_andn2_b64 vcc, exec, s[22:23]
	s_cbranch_vccnz .LBB134_376
; %bb.368:
	s_cmp_lt_i32 s26, 6
	s_mov_b64 s[22:23], -1
	s_cbranch_scc1 .LBB134_374
; %bb.369:
	s_cmp_gt_i32 s26, 6
	s_cbranch_scc0 .LBB134_371
; %bb.370:
	v_and_b32_e32 v3, 0xffff, v2
	v_cvt_f64_u32_e32 v[3:4], v3
	s_mov_b64 s[22:23], 0
	global_store_dwordx2 v[0:1], v[3:4], off
.LBB134_371:
	s_andn2_b64 vcc, exec, s[22:23]
	s_cbranch_vccnz .LBB134_373
; %bb.372:
	v_cvt_f32_ubyte0_e32 v3, v2
	global_store_dword v[0:1], v3, off
.LBB134_373:
	s_mov_b64 s[22:23], 0
.LBB134_374:
	s_andn2_b64 vcc, exec, s[22:23]
	s_cbranch_vccnz .LBB134_376
; %bb.375:
	v_cvt_f16_u16_e32 v3, v2
	global_store_short v[0:1], v3, off
.LBB134_376:
	s_mov_b64 s[22:23], 0
.LBB134_377:
	s_andn2_b64 vcc, exec, s[22:23]
	s_cbranch_vccnz .LBB134_393
; %bb.378:
	s_cmp_lt_i32 s26, 2
	s_mov_b64 s[22:23], -1
	s_cbranch_scc1 .LBB134_388
; %bb.379:
	s_cmp_lt_i32 s26, 3
	s_cbranch_scc1 .LBB134_385
; %bb.380:
	s_cmp_gt_i32 s26, 3
	s_cbranch_scc0 .LBB134_382
; %bb.381:
	s_mov_b32 s22, 0
	v_and_b32_e32 v3, 0xffff, v2
	v_mov_b32_e32 v4, s22
	s_mov_b64 s[22:23], 0
	global_store_dwordx2 v[0:1], v[3:4], off
.LBB134_382:
	s_andn2_b64 vcc, exec, s[22:23]
	s_cbranch_vccnz .LBB134_384
; %bb.383:
	v_and_b32_e32 v3, 0xffff, v2
	global_store_dword v[0:1], v3, off
.LBB134_384:
	s_mov_b64 s[22:23], 0
.LBB134_385:
	s_andn2_b64 vcc, exec, s[22:23]
	s_cbranch_vccnz .LBB134_387
; %bb.386:
	global_store_short v[0:1], v2, off
.LBB134_387:
	s_mov_b64 s[22:23], 0
.LBB134_388:
	s_andn2_b64 vcc, exec, s[22:23]
	s_cbranch_vccnz .LBB134_393
; %bb.389:
	s_cmp_gt_i32 s26, 0
	s_mov_b64 s[22:23], -1
	s_cbranch_scc0 .LBB134_391
; %bb.390:
	s_mov_b64 s[22:23], 0
	global_store_byte v[0:1], v2, off
.LBB134_391:
	s_andn2_b64 vcc, exec, s[22:23]
	s_cbranch_vccnz .LBB134_393
; %bb.392:
	global_store_byte v[0:1], v2, off
.LBB134_393:
	s_mov_b64 s[22:23], -1
.LBB134_394:
	s_andn2_b64 vcc, exec, s[22:23]
	s_cbranch_vccnz .LBB134_396
; %bb.395:
	v_add_u32_e32 v7, 0x80, v7
	s_mov_b64 s[26:27], -1
	s_branch .LBB134_504
.LBB134_396:
	s_mov_b64 s[26:27], 0
                                        ; implicit-def: $vgpr7
	s_branch .LBB134_504
.LBB134_397:
	s_mov_b64 s[20:21], -1
                                        ; implicit-def: $vgpr2
.LBB134_398:
	s_mov_b64 s[22:23], 0
.LBB134_399:
	s_and_b64 vcc, exec, s[22:23]
	s_cbranch_vccz .LBB134_403
; %bb.400:
	s_cmp_eq_u32 s27, 29
	s_cbranch_scc0 .LBB134_402
; %bb.401:
	global_load_dwordx2 v[2:3], v[0:1], off
	s_mov_b64 s[0:1], -1
	s_mov_b64 s[20:21], 0
	s_branch .LBB134_403
.LBB134_402:
	s_mov_b64 s[20:21], -1
                                        ; implicit-def: $vgpr2
.LBB134_403:
	s_mov_b64 s[22:23], 0
.LBB134_404:
	s_and_b64 vcc, exec, s[22:23]
	s_cbranch_vccz .LBB134_420
; %bb.405:
	s_cmp_lt_i32 s27, 27
	s_cbranch_scc1 .LBB134_408
; %bb.406:
	s_cmp_gt_i32 s27, 27
	s_cbranch_scc0 .LBB134_409
; %bb.407:
	global_load_dword v2, v[0:1], off
	s_mov_b64 s[0:1], 0
	s_branch .LBB134_410
.LBB134_408:
	s_mov_b64 s[0:1], -1
                                        ; implicit-def: $vgpr2
	s_branch .LBB134_413
.LBB134_409:
	s_mov_b64 s[0:1], -1
                                        ; implicit-def: $vgpr2
.LBB134_410:
	s_andn2_b64 vcc, exec, s[0:1]
	s_cbranch_vccnz .LBB134_412
; %bb.411:
	global_load_ushort v2, v[0:1], off
.LBB134_412:
	s_mov_b64 s[0:1], 0
.LBB134_413:
	s_andn2_b64 vcc, exec, s[0:1]
	s_cbranch_vccnz .LBB134_419
; %bb.414:
	global_load_ubyte v3, v[0:1], off
	s_movk_i32 s0, 0x7f
	s_mov_b64 s[22:23], 0
	s_waitcnt vmcnt(0)
	v_cmp_lt_i16_e32 vcc, s0, v3
	s_and_saveexec_b64 s[0:1], vcc
	s_xor_b64 s[0:1], exec, s[0:1]
	s_cbranch_execz .LBB134_431
; %bb.415:
	s_movk_i32 s22, 0x80
	v_cmp_ne_u16_e32 vcc, s22, v3
	s_and_b64 s[22:23], vcc, exec
	s_andn2_saveexec_b64 s[0:1], s[0:1]
	s_cbranch_execnz .LBB134_432
.LBB134_416:
	s_or_b64 exec, exec, s[0:1]
	v_mov_b32_e32 v2, 0
	s_and_saveexec_b64 s[0:1], s[22:23]
	s_cbranch_execz .LBB134_418
.LBB134_417:
	v_lshlrev_b32_e32 v2, 24, v3
	v_and_b32_e32 v3, 0xffff, v3
	v_and_b32_e32 v4, 7, v3
	v_ffbh_u32_e32 v6, v4
	v_min_u32_e32 v6, 32, v6
	v_subrev_u32_e32 v8, 28, v6
	v_bfe_u32 v5, v3, 3, 4
	v_lshlrev_b32_e32 v3, v8, v3
	v_sub_u32_e32 v6, 29, v6
	v_and_b32_e32 v3, 7, v3
	v_cmp_eq_u32_e32 vcc, 0, v5
	v_cndmask_b32_e32 v5, v5, v6, vcc
	v_cndmask_b32_e32 v3, v4, v3, vcc
	v_mov_b32_e32 v4, 0x3b800000
	v_lshlrev_b32_e32 v3, 20, v3
	v_and_b32_e32 v2, 0x80000000, v2
	v_lshl_add_u32 v4, v5, 23, v4
	v_or3_b32 v2, v2, v4, v3
	v_trunc_f32_e32 v2, v2
	s_mov_b32 s22, 0x2f800000
	v_mul_f32_e64 v3, |v2|, s22
	v_floor_f32_e32 v3, v3
	s_mov_b32 s22, 0xcf800000
	v_fma_f32 v3, v3, s22, |v2|
	v_cvt_u32_f32_e32 v3, v3
	v_ashrrev_i32_e32 v2, 31, v2
	v_xor_b32_e32 v3, v3, v2
	v_sub_u32_e32 v2, v3, v2
.LBB134_418:
	s_or_b64 exec, exec, s[0:1]
.LBB134_419:
	s_mov_b64 s[0:1], -1
.LBB134_420:
	s_mov_b64 s[22:23], 0
.LBB134_421:
	s_and_b64 vcc, exec, s[22:23]
	s_cbranch_vccz .LBB134_454
; %bb.422:
	s_cmp_gt_i32 s27, 22
	s_cbranch_scc0 .LBB134_430
; %bb.423:
	s_cmp_lt_i32 s27, 24
	s_cbranch_scc1 .LBB134_433
; %bb.424:
	s_cmp_gt_i32 s27, 24
	s_cbranch_scc0 .LBB134_434
; %bb.425:
	global_load_ubyte v3, v[0:1], off
	s_movk_i32 s0, 0x7f
	s_mov_b64 s[22:23], 0
	s_waitcnt vmcnt(0)
	v_cmp_lt_i16_e32 vcc, s0, v3
	s_and_saveexec_b64 s[0:1], vcc
	s_xor_b64 s[0:1], exec, s[0:1]
	s_cbranch_execz .LBB134_446
; %bb.426:
	s_movk_i32 s22, 0x80
	v_cmp_ne_u16_e32 vcc, s22, v3
	s_and_b64 s[22:23], vcc, exec
	s_andn2_saveexec_b64 s[0:1], s[0:1]
	s_cbranch_execnz .LBB134_447
.LBB134_427:
	s_or_b64 exec, exec, s[0:1]
	v_mov_b32_e32 v2, 0
	s_and_saveexec_b64 s[0:1], s[22:23]
	s_cbranch_execz .LBB134_429
.LBB134_428:
	v_lshlrev_b32_e32 v2, 24, v3
	v_and_b32_e32 v3, 0xffff, v3
	v_and_b32_e32 v4, 3, v3
	v_ffbh_u32_e32 v6, v4
	v_min_u32_e32 v6, 32, v6
	v_subrev_u32_e32 v8, 29, v6
	v_bfe_u32 v5, v3, 2, 5
	v_lshlrev_b32_e32 v3, v8, v3
	v_sub_u32_e32 v6, 30, v6
	v_and_b32_e32 v3, 3, v3
	v_cmp_eq_u32_e32 vcc, 0, v5
	v_cndmask_b32_e32 v5, v5, v6, vcc
	v_cndmask_b32_e32 v3, v4, v3, vcc
	v_mov_b32_e32 v4, 0x37800000
	v_lshlrev_b32_e32 v3, 21, v3
	v_and_b32_e32 v2, 0x80000000, v2
	v_lshl_add_u32 v4, v5, 23, v4
	v_or3_b32 v2, v2, v4, v3
	v_trunc_f32_e32 v2, v2
	s_mov_b32 s22, 0x2f800000
	v_mul_f32_e64 v3, |v2|, s22
	v_floor_f32_e32 v3, v3
	s_mov_b32 s22, 0xcf800000
	v_fma_f32 v3, v3, s22, |v2|
	v_cvt_u32_f32_e32 v3, v3
	v_ashrrev_i32_e32 v2, 31, v2
	v_xor_b32_e32 v3, v3, v2
	v_sub_u32_e32 v2, v3, v2
.LBB134_429:
	s_or_b64 exec, exec, s[0:1]
	s_mov_b64 s[0:1], 0
	s_branch .LBB134_435
.LBB134_430:
	s_mov_b64 s[22:23], -1
                                        ; implicit-def: $vgpr2
	s_branch .LBB134_441
.LBB134_431:
	s_andn2_saveexec_b64 s[0:1], s[0:1]
	s_cbranch_execz .LBB134_416
.LBB134_432:
	v_cmp_ne_u16_e32 vcc, 0, v3
	s_andn2_b64 s[22:23], s[22:23], exec
	s_and_b64 s[28:29], vcc, exec
	s_or_b64 s[22:23], s[22:23], s[28:29]
	s_or_b64 exec, exec, s[0:1]
	v_mov_b32_e32 v2, 0
	s_and_saveexec_b64 s[0:1], s[22:23]
	s_cbranch_execnz .LBB134_417
	s_branch .LBB134_418
.LBB134_433:
	s_mov_b64 s[0:1], -1
                                        ; implicit-def: $vgpr2
	s_branch .LBB134_438
.LBB134_434:
	s_mov_b64 s[0:1], -1
                                        ; implicit-def: $vgpr2
.LBB134_435:
	s_and_b64 vcc, exec, s[0:1]
	s_cbranch_vccz .LBB134_437
; %bb.436:
	global_load_ubyte v2, v[0:1], off
	s_mov_b32 s0, 0x7f800000
	s_brev_b32 s1, 1
	s_mov_b32 s22, 0x2f800000
	s_waitcnt vmcnt(0)
	v_lshlrev_b32_e32 v2, 24, v2
	v_and_b32_e32 v3, 0x7f000000, v2
	v_ffbh_u32_e32 v4, v3
	v_min_u32_e32 v4, 32, v4
	v_sub_u32_e64 v4, v4, 4 clamp
	v_lshlrev_b32_e32 v6, v4, v3
	v_lshlrev_b32_e32 v4, 23, v4
	v_lshrrev_b32_e32 v6, 4, v6
	v_add_u32_e32 v5, 0x1000000, v3
	v_sub_u32_e32 v4, v6, v4
	v_ashrrev_i32_e32 v5, 8, v5
	v_add_u32_e32 v4, 0x3c000000, v4
	v_and_or_b32 v4, v5, s0, v4
	v_cmp_ne_u32_e32 vcc, 0, v3
	v_cndmask_b32_e32 v3, 0, v4, vcc
	v_and_or_b32 v2, v2, s1, v3
	v_trunc_f32_e32 v2, v2
	v_mul_f32_e64 v3, |v2|, s22
	v_floor_f32_e32 v3, v3
	s_mov_b32 s0, 0xcf800000
	v_fma_f32 v3, v3, s0, |v2|
	v_cvt_u32_f32_e32 v3, v3
	v_ashrrev_i32_e32 v2, 31, v2
	v_xor_b32_e32 v3, v3, v2
	v_sub_u32_e32 v2, v3, v2
.LBB134_437:
	s_mov_b64 s[0:1], 0
.LBB134_438:
	s_andn2_b64 vcc, exec, s[0:1]
	s_cbranch_vccnz .LBB134_440
; %bb.439:
	global_load_ubyte v2, v[0:1], off
	s_movk_i32 s0, 0x7f00
	s_brev_b32 s1, 16
	s_brev_b32 s22, 1
	s_mov_b32 s23, 0x2f800000
	s_waitcnt vmcnt(0)
	v_lshlrev_b16_e32 v3, 8, v2
	v_lshlrev_b32_e32 v2, 25, v2
	v_lshrrev_b32_e32 v4, 4, v2
	v_and_or_b32 v5, v3, s0, 0.5
	v_or_b32_e32 v4, 0x70000000, v4
	v_add_f32_e32 v5, -0.5, v5
	v_mul_f32_e32 v4, 0x7800000, v4
	v_cmp_gt_u32_e32 vcc, s1, v2
	v_bfe_i32 v3, v3, 0, 16
	v_cndmask_b32_e32 v2, v4, v5, vcc
	v_and_or_b32 v2, v3, s22, v2
	v_trunc_f32_e32 v2, v2
	v_mul_f32_e64 v3, |v2|, s23
	v_floor_f32_e32 v3, v3
	s_mov_b32 s0, 0xcf800000
	v_fma_f32 v3, v3, s0, |v2|
	v_cvt_u32_f32_e32 v3, v3
	v_ashrrev_i32_e32 v2, 31, v2
	v_xor_b32_e32 v3, v3, v2
	v_sub_u32_e32 v2, v3, v2
.LBB134_440:
	s_mov_b64 s[22:23], 0
	s_mov_b64 s[0:1], -1
.LBB134_441:
	s_andn2_b64 vcc, exec, s[22:23]
	s_cbranch_vccnz .LBB134_454
; %bb.442:
	s_cmp_gt_i32 s27, 14
	s_cbranch_scc0 .LBB134_445
; %bb.443:
	s_cmp_eq_u32 s27, 15
	s_cbranch_scc0 .LBB134_448
; %bb.444:
	global_load_ushort v2, v[0:1], off
	s_mov_b32 s0, 0x2f800000
	s_mov_b32 s1, 0xcf800000
	s_mov_b64 s[20:21], 0
	s_waitcnt vmcnt(0)
	v_lshlrev_b32_e32 v2, 16, v2
	v_trunc_f32_e32 v2, v2
	v_mul_f32_e64 v3, |v2|, s0
	v_floor_f32_e32 v3, v3
	v_fma_f32 v3, v3, s1, |v2|
	v_cvt_u32_f32_e32 v3, v3
	v_ashrrev_i32_e32 v2, 31, v2
	s_mov_b64 s[0:1], -1
	v_xor_b32_e32 v3, v3, v2
	v_sub_u32_e32 v2, v3, v2
	s_branch .LBB134_449
.LBB134_445:
	s_mov_b64 s[22:23], -1
                                        ; implicit-def: $vgpr2
	s_branch .LBB134_450
.LBB134_446:
	s_andn2_saveexec_b64 s[0:1], s[0:1]
	s_cbranch_execz .LBB134_427
.LBB134_447:
	v_cmp_ne_u16_e32 vcc, 0, v3
	s_andn2_b64 s[22:23], s[22:23], exec
	s_and_b64 s[28:29], vcc, exec
	s_or_b64 s[22:23], s[22:23], s[28:29]
	s_or_b64 exec, exec, s[0:1]
	v_mov_b32_e32 v2, 0
	s_and_saveexec_b64 s[0:1], s[22:23]
	s_cbranch_execnz .LBB134_428
	s_branch .LBB134_429
.LBB134_448:
	s_mov_b64 s[20:21], -1
                                        ; implicit-def: $vgpr2
.LBB134_449:
	s_mov_b64 s[22:23], 0
.LBB134_450:
	s_and_b64 vcc, exec, s[22:23]
	s_cbranch_vccz .LBB134_454
; %bb.451:
	s_cmp_eq_u32 s27, 11
	s_cbranch_scc0 .LBB134_453
; %bb.452:
	global_load_ubyte v2, v[0:1], off
	s_mov_b64 s[0:1], -1
	s_mov_b64 s[20:21], 0
	s_waitcnt vmcnt(0)
	v_cmp_ne_u16_e32 vcc, 0, v2
	v_cndmask_b32_e64 v2, 0, 1, vcc
	s_branch .LBB134_454
.LBB134_453:
	s_mov_b64 s[20:21], -1
                                        ; implicit-def: $vgpr2
.LBB134_454:
	s_branch .LBB134_261
.LBB134_455:
	s_and_b32 s22, 0xffff, s26
	s_cmp_lt_i32 s22, 5
	s_cbranch_scc1 .LBB134_460
; %bb.456:
	s_cmp_lt_i32 s22, 8
	s_cbranch_scc1 .LBB134_461
; %bb.457:
	;; [unrolled: 3-line block ×3, first 2 shown]
	s_cmp_gt_i32 s22, 9
	s_cbranch_scc0 .LBB134_463
; %bb.459:
	global_load_dwordx2 v[2:3], v[0:1], off
	s_movk_i32 s0, 0xffe0
	s_waitcnt vmcnt(0)
	v_trunc_f64_e32 v[2:3], v[2:3]
	v_ldexp_f64 v[4:5], v[2:3], s0
	s_mov_b32 s0, 0
	s_mov_b32 s1, 0xc1f00000
	v_floor_f64_e32 v[4:5], v[4:5]
	v_fma_f64 v[2:3], v[4:5], s[0:1], v[2:3]
	s_mov_b64 s[0:1], 0
	v_cvt_u32_f64_e32 v2, v[2:3]
	s_branch .LBB134_464
.LBB134_460:
	s_mov_b64 s[0:1], -1
                                        ; implicit-def: $vgpr2
	s_branch .LBB134_482
.LBB134_461:
	s_mov_b64 s[0:1], -1
                                        ; implicit-def: $vgpr2
	s_branch .LBB134_470
.LBB134_462:
	s_mov_b64 s[0:1], -1
                                        ; implicit-def: $vgpr2
	s_branch .LBB134_467
.LBB134_463:
	s_mov_b64 s[0:1], -1
                                        ; implicit-def: $vgpr2
.LBB134_464:
	s_andn2_b64 vcc, exec, s[0:1]
	s_cbranch_vccnz .LBB134_466
; %bb.465:
	global_load_dword v2, v[0:1], off
	s_mov_b32 s0, 0x2f800000
	s_waitcnt vmcnt(0)
	v_trunc_f32_e32 v2, v2
	v_mul_f32_e64 v3, |v2|, s0
	v_floor_f32_e32 v3, v3
	s_mov_b32 s0, 0xcf800000
	v_fma_f32 v3, v3, s0, |v2|
	v_cvt_u32_f32_e32 v3, v3
	v_ashrrev_i32_e32 v2, 31, v2
	v_xor_b32_e32 v3, v3, v2
	v_sub_u32_e32 v2, v3, v2
.LBB134_466:
	s_mov_b64 s[0:1], 0
.LBB134_467:
	s_andn2_b64 vcc, exec, s[0:1]
	s_cbranch_vccnz .LBB134_469
; %bb.468:
	global_load_dword v2, v[0:1], off
	s_waitcnt vmcnt(0)
	v_cvt_f32_f16_e32 v2, v2
	v_cvt_i32_f32_e32 v2, v2
.LBB134_469:
	s_mov_b64 s[0:1], 0
.LBB134_470:
	s_andn2_b64 vcc, exec, s[0:1]
	s_cbranch_vccnz .LBB134_481
; %bb.471:
	s_cmp_lt_i32 s22, 6
	s_cbranch_scc1 .LBB134_474
; %bb.472:
	s_cmp_gt_i32 s22, 6
	s_cbranch_scc0 .LBB134_475
; %bb.473:
	global_load_dwordx2 v[2:3], v[0:1], off
	s_movk_i32 s0, 0xffe0
	s_waitcnt vmcnt(0)
	v_trunc_f64_e32 v[2:3], v[2:3]
	v_ldexp_f64 v[4:5], v[2:3], s0
	s_mov_b32 s0, 0
	s_mov_b32 s1, 0xc1f00000
	v_floor_f64_e32 v[4:5], v[4:5]
	v_fma_f64 v[2:3], v[4:5], s[0:1], v[2:3]
	s_mov_b64 s[0:1], 0
	v_cvt_u32_f64_e32 v2, v[2:3]
	s_branch .LBB134_476
.LBB134_474:
	s_mov_b64 s[0:1], -1
                                        ; implicit-def: $vgpr2
	s_branch .LBB134_479
.LBB134_475:
	s_mov_b64 s[0:1], -1
                                        ; implicit-def: $vgpr2
.LBB134_476:
	s_andn2_b64 vcc, exec, s[0:1]
	s_cbranch_vccnz .LBB134_478
; %bb.477:
	global_load_dword v2, v[0:1], off
	s_mov_b32 s0, 0x2f800000
	s_waitcnt vmcnt(0)
	v_trunc_f32_e32 v2, v2
	v_mul_f32_e64 v3, |v2|, s0
	v_floor_f32_e32 v3, v3
	s_mov_b32 s0, 0xcf800000
	v_fma_f32 v3, v3, s0, |v2|
	v_cvt_u32_f32_e32 v3, v3
	v_ashrrev_i32_e32 v2, 31, v2
	v_xor_b32_e32 v3, v3, v2
	v_sub_u32_e32 v2, v3, v2
.LBB134_478:
	s_mov_b64 s[0:1], 0
.LBB134_479:
	s_andn2_b64 vcc, exec, s[0:1]
	s_cbranch_vccnz .LBB134_481
; %bb.480:
	global_load_ushort v2, v[0:1], off
	s_waitcnt vmcnt(0)
	v_cvt_f32_f16_e32 v2, v2
	v_cvt_i32_f32_e32 v2, v2
.LBB134_481:
	s_mov_b64 s[0:1], 0
.LBB134_482:
	s_andn2_b64 vcc, exec, s[0:1]
	s_cbranch_vccnz .LBB134_502
; %bb.483:
	s_cmp_lt_i32 s22, 2
	s_cbranch_scc1 .LBB134_487
; %bb.484:
	s_cmp_lt_i32 s22, 3
	s_cbranch_scc1 .LBB134_488
; %bb.485:
	s_cmp_gt_i32 s22, 3
	s_cbranch_scc0 .LBB134_489
; %bb.486:
	global_load_dwordx2 v[2:3], v[0:1], off
	s_mov_b64 s[0:1], 0
	s_branch .LBB134_490
.LBB134_487:
	s_mov_b64 s[0:1], -1
                                        ; implicit-def: $vgpr2
	s_branch .LBB134_496
.LBB134_488:
	s_mov_b64 s[0:1], -1
                                        ; implicit-def: $vgpr2
	s_branch .LBB134_493
.LBB134_489:
	s_mov_b64 s[0:1], -1
                                        ; implicit-def: $vgpr2
.LBB134_490:
	s_andn2_b64 vcc, exec, s[0:1]
	s_cbranch_vccnz .LBB134_492
; %bb.491:
	global_load_dword v2, v[0:1], off
.LBB134_492:
	s_mov_b64 s[0:1], 0
.LBB134_493:
	s_andn2_b64 vcc, exec, s[0:1]
	s_cbranch_vccnz .LBB134_495
; %bb.494:
	global_load_ushort v2, v[0:1], off
.LBB134_495:
	s_mov_b64 s[0:1], 0
.LBB134_496:
	s_andn2_b64 vcc, exec, s[0:1]
	s_cbranch_vccnz .LBB134_502
; %bb.497:
	s_cmp_gt_i32 s22, 0
	s_cbranch_scc0 .LBB134_499
; %bb.498:
	global_load_ubyte v2, v[0:1], off
	s_mov_b64 s[0:1], 0
	s_branch .LBB134_500
.LBB134_499:
	s_mov_b64 s[0:1], -1
                                        ; implicit-def: $vgpr2
.LBB134_500:
	s_andn2_b64 vcc, exec, s[0:1]
	s_cbranch_vccnz .LBB134_502
; %bb.501:
	global_load_ubyte v2, v[0:1], off
.LBB134_502:
	s_branch .LBB134_262
.LBB134_503:
	s_mov_b64 s[26:27], 0
                                        ; implicit-def: $vgpr7
	s_mov_b64 s[0:1], s[14:15]
.LBB134_504:
	s_andn2_b64 s[22:23], s[14:15], exec
	s_and_b64 s[0:1], s[0:1], exec
	s_or_b64 s[22:23], s[22:23], s[0:1]
	s_andn2_b64 s[0:1], s[16:17], exec
	s_and_b64 s[20:21], s[20:21], exec
	s_or_b64 s[20:21], s[0:1], s[20:21]
	s_orn2_b64 s[0:1], s[26:27], exec
.LBB134_505:
	s_or_b64 exec, exec, s[24:25]
	s_mov_b64 s[26:27], 0
	s_mov_b64 s[28:29], 0
	;; [unrolled: 1-line block ×3, first 2 shown]
                                        ; implicit-def: $sgpr47
                                        ; implicit-def: $vgpr0_vgpr1
                                        ; implicit-def: $vgpr2
	s_and_saveexec_b64 s[24:25], s[0:1]
	s_cbranch_execz .LBB134_842
; %bb.506:
	v_cmp_gt_i32_e32 vcc, s40, v7
	s_mov_b64 s[36:37], -1
	s_mov_b64 s[0:1], s[20:21]
	s_mov_b64 s[30:31], s[22:23]
	s_and_saveexec_b64 s[26:27], vcc
	s_cbranch_execz .LBB134_760
; %bb.507:
	v_mul_lo_u32 v0, v7, s3
	v_mov_b32_e32 v1, s11
	s_and_b32 s34, s45, 0xff
	s_cmp_lt_i32 s34, 11
	s_waitcnt vmcnt(0)
	v_ashrrev_i32_e32 v2, 31, v0
	v_add_co_u32_e32 v0, vcc, s10, v0
	v_addc_co_u32_e32 v1, vcc, v1, v2, vcc
	s_cbranch_scc1 .LBB134_514
; %bb.508:
	s_and_b32 s35, 0xffff, s34
	s_cmp_gt_i32 s35, 25
	s_cbranch_scc0 .LBB134_515
; %bb.509:
	s_cmp_gt_i32 s35, 28
	s_cbranch_scc0 .LBB134_516
; %bb.510:
	;; [unrolled: 3-line block ×4, first 2 shown]
	s_cmp_eq_u32 s35, 46
	s_mov_b64 s[30:31], 0
	s_cbranch_scc0 .LBB134_523
; %bb.513:
	global_load_dword v2, v[0:1], off
	s_mov_b32 s0, 0x2f800000
	s_mov_b32 s1, 0xcf800000
	s_waitcnt vmcnt(0)
	v_lshlrev_b32_e32 v2, 16, v2
	v_trunc_f32_e32 v2, v2
	v_mul_f32_e64 v3, |v2|, s0
	v_floor_f32_e32 v3, v3
	v_fma_f32 v3, v3, s1, |v2|
	v_cvt_u32_f32_e32 v3, v3
	v_ashrrev_i32_e32 v2, 31, v2
	s_mov_b64 s[0:1], -1
	v_xor_b32_e32 v3, v3, v2
	v_sub_u32_e32 v2, v3, v2
	s_branch .LBB134_524
.LBB134_514:
	s_mov_b64 s[30:31], -1
	s_mov_b64 s[0:1], 0
                                        ; implicit-def: $vgpr2
	s_mov_b64 s[28:29], s[20:21]
	s_branch .LBB134_585
.LBB134_515:
	s_mov_b64 s[30:31], -1
	s_mov_b64 s[0:1], 0
	s_mov_b64 s[28:29], s[20:21]
                                        ; implicit-def: $vgpr2
	s_branch .LBB134_551
.LBB134_516:
	s_mov_b64 s[30:31], -1
	s_mov_b64 s[0:1], 0
	s_mov_b64 s[28:29], s[20:21]
                                        ; implicit-def: $vgpr2
	s_branch .LBB134_534
.LBB134_517:
	s_mov_b64 s[30:31], -1
	s_mov_b64 s[0:1], 0
	s_mov_b64 s[28:29], s[20:21]
                                        ; implicit-def: $vgpr2
	s_branch .LBB134_529
.LBB134_518:
	s_andn2_saveexec_b64 s[28:29], s[28:29]
	s_cbranch_execz .LBB134_307
.LBB134_519:
	v_add_f32_e32 v3, 0x46000000, v4
	v_and_b32_e32 v3, 0xff, v3
	v_cmp_ne_u32_e32 vcc, 0, v3
	s_andn2_b64 s[26:27], s[26:27], exec
	s_and_b64 s[34:35], vcc, exec
	s_or_b64 s[26:27], s[26:27], s[34:35]
	s_or_b64 exec, exec, s[28:29]
	v_mov_b32_e32 v5, 0
	s_and_saveexec_b64 s[28:29], s[26:27]
	s_cbranch_execnz .LBB134_308
	s_branch .LBB134_309
.LBB134_520:
	s_mov_b64 s[30:31], -1
	s_mov_b64 s[0:1], 0
	s_mov_b64 s[28:29], s[20:21]
                                        ; implicit-def: $vgpr2
	s_branch .LBB134_524
.LBB134_521:
	s_andn2_saveexec_b64 s[28:29], s[28:29]
	s_cbranch_execz .LBB134_320
.LBB134_522:
	v_add_f32_e32 v3, 0x42800000, v4
	v_and_b32_e32 v3, 0xff, v3
	v_cmp_ne_u32_e32 vcc, 0, v3
	s_andn2_b64 s[26:27], s[26:27], exec
	s_and_b64 s[34:35], vcc, exec
	s_or_b64 s[26:27], s[26:27], s[34:35]
	s_or_b64 exec, exec, s[28:29]
	v_mov_b32_e32 v5, 0
	s_and_saveexec_b64 s[28:29], s[26:27]
	s_cbranch_execnz .LBB134_321
	s_branch .LBB134_322
.LBB134_523:
	s_mov_b64 s[28:29], -1
                                        ; implicit-def: $vgpr2
	s_mov_b64 s[0:1], 0
.LBB134_524:
	s_and_b64 vcc, exec, s[30:31]
	s_cbranch_vccz .LBB134_528
; %bb.525:
	s_cmp_eq_u32 s35, 44
	s_cbranch_scc0 .LBB134_527
; %bb.526:
	global_load_ubyte v2, v[0:1], off
	s_mov_b32 s0, 0x2f800000
	s_mov_b32 s1, 0xcf800000
	s_mov_b64 s[28:29], 0
	s_waitcnt vmcnt(0)
	v_lshlrev_b32_e32 v3, 23, v2
	v_trunc_f32_e32 v3, v3
	v_mul_f32_e64 v4, |v3|, s0
	v_floor_f32_e32 v4, v4
	v_fma_f32 v4, v4, s1, |v3|
	v_cvt_u32_f32_e32 v4, v4
	v_ashrrev_i32_e32 v3, 31, v3
	v_cmp_ne_u32_e32 vcc, 0, v2
	s_mov_b64 s[0:1], -1
	v_xor_b32_e32 v4, v4, v3
	v_sub_u32_e32 v3, v4, v3
	v_cndmask_b32_e32 v2, 0, v3, vcc
	s_branch .LBB134_528
.LBB134_527:
	s_mov_b64 s[28:29], -1
                                        ; implicit-def: $vgpr2
.LBB134_528:
	s_mov_b64 s[30:31], 0
.LBB134_529:
	s_and_b64 vcc, exec, s[30:31]
	s_cbranch_vccz .LBB134_533
; %bb.530:
	s_cmp_eq_u32 s35, 29
	s_cbranch_scc0 .LBB134_532
; %bb.531:
	global_load_dwordx2 v[2:3], v[0:1], off
	s_mov_b64 s[0:1], -1
	s_mov_b64 s[28:29], 0
	s_branch .LBB134_533
.LBB134_532:
	s_mov_b64 s[28:29], -1
                                        ; implicit-def: $vgpr2
.LBB134_533:
	s_mov_b64 s[30:31], 0
.LBB134_534:
	s_and_b64 vcc, exec, s[30:31]
	s_cbranch_vccz .LBB134_550
; %bb.535:
	s_cmp_lt_i32 s35, 27
	s_cbranch_scc1 .LBB134_538
; %bb.536:
	s_cmp_gt_i32 s35, 27
	s_cbranch_scc0 .LBB134_539
; %bb.537:
	global_load_dword v2, v[0:1], off
	s_mov_b64 s[0:1], 0
	s_branch .LBB134_540
.LBB134_538:
	s_mov_b64 s[0:1], -1
                                        ; implicit-def: $vgpr2
	s_branch .LBB134_543
.LBB134_539:
	s_mov_b64 s[0:1], -1
                                        ; implicit-def: $vgpr2
.LBB134_540:
	s_andn2_b64 vcc, exec, s[0:1]
	s_cbranch_vccnz .LBB134_542
; %bb.541:
	global_load_ushort v2, v[0:1], off
.LBB134_542:
	s_mov_b64 s[0:1], 0
.LBB134_543:
	s_andn2_b64 vcc, exec, s[0:1]
	s_cbranch_vccnz .LBB134_549
; %bb.544:
	global_load_ubyte v3, v[0:1], off
	s_movk_i32 s0, 0x7f
	s_mov_b64 s[30:31], 0
	s_waitcnt vmcnt(0)
	v_cmp_lt_i16_e32 vcc, s0, v3
	s_and_saveexec_b64 s[0:1], vcc
	s_xor_b64 s[0:1], exec, s[0:1]
	s_cbranch_execz .LBB134_561
; %bb.545:
	s_movk_i32 s30, 0x80
	v_cmp_ne_u16_e32 vcc, s30, v3
	s_and_b64 s[30:31], vcc, exec
	s_andn2_saveexec_b64 s[0:1], s[0:1]
	s_cbranch_execnz .LBB134_562
.LBB134_546:
	s_or_b64 exec, exec, s[0:1]
	v_mov_b32_e32 v2, 0
	s_and_saveexec_b64 s[0:1], s[30:31]
	s_cbranch_execz .LBB134_548
.LBB134_547:
	v_lshlrev_b32_e32 v2, 24, v3
	v_and_b32_e32 v3, 0xffff, v3
	v_and_b32_e32 v4, 7, v3
	v_ffbh_u32_e32 v6, v4
	v_min_u32_e32 v6, 32, v6
	v_subrev_u32_e32 v8, 28, v6
	v_bfe_u32 v5, v3, 3, 4
	v_lshlrev_b32_e32 v3, v8, v3
	v_sub_u32_e32 v6, 29, v6
	v_and_b32_e32 v3, 7, v3
	v_cmp_eq_u32_e32 vcc, 0, v5
	v_cndmask_b32_e32 v5, v5, v6, vcc
	v_cndmask_b32_e32 v3, v4, v3, vcc
	v_mov_b32_e32 v4, 0x3b800000
	v_lshlrev_b32_e32 v3, 20, v3
	v_and_b32_e32 v2, 0x80000000, v2
	v_lshl_add_u32 v4, v5, 23, v4
	v_or3_b32 v2, v2, v4, v3
	v_trunc_f32_e32 v2, v2
	s_mov_b32 s30, 0x2f800000
	v_mul_f32_e64 v3, |v2|, s30
	v_floor_f32_e32 v3, v3
	s_mov_b32 s30, 0xcf800000
	v_fma_f32 v3, v3, s30, |v2|
	v_cvt_u32_f32_e32 v3, v3
	v_ashrrev_i32_e32 v2, 31, v2
	v_xor_b32_e32 v3, v3, v2
	v_sub_u32_e32 v2, v3, v2
.LBB134_548:
	s_or_b64 exec, exec, s[0:1]
.LBB134_549:
	s_mov_b64 s[0:1], -1
.LBB134_550:
	s_mov_b64 s[30:31], 0
.LBB134_551:
	s_and_b64 vcc, exec, s[30:31]
	s_cbranch_vccz .LBB134_584
; %bb.552:
	s_cmp_gt_i32 s35, 22
	s_cbranch_scc0 .LBB134_560
; %bb.553:
	s_cmp_lt_i32 s35, 24
	s_cbranch_scc1 .LBB134_563
; %bb.554:
	s_cmp_gt_i32 s35, 24
	s_cbranch_scc0 .LBB134_564
; %bb.555:
	global_load_ubyte v3, v[0:1], off
	s_movk_i32 s0, 0x7f
	s_mov_b64 s[30:31], 0
	s_waitcnt vmcnt(0)
	v_cmp_lt_i16_e32 vcc, s0, v3
	s_and_saveexec_b64 s[0:1], vcc
	s_xor_b64 s[0:1], exec, s[0:1]
	s_cbranch_execz .LBB134_576
; %bb.556:
	s_movk_i32 s30, 0x80
	v_cmp_ne_u16_e32 vcc, s30, v3
	s_and_b64 s[30:31], vcc, exec
	s_andn2_saveexec_b64 s[0:1], s[0:1]
	s_cbranch_execnz .LBB134_577
.LBB134_557:
	s_or_b64 exec, exec, s[0:1]
	v_mov_b32_e32 v2, 0
	s_and_saveexec_b64 s[0:1], s[30:31]
	s_cbranch_execz .LBB134_559
.LBB134_558:
	v_lshlrev_b32_e32 v2, 24, v3
	v_and_b32_e32 v3, 0xffff, v3
	v_and_b32_e32 v4, 3, v3
	v_ffbh_u32_e32 v6, v4
	v_min_u32_e32 v6, 32, v6
	v_subrev_u32_e32 v8, 29, v6
	v_bfe_u32 v5, v3, 2, 5
	v_lshlrev_b32_e32 v3, v8, v3
	v_sub_u32_e32 v6, 30, v6
	v_and_b32_e32 v3, 3, v3
	v_cmp_eq_u32_e32 vcc, 0, v5
	v_cndmask_b32_e32 v5, v5, v6, vcc
	v_cndmask_b32_e32 v3, v4, v3, vcc
	v_mov_b32_e32 v4, 0x37800000
	v_lshlrev_b32_e32 v3, 21, v3
	v_and_b32_e32 v2, 0x80000000, v2
	v_lshl_add_u32 v4, v5, 23, v4
	v_or3_b32 v2, v2, v4, v3
	v_trunc_f32_e32 v2, v2
	s_mov_b32 s30, 0x2f800000
	v_mul_f32_e64 v3, |v2|, s30
	v_floor_f32_e32 v3, v3
	s_mov_b32 s30, 0xcf800000
	v_fma_f32 v3, v3, s30, |v2|
	v_cvt_u32_f32_e32 v3, v3
	v_ashrrev_i32_e32 v2, 31, v2
	v_xor_b32_e32 v3, v3, v2
	v_sub_u32_e32 v2, v3, v2
.LBB134_559:
	s_or_b64 exec, exec, s[0:1]
	s_mov_b64 s[0:1], 0
	s_branch .LBB134_565
.LBB134_560:
	s_mov_b64 s[30:31], -1
                                        ; implicit-def: $vgpr2
	s_branch .LBB134_571
.LBB134_561:
	s_andn2_saveexec_b64 s[0:1], s[0:1]
	s_cbranch_execz .LBB134_546
.LBB134_562:
	v_cmp_ne_u16_e32 vcc, 0, v3
	s_andn2_b64 s[30:31], s[30:31], exec
	s_and_b64 s[36:37], vcc, exec
	s_or_b64 s[30:31], s[30:31], s[36:37]
	s_or_b64 exec, exec, s[0:1]
	v_mov_b32_e32 v2, 0
	s_and_saveexec_b64 s[0:1], s[30:31]
	s_cbranch_execnz .LBB134_547
	s_branch .LBB134_548
.LBB134_563:
	s_mov_b64 s[0:1], -1
                                        ; implicit-def: $vgpr2
	s_branch .LBB134_568
.LBB134_564:
	s_mov_b64 s[0:1], -1
                                        ; implicit-def: $vgpr2
.LBB134_565:
	s_and_b64 vcc, exec, s[0:1]
	s_cbranch_vccz .LBB134_567
; %bb.566:
	global_load_ubyte v2, v[0:1], off
	s_mov_b32 s0, 0x7f800000
	s_brev_b32 s1, 1
	s_mov_b32 s30, 0x2f800000
	s_waitcnt vmcnt(0)
	v_lshlrev_b32_e32 v2, 24, v2
	v_and_b32_e32 v3, 0x7f000000, v2
	v_ffbh_u32_e32 v4, v3
	v_min_u32_e32 v4, 32, v4
	v_sub_u32_e64 v4, v4, 4 clamp
	v_lshlrev_b32_e32 v6, v4, v3
	v_lshlrev_b32_e32 v4, 23, v4
	v_lshrrev_b32_e32 v6, 4, v6
	v_add_u32_e32 v5, 0x1000000, v3
	v_sub_u32_e32 v4, v6, v4
	v_ashrrev_i32_e32 v5, 8, v5
	v_add_u32_e32 v4, 0x3c000000, v4
	v_and_or_b32 v4, v5, s0, v4
	v_cmp_ne_u32_e32 vcc, 0, v3
	v_cndmask_b32_e32 v3, 0, v4, vcc
	v_and_or_b32 v2, v2, s1, v3
	v_trunc_f32_e32 v2, v2
	v_mul_f32_e64 v3, |v2|, s30
	v_floor_f32_e32 v3, v3
	s_mov_b32 s0, 0xcf800000
	v_fma_f32 v3, v3, s0, |v2|
	v_cvt_u32_f32_e32 v3, v3
	v_ashrrev_i32_e32 v2, 31, v2
	v_xor_b32_e32 v3, v3, v2
	v_sub_u32_e32 v2, v3, v2
.LBB134_567:
	s_mov_b64 s[0:1], 0
.LBB134_568:
	s_andn2_b64 vcc, exec, s[0:1]
	s_cbranch_vccnz .LBB134_570
; %bb.569:
	global_load_ubyte v2, v[0:1], off
	s_movk_i32 s0, 0x7f00
	s_brev_b32 s1, 16
	s_brev_b32 s30, 1
	s_mov_b32 s31, 0x2f800000
	s_waitcnt vmcnt(0)
	v_lshlrev_b16_e32 v3, 8, v2
	v_lshlrev_b32_e32 v2, 25, v2
	v_lshrrev_b32_e32 v4, 4, v2
	v_and_or_b32 v5, v3, s0, 0.5
	v_or_b32_e32 v4, 0x70000000, v4
	v_add_f32_e32 v5, -0.5, v5
	v_mul_f32_e32 v4, 0x7800000, v4
	v_cmp_gt_u32_e32 vcc, s1, v2
	v_bfe_i32 v3, v3, 0, 16
	v_cndmask_b32_e32 v2, v4, v5, vcc
	v_and_or_b32 v2, v3, s30, v2
	v_trunc_f32_e32 v2, v2
	v_mul_f32_e64 v3, |v2|, s31
	v_floor_f32_e32 v3, v3
	s_mov_b32 s0, 0xcf800000
	v_fma_f32 v3, v3, s0, |v2|
	v_cvt_u32_f32_e32 v3, v3
	v_ashrrev_i32_e32 v2, 31, v2
	v_xor_b32_e32 v3, v3, v2
	v_sub_u32_e32 v2, v3, v2
.LBB134_570:
	s_mov_b64 s[30:31], 0
	s_mov_b64 s[0:1], -1
.LBB134_571:
	s_andn2_b64 vcc, exec, s[30:31]
	s_cbranch_vccnz .LBB134_584
; %bb.572:
	s_cmp_gt_i32 s35, 14
	s_cbranch_scc0 .LBB134_575
; %bb.573:
	s_cmp_eq_u32 s35, 15
	s_cbranch_scc0 .LBB134_578
; %bb.574:
	global_load_ushort v2, v[0:1], off
	s_mov_b32 s0, 0x2f800000
	s_mov_b32 s1, 0xcf800000
	s_mov_b64 s[28:29], 0
	s_waitcnt vmcnt(0)
	v_lshlrev_b32_e32 v2, 16, v2
	v_trunc_f32_e32 v2, v2
	v_mul_f32_e64 v3, |v2|, s0
	v_floor_f32_e32 v3, v3
	v_fma_f32 v3, v3, s1, |v2|
	v_cvt_u32_f32_e32 v3, v3
	v_ashrrev_i32_e32 v2, 31, v2
	s_mov_b64 s[0:1], -1
	v_xor_b32_e32 v3, v3, v2
	v_sub_u32_e32 v2, v3, v2
	s_branch .LBB134_579
.LBB134_575:
	s_mov_b64 s[30:31], -1
                                        ; implicit-def: $vgpr2
	s_branch .LBB134_580
.LBB134_576:
	s_andn2_saveexec_b64 s[0:1], s[0:1]
	s_cbranch_execz .LBB134_557
.LBB134_577:
	v_cmp_ne_u16_e32 vcc, 0, v3
	s_andn2_b64 s[30:31], s[30:31], exec
	s_and_b64 s[36:37], vcc, exec
	s_or_b64 s[30:31], s[30:31], s[36:37]
	s_or_b64 exec, exec, s[0:1]
	v_mov_b32_e32 v2, 0
	s_and_saveexec_b64 s[0:1], s[30:31]
	s_cbranch_execnz .LBB134_558
	s_branch .LBB134_559
.LBB134_578:
	s_mov_b64 s[28:29], -1
                                        ; implicit-def: $vgpr2
.LBB134_579:
	s_mov_b64 s[30:31], 0
.LBB134_580:
	s_and_b64 vcc, exec, s[30:31]
	s_cbranch_vccz .LBB134_584
; %bb.581:
	s_cmp_eq_u32 s35, 11
	s_cbranch_scc0 .LBB134_583
; %bb.582:
	global_load_ubyte v2, v[0:1], off
	s_mov_b64 s[0:1], -1
	s_mov_b64 s[28:29], 0
	s_waitcnt vmcnt(0)
	v_cmp_ne_u16_e32 vcc, 0, v2
	v_cndmask_b32_e64 v2, 0, 1, vcc
	s_branch .LBB134_584
.LBB134_583:
	s_mov_b64 s[28:29], -1
                                        ; implicit-def: $vgpr2
.LBB134_584:
	s_mov_b64 s[30:31], 0
.LBB134_585:
	s_and_b64 vcc, exec, s[30:31]
	s_cbranch_vccz .LBB134_634
; %bb.586:
	s_and_b32 s30, 0xffff, s34
	s_cmp_lt_i32 s30, 5
	s_cbranch_scc1 .LBB134_591
; %bb.587:
	s_cmp_lt_i32 s30, 8
	s_cbranch_scc1 .LBB134_592
; %bb.588:
	;; [unrolled: 3-line block ×3, first 2 shown]
	s_cmp_gt_i32 s30, 9
	s_cbranch_scc0 .LBB134_594
; %bb.590:
	global_load_dwordx2 v[2:3], v[0:1], off
	s_movk_i32 s0, 0xffe0
	s_waitcnt vmcnt(0)
	v_trunc_f64_e32 v[2:3], v[2:3]
	v_ldexp_f64 v[4:5], v[2:3], s0
	s_mov_b32 s0, 0
	s_mov_b32 s1, 0xc1f00000
	v_floor_f64_e32 v[4:5], v[4:5]
	v_fma_f64 v[2:3], v[4:5], s[0:1], v[2:3]
	s_mov_b64 s[0:1], 0
	v_cvt_u32_f64_e32 v2, v[2:3]
	s_branch .LBB134_595
.LBB134_591:
	s_mov_b64 s[0:1], -1
                                        ; implicit-def: $vgpr2
	s_branch .LBB134_613
.LBB134_592:
	s_mov_b64 s[0:1], -1
                                        ; implicit-def: $vgpr2
	s_branch .LBB134_601
.LBB134_593:
	s_mov_b64 s[0:1], -1
                                        ; implicit-def: $vgpr2
	s_branch .LBB134_598
.LBB134_594:
	s_mov_b64 s[0:1], -1
                                        ; implicit-def: $vgpr2
.LBB134_595:
	s_andn2_b64 vcc, exec, s[0:1]
	s_cbranch_vccnz .LBB134_597
; %bb.596:
	global_load_dword v2, v[0:1], off
	s_mov_b32 s0, 0x2f800000
	s_waitcnt vmcnt(0)
	v_trunc_f32_e32 v2, v2
	v_mul_f32_e64 v3, |v2|, s0
	v_floor_f32_e32 v3, v3
	s_mov_b32 s0, 0xcf800000
	v_fma_f32 v3, v3, s0, |v2|
	v_cvt_u32_f32_e32 v3, v3
	v_ashrrev_i32_e32 v2, 31, v2
	v_xor_b32_e32 v3, v3, v2
	v_sub_u32_e32 v2, v3, v2
.LBB134_597:
	s_mov_b64 s[0:1], 0
.LBB134_598:
	s_andn2_b64 vcc, exec, s[0:1]
	s_cbranch_vccnz .LBB134_600
; %bb.599:
	global_load_dword v2, v[0:1], off
	s_waitcnt vmcnt(0)
	v_cvt_f32_f16_e32 v2, v2
	v_cvt_i32_f32_e32 v2, v2
.LBB134_600:
	s_mov_b64 s[0:1], 0
.LBB134_601:
	s_andn2_b64 vcc, exec, s[0:1]
	s_cbranch_vccnz .LBB134_612
; %bb.602:
	s_cmp_lt_i32 s30, 6
	s_cbranch_scc1 .LBB134_605
; %bb.603:
	s_cmp_gt_i32 s30, 6
	s_cbranch_scc0 .LBB134_606
; %bb.604:
	global_load_dwordx2 v[2:3], v[0:1], off
	s_movk_i32 s0, 0xffe0
	s_waitcnt vmcnt(0)
	v_trunc_f64_e32 v[2:3], v[2:3]
	v_ldexp_f64 v[4:5], v[2:3], s0
	s_mov_b32 s0, 0
	s_mov_b32 s1, 0xc1f00000
	v_floor_f64_e32 v[4:5], v[4:5]
	v_fma_f64 v[2:3], v[4:5], s[0:1], v[2:3]
	s_mov_b64 s[0:1], 0
	v_cvt_u32_f64_e32 v2, v[2:3]
	s_branch .LBB134_607
.LBB134_605:
	s_mov_b64 s[0:1], -1
                                        ; implicit-def: $vgpr2
	s_branch .LBB134_610
.LBB134_606:
	s_mov_b64 s[0:1], -1
                                        ; implicit-def: $vgpr2
.LBB134_607:
	s_andn2_b64 vcc, exec, s[0:1]
	s_cbranch_vccnz .LBB134_609
; %bb.608:
	global_load_dword v2, v[0:1], off
	s_mov_b32 s0, 0x2f800000
	s_waitcnt vmcnt(0)
	v_trunc_f32_e32 v2, v2
	v_mul_f32_e64 v3, |v2|, s0
	v_floor_f32_e32 v3, v3
	s_mov_b32 s0, 0xcf800000
	v_fma_f32 v3, v3, s0, |v2|
	v_cvt_u32_f32_e32 v3, v3
	v_ashrrev_i32_e32 v2, 31, v2
	v_xor_b32_e32 v3, v3, v2
	v_sub_u32_e32 v2, v3, v2
.LBB134_609:
	s_mov_b64 s[0:1], 0
.LBB134_610:
	s_andn2_b64 vcc, exec, s[0:1]
	s_cbranch_vccnz .LBB134_612
; %bb.611:
	global_load_ushort v2, v[0:1], off
	s_waitcnt vmcnt(0)
	v_cvt_f32_f16_e32 v2, v2
	v_cvt_i32_f32_e32 v2, v2
.LBB134_612:
	s_mov_b64 s[0:1], 0
.LBB134_613:
	s_andn2_b64 vcc, exec, s[0:1]
	s_cbranch_vccnz .LBB134_633
; %bb.614:
	s_cmp_lt_i32 s30, 2
	s_cbranch_scc1 .LBB134_618
; %bb.615:
	s_cmp_lt_i32 s30, 3
	s_cbranch_scc1 .LBB134_619
; %bb.616:
	s_cmp_gt_i32 s30, 3
	s_cbranch_scc0 .LBB134_620
; %bb.617:
	global_load_dwordx2 v[2:3], v[0:1], off
	s_mov_b64 s[0:1], 0
	s_branch .LBB134_621
.LBB134_618:
	s_mov_b64 s[0:1], -1
                                        ; implicit-def: $vgpr2
	s_branch .LBB134_627
.LBB134_619:
	s_mov_b64 s[0:1], -1
                                        ; implicit-def: $vgpr2
	s_branch .LBB134_624
.LBB134_620:
	s_mov_b64 s[0:1], -1
                                        ; implicit-def: $vgpr2
.LBB134_621:
	s_andn2_b64 vcc, exec, s[0:1]
	s_cbranch_vccnz .LBB134_623
; %bb.622:
	global_load_dword v2, v[0:1], off
.LBB134_623:
	s_mov_b64 s[0:1], 0
.LBB134_624:
	s_andn2_b64 vcc, exec, s[0:1]
	s_cbranch_vccnz .LBB134_626
; %bb.625:
	global_load_ushort v2, v[0:1], off
.LBB134_626:
	s_mov_b64 s[0:1], 0
.LBB134_627:
	s_andn2_b64 vcc, exec, s[0:1]
	s_cbranch_vccnz .LBB134_633
; %bb.628:
	s_cmp_gt_i32 s30, 0
	s_cbranch_scc0 .LBB134_630
; %bb.629:
	global_load_ubyte v2, v[0:1], off
	s_mov_b64 s[0:1], 0
	s_branch .LBB134_631
.LBB134_630:
	s_mov_b64 s[0:1], -1
                                        ; implicit-def: $vgpr2
.LBB134_631:
	s_andn2_b64 vcc, exec, s[0:1]
	s_cbranch_vccnz .LBB134_633
; %bb.632:
	global_load_ubyte v2, v[0:1], off
.LBB134_633:
	s_mov_b64 s[0:1], -1
.LBB134_634:
	s_andn2_b64 vcc, exec, s[0:1]
	s_cbranch_vccnz .LBB134_642
; %bb.635:
	v_mul_lo_u32 v0, v7, s2
	s_waitcnt vmcnt(0)
	v_lshrrev_b16_sdwa v1, s46, v2 dst_sel:DWORD dst_unused:UNUSED_PAD src0_sel:DWORD src1_sel:BYTE_0
	v_mov_b32_e32 v3, s9
	v_cndmask_b32_e64 v2, v1, 0, s[6:7]
	v_ashrrev_i32_e32 v1, 31, v0
	s_and_b32 s38, s33, 0xff
	v_add_co_u32_e32 v0, vcc, s8, v0
	s_cmp_lt_i32 s38, 11
	v_addc_co_u32_e32 v1, vcc, v3, v1, vcc
	s_cbranch_scc1 .LBB134_643
; %bb.636:
	s_and_b32 s39, 0xffff, s38
	s_cmp_gt_i32 s39, 25
	s_cbranch_scc0 .LBB134_644
; %bb.637:
	s_cmp_gt_i32 s39, 28
	s_cbranch_scc0 .LBB134_645
; %bb.638:
	;; [unrolled: 3-line block ×4, first 2 shown]
	s_mov_b64 s[34:35], 0
	s_mov_b64 s[0:1], -1
	s_cmp_eq_u32 s39, 46
	s_mov_b64 s[30:31], 0
	s_cbranch_scc0 .LBB134_648
; %bb.641:
	v_cvt_f32_ubyte0_e32 v3, v2
	v_bfe_u32 v4, v3, 16, 1
	s_movk_i32 s0, 0x7fff
	v_add3_u32 v3, v3, v4, s0
	v_lshrrev_b32_e32 v3, 16, v3
	global_store_dword v[0:1], v3, off
	s_mov_b64 s[30:31], -1
	s_mov_b64 s[0:1], 0
	s_branch .LBB134_648
.LBB134_642:
	s_mov_b64 s[34:35], 0
                                        ; implicit-def: $vgpr7
	s_mov_b64 s[0:1], s[22:23]
	s_branch .LBB134_759
.LBB134_643:
	s_mov_b64 s[34:35], -1
	s_mov_b64 s[30:31], 0
	s_mov_b64 s[0:1], s[22:23]
	s_branch .LBB134_717
.LBB134_644:
	s_mov_b64 s[34:35], -1
	s_mov_b64 s[30:31], 0
	s_mov_b64 s[0:1], s[22:23]
	s_branch .LBB134_675
.LBB134_645:
	s_mov_b64 s[34:35], -1
	s_mov_b64 s[30:31], 0
	s_mov_b64 s[0:1], s[22:23]
	s_branch .LBB134_658
.LBB134_646:
	s_mov_b64 s[34:35], -1
	s_mov_b64 s[30:31], 0
	s_mov_b64 s[0:1], s[22:23]
	s_branch .LBB134_654
.LBB134_647:
	s_mov_b64 s[34:35], -1
	s_mov_b64 s[30:31], 0
	s_mov_b64 s[0:1], s[22:23]
.LBB134_648:
	s_and_b64 vcc, exec, s[34:35]
	s_cbranch_vccz .LBB134_653
; %bb.649:
	s_cmp_eq_u32 s39, 44
	s_mov_b64 s[0:1], -1
	s_cbranch_scc0 .LBB134_653
; %bb.650:
	v_cvt_f32_ubyte0_e32 v4, v2
	v_lshrrev_b32_e32 v3, 23, v4
	s_movk_i32 s0, 0xff
	v_cmp_ne_u32_e32 vcc, s0, v3
	v_mov_b32_e32 v5, 0xff
	s_and_saveexec_b64 s[30:31], vcc
; %bb.651:
	s_mov_b32 s0, 0x3fffff
	v_and_b32_e32 v5, 0x400000, v4
	v_and_or_b32 v4, v4, s0, v3
	v_cmp_ne_u32_e32 vcc, 0, v5
	v_cmp_ne_u32_e64 s[0:1], 0, v4
	s_and_b64 s[0:1], vcc, s[0:1]
	v_cndmask_b32_e64 v4, 0, 1, s[0:1]
	v_add_u32_e32 v5, v3, v4
; %bb.652:
	s_or_b64 exec, exec, s[30:31]
	s_mov_b64 s[30:31], -1
	s_mov_b64 s[0:1], 0
	global_store_byte v[0:1], v5, off
.LBB134_653:
	s_mov_b64 s[34:35], 0
.LBB134_654:
	s_and_b64 vcc, exec, s[34:35]
	s_cbranch_vccz .LBB134_657
; %bb.655:
	s_cmp_eq_u32 s39, 29
	s_mov_b64 s[0:1], -1
	s_cbranch_scc0 .LBB134_657
; %bb.656:
	s_mov_b32 s0, 0
	v_and_b32_e32 v3, 0xffff, v2
	v_mov_b32_e32 v4, s0
	global_store_dwordx2 v[0:1], v[3:4], off
	s_mov_b64 s[30:31], -1
	s_mov_b64 s[0:1], 0
.LBB134_657:
	s_mov_b64 s[34:35], 0
.LBB134_658:
	s_and_b64 vcc, exec, s[34:35]
	s_cbranch_vccz .LBB134_674
; %bb.659:
	s_cmp_lt_i32 s39, 27
	s_mov_b64 s[30:31], -1
	s_cbranch_scc1 .LBB134_665
; %bb.660:
	s_cmp_gt_i32 s39, 27
	s_cbranch_scc0 .LBB134_662
; %bb.661:
	v_and_b32_e32 v3, 0xffff, v2
	s_mov_b64 s[30:31], 0
	global_store_dword v[0:1], v3, off
.LBB134_662:
	s_andn2_b64 vcc, exec, s[30:31]
	s_cbranch_vccnz .LBB134_664
; %bb.663:
	global_store_short v[0:1], v2, off
.LBB134_664:
	s_mov_b64 s[30:31], 0
.LBB134_665:
	s_andn2_b64 vcc, exec, s[30:31]
	s_cbranch_vccnz .LBB134_673
; %bb.666:
	v_cvt_f32_ubyte0_e32 v4, v2
	s_mov_b32 s30, 0x43800000
	v_cmp_gt_u32_e32 vcc, s30, v4
	v_mov_b32_e32 v5, 0x80
	s_and_saveexec_b64 s[30:31], vcc
	s_cbranch_execz .LBB134_672
; %bb.667:
	s_mov_b32 s34, 0x3bffffff
	v_cmp_lt_u32_e32 vcc, s34, v4
	s_mov_b64 s[34:35], 0
                                        ; implicit-def: $vgpr3
	s_and_saveexec_b64 s[36:37], vcc
	s_xor_b64 s[36:37], exec, s[36:37]
	s_cbranch_execz .LBB134_773
; %bb.668:
	v_bfe_u32 v3, v4, 20, 1
	s_mov_b32 s41, 0x487ffff
	v_add3_u32 v3, v4, v3, s41
	s_mov_b64 s[34:35], exec
	v_lshrrev_b32_e32 v3, 20, v3
                                        ; implicit-def: $vgpr4
	s_andn2_saveexec_b64 s[36:37], s[36:37]
	s_cbranch_execnz .LBB134_774
.LBB134_669:
	s_or_b64 exec, exec, s[36:37]
	v_mov_b32_e32 v5, 0
	s_and_saveexec_b64 s[36:37], s[34:35]
.LBB134_670:
	v_mov_b32_e32 v5, v3
.LBB134_671:
	s_or_b64 exec, exec, s[36:37]
.LBB134_672:
	s_or_b64 exec, exec, s[30:31]
	global_store_byte v[0:1], v5, off
.LBB134_673:
	s_mov_b64 s[30:31], -1
.LBB134_674:
	s_mov_b64 s[34:35], 0
.LBB134_675:
	s_and_b64 vcc, exec, s[34:35]
	s_cbranch_vccz .LBB134_716
; %bb.676:
	s_cmp_gt_i32 s39, 22
	s_mov_b64 s[34:35], -1
	s_cbranch_scc0 .LBB134_708
; %bb.677:
	s_cmp_lt_i32 s39, 24
	s_mov_b64 s[30:31], -1
	s_cbranch_scc1 .LBB134_697
; %bb.678:
	s_cmp_gt_i32 s39, 24
	s_cbranch_scc0 .LBB134_686
; %bb.679:
	v_cvt_f32_ubyte0_e32 v4, v2
	s_mov_b32 s30, 0x47800000
	v_cmp_gt_u32_e32 vcc, s30, v4
	v_mov_b32_e32 v5, 0x80
	s_and_saveexec_b64 s[30:31], vcc
	s_cbranch_execz .LBB134_685
; %bb.680:
	s_mov_b32 s34, 0x37ffffff
	v_cmp_lt_u32_e32 vcc, s34, v4
	s_mov_b64 s[34:35], 0
                                        ; implicit-def: $vgpr3
	s_and_saveexec_b64 s[36:37], vcc
	s_xor_b64 s[36:37], exec, s[36:37]
	s_cbranch_execz .LBB134_776
; %bb.681:
	v_bfe_u32 v3, v4, 21, 1
	s_mov_b32 s41, 0x88fffff
	v_add3_u32 v3, v4, v3, s41
	s_mov_b64 s[34:35], exec
	v_lshrrev_b32_e32 v3, 21, v3
                                        ; implicit-def: $vgpr4
	s_andn2_saveexec_b64 s[36:37], s[36:37]
	s_cbranch_execnz .LBB134_777
.LBB134_682:
	s_or_b64 exec, exec, s[36:37]
	v_mov_b32_e32 v5, 0
	s_and_saveexec_b64 s[36:37], s[34:35]
.LBB134_683:
	v_mov_b32_e32 v5, v3
.LBB134_684:
	s_or_b64 exec, exec, s[36:37]
.LBB134_685:
	s_or_b64 exec, exec, s[30:31]
	s_mov_b64 s[30:31], 0
	global_store_byte v[0:1], v5, off
.LBB134_686:
	s_and_b64 vcc, exec, s[30:31]
	s_cbranch_vccz .LBB134_696
; %bb.687:
	v_cvt_f32_ubyte0_e32 v3, v2
	s_mov_b32 s30, 0x43f00000
	v_cmp_gt_u32_e32 vcc, s30, v3
                                        ; implicit-def: $vgpr4
	s_and_saveexec_b64 s[30:31], vcc
	s_xor_b64 s[30:31], exec, s[30:31]
	s_cbranch_execz .LBB134_693
; %bb.688:
	s_mov_b32 s34, 0x3c7fffff
	v_cmp_lt_u32_e32 vcc, s34, v3
                                        ; implicit-def: $vgpr4
	s_and_saveexec_b64 s[34:35], vcc
	s_xor_b64 s[34:35], exec, s[34:35]
; %bb.689:
	v_bfe_u32 v4, v3, 20, 1
	s_mov_b32 s36, 0x407ffff
	v_add3_u32 v3, v3, v4, s36
	v_lshrrev_b32_e32 v4, 20, v3
	v_and_b32_e32 v3, 0xff00000, v3
	s_mov_b32 s36, 0x7f00000
	v_mov_b32_e32 v5, 0x7e
	v_cmp_ne_u32_e32 vcc, s36, v3
	v_cndmask_b32_e32 v4, v5, v4, vcc
                                        ; implicit-def: $vgpr3
; %bb.690:
	s_andn2_saveexec_b64 s[34:35], s[34:35]
; %bb.691:
	v_add_f32_e32 v4, 0x46800000, v3
; %bb.692:
	s_or_b64 exec, exec, s[34:35]
                                        ; implicit-def: $vgpr3
.LBB134_693:
	s_andn2_saveexec_b64 s[30:31], s[30:31]
; %bb.694:
	s_mov_b32 s34, 0x7f800000
	v_mov_b32_e32 v4, 0x7e
	v_mov_b32_e32 v5, 0x7f
	v_cmp_lt_u32_e32 vcc, s34, v3
	v_cndmask_b32_e32 v4, v4, v5, vcc
; %bb.695:
	s_or_b64 exec, exec, s[30:31]
	global_store_byte v[0:1], v4, off
.LBB134_696:
	s_mov_b64 s[30:31], 0
.LBB134_697:
	s_andn2_b64 vcc, exec, s[30:31]
	s_cbranch_vccnz .LBB134_707
; %bb.698:
	v_cvt_f32_ubyte0_e32 v3, v2
	s_mov_b32 s30, 0x47800000
	v_cmp_gt_u32_e32 vcc, s30, v3
                                        ; implicit-def: $vgpr4
	s_and_saveexec_b64 s[30:31], vcc
	s_xor_b64 s[30:31], exec, s[30:31]
	s_cbranch_execz .LBB134_704
; %bb.699:
	s_mov_b32 s34, 0x387fffff
	v_cmp_lt_u32_e32 vcc, s34, v3
                                        ; implicit-def: $vgpr4
	s_and_saveexec_b64 s[34:35], vcc
	s_xor_b64 s[34:35], exec, s[34:35]
; %bb.700:
	v_bfe_u32 v4, v3, 21, 1
	s_mov_b32 s36, 0x80fffff
	v_add3_u32 v3, v3, v4, s36
	v_lshrrev_b32_e32 v4, 21, v3
                                        ; implicit-def: $vgpr3
; %bb.701:
	s_andn2_saveexec_b64 s[34:35], s[34:35]
; %bb.702:
	v_add_f32_e32 v4, 0x43000000, v3
; %bb.703:
	s_or_b64 exec, exec, s[34:35]
                                        ; implicit-def: $vgpr3
.LBB134_704:
	s_andn2_saveexec_b64 s[30:31], s[30:31]
; %bb.705:
	s_mov_b32 s34, 0x7f800000
	v_mov_b32_e32 v4, 0x7c
	v_mov_b32_e32 v5, 0x7f
	v_cmp_lt_u32_e32 vcc, s34, v3
	v_cndmask_b32_e32 v4, v4, v5, vcc
; %bb.706:
	s_or_b64 exec, exec, s[30:31]
	global_store_byte v[0:1], v4, off
.LBB134_707:
	s_mov_b64 s[34:35], 0
	s_mov_b64 s[30:31], -1
.LBB134_708:
	s_andn2_b64 vcc, exec, s[34:35]
	s_cbranch_vccnz .LBB134_716
; %bb.709:
	s_cmp_gt_i32 s39, 14
	s_mov_b64 s[34:35], -1
	s_cbranch_scc0 .LBB134_713
; %bb.710:
	s_cmp_eq_u32 s39, 15
	s_mov_b64 s[0:1], -1
	s_cbranch_scc0 .LBB134_712
; %bb.711:
	v_cvt_f32_ubyte0_e32 v3, v2
	v_bfe_u32 v4, v3, 16, 1
	s_movk_i32 s0, 0x7fff
	v_add3_u32 v3, v3, v4, s0
	global_store_short_d16_hi v[0:1], v3, off
	s_mov_b64 s[30:31], -1
	s_mov_b64 s[0:1], 0
.LBB134_712:
	s_mov_b64 s[34:35], 0
.LBB134_713:
	s_and_b64 vcc, exec, s[34:35]
	s_cbranch_vccz .LBB134_716
; %bb.714:
	s_cmp_eq_u32 s39, 11
	s_mov_b64 s[0:1], -1
	s_cbranch_scc0 .LBB134_716
; %bb.715:
	v_cmp_ne_u16_e32 vcc, 0, v2
	v_cndmask_b32_e64 v3, 0, 1, vcc
	s_mov_b64 s[30:31], -1
	s_mov_b64 s[0:1], 0
	global_store_byte v[0:1], v3, off
.LBB134_716:
	s_mov_b64 s[34:35], 0
.LBB134_717:
	s_and_b64 vcc, exec, s[34:35]
	s_cbranch_vccz .LBB134_756
; %bb.718:
	s_and_b32 s34, 0xffff, s38
	s_cmp_lt_i32 s34, 5
	s_mov_b64 s[30:31], -1
	s_cbranch_scc1 .LBB134_739
; %bb.719:
	s_cmp_lt_i32 s34, 8
	s_cbranch_scc1 .LBB134_729
; %bb.720:
	s_cmp_lt_i32 s34, 9
	s_cbranch_scc1 .LBB134_726
; %bb.721:
	s_cmp_gt_i32 s34, 9
	s_cbranch_scc0 .LBB134_723
; %bb.722:
	v_and_b32_e32 v3, 0xffff, v2
	v_cvt_f64_u32_e32 v[3:4], v3
	v_mov_b32_e32 v5, 0
	v_mov_b32_e32 v6, v5
	s_mov_b64 s[30:31], 0
	global_store_dwordx4 v[0:1], v[3:6], off
.LBB134_723:
	s_andn2_b64 vcc, exec, s[30:31]
	s_cbranch_vccnz .LBB134_725
; %bb.724:
	v_cvt_f32_ubyte0_e32 v3, v2
	v_mov_b32_e32 v4, 0
	global_store_dwordx2 v[0:1], v[3:4], off
.LBB134_725:
	s_mov_b64 s[30:31], 0
.LBB134_726:
	s_andn2_b64 vcc, exec, s[30:31]
	s_cbranch_vccnz .LBB134_728
; %bb.727:
	v_cvt_f16_u16_e32 v3, v2
	global_store_dword v[0:1], v3, off
.LBB134_728:
	s_mov_b64 s[30:31], 0
.LBB134_729:
	s_andn2_b64 vcc, exec, s[30:31]
	s_cbranch_vccnz .LBB134_738
; %bb.730:
	s_cmp_lt_i32 s34, 6
	s_mov_b64 s[30:31], -1
	s_cbranch_scc1 .LBB134_736
; %bb.731:
	s_cmp_gt_i32 s34, 6
	s_cbranch_scc0 .LBB134_733
; %bb.732:
	v_and_b32_e32 v3, 0xffff, v2
	v_cvt_f64_u32_e32 v[3:4], v3
	s_mov_b64 s[30:31], 0
	global_store_dwordx2 v[0:1], v[3:4], off
.LBB134_733:
	s_andn2_b64 vcc, exec, s[30:31]
	s_cbranch_vccnz .LBB134_735
; %bb.734:
	v_cvt_f32_ubyte0_e32 v3, v2
	global_store_dword v[0:1], v3, off
.LBB134_735:
	s_mov_b64 s[30:31], 0
.LBB134_736:
	s_andn2_b64 vcc, exec, s[30:31]
	s_cbranch_vccnz .LBB134_738
; %bb.737:
	v_cvt_f16_u16_e32 v3, v2
	global_store_short v[0:1], v3, off
.LBB134_738:
	s_mov_b64 s[30:31], 0
.LBB134_739:
	s_andn2_b64 vcc, exec, s[30:31]
	s_cbranch_vccnz .LBB134_755
; %bb.740:
	s_cmp_lt_i32 s34, 2
	s_mov_b64 s[30:31], -1
	s_cbranch_scc1 .LBB134_750
; %bb.741:
	s_cmp_lt_i32 s34, 3
	s_cbranch_scc1 .LBB134_747
; %bb.742:
	s_cmp_gt_i32 s34, 3
	s_cbranch_scc0 .LBB134_744
; %bb.743:
	s_mov_b32 s30, 0
	v_and_b32_e32 v3, 0xffff, v2
	v_mov_b32_e32 v4, s30
	s_mov_b64 s[30:31], 0
	global_store_dwordx2 v[0:1], v[3:4], off
.LBB134_744:
	s_andn2_b64 vcc, exec, s[30:31]
	s_cbranch_vccnz .LBB134_746
; %bb.745:
	v_and_b32_e32 v3, 0xffff, v2
	global_store_dword v[0:1], v3, off
.LBB134_746:
	s_mov_b64 s[30:31], 0
.LBB134_747:
	s_andn2_b64 vcc, exec, s[30:31]
	s_cbranch_vccnz .LBB134_749
; %bb.748:
	global_store_short v[0:1], v2, off
.LBB134_749:
	s_mov_b64 s[30:31], 0
.LBB134_750:
	s_andn2_b64 vcc, exec, s[30:31]
	s_cbranch_vccnz .LBB134_755
; %bb.751:
	s_cmp_gt_i32 s34, 0
	s_mov_b64 s[30:31], -1
	s_cbranch_scc0 .LBB134_753
; %bb.752:
	s_mov_b64 s[30:31], 0
	global_store_byte v[0:1], v2, off
.LBB134_753:
	s_andn2_b64 vcc, exec, s[30:31]
	s_cbranch_vccnz .LBB134_755
; %bb.754:
	global_store_byte v[0:1], v2, off
.LBB134_755:
	s_mov_b64 s[30:31], -1
.LBB134_756:
	s_andn2_b64 vcc, exec, s[30:31]
	s_cbranch_vccnz .LBB134_758
; %bb.757:
	v_add_u32_e32 v7, 0x80, v7
	s_mov_b64 s[34:35], -1
	s_branch .LBB134_759
.LBB134_758:
	s_mov_b64 s[34:35], 0
                                        ; implicit-def: $vgpr7
.LBB134_759:
	s_andn2_b64 s[30:31], s[22:23], exec
	s_and_b64 s[0:1], s[0:1], exec
	s_or_b64 s[30:31], s[30:31], s[0:1]
	s_andn2_b64 s[0:1], s[20:21], exec
	s_and_b64 s[28:29], s[28:29], exec
	s_or_b64 s[0:1], s[0:1], s[28:29]
	s_orn2_b64 s[36:37], s[34:35], exec
.LBB134_760:
	s_or_b64 exec, exec, s[26:27]
	s_mov_b64 s[34:35], 0
	s_mov_b64 s[28:29], 0
	s_mov_b64 s[38:39], 0
                                        ; implicit-def: $sgpr47
                                        ; implicit-def: $vgpr0_vgpr1
                                        ; implicit-def: $vgpr2
	s_and_saveexec_b64 s[26:27], s[36:37]
	s_cbranch_execz .LBB134_841
; %bb.761:
	v_cmp_gt_i32_e32 vcc, s40, v7
	s_mov_b64 s[36:37], 0
	s_mov_b64 s[40:41], s[0:1]
	;; [unrolled: 1-line block ×3, first 2 shown]
                                        ; implicit-def: $sgpr47
                                        ; implicit-def: $vgpr0_vgpr1
                                        ; implicit-def: $vgpr2
	s_and_saveexec_b64 s[28:29], vcc
	s_cbranch_execz .LBB134_840
; %bb.762:
	v_mul_lo_u32 v0, v7, s3
	v_mov_b32_e32 v1, s11
	s_and_b32 s47, s45, 0xff
	s_cmp_lt_i32 s47, 11
	s_waitcnt vmcnt(0)
	v_ashrrev_i32_e32 v2, 31, v0
	v_add_co_u32_e32 v0, vcc, s10, v0
	v_addc_co_u32_e32 v1, vcc, v1, v2, vcc
	s_cbranch_scc1 .LBB134_769
; %bb.763:
	s_and_b32 s42, 0xffff, s47
	s_cmp_gt_i32 s42, 25
	s_cbranch_scc0 .LBB134_770
; %bb.764:
	s_cmp_gt_i32 s42, 28
	s_cbranch_scc0 .LBB134_771
; %bb.765:
	;; [unrolled: 3-line block ×4, first 2 shown]
	s_cmp_eq_u32 s42, 46
	s_mov_b64 s[40:41], 0
	s_cbranch_scc0 .LBB134_778
; %bb.768:
	global_load_dword v2, v[0:1], off
	s_mov_b32 s34, 0x2f800000
	s_mov_b32 s35, 0xcf800000
	s_mov_b64 s[38:39], -1
	s_waitcnt vmcnt(0)
	v_lshlrev_b32_e32 v2, 16, v2
	v_trunc_f32_e32 v2, v2
	v_mul_f32_e64 v3, |v2|, s34
	v_floor_f32_e32 v3, v3
	v_fma_f32 v3, v3, s35, |v2|
	v_cvt_u32_f32_e32 v3, v3
	v_ashrrev_i32_e32 v2, 31, v2
	s_mov_b64 s[34:35], 0
	v_xor_b32_e32 v3, v3, v2
	v_sub_u32_e32 v2, v3, v2
	s_branch .LBB134_780
.LBB134_769:
	s_mov_b64 s[40:41], -1
                                        ; implicit-def: $vgpr2
	s_mov_b64 s[34:35], s[0:1]
	s_branch .LBB134_839
.LBB134_770:
	s_mov_b64 s[40:41], -1
	s_mov_b64 s[34:35], s[0:1]
                                        ; implicit-def: $vgpr2
	s_branch .LBB134_807
.LBB134_771:
	s_mov_b64 s[40:41], -1
	s_mov_b64 s[34:35], s[0:1]
                                        ; implicit-def: $vgpr2
	s_branch .LBB134_790
.LBB134_772:
	s_mov_b64 s[40:41], -1
	s_mov_b64 s[34:35], s[0:1]
                                        ; implicit-def: $vgpr2
	s_branch .LBB134_785
.LBB134_773:
	s_andn2_saveexec_b64 s[36:37], s[36:37]
	s_cbranch_execz .LBB134_669
.LBB134_774:
	v_add_f32_e32 v3, 0x46000000, v4
	v_and_b32_e32 v3, 0xff, v3
	v_cmp_ne_u32_e32 vcc, 0, v3
	s_andn2_b64 s[34:35], s[34:35], exec
	s_and_b64 s[42:43], vcc, exec
	s_or_b64 s[34:35], s[34:35], s[42:43]
	s_or_b64 exec, exec, s[36:37]
	v_mov_b32_e32 v5, 0
	s_and_saveexec_b64 s[36:37], s[34:35]
	s_cbranch_execnz .LBB134_670
	s_branch .LBB134_671
.LBB134_775:
	s_mov_b64 s[40:41], -1
	s_mov_b64 s[34:35], s[0:1]
	s_branch .LBB134_779
.LBB134_776:
	s_andn2_saveexec_b64 s[36:37], s[36:37]
	s_cbranch_execz .LBB134_682
.LBB134_777:
	v_add_f32_e32 v3, 0x42800000, v4
	v_and_b32_e32 v3, 0xff, v3
	v_cmp_ne_u32_e32 vcc, 0, v3
	s_andn2_b64 s[34:35], s[34:35], exec
	s_and_b64 s[42:43], vcc, exec
	s_or_b64 s[34:35], s[34:35], s[42:43]
	s_or_b64 exec, exec, s[36:37]
	v_mov_b32_e32 v5, 0
	s_and_saveexec_b64 s[36:37], s[34:35]
	s_cbranch_execnz .LBB134_683
	s_branch .LBB134_684
.LBB134_778:
	s_mov_b64 s[34:35], -1
.LBB134_779:
                                        ; implicit-def: $vgpr2
.LBB134_780:
	s_and_b64 vcc, exec, s[40:41]
	s_cbranch_vccz .LBB134_784
; %bb.781:
	s_cmp_eq_u32 s42, 44
	s_cbranch_scc0 .LBB134_783
; %bb.782:
	global_load_ubyte v2, v[0:1], off
	s_mov_b32 s34, 0x2f800000
	s_mov_b32 s35, 0xcf800000
	s_mov_b64 s[38:39], -1
	s_waitcnt vmcnt(0)
	v_lshlrev_b32_e32 v3, 23, v2
	v_trunc_f32_e32 v3, v3
	v_mul_f32_e64 v4, |v3|, s34
	v_floor_f32_e32 v4, v4
	v_fma_f32 v4, v4, s35, |v3|
	v_cvt_u32_f32_e32 v4, v4
	v_ashrrev_i32_e32 v3, 31, v3
	v_cmp_ne_u32_e32 vcc, 0, v2
	s_mov_b64 s[34:35], 0
	v_xor_b32_e32 v4, v4, v3
	v_sub_u32_e32 v3, v4, v3
	v_cndmask_b32_e32 v2, 0, v3, vcc
	s_branch .LBB134_784
.LBB134_783:
	s_mov_b64 s[34:35], -1
                                        ; implicit-def: $vgpr2
.LBB134_784:
	s_mov_b64 s[40:41], 0
.LBB134_785:
	s_and_b64 vcc, exec, s[40:41]
	s_cbranch_vccz .LBB134_789
; %bb.786:
	s_cmp_eq_u32 s42, 29
	s_cbranch_scc0 .LBB134_788
; %bb.787:
	global_load_dwordx2 v[2:3], v[0:1], off
	s_mov_b64 s[34:35], 0
	s_mov_b64 s[38:39], -1
	s_branch .LBB134_789
.LBB134_788:
	s_mov_b64 s[34:35], -1
                                        ; implicit-def: $vgpr2
.LBB134_789:
	s_mov_b64 s[40:41], 0
.LBB134_790:
	s_and_b64 vcc, exec, s[40:41]
	s_cbranch_vccz .LBB134_806
; %bb.791:
	s_cmp_lt_i32 s42, 27
	s_cbranch_scc1 .LBB134_794
; %bb.792:
	s_cmp_gt_i32 s42, 27
	s_cbranch_scc0 .LBB134_795
; %bb.793:
	global_load_dword v2, v[0:1], off
	s_mov_b64 s[38:39], 0
	s_branch .LBB134_796
.LBB134_794:
	s_mov_b64 s[38:39], -1
                                        ; implicit-def: $vgpr2
	s_branch .LBB134_799
.LBB134_795:
	s_mov_b64 s[38:39], -1
                                        ; implicit-def: $vgpr2
.LBB134_796:
	s_andn2_b64 vcc, exec, s[38:39]
	s_cbranch_vccnz .LBB134_798
; %bb.797:
	global_load_ushort v2, v[0:1], off
.LBB134_798:
	s_mov_b64 s[38:39], 0
.LBB134_799:
	s_andn2_b64 vcc, exec, s[38:39]
	s_cbranch_vccnz .LBB134_805
; %bb.800:
	global_load_ubyte v3, v[0:1], off
	s_movk_i32 s38, 0x7f
	s_mov_b64 s[40:41], 0
	s_waitcnt vmcnt(0)
	v_cmp_lt_i16_e32 vcc, s38, v3
	s_and_saveexec_b64 s[38:39], vcc
	s_xor_b64 s[38:39], exec, s[38:39]
	s_cbranch_execz .LBB134_817
; %bb.801:
	s_movk_i32 s40, 0x80
	v_cmp_ne_u16_e32 vcc, s40, v3
	s_and_b64 s[40:41], vcc, exec
	s_andn2_saveexec_b64 s[38:39], s[38:39]
	s_cbranch_execnz .LBB134_818
.LBB134_802:
	s_or_b64 exec, exec, s[38:39]
	v_mov_b32_e32 v2, 0
	s_and_saveexec_b64 s[38:39], s[40:41]
	s_cbranch_execz .LBB134_804
.LBB134_803:
	v_lshlrev_b32_e32 v2, 24, v3
	v_and_b32_e32 v3, 0xffff, v3
	v_and_b32_e32 v4, 7, v3
	v_ffbh_u32_e32 v6, v4
	v_min_u32_e32 v6, 32, v6
	v_subrev_u32_e32 v8, 28, v6
	v_bfe_u32 v5, v3, 3, 4
	v_lshlrev_b32_e32 v3, v8, v3
	v_sub_u32_e32 v6, 29, v6
	v_and_b32_e32 v3, 7, v3
	v_cmp_eq_u32_e32 vcc, 0, v5
	v_cndmask_b32_e32 v5, v5, v6, vcc
	v_cndmask_b32_e32 v3, v4, v3, vcc
	v_mov_b32_e32 v4, 0x3b800000
	v_lshlrev_b32_e32 v3, 20, v3
	v_and_b32_e32 v2, 0x80000000, v2
	v_lshl_add_u32 v4, v5, 23, v4
	v_or3_b32 v2, v2, v4, v3
	v_trunc_f32_e32 v2, v2
	s_mov_b32 s40, 0x2f800000
	v_mul_f32_e64 v3, |v2|, s40
	v_floor_f32_e32 v3, v3
	s_mov_b32 s40, 0xcf800000
	v_fma_f32 v3, v3, s40, |v2|
	v_cvt_u32_f32_e32 v3, v3
	v_ashrrev_i32_e32 v2, 31, v2
	v_xor_b32_e32 v3, v3, v2
	v_sub_u32_e32 v2, v3, v2
.LBB134_804:
	s_or_b64 exec, exec, s[38:39]
.LBB134_805:
	s_mov_b64 s[38:39], -1
.LBB134_806:
	s_mov_b64 s[40:41], 0
.LBB134_807:
	s_and_b64 vcc, exec, s[40:41]
	s_cbranch_vccz .LBB134_838
; %bb.808:
	s_cmp_gt_i32 s42, 22
	s_cbranch_scc0 .LBB134_816
; %bb.809:
	s_cmp_lt_i32 s42, 24
	s_cbranch_scc1 .LBB134_819
; %bb.810:
	s_cmp_gt_i32 s42, 24
	s_cbranch_scc0 .LBB134_820
; %bb.811:
	global_load_ubyte v3, v[0:1], off
	s_movk_i32 s36, 0x7f
	s_mov_b64 s[38:39], 0
	s_waitcnt vmcnt(0)
	v_cmp_lt_i16_e32 vcc, s36, v3
	s_and_saveexec_b64 s[36:37], vcc
	s_xor_b64 s[36:37], exec, s[36:37]
	s_cbranch_execz .LBB134_832
; %bb.812:
	s_movk_i32 s38, 0x80
	v_cmp_ne_u16_e32 vcc, s38, v3
	s_and_b64 s[38:39], vcc, exec
	s_andn2_saveexec_b64 s[36:37], s[36:37]
	s_cbranch_execnz .LBB134_833
.LBB134_813:
	s_or_b64 exec, exec, s[36:37]
	v_mov_b32_e32 v2, 0
	s_and_saveexec_b64 s[36:37], s[38:39]
	s_cbranch_execz .LBB134_815
.LBB134_814:
	v_lshlrev_b32_e32 v2, 24, v3
	v_and_b32_e32 v3, 0xffff, v3
	v_and_b32_e32 v4, 3, v3
	v_ffbh_u32_e32 v6, v4
	v_min_u32_e32 v6, 32, v6
	v_subrev_u32_e32 v8, 29, v6
	v_bfe_u32 v5, v3, 2, 5
	v_lshlrev_b32_e32 v3, v8, v3
	v_sub_u32_e32 v6, 30, v6
	v_and_b32_e32 v3, 3, v3
	v_cmp_eq_u32_e32 vcc, 0, v5
	v_cndmask_b32_e32 v5, v5, v6, vcc
	v_cndmask_b32_e32 v3, v4, v3, vcc
	v_mov_b32_e32 v4, 0x37800000
	v_lshlrev_b32_e32 v3, 21, v3
	v_and_b32_e32 v2, 0x80000000, v2
	v_lshl_add_u32 v4, v5, 23, v4
	v_or3_b32 v2, v2, v4, v3
	v_trunc_f32_e32 v2, v2
	s_mov_b32 s38, 0x2f800000
	v_mul_f32_e64 v3, |v2|, s38
	v_floor_f32_e32 v3, v3
	s_mov_b32 s38, 0xcf800000
	v_fma_f32 v3, v3, s38, |v2|
	v_cvt_u32_f32_e32 v3, v3
	v_ashrrev_i32_e32 v2, 31, v2
	v_xor_b32_e32 v3, v3, v2
	v_sub_u32_e32 v2, v3, v2
.LBB134_815:
	s_or_b64 exec, exec, s[36:37]
	s_mov_b64 s[36:37], 0
	s_branch .LBB134_821
.LBB134_816:
	s_mov_b64 s[36:37], -1
                                        ; implicit-def: $vgpr2
	s_branch .LBB134_827
.LBB134_817:
	s_andn2_saveexec_b64 s[38:39], s[38:39]
	s_cbranch_execz .LBB134_802
.LBB134_818:
	v_cmp_ne_u16_e32 vcc, 0, v3
	s_andn2_b64 s[40:41], s[40:41], exec
	s_and_b64 s[48:49], vcc, exec
	s_or_b64 s[40:41], s[40:41], s[48:49]
	s_or_b64 exec, exec, s[38:39]
	v_mov_b32_e32 v2, 0
	s_and_saveexec_b64 s[38:39], s[40:41]
	s_cbranch_execnz .LBB134_803
	s_branch .LBB134_804
.LBB134_819:
	s_mov_b64 s[36:37], -1
                                        ; implicit-def: $vgpr2
	s_branch .LBB134_824
.LBB134_820:
	s_mov_b64 s[36:37], -1
                                        ; implicit-def: $vgpr2
.LBB134_821:
	s_and_b64 vcc, exec, s[36:37]
	s_cbranch_vccz .LBB134_823
; %bb.822:
	global_load_ubyte v2, v[0:1], off
	s_mov_b32 s36, 0x7f800000
	s_brev_b32 s37, 1
	s_mov_b32 s38, 0x2f800000
	s_waitcnt vmcnt(0)
	v_lshlrev_b32_e32 v2, 24, v2
	v_and_b32_e32 v3, 0x7f000000, v2
	v_ffbh_u32_e32 v4, v3
	v_min_u32_e32 v4, 32, v4
	v_sub_u32_e64 v4, v4, 4 clamp
	v_lshlrev_b32_e32 v6, v4, v3
	v_lshlrev_b32_e32 v4, 23, v4
	v_lshrrev_b32_e32 v6, 4, v6
	v_add_u32_e32 v5, 0x1000000, v3
	v_sub_u32_e32 v4, v6, v4
	v_ashrrev_i32_e32 v5, 8, v5
	v_add_u32_e32 v4, 0x3c000000, v4
	v_and_or_b32 v4, v5, s36, v4
	v_cmp_ne_u32_e32 vcc, 0, v3
	v_cndmask_b32_e32 v3, 0, v4, vcc
	v_and_or_b32 v2, v2, s37, v3
	v_trunc_f32_e32 v2, v2
	v_mul_f32_e64 v3, |v2|, s38
	v_floor_f32_e32 v3, v3
	s_mov_b32 s36, 0xcf800000
	v_fma_f32 v3, v3, s36, |v2|
	v_cvt_u32_f32_e32 v3, v3
	v_ashrrev_i32_e32 v2, 31, v2
	v_xor_b32_e32 v3, v3, v2
	v_sub_u32_e32 v2, v3, v2
.LBB134_823:
	s_mov_b64 s[36:37], 0
.LBB134_824:
	s_andn2_b64 vcc, exec, s[36:37]
	s_cbranch_vccnz .LBB134_826
; %bb.825:
	global_load_ubyte v2, v[0:1], off
	s_movk_i32 s36, 0x7f00
	s_brev_b32 s37, 16
	s_brev_b32 s38, 1
	s_mov_b32 s39, 0x2f800000
	s_waitcnt vmcnt(0)
	v_lshlrev_b16_e32 v3, 8, v2
	v_lshlrev_b32_e32 v2, 25, v2
	v_lshrrev_b32_e32 v4, 4, v2
	v_and_or_b32 v5, v3, s36, 0.5
	v_or_b32_e32 v4, 0x70000000, v4
	v_add_f32_e32 v5, -0.5, v5
	v_mul_f32_e32 v4, 0x7800000, v4
	v_cmp_gt_u32_e32 vcc, s37, v2
	v_bfe_i32 v3, v3, 0, 16
	v_cndmask_b32_e32 v2, v4, v5, vcc
	v_and_or_b32 v2, v3, s38, v2
	v_trunc_f32_e32 v2, v2
	v_mul_f32_e64 v3, |v2|, s39
	v_floor_f32_e32 v3, v3
	s_mov_b32 s36, 0xcf800000
	v_fma_f32 v3, v3, s36, |v2|
	v_cvt_u32_f32_e32 v3, v3
	v_ashrrev_i32_e32 v2, 31, v2
	v_xor_b32_e32 v3, v3, v2
	v_sub_u32_e32 v2, v3, v2
.LBB134_826:
	s_mov_b64 s[36:37], 0
	s_mov_b64 s[38:39], -1
.LBB134_827:
	s_andn2_b64 vcc, exec, s[36:37]
	s_mov_b64 s[36:37], 0
	s_cbranch_vccnz .LBB134_838
; %bb.828:
	s_cmp_gt_i32 s42, 14
	s_cbranch_scc0 .LBB134_831
; %bb.829:
	s_cmp_eq_u32 s42, 15
	s_cbranch_scc0 .LBB134_834
; %bb.830:
	global_load_ushort v2, v[0:1], off
	s_mov_b32 s34, 0x2f800000
	s_mov_b32 s35, 0xcf800000
	s_mov_b64 s[38:39], -1
	s_waitcnt vmcnt(0)
	v_lshlrev_b32_e32 v2, 16, v2
	v_trunc_f32_e32 v2, v2
	v_mul_f32_e64 v3, |v2|, s34
	v_floor_f32_e32 v3, v3
	v_fma_f32 v3, v3, s35, |v2|
	v_cvt_u32_f32_e32 v3, v3
	v_ashrrev_i32_e32 v2, 31, v2
	s_mov_b64 s[34:35], 0
	v_xor_b32_e32 v3, v3, v2
	v_sub_u32_e32 v2, v3, v2
	s_branch .LBB134_835
.LBB134_831:
	s_mov_b64 s[40:41], -1
                                        ; implicit-def: $vgpr2
	s_branch .LBB134_836
.LBB134_832:
	s_andn2_saveexec_b64 s[36:37], s[36:37]
	s_cbranch_execz .LBB134_813
.LBB134_833:
	v_cmp_ne_u16_e32 vcc, 0, v3
	s_andn2_b64 s[38:39], s[38:39], exec
	s_and_b64 s[40:41], vcc, exec
	s_or_b64 s[38:39], s[38:39], s[40:41]
	s_or_b64 exec, exec, s[36:37]
	v_mov_b32_e32 v2, 0
	s_and_saveexec_b64 s[36:37], s[38:39]
	s_cbranch_execnz .LBB134_814
	s_branch .LBB134_815
.LBB134_834:
	s_mov_b64 s[34:35], -1
                                        ; implicit-def: $vgpr2
.LBB134_835:
	s_mov_b64 s[40:41], 0
.LBB134_836:
	s_and_b64 vcc, exec, s[40:41]
	s_cbranch_vccz .LBB134_838
; %bb.837:
	s_cmp_lg_u32 s42, 11
	s_cselect_b64 s[40:41], -1, 0
	s_andn2_b64 s[34:35], s[34:35], exec
	s_and_b64 s[40:41], s[40:41], exec
	s_mov_b64 s[36:37], -1
	s_or_b64 s[34:35], s[34:35], s[40:41]
.LBB134_838:
	s_mov_b64 s[40:41], 0
.LBB134_839:
	s_and_b64 s[42:43], s[40:41], exec
	s_andn2_b64 s[40:41], s[0:1], exec
	s_and_b64 s[34:35], s[34:35], exec
	s_and_b64 s[38:39], s[38:39], exec
	;; [unrolled: 1-line block ×3, first 2 shown]
	s_or_b64 s[40:41], s[40:41], s[34:35]
.LBB134_840:
	s_or_b64 exec, exec, s[28:29]
	s_and_b64 s[34:35], s[36:37], exec
	s_andn2_b64 s[0:1], s[0:1], exec
	s_and_b64 s[36:37], s[40:41], exec
	s_and_b64 s[38:39], s[38:39], exec
	;; [unrolled: 1-line block ×3, first 2 shown]
	s_or_b64 s[0:1], s[0:1], s[36:37]
.LBB134_841:
	s_or_b64 exec, exec, s[26:27]
	s_andn2_b64 s[22:23], s[22:23], exec
	s_and_b64 s[26:27], s[30:31], exec
	s_andn2_b64 s[20:21], s[20:21], exec
	s_and_b64 s[0:1], s[0:1], exec
	s_or_b64 s[22:23], s[22:23], s[26:27]
	s_and_b64 s[30:31], s[38:39], exec
	s_and_b64 s[28:29], s[28:29], exec
	;; [unrolled: 1-line block ×3, first 2 shown]
	s_or_b64 s[20:21], s[20:21], s[0:1]
.LBB134_842:
	s_or_b64 exec, exec, s[24:25]
	s_andn2_b64 s[0:1], s[14:15], exec
	s_and_b64 s[14:15], s[22:23], exec
	s_andn2_b64 s[16:17], s[16:17], exec
	s_and_b64 s[20:21], s[20:21], exec
	s_or_b64 s[14:15], s[0:1], s[14:15]
	s_and_b64 s[0:1], s[30:31], exec
	s_and_b64 s[24:25], s[28:29], exec
	;; [unrolled: 1-line block ×3, first 2 shown]
	s_or_b64 s[16:17], s[16:17], s[20:21]
	s_or_b64 exec, exec, s[18:19]
	s_mov_b64 s[18:19], 0
	s_and_saveexec_b64 s[20:21], s[16:17]
	s_cbranch_execz .LBB134_258
.LBB134_843:
	s_mov_b64 s[18:19], exec
	s_andn2_b64 s[22:23], s[22:23], exec
	s_trap 2
	s_or_b64 exec, exec, s[20:21]
	s_and_saveexec_b64 s[16:17], s[22:23]
	s_xor_b64 s[16:17], exec, s[16:17]
	s_cbranch_execnz .LBB134_259
.LBB134_844:
	s_or_b64 exec, exec, s[16:17]
	s_and_saveexec_b64 s[16:17], s[24:25]
	s_cbranch_execz .LBB134_890
.LBB134_845:
	s_sext_i32_i16 s20, s47
	s_cmp_lt_i32 s20, 5
	s_cbranch_scc1 .LBB134_850
; %bb.846:
	s_cmp_lt_i32 s20, 8
	s_cbranch_scc1 .LBB134_851
; %bb.847:
	;; [unrolled: 3-line block ×3, first 2 shown]
	s_cmp_gt_i32 s20, 9
	s_cbranch_scc0 .LBB134_853
; %bb.849:
	global_load_dwordx2 v[2:3], v[0:1], off
	s_movk_i32 s20, 0xffe0
	s_waitcnt vmcnt(0)
	v_trunc_f64_e32 v[2:3], v[2:3]
	v_ldexp_f64 v[4:5], v[2:3], s20
	s_mov_b32 s20, 0
	s_mov_b32 s21, 0xc1f00000
	v_floor_f64_e32 v[4:5], v[4:5]
	v_fma_f64 v[2:3], v[4:5], s[20:21], v[2:3]
	s_mov_b64 s[20:21], 0
	v_cvt_u32_f64_e32 v2, v[2:3]
	s_branch .LBB134_854
.LBB134_850:
                                        ; implicit-def: $vgpr2
	s_branch .LBB134_871
.LBB134_851:
                                        ; implicit-def: $vgpr2
	s_branch .LBB134_860
.LBB134_852:
	s_mov_b64 s[20:21], -1
                                        ; implicit-def: $vgpr2
	s_branch .LBB134_857
.LBB134_853:
	s_mov_b64 s[20:21], -1
                                        ; implicit-def: $vgpr2
.LBB134_854:
	s_andn2_b64 vcc, exec, s[20:21]
	s_cbranch_vccnz .LBB134_856
; %bb.855:
	global_load_dword v2, v[0:1], off
	s_mov_b32 s20, 0x2f800000
	s_waitcnt vmcnt(0)
	v_trunc_f32_e32 v2, v2
	v_mul_f32_e64 v3, |v2|, s20
	v_floor_f32_e32 v3, v3
	s_mov_b32 s20, 0xcf800000
	v_fma_f32 v3, v3, s20, |v2|
	v_cvt_u32_f32_e32 v3, v3
	v_ashrrev_i32_e32 v2, 31, v2
	v_xor_b32_e32 v3, v3, v2
	v_sub_u32_e32 v2, v3, v2
.LBB134_856:
	s_mov_b64 s[20:21], 0
.LBB134_857:
	s_andn2_b64 vcc, exec, s[20:21]
	s_cbranch_vccnz .LBB134_859
; %bb.858:
	global_load_dword v2, v[0:1], off
	s_waitcnt vmcnt(0)
	v_cvt_f32_f16_e32 v2, v2
	v_cvt_i32_f32_e32 v2, v2
.LBB134_859:
	s_cbranch_execnz .LBB134_870
.LBB134_860:
	s_sext_i32_i16 s20, s47
	s_cmp_lt_i32 s20, 6
	s_cbranch_scc1 .LBB134_863
; %bb.861:
	s_cmp_gt_i32 s20, 6
	s_cbranch_scc0 .LBB134_864
; %bb.862:
	global_load_dwordx2 v[2:3], v[0:1], off
	s_movk_i32 s20, 0xffe0
	s_waitcnt vmcnt(0)
	v_trunc_f64_e32 v[2:3], v[2:3]
	v_ldexp_f64 v[4:5], v[2:3], s20
	s_mov_b32 s20, 0
	s_mov_b32 s21, 0xc1f00000
	v_floor_f64_e32 v[4:5], v[4:5]
	v_fma_f64 v[2:3], v[4:5], s[20:21], v[2:3]
	s_mov_b64 s[20:21], 0
	v_cvt_u32_f64_e32 v2, v[2:3]
	s_branch .LBB134_865
.LBB134_863:
	s_mov_b64 s[20:21], -1
                                        ; implicit-def: $vgpr2
	s_branch .LBB134_868
.LBB134_864:
	s_mov_b64 s[20:21], -1
                                        ; implicit-def: $vgpr2
.LBB134_865:
	s_andn2_b64 vcc, exec, s[20:21]
	s_cbranch_vccnz .LBB134_867
; %bb.866:
	global_load_dword v2, v[0:1], off
	s_mov_b32 s20, 0x2f800000
	s_waitcnt vmcnt(0)
	v_trunc_f32_e32 v2, v2
	v_mul_f32_e64 v3, |v2|, s20
	v_floor_f32_e32 v3, v3
	s_mov_b32 s20, 0xcf800000
	v_fma_f32 v3, v3, s20, |v2|
	v_cvt_u32_f32_e32 v3, v3
	v_ashrrev_i32_e32 v2, 31, v2
	v_xor_b32_e32 v3, v3, v2
	v_sub_u32_e32 v2, v3, v2
.LBB134_867:
	s_mov_b64 s[20:21], 0
.LBB134_868:
	s_andn2_b64 vcc, exec, s[20:21]
	s_cbranch_vccnz .LBB134_870
; %bb.869:
	global_load_ushort v2, v[0:1], off
	s_waitcnt vmcnt(0)
	v_cvt_f32_f16_e32 v2, v2
	v_cvt_i32_f32_e32 v2, v2
.LBB134_870:
	s_cbranch_execnz .LBB134_889
.LBB134_871:
	s_sext_i32_i16 s20, s47
	s_cmp_lt_i32 s20, 2
	s_cbranch_scc1 .LBB134_875
; %bb.872:
	s_cmp_lt_i32 s20, 3
	s_cbranch_scc1 .LBB134_876
; %bb.873:
	s_cmp_gt_i32 s20, 3
	s_cbranch_scc0 .LBB134_877
; %bb.874:
	global_load_dwordx2 v[2:3], v[0:1], off
	s_mov_b64 s[20:21], 0
	s_branch .LBB134_878
.LBB134_875:
                                        ; implicit-def: $vgpr2
	s_branch .LBB134_884
.LBB134_876:
	s_mov_b64 s[20:21], -1
                                        ; implicit-def: $vgpr2
	s_branch .LBB134_881
.LBB134_877:
	s_mov_b64 s[20:21], -1
                                        ; implicit-def: $vgpr2
.LBB134_878:
	s_andn2_b64 vcc, exec, s[20:21]
	s_cbranch_vccnz .LBB134_880
; %bb.879:
	global_load_dword v2, v[0:1], off
.LBB134_880:
	s_mov_b64 s[20:21], 0
.LBB134_881:
	s_andn2_b64 vcc, exec, s[20:21]
	s_cbranch_vccnz .LBB134_883
; %bb.882:
	global_load_ushort v2, v[0:1], off
.LBB134_883:
	s_cbranch_execnz .LBB134_889
.LBB134_884:
	s_sext_i32_i16 s20, s47
	s_cmp_gt_i32 s20, 0
	s_cbranch_scc0 .LBB134_886
; %bb.885:
	global_load_ubyte v2, v[0:1], off
	s_mov_b64 s[20:21], 0
	s_branch .LBB134_887
.LBB134_886:
	s_mov_b64 s[20:21], -1
                                        ; implicit-def: $vgpr2
.LBB134_887:
	s_andn2_b64 vcc, exec, s[20:21]
	s_cbranch_vccnz .LBB134_889
; %bb.888:
	global_load_ubyte v2, v[0:1], off
.LBB134_889:
	s_or_b64 s[0:1], s[0:1], exec
.LBB134_890:
	s_or_b64 exec, exec, s[16:17]
	s_mov_b64 s[22:23], 0
	s_mov_b64 s[20:21], 0
                                        ; implicit-def: $sgpr26
                                        ; implicit-def: $vgpr0_vgpr1
                                        ; implicit-def: $vgpr3
	s_and_saveexec_b64 s[16:17], s[0:1]
	s_cbranch_execz .LBB134_965
; %bb.891:
	v_mul_lo_u32 v0, v7, s2
	s_waitcnt vmcnt(0)
	v_lshrrev_b16_sdwa v1, s46, v2 dst_sel:DWORD dst_unused:UNUSED_PAD src0_sel:DWORD src1_sel:BYTE_0
	v_mov_b32_e32 v2, s9
	v_cndmask_b32_e64 v3, v1, 0, s[6:7]
	v_ashrrev_i32_e32 v1, 31, v0
	s_and_b32 s26, s33, 0xff
	v_add_co_u32_e32 v0, vcc, s8, v0
	s_cmp_lt_i32 s26, 11
	v_addc_co_u32_e32 v1, vcc, v2, v1, vcc
	s_cbranch_scc1 .LBB134_968
; %bb.892:
	s_and_b32 s27, 0xffff, s26
	s_mov_b64 s[20:21], -1
	s_cmp_gt_i32 s27, 25
	s_mov_b64 s[0:1], s[14:15]
	s_cbranch_scc0 .LBB134_925
; %bb.893:
	s_mov_b64 s[6:7], -1
	s_cmp_gt_i32 s27, 28
	s_mov_b64 s[0:1], s[14:15]
	s_cbranch_scc0 .LBB134_909
; %bb.894:
	s_cmp_gt_i32 s27, 43
	s_mov_b64 s[0:1], s[14:15]
	s_cbranch_scc0 .LBB134_905
; %bb.895:
	;; [unrolled: 4-line block ×3, first 2 shown]
	s_cmp_eq_u32 s27, 46
	s_mov_b64 s[0:1], -1
	s_cbranch_scc0 .LBB134_898
; %bb.897:
	v_cvt_f32_ubyte0_e32 v2, v3
	v_bfe_u32 v4, v2, 16, 1
	s_movk_i32 s0, 0x7fff
	v_add3_u32 v2, v2, v4, s0
	v_lshrrev_b32_e32 v2, 16, v2
	global_store_dword v[0:1], v2, off
	s_mov_b64 s[0:1], 0
.LBB134_898:
	s_mov_b64 s[6:7], 0
.LBB134_899:
	s_and_b64 vcc, exec, s[6:7]
	s_cbranch_vccz .LBB134_904
; %bb.900:
	s_cmp_eq_u32 s27, 44
	s_mov_b64 s[0:1], -1
	s_cbranch_scc0 .LBB134_904
; %bb.901:
	v_cvt_f32_ubyte0_e32 v4, v3
	v_lshrrev_b32_e32 v2, 23, v4
	s_movk_i32 s0, 0xff
	v_cmp_ne_u32_e32 vcc, s0, v2
	v_mov_b32_e32 v5, 0xff
	s_and_saveexec_b64 s[6:7], vcc
; %bb.902:
	s_mov_b32 s0, 0x3fffff
	v_and_b32_e32 v5, 0x400000, v4
	v_and_or_b32 v4, v4, s0, v2
	v_cmp_ne_u32_e32 vcc, 0, v5
	v_cmp_ne_u32_e64 s[0:1], 0, v4
	s_and_b64 s[0:1], vcc, s[0:1]
	v_cndmask_b32_e64 v4, 0, 1, s[0:1]
	v_add_u32_e32 v5, v2, v4
; %bb.903:
	s_or_b64 exec, exec, s[6:7]
	s_mov_b64 s[0:1], 0
	global_store_byte v[0:1], v5, off
.LBB134_904:
	s_mov_b64 s[6:7], 0
.LBB134_905:
	s_and_b64 vcc, exec, s[6:7]
	s_cbranch_vccz .LBB134_908
; %bb.906:
	s_cmp_eq_u32 s27, 29
	s_mov_b64 s[0:1], -1
	s_cbranch_scc0 .LBB134_908
; %bb.907:
	s_mov_b32 s0, 0
	v_and_b32_e32 v4, 0xffff, v3
	v_mov_b32_e32 v5, s0
	global_store_dwordx2 v[0:1], v[4:5], off
	s_mov_b64 s[0:1], 0
.LBB134_908:
	s_mov_b64 s[6:7], 0
.LBB134_909:
	s_and_b64 vcc, exec, s[6:7]
	s_cbranch_vccz .LBB134_924
; %bb.910:
	s_cmp_lt_i32 s27, 27
	s_mov_b64 s[6:7], -1
	s_cbranch_scc1 .LBB134_916
; %bb.911:
	s_cmp_gt_i32 s27, 27
	s_cbranch_scc0 .LBB134_913
; %bb.912:
	v_and_b32_e32 v2, 0xffff, v3
	s_mov_b64 s[6:7], 0
	global_store_dword v[0:1], v2, off
.LBB134_913:
	s_andn2_b64 vcc, exec, s[6:7]
	s_cbranch_vccnz .LBB134_915
; %bb.914:
	global_store_short v[0:1], v3, off
.LBB134_915:
	s_mov_b64 s[6:7], 0
.LBB134_916:
	s_andn2_b64 vcc, exec, s[6:7]
	s_cbranch_vccnz .LBB134_924
; %bb.917:
	v_cvt_f32_ubyte0_e32 v4, v3
	s_mov_b32 s6, 0x43800000
	v_cmp_gt_u32_e32 vcc, s6, v4
	v_mov_b32_e32 v5, 0x80
	s_and_saveexec_b64 s[6:7], vcc
	s_cbranch_execz .LBB134_923
; %bb.918:
	s_mov_b32 s20, 0x3bffffff
	v_cmp_lt_u32_e32 vcc, s20, v4
	s_mov_b64 s[20:21], 0
                                        ; implicit-def: $vgpr2
	s_and_saveexec_b64 s[22:23], vcc
	s_xor_b64 s[22:23], exec, s[22:23]
	s_cbranch_execz .LBB134_1025
; %bb.919:
	v_bfe_u32 v2, v4, 20, 1
	s_mov_b32 s24, 0x487ffff
	v_add3_u32 v2, v4, v2, s24
	s_mov_b64 s[20:21], exec
	v_lshrrev_b32_e32 v2, 20, v2
                                        ; implicit-def: $vgpr4
	s_andn2_saveexec_b64 s[22:23], s[22:23]
	s_cbranch_execnz .LBB134_1026
.LBB134_920:
	s_or_b64 exec, exec, s[22:23]
	v_mov_b32_e32 v5, 0
	s_and_saveexec_b64 s[22:23], s[20:21]
.LBB134_921:
	v_mov_b32_e32 v5, v2
.LBB134_922:
	s_or_b64 exec, exec, s[22:23]
.LBB134_923:
	s_or_b64 exec, exec, s[6:7]
	global_store_byte v[0:1], v5, off
.LBB134_924:
	s_mov_b64 s[20:21], 0
.LBB134_925:
	s_mov_b64 s[6:7], 0
	s_and_b64 vcc, exec, s[20:21]
	s_cbranch_vccz .LBB134_969
; %bb.926:
	s_cmp_gt_i32 s27, 22
	s_mov_b64 s[20:21], -1
	s_cbranch_scc0 .LBB134_958
; %bb.927:
	s_cmp_lt_i32 s27, 24
	s_cbranch_scc1 .LBB134_947
; %bb.928:
	s_cmp_gt_i32 s27, 24
	s_cbranch_scc0 .LBB134_936
; %bb.929:
	v_cvt_f32_ubyte0_e32 v4, v3
	s_mov_b32 s20, 0x47800000
	v_cmp_gt_u32_e32 vcc, s20, v4
	v_mov_b32_e32 v5, 0x80
	s_and_saveexec_b64 s[20:21], vcc
	s_cbranch_execz .LBB134_935
; %bb.930:
	s_mov_b32 s22, 0x37ffffff
	v_cmp_lt_u32_e32 vcc, s22, v4
	s_mov_b64 s[22:23], 0
                                        ; implicit-def: $vgpr2
	s_and_saveexec_b64 s[24:25], vcc
	s_xor_b64 s[24:25], exec, s[24:25]
	s_cbranch_execz .LBB134_1145
; %bb.931:
	v_bfe_u32 v2, v4, 21, 1
	s_mov_b32 s28, 0x88fffff
	v_add3_u32 v2, v4, v2, s28
	s_mov_b64 s[22:23], exec
	v_lshrrev_b32_e32 v2, 21, v2
                                        ; implicit-def: $vgpr4
	s_andn2_saveexec_b64 s[24:25], s[24:25]
	s_cbranch_execnz .LBB134_1146
.LBB134_932:
	s_or_b64 exec, exec, s[24:25]
	v_mov_b32_e32 v5, 0
	s_and_saveexec_b64 s[24:25], s[22:23]
.LBB134_933:
	v_mov_b32_e32 v5, v2
.LBB134_934:
	s_or_b64 exec, exec, s[24:25]
.LBB134_935:
	s_or_b64 exec, exec, s[20:21]
	s_mov_b64 s[20:21], 0
	global_store_byte v[0:1], v5, off
.LBB134_936:
	s_and_b64 vcc, exec, s[20:21]
	s_cbranch_vccz .LBB134_946
; %bb.937:
	v_cvt_f32_ubyte0_e32 v2, v3
	s_mov_b32 s20, 0x43f00000
	v_cmp_gt_u32_e32 vcc, s20, v2
                                        ; implicit-def: $vgpr4
	s_and_saveexec_b64 s[20:21], vcc
	s_xor_b64 s[20:21], exec, s[20:21]
	s_cbranch_execz .LBB134_943
; %bb.938:
	s_mov_b32 s22, 0x3c7fffff
	v_cmp_lt_u32_e32 vcc, s22, v2
                                        ; implicit-def: $vgpr4
	s_and_saveexec_b64 s[22:23], vcc
	s_xor_b64 s[22:23], exec, s[22:23]
; %bb.939:
	v_bfe_u32 v4, v2, 20, 1
	s_mov_b32 s24, 0x407ffff
	v_add3_u32 v2, v2, v4, s24
	v_lshrrev_b32_e32 v4, 20, v2
	v_and_b32_e32 v2, 0xff00000, v2
	s_mov_b32 s24, 0x7f00000
	v_mov_b32_e32 v5, 0x7e
	v_cmp_ne_u32_e32 vcc, s24, v2
	v_cndmask_b32_e32 v4, v5, v4, vcc
                                        ; implicit-def: $vgpr2
; %bb.940:
	s_andn2_saveexec_b64 s[22:23], s[22:23]
; %bb.941:
	v_add_f32_e32 v4, 0x46800000, v2
; %bb.942:
	s_or_b64 exec, exec, s[22:23]
                                        ; implicit-def: $vgpr2
.LBB134_943:
	s_andn2_saveexec_b64 s[20:21], s[20:21]
; %bb.944:
	s_mov_b32 s22, 0x7f800000
	v_mov_b32_e32 v4, 0x7e
	v_mov_b32_e32 v5, 0x7f
	v_cmp_lt_u32_e32 vcc, s22, v2
	v_cndmask_b32_e32 v4, v4, v5, vcc
; %bb.945:
	s_or_b64 exec, exec, s[20:21]
	global_store_byte v[0:1], v4, off
.LBB134_946:
	s_mov_b64 s[20:21], 0
.LBB134_947:
	s_andn2_b64 vcc, exec, s[20:21]
	s_cbranch_vccnz .LBB134_957
; %bb.948:
	v_cvt_f32_ubyte0_e32 v2, v3
	s_mov_b32 s20, 0x47800000
	v_cmp_gt_u32_e32 vcc, s20, v2
                                        ; implicit-def: $vgpr4
	s_and_saveexec_b64 s[20:21], vcc
	s_xor_b64 s[20:21], exec, s[20:21]
	s_cbranch_execz .LBB134_954
; %bb.949:
	s_mov_b32 s22, 0x387fffff
	v_cmp_lt_u32_e32 vcc, s22, v2
                                        ; implicit-def: $vgpr4
	s_and_saveexec_b64 s[22:23], vcc
	s_xor_b64 s[22:23], exec, s[22:23]
; %bb.950:
	v_bfe_u32 v4, v2, 21, 1
	s_mov_b32 s24, 0x80fffff
	v_add3_u32 v2, v2, v4, s24
	v_lshrrev_b32_e32 v4, 21, v2
                                        ; implicit-def: $vgpr2
; %bb.951:
	s_andn2_saveexec_b64 s[22:23], s[22:23]
; %bb.952:
	v_add_f32_e32 v4, 0x43000000, v2
; %bb.953:
	s_or_b64 exec, exec, s[22:23]
                                        ; implicit-def: $vgpr2
.LBB134_954:
	s_andn2_saveexec_b64 s[20:21], s[20:21]
; %bb.955:
	s_mov_b32 s22, 0x7f800000
	v_mov_b32_e32 v4, 0x7c
	v_mov_b32_e32 v5, 0x7f
	v_cmp_lt_u32_e32 vcc, s22, v2
	v_cndmask_b32_e32 v4, v4, v5, vcc
; %bb.956:
	s_or_b64 exec, exec, s[20:21]
	global_store_byte v[0:1], v4, off
.LBB134_957:
	s_mov_b64 s[20:21], 0
.LBB134_958:
	s_andn2_b64 vcc, exec, s[20:21]
	s_mov_b64 s[22:23], 0
	s_cbranch_vccnz .LBB134_970
; %bb.959:
	s_cmp_gt_i32 s27, 14
	s_mov_b64 s[20:21], -1
	s_cbranch_scc0 .LBB134_963
; %bb.960:
	s_cmp_eq_u32 s27, 15
	s_mov_b64 s[0:1], -1
	s_cbranch_scc0 .LBB134_962
; %bb.961:
	v_cvt_f32_ubyte0_e32 v2, v3
	v_bfe_u32 v4, v2, 16, 1
	s_movk_i32 s0, 0x7fff
	v_add3_u32 v2, v2, v4, s0
	global_store_short_d16_hi v[0:1], v2, off
	s_mov_b64 s[0:1], 0
.LBB134_962:
	s_mov_b64 s[20:21], 0
.LBB134_963:
	s_and_b64 vcc, exec, s[20:21]
	s_cbranch_vccz .LBB134_970
; %bb.964:
	s_cmp_lg_u32 s27, 11
	s_cselect_b64 s[20:21], -1, 0
	s_andn2_b64 s[0:1], s[0:1], exec
	s_and_b64 s[20:21], s[20:21], exec
	s_mov_b64 s[22:23], -1
	s_or_b64 s[0:1], s[0:1], s[20:21]
	s_branch .LBB134_970
.LBB134_965:
	s_or_b64 exec, exec, s[16:17]
	s_and_saveexec_b64 s[0:1], s[14:15]
	s_cbranch_execnz .LBB134_971
.LBB134_966:
	s_or_b64 exec, exec, s[0:1]
	s_and_saveexec_b64 s[0:1], s[22:23]
	s_xor_b64 s[0:1], exec, s[0:1]
	s_cbranch_execz .LBB134_972
.LBB134_967:
	s_waitcnt vmcnt(0)
	v_mov_b32_e32 v2, 0
	v_cmp_ne_u16_sdwa s[6:7], v3, v2 src0_sel:BYTE_0 src1_sel:DWORD
	v_cndmask_b32_e64 v2, 0, 1, s[6:7]
	global_store_byte v[0:1], v2, off
	s_or_b64 exec, exec, s[0:1]
	s_and_saveexec_b64 s[0:1], s[20:21]
	s_xor_b64 s[0:1], exec, s[0:1]
	s_cbranch_execz .LBB134_1010
	s_branch .LBB134_973
.LBB134_968:
	s_mov_b64 s[6:7], -1
	s_mov_b64 s[0:1], s[14:15]
	s_branch .LBB134_970
.LBB134_969:
	s_mov_b64 s[22:23], 0
.LBB134_970:
	s_and_b64 s[20:21], s[6:7], exec
	s_andn2_b64 s[6:7], s[14:15], exec
	s_and_b64 s[0:1], s[0:1], exec
	s_and_b64 s[22:23], s[22:23], exec
	s_or_b64 s[14:15], s[6:7], s[0:1]
	s_or_b64 exec, exec, s[16:17]
	s_and_saveexec_b64 s[0:1], s[14:15]
	s_cbranch_execz .LBB134_966
.LBB134_971:
	s_or_b64 s[18:19], s[18:19], exec
	s_andn2_b64 s[22:23], s[22:23], exec
	s_trap 2
	s_or_b64 exec, exec, s[0:1]
	s_and_saveexec_b64 s[0:1], s[22:23]
	s_xor_b64 s[0:1], exec, s[0:1]
	s_cbranch_execnz .LBB134_967
.LBB134_972:
	s_or_b64 exec, exec, s[0:1]
	s_and_saveexec_b64 s[0:1], s[20:21]
	s_xor_b64 s[0:1], exec, s[0:1]
	s_cbranch_execz .LBB134_1010
.LBB134_973:
	s_sext_i32_i16 s14, s26
	s_cmp_lt_i32 s14, 5
	s_mov_b64 s[6:7], -1
	s_cbranch_scc1 .LBB134_994
; %bb.974:
	s_cmp_lt_i32 s14, 8
	s_cbranch_scc1 .LBB134_984
; %bb.975:
	s_cmp_lt_i32 s14, 9
	s_cbranch_scc1 .LBB134_981
; %bb.976:
	s_cmp_gt_i32 s14, 9
	s_cbranch_scc0 .LBB134_978
; %bb.977:
	s_mov_b32 s6, 0xffff
	s_waitcnt vmcnt(0)
	v_and_b32_sdwa v2, s6, v3 dst_sel:DWORD dst_unused:UNUSED_PAD src0_sel:DWORD src1_sel:BYTE_0
	v_cvt_f64_u32_e32 v[4:5], v2
	v_mov_b32_e32 v6, 0
	v_mov_b32_e32 v7, v6
	s_mov_b64 s[6:7], 0
	global_store_dwordx4 v[0:1], v[4:7], off
.LBB134_978:
	s_andn2_b64 vcc, exec, s[6:7]
	s_cbranch_vccnz .LBB134_980
; %bb.979:
	s_waitcnt vmcnt(0)
	v_cvt_f32_ubyte0_e32 v4, v3
	v_mov_b32_e32 v5, 0
	global_store_dwordx2 v[0:1], v[4:5], off
.LBB134_980:
	s_mov_b64 s[6:7], 0
.LBB134_981:
	s_andn2_b64 vcc, exec, s[6:7]
	s_cbranch_vccnz .LBB134_983
; %bb.982:
	s_waitcnt vmcnt(0)
	v_cvt_f16_u16_sdwa v2, v3 dst_sel:DWORD dst_unused:UNUSED_PAD src0_sel:BYTE_0
	global_store_dword v[0:1], v2, off
.LBB134_983:
	s_mov_b64 s[6:7], 0
.LBB134_984:
	s_andn2_b64 vcc, exec, s[6:7]
	s_cbranch_vccnz .LBB134_993
; %bb.985:
	s_sext_i32_i16 s14, s26
	s_cmp_lt_i32 s14, 6
	s_mov_b64 s[6:7], -1
	s_cbranch_scc1 .LBB134_991
; %bb.986:
	s_cmp_gt_i32 s14, 6
	s_cbranch_scc0 .LBB134_988
; %bb.987:
	s_mov_b32 s6, 0xffff
	s_waitcnt vmcnt(0)
	v_and_b32_sdwa v2, s6, v3 dst_sel:DWORD dst_unused:UNUSED_PAD src0_sel:DWORD src1_sel:BYTE_0
	v_cvt_f64_u32_e32 v[4:5], v2
	s_mov_b64 s[6:7], 0
	global_store_dwordx2 v[0:1], v[4:5], off
.LBB134_988:
	s_andn2_b64 vcc, exec, s[6:7]
	s_cbranch_vccnz .LBB134_990
; %bb.989:
	s_waitcnt vmcnt(0)
	v_cvt_f32_ubyte0_e32 v2, v3
	global_store_dword v[0:1], v2, off
.LBB134_990:
	s_mov_b64 s[6:7], 0
.LBB134_991:
	s_andn2_b64 vcc, exec, s[6:7]
	s_cbranch_vccnz .LBB134_993
; %bb.992:
	s_waitcnt vmcnt(0)
	v_cvt_f16_u16_sdwa v2, v3 dst_sel:DWORD dst_unused:UNUSED_PAD src0_sel:BYTE_0
	global_store_short v[0:1], v2, off
.LBB134_993:
	s_mov_b64 s[6:7], 0
.LBB134_994:
	s_andn2_b64 vcc, exec, s[6:7]
	s_cbranch_vccnz .LBB134_1010
; %bb.995:
	s_sext_i32_i16 s14, s26
	s_cmp_lt_i32 s14, 2
	s_mov_b64 s[6:7], -1
	s_cbranch_scc1 .LBB134_1005
; %bb.996:
	s_cmp_lt_i32 s14, 3
	s_cbranch_scc1 .LBB134_1002
; %bb.997:
	s_cmp_gt_i32 s14, 3
	s_cbranch_scc0 .LBB134_999
; %bb.998:
	s_waitcnt vmcnt(0)
	v_and_b32_e32 v4, 0xff, v3
	v_mov_b32_e32 v5, 0
	s_mov_b64 s[6:7], 0
	global_store_dwordx2 v[0:1], v[4:5], off
.LBB134_999:
	s_andn2_b64 vcc, exec, s[6:7]
	s_cbranch_vccnz .LBB134_1001
; %bb.1000:
	s_waitcnt vmcnt(0)
	v_and_b32_e32 v2, 0xff, v3
	global_store_dword v[0:1], v2, off
.LBB134_1001:
	s_mov_b64 s[6:7], 0
.LBB134_1002:
	s_andn2_b64 vcc, exec, s[6:7]
	s_cbranch_vccnz .LBB134_1004
; %bb.1003:
	s_waitcnt vmcnt(0)
	v_and_b32_e32 v2, 0xff, v3
	global_store_short v[0:1], v2, off
.LBB134_1004:
	s_mov_b64 s[6:7], 0
.LBB134_1005:
	s_andn2_b64 vcc, exec, s[6:7]
	s_cbranch_vccnz .LBB134_1010
; %bb.1006:
	s_sext_i32_i16 s6, s26
	s_cmp_gt_i32 s6, 0
	s_mov_b64 s[6:7], -1
	s_cbranch_scc0 .LBB134_1008
; %bb.1007:
	s_mov_b64 s[6:7], 0
	s_waitcnt vmcnt(0)
	global_store_byte v[0:1], v3, off
.LBB134_1008:
	s_andn2_b64 vcc, exec, s[6:7]
	s_cbranch_vccnz .LBB134_1010
; %bb.1009:
	s_waitcnt vmcnt(0)
	global_store_byte v[0:1], v3, off
.LBB134_1010:
	s_or_b64 exec, exec, s[0:1]
	s_and_b64 s[6:7], s[18:19], exec
                                        ; implicit-def: $vgpr7
.LBB134_1011:
	s_or_saveexec_b64 s[4:5], s[4:5]
	s_mov_b64 s[0:1], 0
                                        ; implicit-def: $sgpr22
                                        ; implicit-def: $vgpr0_vgpr1
                                        ; implicit-def: $vgpr2
	s_xor_b64 exec, exec, s[4:5]
	s_cbranch_execz .LBB134_1942
; %bb.1012:
	v_mul_lo_u32 v4, s3, v7
	v_mov_b32_e32 v0, s11
	s_and_b32 s20, s45, 0xff
	s_cmp_lt_i32 s20, 11
	v_ashrrev_i32_e32 v1, 31, v4
	s_waitcnt vmcnt(0)
	v_add_co_u32_e32 v2, vcc, s10, v4
	v_addc_co_u32_e32 v3, vcc, v0, v1, vcc
	s_cbranch_scc1 .LBB134_1019
; %bb.1013:
	s_and_b32 s18, 0xffff, s20
	s_cmp_gt_i32 s18, 25
	s_cbranch_scc0 .LBB134_1021
; %bb.1014:
	s_cmp_gt_i32 s18, 28
	s_cbranch_scc0 .LBB134_1022
; %bb.1015:
	;; [unrolled: 3-line block ×4, first 2 shown]
	s_cmp_eq_u32 s18, 46
	s_mov_b64 s[14:15], 0
	s_cbranch_scc0 .LBB134_1027
; %bb.1018:
	global_load_dword v0, v[2:3], off
	s_mov_b32 s0, 0x2f800000
	s_mov_b32 s1, 0xcf800000
	s_mov_b64 s[16:17], -1
	s_waitcnt vmcnt(0)
	v_lshlrev_b32_e32 v0, 16, v0
	v_trunc_f32_e32 v0, v0
	v_mul_f32_e64 v1, |v0|, s0
	v_floor_f32_e32 v1, v1
	v_fma_f32 v1, v1, s1, |v0|
	v_cvt_u32_f32_e32 v1, v1
	v_ashrrev_i32_e32 v0, 31, v0
	s_mov_b64 s[0:1], 0
	v_xor_b32_e32 v1, v1, v0
	v_sub_u32_e32 v0, v1, v0
	s_branch .LBB134_1028
.LBB134_1019:
	s_mov_b64 s[16:17], 0
                                        ; implicit-def: $vgpr0
	s_mov_b64 s[14:15], s[6:7]
	s_cbranch_execnz .LBB134_1086
.LBB134_1020:
	s_andn2_b64 vcc, exec, s[16:17]
	s_cbranch_vccz .LBB134_1131
	s_branch .LBB134_1940
.LBB134_1021:
	s_mov_b64 s[16:17], 0
                                        ; implicit-def: $vgpr0
	s_cbranch_execnz .LBB134_1053
	s_branch .LBB134_1082
.LBB134_1022:
	s_mov_b64 s[16:17], 0
                                        ; implicit-def: $vgpr0
	s_cbranch_execz .LBB134_1052
	s_branch .LBB134_1037
.LBB134_1023:
	s_mov_b64 s[16:17], 0
                                        ; implicit-def: $vgpr0
	s_cbranch_execnz .LBB134_1033
	s_branch .LBB134_1036
.LBB134_1024:
	s_mov_b64 s[14:15], -1
	s_mov_b64 s[16:17], 0
                                        ; implicit-def: $vgpr0
	s_branch .LBB134_1028
.LBB134_1025:
	s_andn2_saveexec_b64 s[22:23], s[22:23]
	s_cbranch_execz .LBB134_920
.LBB134_1026:
	v_add_f32_e32 v2, 0x46000000, v4
	v_and_b32_e32 v2, 0xff, v2
	v_cmp_ne_u32_e32 vcc, 0, v2
	s_andn2_b64 s[20:21], s[20:21], exec
	s_and_b64 s[24:25], vcc, exec
	s_or_b64 s[20:21], s[20:21], s[24:25]
	s_or_b64 exec, exec, s[22:23]
	v_mov_b32_e32 v5, 0
	s_and_saveexec_b64 s[22:23], s[20:21]
	s_cbranch_execnz .LBB134_921
	s_branch .LBB134_922
.LBB134_1027:
	s_mov_b64 s[0:1], -1
                                        ; implicit-def: $vgpr0
	s_mov_b64 s[16:17], 0
.LBB134_1028:
	s_and_b64 vcc, exec, s[14:15]
	s_cbranch_vccz .LBB134_1031
; %bb.1029:
	s_cmp_eq_u32 s18, 44
	s_cbranch_scc0 .LBB134_1032
; %bb.1030:
	global_load_ubyte v0, v[2:3], off
	s_mov_b32 s0, 0x2f800000
	s_mov_b32 s1, 0xcf800000
	s_mov_b64 s[16:17], -1
	s_waitcnt vmcnt(0)
	v_lshlrev_b32_e32 v1, 23, v0
	v_trunc_f32_e32 v1, v1
	v_mul_f32_e64 v5, |v1|, s0
	v_floor_f32_e32 v5, v5
	v_fma_f32 v5, v5, s1, |v1|
	v_cvt_u32_f32_e32 v5, v5
	v_ashrrev_i32_e32 v1, 31, v1
	v_cmp_ne_u32_e32 vcc, 0, v0
	s_mov_b64 s[0:1], 0
	v_xor_b32_e32 v5, v5, v1
	v_sub_u32_e32 v1, v5, v1
	v_cndmask_b32_e32 v0, 0, v1, vcc
.LBB134_1031:
	s_branch .LBB134_1036
.LBB134_1032:
	s_mov_b64 s[0:1], -1
                                        ; implicit-def: $vgpr0
	s_branch .LBB134_1036
.LBB134_1033:
	s_cmp_eq_u32 s18, 29
	s_cbranch_scc0 .LBB134_1035
; %bb.1034:
	global_load_dwordx2 v[0:1], v[2:3], off
	s_mov_b64 s[0:1], 0
	s_mov_b64 s[16:17], -1
	s_branch .LBB134_1036
.LBB134_1035:
	s_mov_b64 s[0:1], -1
                                        ; implicit-def: $vgpr0
.LBB134_1036:
	s_branch .LBB134_1052
.LBB134_1037:
	s_cmp_lt_i32 s18, 27
	s_cbranch_scc1 .LBB134_1040
; %bb.1038:
	s_cmp_gt_i32 s18, 27
	s_cbranch_scc0 .LBB134_1041
; %bb.1039:
	global_load_dword v0, v[2:3], off
	s_mov_b64 s[14:15], 0
	s_branch .LBB134_1042
.LBB134_1040:
	s_mov_b64 s[14:15], -1
                                        ; implicit-def: $vgpr0
	s_branch .LBB134_1045
.LBB134_1041:
	s_mov_b64 s[14:15], -1
                                        ; implicit-def: $vgpr0
.LBB134_1042:
	s_andn2_b64 vcc, exec, s[14:15]
	s_cbranch_vccnz .LBB134_1044
; %bb.1043:
	global_load_ushort v0, v[2:3], off
.LBB134_1044:
	s_mov_b64 s[14:15], 0
.LBB134_1045:
	s_andn2_b64 vcc, exec, s[14:15]
	s_cbranch_vccnz .LBB134_1051
; %bb.1046:
	global_load_ubyte v1, v[2:3], off
	s_movk_i32 s14, 0x7f
	s_mov_b64 s[16:17], 0
	s_waitcnt vmcnt(0)
	v_cmp_lt_i16_e32 vcc, s14, v1
	s_and_saveexec_b64 s[14:15], vcc
	s_xor_b64 s[14:15], exec, s[14:15]
	s_cbranch_execz .LBB134_1062
; %bb.1047:
	s_movk_i32 s16, 0x80
	v_cmp_ne_u16_e32 vcc, s16, v1
	s_and_b64 s[16:17], vcc, exec
	s_andn2_saveexec_b64 s[14:15], s[14:15]
	s_cbranch_execnz .LBB134_1063
.LBB134_1048:
	s_or_b64 exec, exec, s[14:15]
	v_mov_b32_e32 v0, 0
	s_and_saveexec_b64 s[14:15], s[16:17]
	s_cbranch_execz .LBB134_1050
.LBB134_1049:
	v_lshlrev_b32_e32 v0, 24, v1
	v_and_b32_e32 v1, 0xffff, v1
	v_and_b32_e32 v5, 7, v1
	v_ffbh_u32_e32 v8, v5
	v_min_u32_e32 v8, 32, v8
	v_subrev_u32_e32 v9, 28, v8
	v_bfe_u32 v6, v1, 3, 4
	v_lshlrev_b32_e32 v1, v9, v1
	v_sub_u32_e32 v8, 29, v8
	v_and_b32_e32 v1, 7, v1
	v_cmp_eq_u32_e32 vcc, 0, v6
	v_cndmask_b32_e32 v6, v6, v8, vcc
	v_cndmask_b32_e32 v1, v5, v1, vcc
	v_mov_b32_e32 v5, 0x3b800000
	v_lshlrev_b32_e32 v1, 20, v1
	v_and_b32_e32 v0, 0x80000000, v0
	v_lshl_add_u32 v5, v6, 23, v5
	v_or3_b32 v0, v0, v5, v1
	v_trunc_f32_e32 v0, v0
	s_mov_b32 s16, 0x2f800000
	v_mul_f32_e64 v1, |v0|, s16
	v_floor_f32_e32 v1, v1
	s_mov_b32 s16, 0xcf800000
	v_fma_f32 v1, v1, s16, |v0|
	v_cvt_u32_f32_e32 v1, v1
	v_ashrrev_i32_e32 v0, 31, v0
	v_xor_b32_e32 v1, v1, v0
	v_sub_u32_e32 v0, v1, v0
.LBB134_1050:
	s_or_b64 exec, exec, s[14:15]
.LBB134_1051:
	s_mov_b64 s[16:17], -1
.LBB134_1052:
	s_branch .LBB134_1082
.LBB134_1053:
	s_cmp_gt_i32 s18, 22
	s_cbranch_scc0 .LBB134_1061
; %bb.1054:
	s_cmp_lt_i32 s18, 24
	s_cbranch_scc1 .LBB134_1064
; %bb.1055:
	s_cmp_gt_i32 s18, 24
	s_cbranch_scc0 .LBB134_1065
; %bb.1056:
	global_load_ubyte v1, v[2:3], off
	s_movk_i32 s12, 0x7f
	s_mov_b64 s[14:15], 0
	s_waitcnt vmcnt(0)
	v_cmp_lt_i16_e32 vcc, s12, v1
	s_and_saveexec_b64 s[12:13], vcc
	s_xor_b64 s[12:13], exec, s[12:13]
	s_cbranch_execz .LBB134_1076
; %bb.1057:
	s_movk_i32 s14, 0x80
	v_cmp_ne_u16_e32 vcc, s14, v1
	s_and_b64 s[14:15], vcc, exec
	s_andn2_saveexec_b64 s[12:13], s[12:13]
	s_cbranch_execnz .LBB134_1077
.LBB134_1058:
	s_or_b64 exec, exec, s[12:13]
	v_mov_b32_e32 v0, 0
	s_and_saveexec_b64 s[12:13], s[14:15]
	s_cbranch_execz .LBB134_1060
.LBB134_1059:
	v_lshlrev_b32_e32 v0, 24, v1
	v_and_b32_e32 v1, 0xffff, v1
	v_and_b32_e32 v5, 3, v1
	v_ffbh_u32_e32 v8, v5
	v_min_u32_e32 v8, 32, v8
	v_subrev_u32_e32 v9, 29, v8
	v_bfe_u32 v6, v1, 2, 5
	v_lshlrev_b32_e32 v1, v9, v1
	v_sub_u32_e32 v8, 30, v8
	v_and_b32_e32 v1, 3, v1
	v_cmp_eq_u32_e32 vcc, 0, v6
	v_cndmask_b32_e32 v6, v6, v8, vcc
	v_cndmask_b32_e32 v1, v5, v1, vcc
	v_mov_b32_e32 v5, 0x37800000
	v_lshlrev_b32_e32 v1, 21, v1
	v_and_b32_e32 v0, 0x80000000, v0
	v_lshl_add_u32 v5, v6, 23, v5
	v_or3_b32 v0, v0, v5, v1
	v_trunc_f32_e32 v0, v0
	s_mov_b32 s14, 0x2f800000
	v_mul_f32_e64 v1, |v0|, s14
	v_floor_f32_e32 v1, v1
	s_mov_b32 s14, 0xcf800000
	v_fma_f32 v1, v1, s14, |v0|
	v_cvt_u32_f32_e32 v1, v1
	v_ashrrev_i32_e32 v0, 31, v0
	v_xor_b32_e32 v1, v1, v0
	v_sub_u32_e32 v0, v1, v0
.LBB134_1060:
	s_or_b64 exec, exec, s[12:13]
	s_mov_b64 s[12:13], 0
	s_branch .LBB134_1066
.LBB134_1061:
                                        ; implicit-def: $vgpr0
	s_mov_b64 s[12:13], 0
	s_branch .LBB134_1072
.LBB134_1062:
	s_andn2_saveexec_b64 s[14:15], s[14:15]
	s_cbranch_execz .LBB134_1048
.LBB134_1063:
	v_cmp_ne_u16_e32 vcc, 0, v1
	s_andn2_b64 s[16:17], s[16:17], exec
	s_and_b64 s[22:23], vcc, exec
	s_or_b64 s[16:17], s[16:17], s[22:23]
	s_or_b64 exec, exec, s[14:15]
	v_mov_b32_e32 v0, 0
	s_and_saveexec_b64 s[14:15], s[16:17]
	s_cbranch_execnz .LBB134_1049
	s_branch .LBB134_1050
.LBB134_1064:
	s_mov_b64 s[12:13], -1
                                        ; implicit-def: $vgpr0
	s_branch .LBB134_1069
.LBB134_1065:
	s_mov_b64 s[12:13], -1
                                        ; implicit-def: $vgpr0
.LBB134_1066:
	s_and_b64 vcc, exec, s[12:13]
	s_cbranch_vccz .LBB134_1068
; %bb.1067:
	global_load_ubyte v0, v[2:3], off
	s_mov_b32 s12, 0x7f800000
	s_brev_b32 s13, 1
	s_mov_b32 s14, 0x2f800000
	s_waitcnt vmcnt(0)
	v_lshlrev_b32_e32 v0, 24, v0
	v_and_b32_e32 v1, 0x7f000000, v0
	v_ffbh_u32_e32 v5, v1
	v_min_u32_e32 v5, 32, v5
	v_sub_u32_e64 v5, v5, 4 clamp
	v_lshlrev_b32_e32 v8, v5, v1
	v_lshlrev_b32_e32 v5, 23, v5
	v_lshrrev_b32_e32 v8, 4, v8
	v_add_u32_e32 v6, 0x1000000, v1
	v_sub_u32_e32 v5, v8, v5
	v_ashrrev_i32_e32 v6, 8, v6
	v_add_u32_e32 v5, 0x3c000000, v5
	v_and_or_b32 v5, v6, s12, v5
	v_cmp_ne_u32_e32 vcc, 0, v1
	v_cndmask_b32_e32 v1, 0, v5, vcc
	v_and_or_b32 v0, v0, s13, v1
	v_trunc_f32_e32 v0, v0
	v_mul_f32_e64 v1, |v0|, s14
	v_floor_f32_e32 v1, v1
	s_mov_b32 s12, 0xcf800000
	v_fma_f32 v1, v1, s12, |v0|
	v_cvt_u32_f32_e32 v1, v1
	v_ashrrev_i32_e32 v0, 31, v0
	v_xor_b32_e32 v1, v1, v0
	v_sub_u32_e32 v0, v1, v0
.LBB134_1068:
	s_mov_b64 s[12:13], 0
.LBB134_1069:
	s_andn2_b64 vcc, exec, s[12:13]
	s_cbranch_vccnz .LBB134_1071
; %bb.1070:
	global_load_ubyte v0, v[2:3], off
	s_movk_i32 s12, 0x7f00
	s_brev_b32 s13, 16
	s_brev_b32 s14, 1
	s_mov_b32 s15, 0x2f800000
	s_waitcnt vmcnt(0)
	v_lshlrev_b16_e32 v1, 8, v0
	v_lshlrev_b32_e32 v0, 25, v0
	v_lshrrev_b32_e32 v5, 4, v0
	v_and_or_b32 v6, v1, s12, 0.5
	v_or_b32_e32 v5, 0x70000000, v5
	v_add_f32_e32 v6, -0.5, v6
	v_mul_f32_e32 v5, 0x7800000, v5
	v_cmp_gt_u32_e32 vcc, s13, v0
	v_bfe_i32 v1, v1, 0, 16
	v_cndmask_b32_e32 v0, v5, v6, vcc
	v_and_or_b32 v0, v1, s14, v0
	v_trunc_f32_e32 v0, v0
	v_mul_f32_e64 v1, |v0|, s15
	v_floor_f32_e32 v1, v1
	s_mov_b32 s12, 0xcf800000
	v_fma_f32 v1, v1, s12, |v0|
	v_cvt_u32_f32_e32 v1, v1
	v_ashrrev_i32_e32 v0, 31, v0
	v_xor_b32_e32 v1, v1, v0
	v_sub_u32_e32 v0, v1, v0
.LBB134_1071:
	s_mov_b64 s[16:17], -1
	s_mov_b64 s[12:13], 0
	s_cbranch_execnz .LBB134_1082
.LBB134_1072:
	s_cmp_gt_i32 s18, 14
	s_cbranch_scc0 .LBB134_1075
; %bb.1073:
	s_cmp_eq_u32 s18, 15
	s_cbranch_scc0 .LBB134_1078
; %bb.1074:
	global_load_ushort v0, v[2:3], off
	s_mov_b32 s0, 0x2f800000
	s_mov_b32 s1, 0xcf800000
	s_mov_b64 s[16:17], -1
	s_waitcnt vmcnt(0)
	v_lshlrev_b32_e32 v0, 16, v0
	v_trunc_f32_e32 v0, v0
	v_mul_f32_e64 v1, |v0|, s0
	v_floor_f32_e32 v1, v1
	v_fma_f32 v1, v1, s1, |v0|
	v_cvt_u32_f32_e32 v1, v1
	v_ashrrev_i32_e32 v0, 31, v0
	s_mov_b64 s[0:1], 0
	v_xor_b32_e32 v1, v1, v0
	v_sub_u32_e32 v0, v1, v0
	s_branch .LBB134_1079
.LBB134_1075:
	s_mov_b64 s[14:15], -1
                                        ; implicit-def: $vgpr0
	s_branch .LBB134_1080
.LBB134_1076:
	s_andn2_saveexec_b64 s[12:13], s[12:13]
	s_cbranch_execz .LBB134_1058
.LBB134_1077:
	v_cmp_ne_u16_e32 vcc, 0, v1
	s_andn2_b64 s[14:15], s[14:15], exec
	s_and_b64 s[16:17], vcc, exec
	s_or_b64 s[14:15], s[14:15], s[16:17]
	s_or_b64 exec, exec, s[12:13]
	v_mov_b32_e32 v0, 0
	s_and_saveexec_b64 s[12:13], s[14:15]
	s_cbranch_execnz .LBB134_1059
	s_branch .LBB134_1060
.LBB134_1078:
	s_mov_b64 s[0:1], -1
                                        ; implicit-def: $vgpr0
.LBB134_1079:
	s_mov_b64 s[14:15], 0
.LBB134_1080:
	s_and_b64 vcc, exec, s[14:15]
	s_cbranch_vccz .LBB134_1082
; %bb.1081:
	s_cmp_lg_u32 s18, 11
	s_mov_b64 s[12:13], -1
	s_cselect_b64 s[0:1], -1, 0
.LBB134_1082:
	s_and_b64 vcc, exec, s[0:1]
	s_mov_b64 s[14:15], s[6:7]
	s_cbranch_vccnz .LBB134_1143
; %bb.1083:
	s_andn2_b64 vcc, exec, s[12:13]
	s_cbranch_vccnz .LBB134_1085
.LBB134_1084:
	global_load_ubyte v0, v[2:3], off
	s_mov_b64 s[16:17], -1
	s_waitcnt vmcnt(0)
	v_cmp_ne_u16_e32 vcc, 0, v0
	v_cndmask_b32_e64 v0, 0, 1, vcc
.LBB134_1085:
	s_branch .LBB134_1020
.LBB134_1086:
	s_and_b32 s12, 0xffff, s20
	s_cmp_lt_i32 s12, 5
	s_cbranch_scc1 .LBB134_1091
; %bb.1087:
	s_cmp_lt_i32 s12, 8
	s_cbranch_scc1 .LBB134_1092
; %bb.1088:
	;; [unrolled: 3-line block ×3, first 2 shown]
	s_cmp_gt_i32 s12, 9
	s_cbranch_scc0 .LBB134_1094
; %bb.1090:
	global_load_dwordx2 v[0:1], v[2:3], off
	s_movk_i32 s0, 0xffe0
	s_waitcnt vmcnt(0)
	v_trunc_f64_e32 v[0:1], v[0:1]
	v_ldexp_f64 v[5:6], v[0:1], s0
	s_mov_b32 s0, 0
	s_mov_b32 s1, 0xc1f00000
	v_floor_f64_e32 v[5:6], v[5:6]
	v_fma_f64 v[0:1], v[5:6], s[0:1], v[0:1]
	s_mov_b64 s[0:1], 0
	v_cvt_u32_f64_e32 v0, v[0:1]
	s_branch .LBB134_1095
.LBB134_1091:
                                        ; implicit-def: $vgpr0
	s_branch .LBB134_1112
.LBB134_1092:
                                        ; implicit-def: $vgpr0
	s_branch .LBB134_1101
.LBB134_1093:
	s_mov_b64 s[0:1], -1
                                        ; implicit-def: $vgpr0
	s_branch .LBB134_1098
.LBB134_1094:
	s_mov_b64 s[0:1], -1
                                        ; implicit-def: $vgpr0
.LBB134_1095:
	s_andn2_b64 vcc, exec, s[0:1]
	s_cbranch_vccnz .LBB134_1097
; %bb.1096:
	global_load_dword v0, v[2:3], off
	s_mov_b32 s0, 0x2f800000
	s_waitcnt vmcnt(0)
	v_trunc_f32_e32 v0, v0
	v_mul_f32_e64 v1, |v0|, s0
	v_floor_f32_e32 v1, v1
	s_mov_b32 s0, 0xcf800000
	v_fma_f32 v1, v1, s0, |v0|
	v_cvt_u32_f32_e32 v1, v1
	v_ashrrev_i32_e32 v0, 31, v0
	v_xor_b32_e32 v1, v1, v0
	v_sub_u32_e32 v0, v1, v0
.LBB134_1097:
	s_mov_b64 s[0:1], 0
.LBB134_1098:
	s_andn2_b64 vcc, exec, s[0:1]
	s_cbranch_vccnz .LBB134_1100
; %bb.1099:
	global_load_dword v0, v[2:3], off
	s_waitcnt vmcnt(0)
	v_cvt_f32_f16_e32 v0, v0
	v_cvt_i32_f32_e32 v0, v0
.LBB134_1100:
	s_cbranch_execnz .LBB134_1111
.LBB134_1101:
	s_cmp_lt_i32 s12, 6
	s_cbranch_scc1 .LBB134_1104
; %bb.1102:
	s_cmp_gt_i32 s12, 6
	s_cbranch_scc0 .LBB134_1105
; %bb.1103:
	global_load_dwordx2 v[0:1], v[2:3], off
	s_movk_i32 s0, 0xffe0
	s_waitcnt vmcnt(0)
	v_trunc_f64_e32 v[0:1], v[0:1]
	v_ldexp_f64 v[5:6], v[0:1], s0
	s_mov_b32 s0, 0
	s_mov_b32 s1, 0xc1f00000
	v_floor_f64_e32 v[5:6], v[5:6]
	v_fma_f64 v[0:1], v[5:6], s[0:1], v[0:1]
	s_mov_b64 s[0:1], 0
	v_cvt_u32_f64_e32 v0, v[0:1]
	s_branch .LBB134_1106
.LBB134_1104:
	s_mov_b64 s[0:1], -1
                                        ; implicit-def: $vgpr0
	s_branch .LBB134_1109
.LBB134_1105:
	s_mov_b64 s[0:1], -1
                                        ; implicit-def: $vgpr0
.LBB134_1106:
	s_andn2_b64 vcc, exec, s[0:1]
	s_cbranch_vccnz .LBB134_1108
; %bb.1107:
	global_load_dword v0, v[2:3], off
	s_mov_b32 s0, 0x2f800000
	s_waitcnt vmcnt(0)
	v_trunc_f32_e32 v0, v0
	v_mul_f32_e64 v1, |v0|, s0
	v_floor_f32_e32 v1, v1
	s_mov_b32 s0, 0xcf800000
	v_fma_f32 v1, v1, s0, |v0|
	v_cvt_u32_f32_e32 v1, v1
	v_ashrrev_i32_e32 v0, 31, v0
	v_xor_b32_e32 v1, v1, v0
	v_sub_u32_e32 v0, v1, v0
.LBB134_1108:
	s_mov_b64 s[0:1], 0
.LBB134_1109:
	s_andn2_b64 vcc, exec, s[0:1]
	s_cbranch_vccnz .LBB134_1111
; %bb.1110:
	global_load_ushort v0, v[2:3], off
	s_waitcnt vmcnt(0)
	v_cvt_f32_f16_e32 v0, v0
	v_cvt_i32_f32_e32 v0, v0
.LBB134_1111:
	s_cbranch_execnz .LBB134_1130
.LBB134_1112:
	s_cmp_lt_i32 s12, 2
	s_cbranch_scc1 .LBB134_1116
; %bb.1113:
	s_cmp_lt_i32 s12, 3
	s_cbranch_scc1 .LBB134_1117
; %bb.1114:
	s_cmp_gt_i32 s12, 3
	s_cbranch_scc0 .LBB134_1118
; %bb.1115:
	global_load_dwordx2 v[0:1], v[2:3], off
	s_mov_b64 s[0:1], 0
	s_branch .LBB134_1119
.LBB134_1116:
                                        ; implicit-def: $vgpr0
	s_branch .LBB134_1125
.LBB134_1117:
	s_mov_b64 s[0:1], -1
                                        ; implicit-def: $vgpr0
	s_branch .LBB134_1122
.LBB134_1118:
	s_mov_b64 s[0:1], -1
                                        ; implicit-def: $vgpr0
.LBB134_1119:
	s_andn2_b64 vcc, exec, s[0:1]
	s_cbranch_vccnz .LBB134_1121
; %bb.1120:
	global_load_dword v0, v[2:3], off
.LBB134_1121:
	s_mov_b64 s[0:1], 0
.LBB134_1122:
	s_andn2_b64 vcc, exec, s[0:1]
	s_cbranch_vccnz .LBB134_1124
; %bb.1123:
	global_load_ushort v0, v[2:3], off
.LBB134_1124:
	s_cbranch_execnz .LBB134_1130
.LBB134_1125:
	s_cmp_gt_i32 s12, 0
	s_cbranch_scc0 .LBB134_1127
; %bb.1126:
	global_load_ubyte v0, v[2:3], off
	s_mov_b64 s[0:1], 0
	s_branch .LBB134_1128
.LBB134_1127:
	s_mov_b64 s[0:1], -1
                                        ; implicit-def: $vgpr0
.LBB134_1128:
	s_andn2_b64 vcc, exec, s[0:1]
	s_cbranch_vccnz .LBB134_1130
; %bb.1129:
	global_load_ubyte v0, v[2:3], off
.LBB134_1130:
.LBB134_1131:
	s_lshl_b32 s3, s3, 7
	v_add_u32_e32 v5, s3, v4
	s_waitcnt vmcnt(0)
	v_ashrrev_i32_e32 v1, 31, v5
	v_mov_b32_e32 v2, s11
	v_add_co_u32_e32 v3, vcc, s10, v5
	s_cmp_lt_i32 s20, 11
	v_addc_co_u32_e32 v4, vcc, v2, v1, vcc
	s_cbranch_scc1 .LBB134_1138
; %bb.1132:
	s_and_b32 s21, 0xffff, s20
	s_cmp_gt_i32 s21, 25
	s_mov_b64 s[12:13], 0
	s_cbranch_scc0 .LBB134_1140
; %bb.1133:
	s_cmp_gt_i32 s21, 28
	s_cbranch_scc0 .LBB134_1141
; %bb.1134:
	s_cmp_gt_i32 s21, 43
	;; [unrolled: 3-line block ×3, first 2 shown]
	s_cbranch_scc0 .LBB134_1144
; %bb.1136:
	s_cmp_eq_u32 s21, 46
	s_mov_b64 s[18:19], 0
	s_cbranch_scc0 .LBB134_1147
; %bb.1137:
	global_load_dword v1, v[3:4], off
	s_mov_b32 s0, 0x2f800000
	s_mov_b32 s1, 0xcf800000
	s_mov_b64 s[16:17], -1
	s_waitcnt vmcnt(0)
	v_lshlrev_b32_e32 v1, 16, v1
	v_trunc_f32_e32 v1, v1
	v_mul_f32_e64 v2, |v1|, s0
	v_floor_f32_e32 v2, v2
	v_fma_f32 v2, v2, s1, |v1|
	v_cvt_u32_f32_e32 v2, v2
	v_ashrrev_i32_e32 v1, 31, v1
	s_mov_b64 s[0:1], 0
	v_xor_b32_e32 v2, v2, v1
	v_sub_u32_e32 v1, v2, v1
	s_branch .LBB134_1148
.LBB134_1138:
	s_mov_b64 s[16:17], 0
                                        ; implicit-def: $vgpr1
	s_cbranch_execnz .LBB134_1209
.LBB134_1139:
	s_andn2_b64 vcc, exec, s[16:17]
	s_cbranch_vccnz .LBB134_1940
	s_branch .LBB134_1256
.LBB134_1140:
	s_mov_b64 s[16:17], 0
	s_mov_b64 s[0:1], 0
                                        ; implicit-def: $vgpr1
	s_cbranch_execnz .LBB134_1175
	s_branch .LBB134_1205
.LBB134_1141:
	s_mov_b64 s[18:19], -1
	s_mov_b64 s[16:17], 0
	s_mov_b64 s[0:1], 0
                                        ; implicit-def: $vgpr1
	s_branch .LBB134_1158
.LBB134_1142:
	s_mov_b64 s[18:19], -1
	s_mov_b64 s[16:17], 0
	s_mov_b64 s[0:1], 0
                                        ; implicit-def: $vgpr1
	s_branch .LBB134_1153
.LBB134_1143:
	s_or_b64 s[14:15], s[6:7], exec
	s_trap 2
	s_cbranch_execz .LBB134_1084
	s_branch .LBB134_1085
.LBB134_1144:
	s_mov_b64 s[18:19], -1
	s_mov_b64 s[16:17], 0
	s_mov_b64 s[0:1], 0
                                        ; implicit-def: $vgpr1
	s_branch .LBB134_1148
.LBB134_1145:
	s_andn2_saveexec_b64 s[24:25], s[24:25]
	s_cbranch_execz .LBB134_932
.LBB134_1146:
	v_add_f32_e32 v2, 0x42800000, v4
	v_and_b32_e32 v2, 0xff, v2
	v_cmp_ne_u32_e32 vcc, 0, v2
	s_andn2_b64 s[22:23], s[22:23], exec
	s_and_b64 s[28:29], vcc, exec
	s_or_b64 s[22:23], s[22:23], s[28:29]
	s_or_b64 exec, exec, s[24:25]
	v_mov_b32_e32 v5, 0
	s_and_saveexec_b64 s[24:25], s[22:23]
	s_cbranch_execnz .LBB134_933
	s_branch .LBB134_934
.LBB134_1147:
	s_mov_b64 s[0:1], -1
                                        ; implicit-def: $vgpr1
	s_mov_b64 s[16:17], 0
.LBB134_1148:
	s_and_b64 vcc, exec, s[18:19]
	s_cbranch_vccz .LBB134_1152
; %bb.1149:
	s_cmp_eq_u32 s21, 44
	s_cbranch_scc0 .LBB134_1151
; %bb.1150:
	global_load_ubyte v1, v[3:4], off
	s_mov_b32 s0, 0x2f800000
	s_mov_b32 s1, 0xcf800000
	s_mov_b64 s[16:17], -1
	s_waitcnt vmcnt(0)
	v_lshlrev_b32_e32 v2, 23, v1
	v_trunc_f32_e32 v2, v2
	v_mul_f32_e64 v6, |v2|, s0
	v_floor_f32_e32 v6, v6
	v_fma_f32 v6, v6, s1, |v2|
	v_cvt_u32_f32_e32 v6, v6
	v_ashrrev_i32_e32 v2, 31, v2
	v_cmp_ne_u32_e32 vcc, 0, v1
	s_mov_b64 s[0:1], 0
	v_xor_b32_e32 v6, v6, v2
	v_sub_u32_e32 v2, v6, v2
	v_cndmask_b32_e32 v1, 0, v2, vcc
	s_branch .LBB134_1152
.LBB134_1151:
	s_mov_b64 s[0:1], -1
                                        ; implicit-def: $vgpr1
.LBB134_1152:
	s_mov_b64 s[18:19], 0
.LBB134_1153:
	s_and_b64 vcc, exec, s[18:19]
	s_cbranch_vccz .LBB134_1157
; %bb.1154:
	s_cmp_eq_u32 s21, 29
	s_cbranch_scc0 .LBB134_1156
; %bb.1155:
	global_load_dwordx2 v[1:2], v[3:4], off
	s_mov_b64 s[0:1], 0
	s_mov_b64 s[16:17], -1
	s_branch .LBB134_1157
.LBB134_1156:
	s_mov_b64 s[0:1], -1
                                        ; implicit-def: $vgpr1
.LBB134_1157:
	s_mov_b64 s[18:19], 0
.LBB134_1158:
	s_and_b64 vcc, exec, s[18:19]
	s_cbranch_vccz .LBB134_1174
; %bb.1159:
	s_cmp_lt_i32 s21, 27
	s_cbranch_scc1 .LBB134_1162
; %bb.1160:
	s_cmp_gt_i32 s21, 27
	s_cbranch_scc0 .LBB134_1163
; %bb.1161:
	global_load_dword v1, v[3:4], off
	s_mov_b64 s[16:17], 0
	s_branch .LBB134_1164
.LBB134_1162:
	s_mov_b64 s[16:17], -1
                                        ; implicit-def: $vgpr1
	s_branch .LBB134_1167
.LBB134_1163:
	s_mov_b64 s[16:17], -1
                                        ; implicit-def: $vgpr1
.LBB134_1164:
	s_andn2_b64 vcc, exec, s[16:17]
	s_cbranch_vccnz .LBB134_1166
; %bb.1165:
	global_load_ushort v1, v[3:4], off
.LBB134_1166:
	s_mov_b64 s[16:17], 0
.LBB134_1167:
	s_andn2_b64 vcc, exec, s[16:17]
	s_cbranch_vccnz .LBB134_1173
; %bb.1168:
	global_load_ubyte v2, v[3:4], off
	s_movk_i32 s16, 0x7f
	s_mov_b64 s[18:19], 0
	s_waitcnt vmcnt(0)
	v_cmp_lt_i16_e32 vcc, s16, v2
	s_and_saveexec_b64 s[16:17], vcc
	s_xor_b64 s[16:17], exec, s[16:17]
	s_cbranch_execz .LBB134_1184
; %bb.1169:
	s_movk_i32 s18, 0x80
	v_cmp_ne_u16_e32 vcc, s18, v2
	s_and_b64 s[18:19], vcc, exec
	s_andn2_saveexec_b64 s[16:17], s[16:17]
	s_cbranch_execnz .LBB134_1185
.LBB134_1170:
	s_or_b64 exec, exec, s[16:17]
	v_mov_b32_e32 v1, 0
	s_and_saveexec_b64 s[16:17], s[18:19]
	s_cbranch_execz .LBB134_1172
.LBB134_1171:
	v_lshlrev_b32_e32 v1, 24, v2
	v_and_b32_e32 v2, 0xffff, v2
	v_and_b32_e32 v6, 7, v2
	v_ffbh_u32_e32 v9, v6
	v_min_u32_e32 v9, 32, v9
	v_subrev_u32_e32 v10, 28, v9
	v_bfe_u32 v8, v2, 3, 4
	v_lshlrev_b32_e32 v2, v10, v2
	v_sub_u32_e32 v9, 29, v9
	v_and_b32_e32 v2, 7, v2
	v_cmp_eq_u32_e32 vcc, 0, v8
	v_cndmask_b32_e32 v8, v8, v9, vcc
	v_cndmask_b32_e32 v2, v6, v2, vcc
	v_mov_b32_e32 v6, 0x3b800000
	v_lshlrev_b32_e32 v2, 20, v2
	v_and_b32_e32 v1, 0x80000000, v1
	v_lshl_add_u32 v6, v8, 23, v6
	v_or3_b32 v1, v1, v6, v2
	v_trunc_f32_e32 v1, v1
	s_mov_b32 s18, 0x2f800000
	v_mul_f32_e64 v2, |v1|, s18
	v_floor_f32_e32 v2, v2
	s_mov_b32 s18, 0xcf800000
	v_fma_f32 v2, v2, s18, |v1|
	v_cvt_u32_f32_e32 v2, v2
	v_ashrrev_i32_e32 v1, 31, v1
	v_xor_b32_e32 v2, v2, v1
	v_sub_u32_e32 v1, v2, v1
.LBB134_1172:
	s_or_b64 exec, exec, s[16:17]
.LBB134_1173:
	s_mov_b64 s[16:17], -1
.LBB134_1174:
	s_branch .LBB134_1205
.LBB134_1175:
	s_cmp_gt_i32 s21, 22
	s_cbranch_scc0 .LBB134_1183
; %bb.1176:
	s_cmp_lt_i32 s21, 24
	s_cbranch_scc1 .LBB134_1186
; %bb.1177:
	s_cmp_gt_i32 s21, 24
	s_cbranch_scc0 .LBB134_1187
; %bb.1178:
	global_load_ubyte v2, v[3:4], off
	s_movk_i32 s12, 0x7f
	s_mov_b64 s[16:17], 0
	s_waitcnt vmcnt(0)
	v_cmp_lt_i16_e32 vcc, s12, v2
	s_and_saveexec_b64 s[12:13], vcc
	s_xor_b64 s[12:13], exec, s[12:13]
	s_cbranch_execz .LBB134_1199
; %bb.1179:
	s_movk_i32 s16, 0x80
	v_cmp_ne_u16_e32 vcc, s16, v2
	s_and_b64 s[16:17], vcc, exec
	s_andn2_saveexec_b64 s[12:13], s[12:13]
	s_cbranch_execnz .LBB134_1200
.LBB134_1180:
	s_or_b64 exec, exec, s[12:13]
	v_mov_b32_e32 v1, 0
	s_and_saveexec_b64 s[12:13], s[16:17]
	s_cbranch_execz .LBB134_1182
.LBB134_1181:
	v_lshlrev_b32_e32 v1, 24, v2
	v_and_b32_e32 v2, 0xffff, v2
	v_and_b32_e32 v6, 3, v2
	v_ffbh_u32_e32 v9, v6
	v_min_u32_e32 v9, 32, v9
	v_subrev_u32_e32 v10, 29, v9
	v_bfe_u32 v8, v2, 2, 5
	v_lshlrev_b32_e32 v2, v10, v2
	v_sub_u32_e32 v9, 30, v9
	v_and_b32_e32 v2, 3, v2
	v_cmp_eq_u32_e32 vcc, 0, v8
	v_cndmask_b32_e32 v8, v8, v9, vcc
	v_cndmask_b32_e32 v2, v6, v2, vcc
	v_mov_b32_e32 v6, 0x37800000
	v_lshlrev_b32_e32 v2, 21, v2
	v_and_b32_e32 v1, 0x80000000, v1
	v_lshl_add_u32 v6, v8, 23, v6
	v_or3_b32 v1, v1, v6, v2
	v_trunc_f32_e32 v1, v1
	s_mov_b32 s16, 0x2f800000
	v_mul_f32_e64 v2, |v1|, s16
	v_floor_f32_e32 v2, v2
	s_mov_b32 s16, 0xcf800000
	v_fma_f32 v2, v2, s16, |v1|
	v_cvt_u32_f32_e32 v2, v2
	v_ashrrev_i32_e32 v1, 31, v1
	v_xor_b32_e32 v2, v2, v1
	v_sub_u32_e32 v1, v2, v1
.LBB134_1182:
	s_or_b64 exec, exec, s[12:13]
	s_mov_b64 s[12:13], 0
	s_branch .LBB134_1188
.LBB134_1183:
	s_mov_b64 s[12:13], -1
                                        ; implicit-def: $vgpr1
	s_branch .LBB134_1194
.LBB134_1184:
	s_andn2_saveexec_b64 s[16:17], s[16:17]
	s_cbranch_execz .LBB134_1170
.LBB134_1185:
	v_cmp_ne_u16_e32 vcc, 0, v2
	s_andn2_b64 s[18:19], s[18:19], exec
	s_and_b64 s[22:23], vcc, exec
	s_or_b64 s[18:19], s[18:19], s[22:23]
	s_or_b64 exec, exec, s[16:17]
	v_mov_b32_e32 v1, 0
	s_and_saveexec_b64 s[16:17], s[18:19]
	s_cbranch_execnz .LBB134_1171
	s_branch .LBB134_1172
.LBB134_1186:
	s_mov_b64 s[12:13], -1
                                        ; implicit-def: $vgpr1
	s_branch .LBB134_1191
.LBB134_1187:
	s_mov_b64 s[12:13], -1
                                        ; implicit-def: $vgpr1
.LBB134_1188:
	s_and_b64 vcc, exec, s[12:13]
	s_cbranch_vccz .LBB134_1190
; %bb.1189:
	global_load_ubyte v1, v[3:4], off
	s_mov_b32 s12, 0x7f800000
	s_brev_b32 s13, 1
	s_mov_b32 s16, 0x2f800000
	s_waitcnt vmcnt(0)
	v_lshlrev_b32_e32 v1, 24, v1
	v_and_b32_e32 v2, 0x7f000000, v1
	v_ffbh_u32_e32 v6, v2
	v_min_u32_e32 v6, 32, v6
	v_sub_u32_e64 v6, v6, 4 clamp
	v_lshlrev_b32_e32 v9, v6, v2
	v_lshlrev_b32_e32 v6, 23, v6
	v_lshrrev_b32_e32 v9, 4, v9
	v_add_u32_e32 v8, 0x1000000, v2
	v_sub_u32_e32 v6, v9, v6
	v_ashrrev_i32_e32 v8, 8, v8
	v_add_u32_e32 v6, 0x3c000000, v6
	v_and_or_b32 v6, v8, s12, v6
	v_cmp_ne_u32_e32 vcc, 0, v2
	v_cndmask_b32_e32 v2, 0, v6, vcc
	v_and_or_b32 v1, v1, s13, v2
	v_trunc_f32_e32 v1, v1
	v_mul_f32_e64 v2, |v1|, s16
	v_floor_f32_e32 v2, v2
	s_mov_b32 s12, 0xcf800000
	v_fma_f32 v2, v2, s12, |v1|
	v_cvt_u32_f32_e32 v2, v2
	v_ashrrev_i32_e32 v1, 31, v1
	v_xor_b32_e32 v2, v2, v1
	v_sub_u32_e32 v1, v2, v1
.LBB134_1190:
	s_mov_b64 s[12:13], 0
.LBB134_1191:
	s_andn2_b64 vcc, exec, s[12:13]
	s_cbranch_vccnz .LBB134_1193
; %bb.1192:
	global_load_ubyte v1, v[3:4], off
	s_movk_i32 s12, 0x7f00
	s_brev_b32 s13, 16
	s_brev_b32 s16, 1
	s_mov_b32 s17, 0x2f800000
	s_waitcnt vmcnt(0)
	v_lshlrev_b16_e32 v2, 8, v1
	v_lshlrev_b32_e32 v1, 25, v1
	v_lshrrev_b32_e32 v6, 4, v1
	v_and_or_b32 v8, v2, s12, 0.5
	v_or_b32_e32 v6, 0x70000000, v6
	v_add_f32_e32 v8, -0.5, v8
	v_mul_f32_e32 v6, 0x7800000, v6
	v_cmp_gt_u32_e32 vcc, s13, v1
	v_bfe_i32 v2, v2, 0, 16
	v_cndmask_b32_e32 v1, v6, v8, vcc
	v_and_or_b32 v1, v2, s16, v1
	v_trunc_f32_e32 v1, v1
	v_mul_f32_e64 v2, |v1|, s17
	v_floor_f32_e32 v2, v2
	s_mov_b32 s12, 0xcf800000
	v_fma_f32 v2, v2, s12, |v1|
	v_cvt_u32_f32_e32 v2, v2
	v_ashrrev_i32_e32 v1, 31, v1
	v_xor_b32_e32 v2, v2, v1
	v_sub_u32_e32 v1, v2, v1
.LBB134_1193:
	s_mov_b64 s[12:13], 0
	s_mov_b64 s[16:17], -1
.LBB134_1194:
	s_andn2_b64 vcc, exec, s[12:13]
	s_mov_b64 s[12:13], 0
	s_cbranch_vccnz .LBB134_1205
; %bb.1195:
	s_cmp_gt_i32 s21, 14
	s_cbranch_scc0 .LBB134_1198
; %bb.1196:
	s_cmp_eq_u32 s21, 15
	s_cbranch_scc0 .LBB134_1201
; %bb.1197:
	global_load_ushort v1, v[3:4], off
	s_mov_b32 s0, 0x2f800000
	s_mov_b32 s1, 0xcf800000
	s_mov_b64 s[16:17], -1
	s_waitcnt vmcnt(0)
	v_lshlrev_b32_e32 v1, 16, v1
	v_trunc_f32_e32 v1, v1
	v_mul_f32_e64 v2, |v1|, s0
	v_floor_f32_e32 v2, v2
	v_fma_f32 v2, v2, s1, |v1|
	v_cvt_u32_f32_e32 v2, v2
	v_ashrrev_i32_e32 v1, 31, v1
	s_mov_b64 s[0:1], 0
	v_xor_b32_e32 v2, v2, v1
	v_sub_u32_e32 v1, v2, v1
	s_branch .LBB134_1202
.LBB134_1198:
	s_mov_b64 s[18:19], -1
                                        ; implicit-def: $vgpr1
	s_branch .LBB134_1203
.LBB134_1199:
	s_andn2_saveexec_b64 s[12:13], s[12:13]
	s_cbranch_execz .LBB134_1180
.LBB134_1200:
	v_cmp_ne_u16_e32 vcc, 0, v2
	s_andn2_b64 s[16:17], s[16:17], exec
	s_and_b64 s[18:19], vcc, exec
	s_or_b64 s[16:17], s[16:17], s[18:19]
	s_or_b64 exec, exec, s[12:13]
	v_mov_b32_e32 v1, 0
	s_and_saveexec_b64 s[12:13], s[16:17]
	s_cbranch_execnz .LBB134_1181
	s_branch .LBB134_1182
.LBB134_1201:
	s_mov_b64 s[0:1], -1
                                        ; implicit-def: $vgpr1
.LBB134_1202:
	s_mov_b64 s[18:19], 0
.LBB134_1203:
	s_and_b64 vcc, exec, s[18:19]
	s_cbranch_vccz .LBB134_1205
; %bb.1204:
	s_cmp_lg_u32 s21, 11
	s_mov_b64 s[12:13], -1
	s_cselect_b64 s[0:1], -1, 0
.LBB134_1205:
	s_and_b64 vcc, exec, s[0:1]
	s_cbranch_vccnz .LBB134_1268
; %bb.1206:
	s_andn2_b64 vcc, exec, s[12:13]
	s_cbranch_vccnz .LBB134_1208
.LBB134_1207:
	global_load_ubyte v1, v[3:4], off
	s_mov_b64 s[16:17], -1
	s_waitcnt vmcnt(0)
	v_cmp_ne_u16_e32 vcc, 0, v1
	v_cndmask_b32_e64 v1, 0, 1, vcc
.LBB134_1208:
	s_branch .LBB134_1139
.LBB134_1209:
	s_and_b32 s12, 0xffff, s20
	s_cmp_lt_i32 s12, 5
	s_cbranch_scc1 .LBB134_1214
; %bb.1210:
	s_cmp_lt_i32 s12, 8
	s_cbranch_scc1 .LBB134_1215
; %bb.1211:
	;; [unrolled: 3-line block ×3, first 2 shown]
	s_cmp_gt_i32 s12, 9
	s_cbranch_scc0 .LBB134_1217
; %bb.1213:
	global_load_dwordx2 v[1:2], v[3:4], off
	s_movk_i32 s0, 0xffe0
	s_waitcnt vmcnt(0)
	v_trunc_f64_e32 v[1:2], v[1:2]
	v_ldexp_f64 v[8:9], v[1:2], s0
	s_mov_b32 s0, 0
	s_mov_b32 s1, 0xc1f00000
	v_floor_f64_e32 v[8:9], v[8:9]
	v_fma_f64 v[1:2], v[8:9], s[0:1], v[1:2]
	s_mov_b64 s[0:1], 0
	v_cvt_u32_f64_e32 v1, v[1:2]
	s_branch .LBB134_1218
.LBB134_1214:
                                        ; implicit-def: $vgpr1
	s_branch .LBB134_1236
.LBB134_1215:
	s_mov_b64 s[0:1], -1
                                        ; implicit-def: $vgpr1
	s_branch .LBB134_1224
.LBB134_1216:
	s_mov_b64 s[0:1], -1
                                        ; implicit-def: $vgpr1
	s_branch .LBB134_1221
.LBB134_1217:
	s_mov_b64 s[0:1], -1
                                        ; implicit-def: $vgpr1
.LBB134_1218:
	s_andn2_b64 vcc, exec, s[0:1]
	s_cbranch_vccnz .LBB134_1220
; %bb.1219:
	global_load_dword v1, v[3:4], off
	s_mov_b32 s0, 0x2f800000
	s_waitcnt vmcnt(0)
	v_trunc_f32_e32 v1, v1
	v_mul_f32_e64 v2, |v1|, s0
	v_floor_f32_e32 v2, v2
	s_mov_b32 s0, 0xcf800000
	v_fma_f32 v2, v2, s0, |v1|
	v_cvt_u32_f32_e32 v2, v2
	v_ashrrev_i32_e32 v1, 31, v1
	v_xor_b32_e32 v2, v2, v1
	v_sub_u32_e32 v1, v2, v1
.LBB134_1220:
	s_mov_b64 s[0:1], 0
.LBB134_1221:
	s_andn2_b64 vcc, exec, s[0:1]
	s_cbranch_vccnz .LBB134_1223
; %bb.1222:
	global_load_dword v1, v[3:4], off
	s_waitcnt vmcnt(0)
	v_cvt_f32_f16_e32 v1, v1
	v_cvt_i32_f32_e32 v1, v1
.LBB134_1223:
	s_mov_b64 s[0:1], 0
.LBB134_1224:
	s_andn2_b64 vcc, exec, s[0:1]
	s_cbranch_vccnz .LBB134_1235
; %bb.1225:
	s_cmp_lt_i32 s12, 6
	s_cbranch_scc1 .LBB134_1228
; %bb.1226:
	s_cmp_gt_i32 s12, 6
	s_cbranch_scc0 .LBB134_1229
; %bb.1227:
	global_load_dwordx2 v[1:2], v[3:4], off
	s_movk_i32 s0, 0xffe0
	s_waitcnt vmcnt(0)
	v_trunc_f64_e32 v[1:2], v[1:2]
	v_ldexp_f64 v[8:9], v[1:2], s0
	s_mov_b32 s0, 0
	s_mov_b32 s1, 0xc1f00000
	v_floor_f64_e32 v[8:9], v[8:9]
	v_fma_f64 v[1:2], v[8:9], s[0:1], v[1:2]
	s_mov_b64 s[0:1], 0
	v_cvt_u32_f64_e32 v1, v[1:2]
	s_branch .LBB134_1230
.LBB134_1228:
	s_mov_b64 s[0:1], -1
                                        ; implicit-def: $vgpr1
	s_branch .LBB134_1233
.LBB134_1229:
	s_mov_b64 s[0:1], -1
                                        ; implicit-def: $vgpr1
.LBB134_1230:
	s_andn2_b64 vcc, exec, s[0:1]
	s_cbranch_vccnz .LBB134_1232
; %bb.1231:
	global_load_dword v1, v[3:4], off
	s_mov_b32 s0, 0x2f800000
	s_waitcnt vmcnt(0)
	v_trunc_f32_e32 v1, v1
	v_mul_f32_e64 v2, |v1|, s0
	v_floor_f32_e32 v2, v2
	s_mov_b32 s0, 0xcf800000
	v_fma_f32 v2, v2, s0, |v1|
	v_cvt_u32_f32_e32 v2, v2
	v_ashrrev_i32_e32 v1, 31, v1
	v_xor_b32_e32 v2, v2, v1
	v_sub_u32_e32 v1, v2, v1
.LBB134_1232:
	s_mov_b64 s[0:1], 0
.LBB134_1233:
	s_andn2_b64 vcc, exec, s[0:1]
	s_cbranch_vccnz .LBB134_1235
; %bb.1234:
	global_load_ushort v1, v[3:4], off
	s_waitcnt vmcnt(0)
	v_cvt_f32_f16_e32 v1, v1
	v_cvt_i32_f32_e32 v1, v1
.LBB134_1235:
	s_cbranch_execnz .LBB134_1255
.LBB134_1236:
	s_cmp_lt_i32 s12, 2
	s_cbranch_scc1 .LBB134_1240
; %bb.1237:
	s_cmp_lt_i32 s12, 3
	s_cbranch_scc1 .LBB134_1241
; %bb.1238:
	s_cmp_gt_i32 s12, 3
	s_cbranch_scc0 .LBB134_1242
; %bb.1239:
	global_load_dwordx2 v[1:2], v[3:4], off
	s_mov_b64 s[0:1], 0
	s_branch .LBB134_1243
.LBB134_1240:
	s_mov_b64 s[0:1], -1
                                        ; implicit-def: $vgpr1
	s_branch .LBB134_1249
.LBB134_1241:
	s_mov_b64 s[0:1], -1
                                        ; implicit-def: $vgpr1
	s_branch .LBB134_1246
.LBB134_1242:
	s_mov_b64 s[0:1], -1
                                        ; implicit-def: $vgpr1
.LBB134_1243:
	s_andn2_b64 vcc, exec, s[0:1]
	s_cbranch_vccnz .LBB134_1245
; %bb.1244:
	global_load_dword v1, v[3:4], off
.LBB134_1245:
	s_mov_b64 s[0:1], 0
.LBB134_1246:
	s_andn2_b64 vcc, exec, s[0:1]
	s_cbranch_vccnz .LBB134_1248
; %bb.1247:
	global_load_ushort v1, v[3:4], off
.LBB134_1248:
	s_mov_b64 s[0:1], 0
.LBB134_1249:
	s_andn2_b64 vcc, exec, s[0:1]
	s_cbranch_vccnz .LBB134_1255
; %bb.1250:
	s_cmp_gt_i32 s12, 0
	s_cbranch_scc0 .LBB134_1252
; %bb.1251:
	global_load_ubyte v1, v[3:4], off
	s_mov_b64 s[0:1], 0
	s_branch .LBB134_1253
.LBB134_1252:
	s_mov_b64 s[0:1], -1
                                        ; implicit-def: $vgpr1
.LBB134_1253:
	s_andn2_b64 vcc, exec, s[0:1]
	s_cbranch_vccnz .LBB134_1255
; %bb.1254:
	global_load_ubyte v1, v[3:4], off
.LBB134_1255:
.LBB134_1256:
	v_add_u32_e32 v6, s3, v5
	s_waitcnt vmcnt(0)
	v_ashrrev_i32_e32 v2, 31, v6
	v_mov_b32_e32 v3, s11
	v_add_co_u32_e32 v4, vcc, s10, v6
	s_cmp_lt_i32 s20, 11
	v_addc_co_u32_e32 v5, vcc, v3, v2, vcc
	s_cbranch_scc1 .LBB134_1263
; %bb.1257:
	s_and_b32 s21, 0xffff, s20
	s_cmp_gt_i32 s21, 25
	s_mov_b64 s[12:13], 0
	s_cbranch_scc0 .LBB134_1265
; %bb.1258:
	s_cmp_gt_i32 s21, 28
	s_cbranch_scc0 .LBB134_1266
; %bb.1259:
	s_cmp_gt_i32 s21, 43
	s_cbranch_scc0 .LBB134_1267
; %bb.1260:
	s_cmp_gt_i32 s21, 45
	s_cbranch_scc0 .LBB134_1269
; %bb.1261:
	s_cmp_eq_u32 s21, 46
	s_mov_b64 s[18:19], 0
	s_cbranch_scc0 .LBB134_1270
; %bb.1262:
	global_load_dword v2, v[4:5], off
	s_mov_b32 s0, 0x2f800000
	s_mov_b32 s1, 0xcf800000
	s_mov_b64 s[16:17], -1
	s_waitcnt vmcnt(0)
	v_lshlrev_b32_e32 v2, 16, v2
	v_trunc_f32_e32 v2, v2
	v_mul_f32_e64 v3, |v2|, s0
	v_floor_f32_e32 v3, v3
	v_fma_f32 v3, v3, s1, |v2|
	v_cvt_u32_f32_e32 v3, v3
	v_ashrrev_i32_e32 v2, 31, v2
	s_mov_b64 s[0:1], 0
	v_xor_b32_e32 v3, v3, v2
	v_sub_u32_e32 v2, v3, v2
	s_branch .LBB134_1271
.LBB134_1263:
	s_mov_b64 s[16:17], 0
                                        ; implicit-def: $vgpr2
	s_cbranch_execnz .LBB134_1333
.LBB134_1264:
	s_andn2_b64 vcc, exec, s[16:17]
	s_cbranch_vccnz .LBB134_1940
	s_branch .LBB134_1381
.LBB134_1265:
	s_mov_b64 s[18:19], -1
	s_mov_b64 s[16:17], 0
	s_mov_b64 s[0:1], 0
                                        ; implicit-def: $vgpr2
	s_branch .LBB134_1298
.LBB134_1266:
	s_mov_b64 s[18:19], -1
	s_mov_b64 s[16:17], 0
	s_mov_b64 s[0:1], 0
                                        ; implicit-def: $vgpr2
	s_branch .LBB134_1281
.LBB134_1267:
	s_mov_b64 s[18:19], -1
	s_mov_b64 s[16:17], 0
	s_mov_b64 s[0:1], 0
                                        ; implicit-def: $vgpr2
	s_branch .LBB134_1276
.LBB134_1268:
	s_trap 2
	s_or_b64 s[14:15], s[14:15], exec
	s_cbranch_execz .LBB134_1207
	s_branch .LBB134_1208
.LBB134_1269:
	s_mov_b64 s[18:19], -1
	s_mov_b64 s[16:17], 0
	s_mov_b64 s[0:1], 0
                                        ; implicit-def: $vgpr2
	s_branch .LBB134_1271
.LBB134_1270:
	s_mov_b64 s[0:1], -1
                                        ; implicit-def: $vgpr2
	s_mov_b64 s[16:17], 0
.LBB134_1271:
	s_and_b64 vcc, exec, s[18:19]
	s_cbranch_vccz .LBB134_1275
; %bb.1272:
	s_cmp_eq_u32 s21, 44
	s_cbranch_scc0 .LBB134_1274
; %bb.1273:
	global_load_ubyte v2, v[4:5], off
	s_mov_b32 s0, 0x2f800000
	s_mov_b32 s1, 0xcf800000
	s_mov_b64 s[16:17], -1
	s_waitcnt vmcnt(0)
	v_lshlrev_b32_e32 v3, 23, v2
	v_trunc_f32_e32 v3, v3
	v_mul_f32_e64 v8, |v3|, s0
	v_floor_f32_e32 v8, v8
	v_fma_f32 v8, v8, s1, |v3|
	v_cvt_u32_f32_e32 v8, v8
	v_ashrrev_i32_e32 v3, 31, v3
	v_cmp_ne_u32_e32 vcc, 0, v2
	s_mov_b64 s[0:1], 0
	v_xor_b32_e32 v8, v8, v3
	v_sub_u32_e32 v3, v8, v3
	v_cndmask_b32_e32 v2, 0, v3, vcc
	s_branch .LBB134_1275
.LBB134_1274:
	s_mov_b64 s[0:1], -1
                                        ; implicit-def: $vgpr2
.LBB134_1275:
	s_mov_b64 s[18:19], 0
.LBB134_1276:
	s_and_b64 vcc, exec, s[18:19]
	s_cbranch_vccz .LBB134_1280
; %bb.1277:
	s_cmp_eq_u32 s21, 29
	s_cbranch_scc0 .LBB134_1279
; %bb.1278:
	global_load_dwordx2 v[2:3], v[4:5], off
	s_mov_b64 s[0:1], 0
	s_mov_b64 s[16:17], -1
	s_branch .LBB134_1280
.LBB134_1279:
	s_mov_b64 s[0:1], -1
                                        ; implicit-def: $vgpr2
.LBB134_1280:
	s_mov_b64 s[18:19], 0
.LBB134_1281:
	s_and_b64 vcc, exec, s[18:19]
	s_cbranch_vccz .LBB134_1297
; %bb.1282:
	s_cmp_lt_i32 s21, 27
	s_cbranch_scc1 .LBB134_1285
; %bb.1283:
	s_cmp_gt_i32 s21, 27
	s_cbranch_scc0 .LBB134_1286
; %bb.1284:
	global_load_dword v2, v[4:5], off
	s_mov_b64 s[16:17], 0
	s_branch .LBB134_1287
.LBB134_1285:
	s_mov_b64 s[16:17], -1
                                        ; implicit-def: $vgpr2
	s_branch .LBB134_1290
.LBB134_1286:
	s_mov_b64 s[16:17], -1
                                        ; implicit-def: $vgpr2
.LBB134_1287:
	s_andn2_b64 vcc, exec, s[16:17]
	s_cbranch_vccnz .LBB134_1289
; %bb.1288:
	global_load_ushort v2, v[4:5], off
.LBB134_1289:
	s_mov_b64 s[16:17], 0
.LBB134_1290:
	s_andn2_b64 vcc, exec, s[16:17]
	s_cbranch_vccnz .LBB134_1296
; %bb.1291:
	global_load_ubyte v3, v[4:5], off
	s_movk_i32 s16, 0x7f
	s_mov_b64 s[18:19], 0
	s_waitcnt vmcnt(0)
	v_cmp_lt_i16_e32 vcc, s16, v3
	s_and_saveexec_b64 s[16:17], vcc
	s_xor_b64 s[16:17], exec, s[16:17]
	s_cbranch_execz .LBB134_1308
; %bb.1292:
	s_movk_i32 s18, 0x80
	v_cmp_ne_u16_e32 vcc, s18, v3
	s_and_b64 s[18:19], vcc, exec
	s_andn2_saveexec_b64 s[16:17], s[16:17]
	s_cbranch_execnz .LBB134_1309
.LBB134_1293:
	s_or_b64 exec, exec, s[16:17]
	v_mov_b32_e32 v2, 0
	s_and_saveexec_b64 s[16:17], s[18:19]
	s_cbranch_execz .LBB134_1295
.LBB134_1294:
	v_lshlrev_b32_e32 v2, 24, v3
	v_and_b32_e32 v3, 0xffff, v3
	v_and_b32_e32 v8, 7, v3
	v_ffbh_u32_e32 v10, v8
	v_min_u32_e32 v10, 32, v10
	v_subrev_u32_e32 v11, 28, v10
	v_bfe_u32 v9, v3, 3, 4
	v_lshlrev_b32_e32 v3, v11, v3
	v_sub_u32_e32 v10, 29, v10
	v_and_b32_e32 v3, 7, v3
	v_cmp_eq_u32_e32 vcc, 0, v9
	v_cndmask_b32_e32 v9, v9, v10, vcc
	v_cndmask_b32_e32 v3, v8, v3, vcc
	v_mov_b32_e32 v8, 0x3b800000
	v_lshlrev_b32_e32 v3, 20, v3
	v_and_b32_e32 v2, 0x80000000, v2
	v_lshl_add_u32 v8, v9, 23, v8
	v_or3_b32 v2, v2, v8, v3
	v_trunc_f32_e32 v2, v2
	s_mov_b32 s18, 0x2f800000
	v_mul_f32_e64 v3, |v2|, s18
	v_floor_f32_e32 v3, v3
	s_mov_b32 s18, 0xcf800000
	v_fma_f32 v3, v3, s18, |v2|
	v_cvt_u32_f32_e32 v3, v3
	v_ashrrev_i32_e32 v2, 31, v2
	v_xor_b32_e32 v3, v3, v2
	v_sub_u32_e32 v2, v3, v2
.LBB134_1295:
	s_or_b64 exec, exec, s[16:17]
.LBB134_1296:
	s_mov_b64 s[16:17], -1
.LBB134_1297:
	s_mov_b64 s[18:19], 0
.LBB134_1298:
	s_and_b64 vcc, exec, s[18:19]
	s_cbranch_vccz .LBB134_1329
; %bb.1299:
	s_cmp_gt_i32 s21, 22
	s_cbranch_scc0 .LBB134_1307
; %bb.1300:
	s_cmp_lt_i32 s21, 24
	s_cbranch_scc1 .LBB134_1310
; %bb.1301:
	s_cmp_gt_i32 s21, 24
	s_cbranch_scc0 .LBB134_1311
; %bb.1302:
	global_load_ubyte v3, v[4:5], off
	s_movk_i32 s12, 0x7f
	s_mov_b64 s[16:17], 0
	s_waitcnt vmcnt(0)
	v_cmp_lt_i16_e32 vcc, s12, v3
	s_and_saveexec_b64 s[12:13], vcc
	s_xor_b64 s[12:13], exec, s[12:13]
	s_cbranch_execz .LBB134_1323
; %bb.1303:
	s_movk_i32 s16, 0x80
	v_cmp_ne_u16_e32 vcc, s16, v3
	s_and_b64 s[16:17], vcc, exec
	s_andn2_saveexec_b64 s[12:13], s[12:13]
	s_cbranch_execnz .LBB134_1324
.LBB134_1304:
	s_or_b64 exec, exec, s[12:13]
	v_mov_b32_e32 v2, 0
	s_and_saveexec_b64 s[12:13], s[16:17]
	s_cbranch_execz .LBB134_1306
.LBB134_1305:
	v_lshlrev_b32_e32 v2, 24, v3
	v_and_b32_e32 v3, 0xffff, v3
	v_and_b32_e32 v8, 3, v3
	v_ffbh_u32_e32 v10, v8
	v_min_u32_e32 v10, 32, v10
	v_subrev_u32_e32 v11, 29, v10
	v_bfe_u32 v9, v3, 2, 5
	v_lshlrev_b32_e32 v3, v11, v3
	v_sub_u32_e32 v10, 30, v10
	v_and_b32_e32 v3, 3, v3
	v_cmp_eq_u32_e32 vcc, 0, v9
	v_cndmask_b32_e32 v9, v9, v10, vcc
	v_cndmask_b32_e32 v3, v8, v3, vcc
	v_mov_b32_e32 v8, 0x37800000
	v_lshlrev_b32_e32 v3, 21, v3
	v_and_b32_e32 v2, 0x80000000, v2
	v_lshl_add_u32 v8, v9, 23, v8
	v_or3_b32 v2, v2, v8, v3
	v_trunc_f32_e32 v2, v2
	s_mov_b32 s16, 0x2f800000
	v_mul_f32_e64 v3, |v2|, s16
	v_floor_f32_e32 v3, v3
	s_mov_b32 s16, 0xcf800000
	v_fma_f32 v3, v3, s16, |v2|
	v_cvt_u32_f32_e32 v3, v3
	v_ashrrev_i32_e32 v2, 31, v2
	v_xor_b32_e32 v3, v3, v2
	v_sub_u32_e32 v2, v3, v2
.LBB134_1306:
	s_or_b64 exec, exec, s[12:13]
	s_mov_b64 s[12:13], 0
	s_branch .LBB134_1312
.LBB134_1307:
	s_mov_b64 s[12:13], -1
                                        ; implicit-def: $vgpr2
	s_branch .LBB134_1318
.LBB134_1308:
	s_andn2_saveexec_b64 s[16:17], s[16:17]
	s_cbranch_execz .LBB134_1293
.LBB134_1309:
	v_cmp_ne_u16_e32 vcc, 0, v3
	s_andn2_b64 s[18:19], s[18:19], exec
	s_and_b64 s[22:23], vcc, exec
	s_or_b64 s[18:19], s[18:19], s[22:23]
	s_or_b64 exec, exec, s[16:17]
	v_mov_b32_e32 v2, 0
	s_and_saveexec_b64 s[16:17], s[18:19]
	s_cbranch_execnz .LBB134_1294
	s_branch .LBB134_1295
.LBB134_1310:
	s_mov_b64 s[12:13], -1
                                        ; implicit-def: $vgpr2
	s_branch .LBB134_1315
.LBB134_1311:
	s_mov_b64 s[12:13], -1
                                        ; implicit-def: $vgpr2
.LBB134_1312:
	s_and_b64 vcc, exec, s[12:13]
	s_cbranch_vccz .LBB134_1314
; %bb.1313:
	global_load_ubyte v2, v[4:5], off
	s_mov_b32 s12, 0x7f800000
	s_brev_b32 s13, 1
	s_mov_b32 s16, 0x2f800000
	s_waitcnt vmcnt(0)
	v_lshlrev_b32_e32 v2, 24, v2
	v_and_b32_e32 v3, 0x7f000000, v2
	v_ffbh_u32_e32 v8, v3
	v_min_u32_e32 v8, 32, v8
	v_sub_u32_e64 v8, v8, 4 clamp
	v_lshlrev_b32_e32 v10, v8, v3
	v_lshlrev_b32_e32 v8, 23, v8
	v_lshrrev_b32_e32 v10, 4, v10
	v_add_u32_e32 v9, 0x1000000, v3
	v_sub_u32_e32 v8, v10, v8
	v_ashrrev_i32_e32 v9, 8, v9
	v_add_u32_e32 v8, 0x3c000000, v8
	v_and_or_b32 v8, v9, s12, v8
	v_cmp_ne_u32_e32 vcc, 0, v3
	v_cndmask_b32_e32 v3, 0, v8, vcc
	v_and_or_b32 v2, v2, s13, v3
	v_trunc_f32_e32 v2, v2
	v_mul_f32_e64 v3, |v2|, s16
	v_floor_f32_e32 v3, v3
	s_mov_b32 s12, 0xcf800000
	v_fma_f32 v3, v3, s12, |v2|
	v_cvt_u32_f32_e32 v3, v3
	v_ashrrev_i32_e32 v2, 31, v2
	v_xor_b32_e32 v3, v3, v2
	v_sub_u32_e32 v2, v3, v2
.LBB134_1314:
	s_mov_b64 s[12:13], 0
.LBB134_1315:
	s_andn2_b64 vcc, exec, s[12:13]
	s_cbranch_vccnz .LBB134_1317
; %bb.1316:
	global_load_ubyte v2, v[4:5], off
	s_movk_i32 s12, 0x7f00
	s_brev_b32 s13, 16
	s_brev_b32 s16, 1
	s_mov_b32 s17, 0x2f800000
	s_waitcnt vmcnt(0)
	v_lshlrev_b16_e32 v3, 8, v2
	v_lshlrev_b32_e32 v2, 25, v2
	v_lshrrev_b32_e32 v8, 4, v2
	v_and_or_b32 v9, v3, s12, 0.5
	v_or_b32_e32 v8, 0x70000000, v8
	v_add_f32_e32 v9, -0.5, v9
	v_mul_f32_e32 v8, 0x7800000, v8
	v_cmp_gt_u32_e32 vcc, s13, v2
	v_bfe_i32 v3, v3, 0, 16
	v_cndmask_b32_e32 v2, v8, v9, vcc
	v_and_or_b32 v2, v3, s16, v2
	v_trunc_f32_e32 v2, v2
	v_mul_f32_e64 v3, |v2|, s17
	v_floor_f32_e32 v3, v3
	s_mov_b32 s12, 0xcf800000
	v_fma_f32 v3, v3, s12, |v2|
	v_cvt_u32_f32_e32 v3, v3
	v_ashrrev_i32_e32 v2, 31, v2
	v_xor_b32_e32 v3, v3, v2
	v_sub_u32_e32 v2, v3, v2
.LBB134_1317:
	s_mov_b64 s[12:13], 0
	s_mov_b64 s[16:17], -1
.LBB134_1318:
	s_andn2_b64 vcc, exec, s[12:13]
	s_mov_b64 s[12:13], 0
	s_cbranch_vccnz .LBB134_1329
; %bb.1319:
	s_cmp_gt_i32 s21, 14
	s_cbranch_scc0 .LBB134_1322
; %bb.1320:
	s_cmp_eq_u32 s21, 15
	s_cbranch_scc0 .LBB134_1325
; %bb.1321:
	global_load_ushort v2, v[4:5], off
	s_mov_b32 s0, 0x2f800000
	s_mov_b32 s1, 0xcf800000
	s_mov_b64 s[16:17], -1
	s_waitcnt vmcnt(0)
	v_lshlrev_b32_e32 v2, 16, v2
	v_trunc_f32_e32 v2, v2
	v_mul_f32_e64 v3, |v2|, s0
	v_floor_f32_e32 v3, v3
	v_fma_f32 v3, v3, s1, |v2|
	v_cvt_u32_f32_e32 v3, v3
	v_ashrrev_i32_e32 v2, 31, v2
	s_mov_b64 s[0:1], 0
	v_xor_b32_e32 v3, v3, v2
	v_sub_u32_e32 v2, v3, v2
	s_branch .LBB134_1326
.LBB134_1322:
	s_mov_b64 s[18:19], -1
                                        ; implicit-def: $vgpr2
	s_branch .LBB134_1327
.LBB134_1323:
	s_andn2_saveexec_b64 s[12:13], s[12:13]
	s_cbranch_execz .LBB134_1304
.LBB134_1324:
	v_cmp_ne_u16_e32 vcc, 0, v3
	s_andn2_b64 s[16:17], s[16:17], exec
	s_and_b64 s[18:19], vcc, exec
	s_or_b64 s[16:17], s[16:17], s[18:19]
	s_or_b64 exec, exec, s[12:13]
	v_mov_b32_e32 v2, 0
	s_and_saveexec_b64 s[12:13], s[16:17]
	s_cbranch_execnz .LBB134_1305
	s_branch .LBB134_1306
.LBB134_1325:
	s_mov_b64 s[0:1], -1
                                        ; implicit-def: $vgpr2
.LBB134_1326:
	s_mov_b64 s[18:19], 0
.LBB134_1327:
	s_and_b64 vcc, exec, s[18:19]
	s_cbranch_vccz .LBB134_1329
; %bb.1328:
	s_cmp_lg_u32 s21, 11
	s_mov_b64 s[12:13], -1
	s_cselect_b64 s[0:1], -1, 0
.LBB134_1329:
	s_and_b64 vcc, exec, s[0:1]
	s_cbranch_vccnz .LBB134_1392
; %bb.1330:
	s_andn2_b64 vcc, exec, s[12:13]
	s_cbranch_vccnz .LBB134_1332
.LBB134_1331:
	global_load_ubyte v2, v[4:5], off
	s_mov_b64 s[16:17], -1
	s_waitcnt vmcnt(0)
	v_cmp_ne_u16_e32 vcc, 0, v2
	v_cndmask_b32_e64 v2, 0, 1, vcc
.LBB134_1332:
	s_branch .LBB134_1264
.LBB134_1333:
	s_and_b32 s12, 0xffff, s20
	s_cmp_lt_i32 s12, 5
	s_cbranch_scc1 .LBB134_1338
; %bb.1334:
	s_cmp_lt_i32 s12, 8
	s_cbranch_scc1 .LBB134_1339
; %bb.1335:
	;; [unrolled: 3-line block ×3, first 2 shown]
	s_cmp_gt_i32 s12, 9
	s_cbranch_scc0 .LBB134_1341
; %bb.1337:
	global_load_dwordx2 v[2:3], v[4:5], off
	s_movk_i32 s0, 0xffe0
	s_waitcnt vmcnt(0)
	v_trunc_f64_e32 v[2:3], v[2:3]
	v_ldexp_f64 v[8:9], v[2:3], s0
	s_mov_b32 s0, 0
	s_mov_b32 s1, 0xc1f00000
	v_floor_f64_e32 v[8:9], v[8:9]
	v_fma_f64 v[2:3], v[8:9], s[0:1], v[2:3]
	s_mov_b64 s[0:1], 0
	v_cvt_u32_f64_e32 v2, v[2:3]
	s_branch .LBB134_1342
.LBB134_1338:
	s_mov_b64 s[0:1], -1
                                        ; implicit-def: $vgpr2
	s_branch .LBB134_1360
.LBB134_1339:
	s_mov_b64 s[0:1], -1
                                        ; implicit-def: $vgpr2
	s_branch .LBB134_1348
.LBB134_1340:
	s_mov_b64 s[0:1], -1
                                        ; implicit-def: $vgpr2
	s_branch .LBB134_1345
.LBB134_1341:
	s_mov_b64 s[0:1], -1
                                        ; implicit-def: $vgpr2
.LBB134_1342:
	s_andn2_b64 vcc, exec, s[0:1]
	s_cbranch_vccnz .LBB134_1344
; %bb.1343:
	global_load_dword v2, v[4:5], off
	s_mov_b32 s0, 0x2f800000
	s_waitcnt vmcnt(0)
	v_trunc_f32_e32 v2, v2
	v_mul_f32_e64 v3, |v2|, s0
	v_floor_f32_e32 v3, v3
	s_mov_b32 s0, 0xcf800000
	v_fma_f32 v3, v3, s0, |v2|
	v_cvt_u32_f32_e32 v3, v3
	v_ashrrev_i32_e32 v2, 31, v2
	v_xor_b32_e32 v3, v3, v2
	v_sub_u32_e32 v2, v3, v2
.LBB134_1344:
	s_mov_b64 s[0:1], 0
.LBB134_1345:
	s_andn2_b64 vcc, exec, s[0:1]
	s_cbranch_vccnz .LBB134_1347
; %bb.1346:
	global_load_dword v2, v[4:5], off
	s_waitcnt vmcnt(0)
	v_cvt_f32_f16_e32 v2, v2
	v_cvt_i32_f32_e32 v2, v2
.LBB134_1347:
	s_mov_b64 s[0:1], 0
.LBB134_1348:
	s_andn2_b64 vcc, exec, s[0:1]
	s_cbranch_vccnz .LBB134_1359
; %bb.1349:
	s_cmp_lt_i32 s12, 6
	s_cbranch_scc1 .LBB134_1352
; %bb.1350:
	s_cmp_gt_i32 s12, 6
	s_cbranch_scc0 .LBB134_1353
; %bb.1351:
	global_load_dwordx2 v[2:3], v[4:5], off
	s_movk_i32 s0, 0xffe0
	s_waitcnt vmcnt(0)
	v_trunc_f64_e32 v[2:3], v[2:3]
	v_ldexp_f64 v[8:9], v[2:3], s0
	s_mov_b32 s0, 0
	s_mov_b32 s1, 0xc1f00000
	v_floor_f64_e32 v[8:9], v[8:9]
	v_fma_f64 v[2:3], v[8:9], s[0:1], v[2:3]
	s_mov_b64 s[0:1], 0
	v_cvt_u32_f64_e32 v2, v[2:3]
	s_branch .LBB134_1354
.LBB134_1352:
	s_mov_b64 s[0:1], -1
                                        ; implicit-def: $vgpr2
	s_branch .LBB134_1357
.LBB134_1353:
	s_mov_b64 s[0:1], -1
                                        ; implicit-def: $vgpr2
.LBB134_1354:
	s_andn2_b64 vcc, exec, s[0:1]
	s_cbranch_vccnz .LBB134_1356
; %bb.1355:
	global_load_dword v2, v[4:5], off
	s_mov_b32 s0, 0x2f800000
	s_waitcnt vmcnt(0)
	v_trunc_f32_e32 v2, v2
	v_mul_f32_e64 v3, |v2|, s0
	v_floor_f32_e32 v3, v3
	s_mov_b32 s0, 0xcf800000
	v_fma_f32 v3, v3, s0, |v2|
	v_cvt_u32_f32_e32 v3, v3
	v_ashrrev_i32_e32 v2, 31, v2
	v_xor_b32_e32 v3, v3, v2
	v_sub_u32_e32 v2, v3, v2
.LBB134_1356:
	s_mov_b64 s[0:1], 0
.LBB134_1357:
	s_andn2_b64 vcc, exec, s[0:1]
	s_cbranch_vccnz .LBB134_1359
; %bb.1358:
	global_load_ushort v2, v[4:5], off
	s_waitcnt vmcnt(0)
	v_cvt_f32_f16_e32 v2, v2
	v_cvt_i32_f32_e32 v2, v2
.LBB134_1359:
	s_mov_b64 s[0:1], 0
.LBB134_1360:
	s_andn2_b64 vcc, exec, s[0:1]
	s_cbranch_vccnz .LBB134_1380
; %bb.1361:
	s_cmp_lt_i32 s12, 2
	s_cbranch_scc1 .LBB134_1365
; %bb.1362:
	s_cmp_lt_i32 s12, 3
	s_cbranch_scc1 .LBB134_1366
; %bb.1363:
	s_cmp_gt_i32 s12, 3
	s_cbranch_scc0 .LBB134_1367
; %bb.1364:
	global_load_dwordx2 v[2:3], v[4:5], off
	s_mov_b64 s[0:1], 0
	s_branch .LBB134_1368
.LBB134_1365:
	s_mov_b64 s[0:1], -1
                                        ; implicit-def: $vgpr2
	s_branch .LBB134_1374
.LBB134_1366:
	s_mov_b64 s[0:1], -1
                                        ; implicit-def: $vgpr2
	s_branch .LBB134_1371
.LBB134_1367:
	s_mov_b64 s[0:1], -1
                                        ; implicit-def: $vgpr2
.LBB134_1368:
	s_andn2_b64 vcc, exec, s[0:1]
	s_cbranch_vccnz .LBB134_1370
; %bb.1369:
	global_load_dword v2, v[4:5], off
.LBB134_1370:
	s_mov_b64 s[0:1], 0
.LBB134_1371:
	s_andn2_b64 vcc, exec, s[0:1]
	s_cbranch_vccnz .LBB134_1373
; %bb.1372:
	global_load_ushort v2, v[4:5], off
.LBB134_1373:
	s_mov_b64 s[0:1], 0
.LBB134_1374:
	s_andn2_b64 vcc, exec, s[0:1]
	s_cbranch_vccnz .LBB134_1380
; %bb.1375:
	s_cmp_gt_i32 s12, 0
	s_cbranch_scc0 .LBB134_1377
; %bb.1376:
	global_load_ubyte v2, v[4:5], off
	s_mov_b64 s[0:1], 0
	s_branch .LBB134_1378
.LBB134_1377:
	s_mov_b64 s[0:1], -1
                                        ; implicit-def: $vgpr2
.LBB134_1378:
	s_andn2_b64 vcc, exec, s[0:1]
	s_cbranch_vccnz .LBB134_1380
; %bb.1379:
	global_load_ubyte v2, v[4:5], off
.LBB134_1380:
.LBB134_1381:
	s_waitcnt vmcnt(0)
	v_add_u32_e32 v3, s3, v6
	v_ashrrev_i32_e32 v4, 31, v3
	v_mov_b32_e32 v6, s11
	v_add_co_u32_e32 v5, vcc, s10, v3
	s_cmp_lt_i32 s20, 11
	v_addc_co_u32_e32 v6, vcc, v6, v4, vcc
	s_cbranch_scc1 .LBB134_1388
; %bb.1382:
	s_and_b32 s3, 0xffff, s20
	s_cmp_gt_i32 s3, 25
	s_mov_b64 s[10:11], 0
	s_cbranch_scc0 .LBB134_1389
; %bb.1383:
	s_cmp_gt_i32 s3, 28
	s_cbranch_scc0 .LBB134_1390
; %bb.1384:
	s_cmp_gt_i32 s3, 43
	;; [unrolled: 3-line block ×3, first 2 shown]
	s_cbranch_scc0 .LBB134_1393
; %bb.1386:
	s_cmp_eq_u32 s3, 46
	s_mov_b64 s[16:17], 0
	s_cbranch_scc0 .LBB134_1394
; %bb.1387:
	global_load_dword v3, v[5:6], off
	s_mov_b32 s0, 0x2f800000
	s_mov_b32 s1, 0xcf800000
	s_mov_b64 s[12:13], -1
	s_waitcnt vmcnt(0)
	v_lshlrev_b32_e32 v3, 16, v3
	v_trunc_f32_e32 v3, v3
	v_mul_f32_e64 v4, |v3|, s0
	v_floor_f32_e32 v4, v4
	v_fma_f32 v4, v4, s1, |v3|
	v_cvt_u32_f32_e32 v4, v4
	v_ashrrev_i32_e32 v3, 31, v3
	s_mov_b64 s[0:1], 0
	v_xor_b32_e32 v4, v4, v3
	v_sub_u32_e32 v3, v4, v3
	s_branch .LBB134_1395
.LBB134_1388:
	s_mov_b64 s[0:1], -1
	s_mov_b64 s[12:13], 0
                                        ; implicit-def: $vgpr3
	s_branch .LBB134_1457
.LBB134_1389:
	s_mov_b64 s[16:17], -1
	s_mov_b64 s[12:13], 0
	s_mov_b64 s[0:1], 0
                                        ; implicit-def: $vgpr3
	s_branch .LBB134_1422
.LBB134_1390:
	s_mov_b64 s[16:17], -1
	s_mov_b64 s[12:13], 0
	s_mov_b64 s[0:1], 0
                                        ; implicit-def: $vgpr3
	s_branch .LBB134_1405
.LBB134_1391:
	s_mov_b64 s[16:17], -1
	s_mov_b64 s[12:13], 0
	s_mov_b64 s[0:1], 0
                                        ; implicit-def: $vgpr3
	s_branch .LBB134_1400
.LBB134_1392:
	s_trap 2
	s_or_b64 s[14:15], s[14:15], exec
	s_cbranch_execz .LBB134_1331
	s_branch .LBB134_1332
.LBB134_1393:
	s_mov_b64 s[16:17], -1
	s_mov_b64 s[12:13], 0
	s_mov_b64 s[0:1], 0
                                        ; implicit-def: $vgpr3
	s_branch .LBB134_1395
.LBB134_1394:
	s_mov_b64 s[0:1], -1
                                        ; implicit-def: $vgpr3
	s_mov_b64 s[12:13], 0
.LBB134_1395:
	s_and_b64 vcc, exec, s[16:17]
	s_cbranch_vccz .LBB134_1399
; %bb.1396:
	s_cmp_eq_u32 s3, 44
	s_cbranch_scc0 .LBB134_1398
; %bb.1397:
	global_load_ubyte v3, v[5:6], off
	s_mov_b32 s0, 0x2f800000
	s_mov_b32 s1, 0xcf800000
	s_mov_b64 s[12:13], -1
	s_waitcnt vmcnt(0)
	v_lshlrev_b32_e32 v4, 23, v3
	v_trunc_f32_e32 v4, v4
	v_mul_f32_e64 v8, |v4|, s0
	v_floor_f32_e32 v8, v8
	v_fma_f32 v8, v8, s1, |v4|
	v_cvt_u32_f32_e32 v8, v8
	v_ashrrev_i32_e32 v4, 31, v4
	v_cmp_ne_u32_e32 vcc, 0, v3
	s_mov_b64 s[0:1], 0
	v_xor_b32_e32 v8, v8, v4
	v_sub_u32_e32 v4, v8, v4
	v_cndmask_b32_e32 v3, 0, v4, vcc
	s_branch .LBB134_1399
.LBB134_1398:
	s_mov_b64 s[0:1], -1
                                        ; implicit-def: $vgpr3
.LBB134_1399:
	s_mov_b64 s[16:17], 0
.LBB134_1400:
	s_and_b64 vcc, exec, s[16:17]
	s_cbranch_vccz .LBB134_1404
; %bb.1401:
	s_cmp_eq_u32 s3, 29
	s_cbranch_scc0 .LBB134_1403
; %bb.1402:
	global_load_dwordx2 v[3:4], v[5:6], off
	s_mov_b64 s[0:1], 0
	s_mov_b64 s[12:13], -1
	s_branch .LBB134_1404
.LBB134_1403:
	s_mov_b64 s[0:1], -1
                                        ; implicit-def: $vgpr3
.LBB134_1404:
	s_mov_b64 s[16:17], 0
.LBB134_1405:
	s_and_b64 vcc, exec, s[16:17]
	s_cbranch_vccz .LBB134_1421
; %bb.1406:
	s_cmp_lt_i32 s3, 27
	s_cbranch_scc1 .LBB134_1409
; %bb.1407:
	s_cmp_gt_i32 s3, 27
	s_cbranch_scc0 .LBB134_1410
; %bb.1408:
	global_load_dword v3, v[5:6], off
	s_mov_b64 s[12:13], 0
	s_branch .LBB134_1411
.LBB134_1409:
	s_mov_b64 s[12:13], -1
                                        ; implicit-def: $vgpr3
	s_branch .LBB134_1414
.LBB134_1410:
	s_mov_b64 s[12:13], -1
                                        ; implicit-def: $vgpr3
.LBB134_1411:
	s_andn2_b64 vcc, exec, s[12:13]
	s_cbranch_vccnz .LBB134_1413
; %bb.1412:
	global_load_ushort v3, v[5:6], off
.LBB134_1413:
	s_mov_b64 s[12:13], 0
.LBB134_1414:
	s_andn2_b64 vcc, exec, s[12:13]
	s_cbranch_vccnz .LBB134_1420
; %bb.1415:
	global_load_ubyte v4, v[5:6], off
	s_movk_i32 s12, 0x7f
	s_mov_b64 s[16:17], 0
	s_waitcnt vmcnt(0)
	v_cmp_lt_i16_e32 vcc, s12, v4
	s_and_saveexec_b64 s[12:13], vcc
	s_xor_b64 s[12:13], exec, s[12:13]
	s_cbranch_execz .LBB134_1432
; %bb.1416:
	s_movk_i32 s16, 0x80
	v_cmp_ne_u16_e32 vcc, s16, v4
	s_and_b64 s[16:17], vcc, exec
	s_andn2_saveexec_b64 s[12:13], s[12:13]
	s_cbranch_execnz .LBB134_1433
.LBB134_1417:
	s_or_b64 exec, exec, s[12:13]
	v_mov_b32_e32 v3, 0
	s_and_saveexec_b64 s[12:13], s[16:17]
	s_cbranch_execz .LBB134_1419
.LBB134_1418:
	v_lshlrev_b32_e32 v3, 24, v4
	v_and_b32_e32 v4, 0xffff, v4
	v_and_b32_e32 v8, 7, v4
	v_ffbh_u32_e32 v10, v8
	v_min_u32_e32 v10, 32, v10
	v_subrev_u32_e32 v11, 28, v10
	v_bfe_u32 v9, v4, 3, 4
	v_lshlrev_b32_e32 v4, v11, v4
	v_sub_u32_e32 v10, 29, v10
	v_and_b32_e32 v4, 7, v4
	v_cmp_eq_u32_e32 vcc, 0, v9
	v_cndmask_b32_e32 v9, v9, v10, vcc
	v_cndmask_b32_e32 v4, v8, v4, vcc
	v_mov_b32_e32 v8, 0x3b800000
	v_lshlrev_b32_e32 v4, 20, v4
	v_and_b32_e32 v3, 0x80000000, v3
	v_lshl_add_u32 v8, v9, 23, v8
	v_or3_b32 v3, v3, v8, v4
	v_trunc_f32_e32 v3, v3
	s_mov_b32 s16, 0x2f800000
	v_mul_f32_e64 v4, |v3|, s16
	v_floor_f32_e32 v4, v4
	s_mov_b32 s16, 0xcf800000
	v_fma_f32 v4, v4, s16, |v3|
	v_cvt_u32_f32_e32 v4, v4
	v_ashrrev_i32_e32 v3, 31, v3
	v_xor_b32_e32 v4, v4, v3
	v_sub_u32_e32 v3, v4, v3
.LBB134_1419:
	s_or_b64 exec, exec, s[12:13]
.LBB134_1420:
	s_mov_b64 s[12:13], -1
.LBB134_1421:
	s_mov_b64 s[16:17], 0
.LBB134_1422:
	s_and_b64 vcc, exec, s[16:17]
	s_cbranch_vccz .LBB134_1453
; %bb.1423:
	s_cmp_gt_i32 s3, 22
	s_cbranch_scc0 .LBB134_1431
; %bb.1424:
	s_cmp_lt_i32 s3, 24
	s_cbranch_scc1 .LBB134_1434
; %bb.1425:
	s_cmp_gt_i32 s3, 24
	s_cbranch_scc0 .LBB134_1435
; %bb.1426:
	global_load_ubyte v4, v[5:6], off
	s_movk_i32 s10, 0x7f
	s_mov_b64 s[12:13], 0
	s_waitcnt vmcnt(0)
	v_cmp_lt_i16_e32 vcc, s10, v4
	s_and_saveexec_b64 s[10:11], vcc
	s_xor_b64 s[10:11], exec, s[10:11]
	s_cbranch_execz .LBB134_1447
; %bb.1427:
	s_movk_i32 s12, 0x80
	v_cmp_ne_u16_e32 vcc, s12, v4
	s_and_b64 s[12:13], vcc, exec
	s_andn2_saveexec_b64 s[10:11], s[10:11]
	s_cbranch_execnz .LBB134_1448
.LBB134_1428:
	s_or_b64 exec, exec, s[10:11]
	v_mov_b32_e32 v3, 0
	s_and_saveexec_b64 s[10:11], s[12:13]
	s_cbranch_execz .LBB134_1430
.LBB134_1429:
	v_lshlrev_b32_e32 v3, 24, v4
	v_and_b32_e32 v4, 0xffff, v4
	v_and_b32_e32 v8, 3, v4
	v_ffbh_u32_e32 v10, v8
	v_min_u32_e32 v10, 32, v10
	v_subrev_u32_e32 v11, 29, v10
	v_bfe_u32 v9, v4, 2, 5
	v_lshlrev_b32_e32 v4, v11, v4
	v_sub_u32_e32 v10, 30, v10
	v_and_b32_e32 v4, 3, v4
	v_cmp_eq_u32_e32 vcc, 0, v9
	v_cndmask_b32_e32 v9, v9, v10, vcc
	v_cndmask_b32_e32 v4, v8, v4, vcc
	v_mov_b32_e32 v8, 0x37800000
	v_lshlrev_b32_e32 v4, 21, v4
	v_and_b32_e32 v3, 0x80000000, v3
	v_lshl_add_u32 v8, v9, 23, v8
	v_or3_b32 v3, v3, v8, v4
	v_trunc_f32_e32 v3, v3
	s_mov_b32 s12, 0x2f800000
	v_mul_f32_e64 v4, |v3|, s12
	v_floor_f32_e32 v4, v4
	s_mov_b32 s12, 0xcf800000
	v_fma_f32 v4, v4, s12, |v3|
	v_cvt_u32_f32_e32 v4, v4
	v_ashrrev_i32_e32 v3, 31, v3
	v_xor_b32_e32 v4, v4, v3
	v_sub_u32_e32 v3, v4, v3
.LBB134_1430:
	s_or_b64 exec, exec, s[10:11]
	s_mov_b64 s[10:11], 0
	s_branch .LBB134_1436
.LBB134_1431:
	s_mov_b64 s[10:11], -1
                                        ; implicit-def: $vgpr3
	s_branch .LBB134_1442
.LBB134_1432:
	s_andn2_saveexec_b64 s[12:13], s[12:13]
	s_cbranch_execz .LBB134_1417
.LBB134_1433:
	v_cmp_ne_u16_e32 vcc, 0, v4
	s_andn2_b64 s[16:17], s[16:17], exec
	s_and_b64 s[18:19], vcc, exec
	s_or_b64 s[16:17], s[16:17], s[18:19]
	s_or_b64 exec, exec, s[12:13]
	v_mov_b32_e32 v3, 0
	s_and_saveexec_b64 s[12:13], s[16:17]
	s_cbranch_execnz .LBB134_1418
	s_branch .LBB134_1419
.LBB134_1434:
	s_mov_b64 s[10:11], -1
                                        ; implicit-def: $vgpr3
	s_branch .LBB134_1439
.LBB134_1435:
	s_mov_b64 s[10:11], -1
                                        ; implicit-def: $vgpr3
.LBB134_1436:
	s_and_b64 vcc, exec, s[10:11]
	s_cbranch_vccz .LBB134_1438
; %bb.1437:
	global_load_ubyte v3, v[5:6], off
	s_mov_b32 s10, 0x7f800000
	s_brev_b32 s11, 1
	s_mov_b32 s12, 0x2f800000
	s_waitcnt vmcnt(0)
	v_lshlrev_b32_e32 v3, 24, v3
	v_and_b32_e32 v4, 0x7f000000, v3
	v_ffbh_u32_e32 v8, v4
	v_min_u32_e32 v8, 32, v8
	v_sub_u32_e64 v8, v8, 4 clamp
	v_lshlrev_b32_e32 v10, v8, v4
	v_lshlrev_b32_e32 v8, 23, v8
	v_lshrrev_b32_e32 v10, 4, v10
	v_add_u32_e32 v9, 0x1000000, v4
	v_sub_u32_e32 v8, v10, v8
	v_ashrrev_i32_e32 v9, 8, v9
	v_add_u32_e32 v8, 0x3c000000, v8
	v_and_or_b32 v8, v9, s10, v8
	v_cmp_ne_u32_e32 vcc, 0, v4
	v_cndmask_b32_e32 v4, 0, v8, vcc
	v_and_or_b32 v3, v3, s11, v4
	v_trunc_f32_e32 v3, v3
	v_mul_f32_e64 v4, |v3|, s12
	v_floor_f32_e32 v4, v4
	s_mov_b32 s10, 0xcf800000
	v_fma_f32 v4, v4, s10, |v3|
	v_cvt_u32_f32_e32 v4, v4
	v_ashrrev_i32_e32 v3, 31, v3
	v_xor_b32_e32 v4, v4, v3
	v_sub_u32_e32 v3, v4, v3
.LBB134_1438:
	s_mov_b64 s[10:11], 0
.LBB134_1439:
	s_andn2_b64 vcc, exec, s[10:11]
	s_cbranch_vccnz .LBB134_1441
; %bb.1440:
	global_load_ubyte v3, v[5:6], off
	s_movk_i32 s10, 0x7f00
	s_brev_b32 s11, 16
	s_brev_b32 s12, 1
	s_mov_b32 s13, 0x2f800000
	s_waitcnt vmcnt(0)
	v_lshlrev_b16_e32 v4, 8, v3
	v_lshlrev_b32_e32 v3, 25, v3
	v_lshrrev_b32_e32 v8, 4, v3
	v_and_or_b32 v9, v4, s10, 0.5
	v_or_b32_e32 v8, 0x70000000, v8
	v_add_f32_e32 v9, -0.5, v9
	v_mul_f32_e32 v8, 0x7800000, v8
	v_cmp_gt_u32_e32 vcc, s11, v3
	v_bfe_i32 v4, v4, 0, 16
	v_cndmask_b32_e32 v3, v8, v9, vcc
	v_and_or_b32 v3, v4, s12, v3
	v_trunc_f32_e32 v3, v3
	v_mul_f32_e64 v4, |v3|, s13
	v_floor_f32_e32 v4, v4
	s_mov_b32 s10, 0xcf800000
	v_fma_f32 v4, v4, s10, |v3|
	v_cvt_u32_f32_e32 v4, v4
	v_ashrrev_i32_e32 v3, 31, v3
	v_xor_b32_e32 v4, v4, v3
	v_sub_u32_e32 v3, v4, v3
.LBB134_1441:
	s_mov_b64 s[10:11], 0
	s_mov_b64 s[12:13], -1
.LBB134_1442:
	s_andn2_b64 vcc, exec, s[10:11]
	s_mov_b64 s[10:11], 0
	s_cbranch_vccnz .LBB134_1453
; %bb.1443:
	s_cmp_gt_i32 s3, 14
	s_cbranch_scc0 .LBB134_1446
; %bb.1444:
	s_cmp_eq_u32 s3, 15
	s_cbranch_scc0 .LBB134_1449
; %bb.1445:
	global_load_ushort v3, v[5:6], off
	s_mov_b32 s0, 0x2f800000
	s_mov_b32 s1, 0xcf800000
	s_mov_b64 s[12:13], -1
	s_waitcnt vmcnt(0)
	v_lshlrev_b32_e32 v3, 16, v3
	v_trunc_f32_e32 v3, v3
	v_mul_f32_e64 v4, |v3|, s0
	v_floor_f32_e32 v4, v4
	v_fma_f32 v4, v4, s1, |v3|
	v_cvt_u32_f32_e32 v4, v4
	v_ashrrev_i32_e32 v3, 31, v3
	s_mov_b64 s[0:1], 0
	v_xor_b32_e32 v4, v4, v3
	v_sub_u32_e32 v3, v4, v3
	s_branch .LBB134_1450
.LBB134_1446:
	s_mov_b64 s[16:17], -1
                                        ; implicit-def: $vgpr3
	s_branch .LBB134_1451
.LBB134_1447:
	s_andn2_saveexec_b64 s[10:11], s[10:11]
	s_cbranch_execz .LBB134_1428
.LBB134_1448:
	v_cmp_ne_u16_e32 vcc, 0, v4
	s_andn2_b64 s[12:13], s[12:13], exec
	s_and_b64 s[16:17], vcc, exec
	s_or_b64 s[12:13], s[12:13], s[16:17]
	s_or_b64 exec, exec, s[10:11]
	v_mov_b32_e32 v3, 0
	s_and_saveexec_b64 s[10:11], s[12:13]
	s_cbranch_execnz .LBB134_1429
	s_branch .LBB134_1430
.LBB134_1449:
	s_mov_b64 s[0:1], -1
                                        ; implicit-def: $vgpr3
.LBB134_1450:
	s_mov_b64 s[16:17], 0
.LBB134_1451:
	s_and_b64 vcc, exec, s[16:17]
	s_cbranch_vccz .LBB134_1453
; %bb.1452:
	s_cmp_lg_u32 s3, 11
	s_mov_b64 s[10:11], -1
	s_cselect_b64 s[0:1], -1, 0
.LBB134_1453:
	s_and_b64 vcc, exec, s[0:1]
	s_cbranch_vccnz .LBB134_1986
; %bb.1454:
	s_andn2_b64 vcc, exec, s[10:11]
	s_cbranch_vccnz .LBB134_1456
.LBB134_1455:
	global_load_ubyte v3, v[5:6], off
	s_mov_b64 s[12:13], -1
	s_waitcnt vmcnt(0)
	v_cmp_ne_u16_e32 vcc, 0, v3
	v_cndmask_b32_e64 v3, 0, 1, vcc
.LBB134_1456:
	s_mov_b64 s[0:1], 0
.LBB134_1457:
	s_and_b64 vcc, exec, s[0:1]
	s_cbranch_vccz .LBB134_1506
; %bb.1458:
	s_and_b32 s3, 0xffff, s20
	s_cmp_lt_i32 s3, 5
	s_cbranch_scc1 .LBB134_1463
; %bb.1459:
	s_cmp_lt_i32 s3, 8
	s_cbranch_scc1 .LBB134_1464
; %bb.1460:
	;; [unrolled: 3-line block ×3, first 2 shown]
	s_cmp_gt_i32 s3, 9
	s_cbranch_scc0 .LBB134_1466
; %bb.1462:
	global_load_dwordx2 v[3:4], v[5:6], off
	s_movk_i32 s0, 0xffe0
	s_waitcnt vmcnt(0)
	v_trunc_f64_e32 v[3:4], v[3:4]
	v_ldexp_f64 v[8:9], v[3:4], s0
	s_mov_b32 s0, 0
	s_mov_b32 s1, 0xc1f00000
	v_floor_f64_e32 v[8:9], v[8:9]
	v_fma_f64 v[3:4], v[8:9], s[0:1], v[3:4]
	s_mov_b64 s[0:1], 0
	v_cvt_u32_f64_e32 v3, v[3:4]
	s_branch .LBB134_1467
.LBB134_1463:
	s_mov_b64 s[0:1], -1
                                        ; implicit-def: $vgpr3
	s_branch .LBB134_1485
.LBB134_1464:
	s_mov_b64 s[0:1], -1
                                        ; implicit-def: $vgpr3
	s_branch .LBB134_1473
.LBB134_1465:
	s_mov_b64 s[0:1], -1
                                        ; implicit-def: $vgpr3
	s_branch .LBB134_1470
.LBB134_1466:
	s_mov_b64 s[0:1], -1
                                        ; implicit-def: $vgpr3
.LBB134_1467:
	s_andn2_b64 vcc, exec, s[0:1]
	s_cbranch_vccnz .LBB134_1469
; %bb.1468:
	global_load_dword v3, v[5:6], off
	s_mov_b32 s0, 0x2f800000
	s_waitcnt vmcnt(0)
	v_trunc_f32_e32 v3, v3
	v_mul_f32_e64 v4, |v3|, s0
	v_floor_f32_e32 v4, v4
	s_mov_b32 s0, 0xcf800000
	v_fma_f32 v4, v4, s0, |v3|
	v_cvt_u32_f32_e32 v4, v4
	v_ashrrev_i32_e32 v3, 31, v3
	v_xor_b32_e32 v4, v4, v3
	v_sub_u32_e32 v3, v4, v3
.LBB134_1469:
	s_mov_b64 s[0:1], 0
.LBB134_1470:
	s_andn2_b64 vcc, exec, s[0:1]
	s_cbranch_vccnz .LBB134_1472
; %bb.1471:
	global_load_dword v3, v[5:6], off
	s_waitcnt vmcnt(0)
	v_cvt_f32_f16_e32 v3, v3
	v_cvt_i32_f32_e32 v3, v3
.LBB134_1472:
	s_mov_b64 s[0:1], 0
.LBB134_1473:
	s_andn2_b64 vcc, exec, s[0:1]
	s_cbranch_vccnz .LBB134_1484
; %bb.1474:
	s_cmp_lt_i32 s3, 6
	s_cbranch_scc1 .LBB134_1477
; %bb.1475:
	s_cmp_gt_i32 s3, 6
	s_cbranch_scc0 .LBB134_1478
; %bb.1476:
	global_load_dwordx2 v[3:4], v[5:6], off
	s_movk_i32 s0, 0xffe0
	s_waitcnt vmcnt(0)
	v_trunc_f64_e32 v[3:4], v[3:4]
	v_ldexp_f64 v[8:9], v[3:4], s0
	s_mov_b32 s0, 0
	s_mov_b32 s1, 0xc1f00000
	v_floor_f64_e32 v[8:9], v[8:9]
	v_fma_f64 v[3:4], v[8:9], s[0:1], v[3:4]
	s_mov_b64 s[0:1], 0
	v_cvt_u32_f64_e32 v3, v[3:4]
	s_branch .LBB134_1479
.LBB134_1477:
	s_mov_b64 s[0:1], -1
                                        ; implicit-def: $vgpr3
	s_branch .LBB134_1482
.LBB134_1478:
	s_mov_b64 s[0:1], -1
                                        ; implicit-def: $vgpr3
.LBB134_1479:
	s_andn2_b64 vcc, exec, s[0:1]
	s_cbranch_vccnz .LBB134_1481
; %bb.1480:
	global_load_dword v3, v[5:6], off
	s_mov_b32 s0, 0x2f800000
	s_waitcnt vmcnt(0)
	v_trunc_f32_e32 v3, v3
	v_mul_f32_e64 v4, |v3|, s0
	v_floor_f32_e32 v4, v4
	s_mov_b32 s0, 0xcf800000
	v_fma_f32 v4, v4, s0, |v3|
	v_cvt_u32_f32_e32 v4, v4
	v_ashrrev_i32_e32 v3, 31, v3
	v_xor_b32_e32 v4, v4, v3
	v_sub_u32_e32 v3, v4, v3
.LBB134_1481:
	s_mov_b64 s[0:1], 0
.LBB134_1482:
	s_andn2_b64 vcc, exec, s[0:1]
	s_cbranch_vccnz .LBB134_1484
; %bb.1483:
	global_load_ushort v3, v[5:6], off
	s_waitcnt vmcnt(0)
	v_cvt_f32_f16_e32 v3, v3
	v_cvt_i32_f32_e32 v3, v3
.LBB134_1484:
	s_mov_b64 s[0:1], 0
.LBB134_1485:
	s_andn2_b64 vcc, exec, s[0:1]
	s_cbranch_vccnz .LBB134_1505
; %bb.1486:
	s_cmp_lt_i32 s3, 2
	s_cbranch_scc1 .LBB134_1490
; %bb.1487:
	s_cmp_lt_i32 s3, 3
	s_cbranch_scc1 .LBB134_1491
; %bb.1488:
	s_cmp_gt_i32 s3, 3
	s_cbranch_scc0 .LBB134_1492
; %bb.1489:
	global_load_dwordx2 v[3:4], v[5:6], off
	s_mov_b64 s[0:1], 0
	s_branch .LBB134_1493
.LBB134_1490:
	s_mov_b64 s[0:1], -1
                                        ; implicit-def: $vgpr3
	s_branch .LBB134_1499
.LBB134_1491:
	s_mov_b64 s[0:1], -1
                                        ; implicit-def: $vgpr3
	s_branch .LBB134_1496
.LBB134_1492:
	s_mov_b64 s[0:1], -1
                                        ; implicit-def: $vgpr3
.LBB134_1493:
	s_andn2_b64 vcc, exec, s[0:1]
	s_cbranch_vccnz .LBB134_1495
; %bb.1494:
	global_load_dword v3, v[5:6], off
.LBB134_1495:
	s_mov_b64 s[0:1], 0
.LBB134_1496:
	s_andn2_b64 vcc, exec, s[0:1]
	s_cbranch_vccnz .LBB134_1498
; %bb.1497:
	global_load_ushort v3, v[5:6], off
.LBB134_1498:
	s_mov_b64 s[0:1], 0
.LBB134_1499:
	s_andn2_b64 vcc, exec, s[0:1]
	s_cbranch_vccnz .LBB134_1505
; %bb.1500:
	s_cmp_gt_i32 s3, 0
	s_cbranch_scc0 .LBB134_1502
; %bb.1501:
	global_load_ubyte v3, v[5:6], off
	s_mov_b64 s[0:1], 0
	s_branch .LBB134_1503
.LBB134_1502:
	s_mov_b64 s[0:1], -1
                                        ; implicit-def: $vgpr3
.LBB134_1503:
	s_andn2_b64 vcc, exec, s[0:1]
	s_cbranch_vccnz .LBB134_1505
; %bb.1504:
	global_load_ubyte v3, v[5:6], off
.LBB134_1505:
	s_mov_b64 s[12:13], -1
.LBB134_1506:
	s_andn2_b64 vcc, exec, s[12:13]
	s_cbranch_vccnz .LBB134_1940
; %bb.1507:
	v_mul_lo_u32 v6, s2, v7
	s_and_b32 s23, s44, 0xff
	s_cmp_gt_u32 s23, 7
	v_lshrrev_b16_sdwa v0, s23, v0 dst_sel:DWORD dst_unused:UNUSED_PAD src0_sel:DWORD src1_sel:BYTE_0
	s_cselect_b64 s[10:11], -1, 0
	v_ashrrev_i32_e32 v5, 31, v6
	v_mov_b32_e32 v7, s9
	s_and_b32 s22, s33, 0xff
	s_waitcnt vmcnt(0)
	v_add_co_u32_e32 v4, vcc, s8, v6
	v_cndmask_b32_e64 v0, v0, 0, s[10:11]
	s_cmp_lt_i32 s22, 11
	v_addc_co_u32_e32 v5, vcc, v7, v5, vcc
	s_cbranch_scc1 .LBB134_1585
; %bb.1508:
	s_and_b32 s3, 0xffff, s22
	s_mov_b64 s[18:19], -1
	s_mov_b64 s[12:13], 0
	s_cmp_gt_i32 s3, 25
	s_mov_b64 s[16:17], 0
	s_mov_b64 s[0:1], 0
	s_cbranch_scc0 .LBB134_1541
; %bb.1509:
	s_cmp_gt_i32 s3, 28
	s_cbranch_scc0 .LBB134_1524
; %bb.1510:
	s_cmp_gt_i32 s3, 43
	;; [unrolled: 3-line block ×3, first 2 shown]
	s_cbranch_scc0 .LBB134_1514
; %bb.1512:
	s_mov_b64 s[0:1], -1
	s_mov_b64 s[18:19], 0
	s_cmp_eq_u32 s3, 46
	s_cbranch_scc0 .LBB134_1514
; %bb.1513:
	v_cvt_f32_ubyte0_e32 v7, v0
	v_bfe_u32 v8, v7, 16, 1
	s_movk_i32 s0, 0x7fff
	v_add3_u32 v7, v7, v8, s0
	v_lshrrev_b32_e32 v7, 16, v7
	global_store_dword v[4:5], v7, off
	s_mov_b64 s[0:1], 0
	s_mov_b64 s[16:17], -1
.LBB134_1514:
	s_and_b64 vcc, exec, s[18:19]
	s_cbranch_vccz .LBB134_1519
; %bb.1515:
	s_cmp_eq_u32 s3, 44
	s_mov_b64 s[0:1], -1
	s_cbranch_scc0 .LBB134_1519
; %bb.1516:
	v_cvt_f32_ubyte0_e32 v8, v0
	v_lshrrev_b32_e32 v7, 23, v8
	s_movk_i32 s0, 0xff
	v_cmp_ne_u32_e32 vcc, s0, v7
	v_mov_b32_e32 v9, 0xff
	s_and_saveexec_b64 s[16:17], vcc
; %bb.1517:
	s_mov_b32 s0, 0x3fffff
	v_and_b32_e32 v9, 0x400000, v8
	v_and_or_b32 v8, v8, s0, v7
	v_cmp_ne_u32_e32 vcc, 0, v9
	v_cmp_ne_u32_e64 s[0:1], 0, v8
	s_and_b64 s[0:1], vcc, s[0:1]
	v_cndmask_b32_e64 v8, 0, 1, s[0:1]
	v_add_u32_e32 v9, v7, v8
; %bb.1518:
	s_or_b64 exec, exec, s[16:17]
	s_mov_b64 s[0:1], 0
	s_mov_b64 s[16:17], -1
	global_store_byte v[4:5], v9, off
.LBB134_1519:
	s_mov_b64 s[18:19], 0
.LBB134_1520:
	s_and_b64 vcc, exec, s[18:19]
	s_cbranch_vccz .LBB134_1523
; %bb.1521:
	s_cmp_eq_u32 s3, 29
	s_mov_b64 s[0:1], -1
	s_cbranch_scc0 .LBB134_1523
; %bb.1522:
	s_mov_b32 s0, 0
	v_and_b32_e32 v7, 0xffff, v0
	v_mov_b32_e32 v8, s0
	global_store_dwordx2 v[4:5], v[7:8], off
	s_mov_b64 s[0:1], 0
	s_mov_b64 s[16:17], -1
.LBB134_1523:
	s_mov_b64 s[18:19], 0
.LBB134_1524:
	s_and_b64 vcc, exec, s[18:19]
	s_cbranch_vccz .LBB134_1540
; %bb.1525:
	s_cmp_lt_i32 s3, 27
	s_mov_b64 s[16:17], -1
	s_cbranch_scc1 .LBB134_1531
; %bb.1526:
	s_cmp_gt_i32 s3, 27
	s_cbranch_scc0 .LBB134_1528
; %bb.1527:
	v_and_b32_e32 v7, 0xffff, v0
	s_mov_b64 s[16:17], 0
	global_store_dword v[4:5], v7, off
.LBB134_1528:
	s_andn2_b64 vcc, exec, s[16:17]
	s_cbranch_vccnz .LBB134_1530
; %bb.1529:
	global_store_short v[4:5], v0, off
.LBB134_1530:
	s_mov_b64 s[16:17], 0
.LBB134_1531:
	s_andn2_b64 vcc, exec, s[16:17]
	s_cbranch_vccnz .LBB134_1539
; %bb.1532:
	v_cvt_f32_ubyte0_e32 v8, v0
	s_mov_b32 s16, 0x43800000
	v_cmp_gt_u32_e32 vcc, s16, v8
	v_mov_b32_e32 v9, 0x80
	s_and_saveexec_b64 s[16:17], vcc
	s_cbranch_execz .LBB134_1538
; %bb.1533:
	s_mov_b32 s18, 0x3bffffff
	v_cmp_lt_u32_e32 vcc, s18, v8
	s_mov_b64 s[18:19], 0
                                        ; implicit-def: $vgpr7
	s_and_saveexec_b64 s[20:21], vcc
	s_xor_b64 s[20:21], exec, s[20:21]
	s_cbranch_execz .LBB134_1987
; %bb.1534:
	v_bfe_u32 v7, v8, 20, 1
	s_mov_b32 s24, 0x487ffff
	v_add3_u32 v7, v8, v7, s24
	s_mov_b64 s[18:19], exec
	v_lshrrev_b32_e32 v7, 20, v7
                                        ; implicit-def: $vgpr8
	s_andn2_saveexec_b64 s[20:21], s[20:21]
	s_cbranch_execnz .LBB134_1988
.LBB134_1535:
	s_or_b64 exec, exec, s[20:21]
	v_mov_b32_e32 v9, 0
	s_and_saveexec_b64 s[20:21], s[18:19]
.LBB134_1536:
	v_mov_b32_e32 v9, v7
.LBB134_1537:
	s_or_b64 exec, exec, s[20:21]
.LBB134_1538:
	s_or_b64 exec, exec, s[16:17]
	global_store_byte v[4:5], v9, off
.LBB134_1539:
	s_mov_b64 s[16:17], -1
.LBB134_1540:
	s_mov_b64 s[18:19], 0
.LBB134_1541:
	s_and_b64 vcc, exec, s[18:19]
	s_cbranch_vccz .LBB134_1581
; %bb.1542:
	s_cmp_gt_i32 s3, 22
	s_mov_b64 s[12:13], -1
	s_cbranch_scc0 .LBB134_1574
; %bb.1543:
	s_cmp_lt_i32 s3, 24
	s_cbranch_scc1 .LBB134_1563
; %bb.1544:
	s_cmp_gt_i32 s3, 24
	s_cbranch_scc0 .LBB134_1552
; %bb.1545:
	v_cvt_f32_ubyte0_e32 v8, v0
	s_mov_b32 s12, 0x47800000
	v_cmp_gt_u32_e32 vcc, s12, v8
	v_mov_b32_e32 v9, 0x80
	s_and_saveexec_b64 s[12:13], vcc
	s_cbranch_execz .LBB134_1551
; %bb.1546:
	s_mov_b32 s16, 0x37ffffff
	v_cmp_lt_u32_e32 vcc, s16, v8
	s_mov_b64 s[16:17], 0
                                        ; implicit-def: $vgpr7
	s_and_saveexec_b64 s[18:19], vcc
	s_xor_b64 s[18:19], exec, s[18:19]
	s_cbranch_execz .LBB134_1990
; %bb.1547:
	v_bfe_u32 v7, v8, 21, 1
	s_mov_b32 s20, 0x88fffff
	v_add3_u32 v7, v8, v7, s20
	s_mov_b64 s[16:17], exec
	v_lshrrev_b32_e32 v7, 21, v7
                                        ; implicit-def: $vgpr8
	s_andn2_saveexec_b64 s[18:19], s[18:19]
	s_cbranch_execnz .LBB134_1991
.LBB134_1548:
	s_or_b64 exec, exec, s[18:19]
	v_mov_b32_e32 v9, 0
	s_and_saveexec_b64 s[18:19], s[16:17]
.LBB134_1549:
	v_mov_b32_e32 v9, v7
.LBB134_1550:
	s_or_b64 exec, exec, s[18:19]
.LBB134_1551:
	s_or_b64 exec, exec, s[12:13]
	s_mov_b64 s[12:13], 0
	global_store_byte v[4:5], v9, off
.LBB134_1552:
	s_and_b64 vcc, exec, s[12:13]
	s_cbranch_vccz .LBB134_1562
; %bb.1553:
	v_cvt_f32_ubyte0_e32 v7, v0
	s_mov_b32 s12, 0x43f00000
	v_cmp_gt_u32_e32 vcc, s12, v7
                                        ; implicit-def: $vgpr8
	s_and_saveexec_b64 s[12:13], vcc
	s_xor_b64 s[12:13], exec, s[12:13]
	s_cbranch_execz .LBB134_1559
; %bb.1554:
	s_mov_b32 s16, 0x3c7fffff
	v_cmp_lt_u32_e32 vcc, s16, v7
                                        ; implicit-def: $vgpr8
	s_and_saveexec_b64 s[16:17], vcc
	s_xor_b64 s[16:17], exec, s[16:17]
; %bb.1555:
	v_bfe_u32 v8, v7, 20, 1
	s_mov_b32 s18, 0x407ffff
	v_add3_u32 v7, v7, v8, s18
	v_lshrrev_b32_e32 v8, 20, v7
	v_and_b32_e32 v7, 0xff00000, v7
	s_mov_b32 s18, 0x7f00000
	v_mov_b32_e32 v9, 0x7e
	v_cmp_ne_u32_e32 vcc, s18, v7
	v_cndmask_b32_e32 v8, v9, v8, vcc
                                        ; implicit-def: $vgpr7
; %bb.1556:
	s_andn2_saveexec_b64 s[16:17], s[16:17]
; %bb.1557:
	v_add_f32_e32 v8, 0x46800000, v7
; %bb.1558:
	s_or_b64 exec, exec, s[16:17]
                                        ; implicit-def: $vgpr7
.LBB134_1559:
	s_andn2_saveexec_b64 s[12:13], s[12:13]
; %bb.1560:
	s_mov_b32 s16, 0x7f800000
	v_mov_b32_e32 v8, 0x7e
	v_mov_b32_e32 v9, 0x7f
	v_cmp_lt_u32_e32 vcc, s16, v7
	v_cndmask_b32_e32 v8, v8, v9, vcc
; %bb.1561:
	s_or_b64 exec, exec, s[12:13]
	global_store_byte v[4:5], v8, off
.LBB134_1562:
	s_mov_b64 s[12:13], 0
.LBB134_1563:
	s_andn2_b64 vcc, exec, s[12:13]
	s_cbranch_vccnz .LBB134_1573
; %bb.1564:
	v_cvt_f32_ubyte0_e32 v7, v0
	s_mov_b32 s12, 0x47800000
	v_cmp_gt_u32_e32 vcc, s12, v7
                                        ; implicit-def: $vgpr8
	s_and_saveexec_b64 s[12:13], vcc
	s_xor_b64 s[12:13], exec, s[12:13]
	s_cbranch_execz .LBB134_1570
; %bb.1565:
	s_mov_b32 s16, 0x387fffff
	v_cmp_lt_u32_e32 vcc, s16, v7
                                        ; implicit-def: $vgpr8
	s_and_saveexec_b64 s[16:17], vcc
	s_xor_b64 s[16:17], exec, s[16:17]
; %bb.1566:
	v_bfe_u32 v8, v7, 21, 1
	s_mov_b32 s18, 0x80fffff
	v_add3_u32 v7, v7, v8, s18
	v_lshrrev_b32_e32 v8, 21, v7
                                        ; implicit-def: $vgpr7
; %bb.1567:
	s_andn2_saveexec_b64 s[16:17], s[16:17]
; %bb.1568:
	v_add_f32_e32 v8, 0x43000000, v7
; %bb.1569:
	s_or_b64 exec, exec, s[16:17]
                                        ; implicit-def: $vgpr7
.LBB134_1570:
	s_andn2_saveexec_b64 s[12:13], s[12:13]
; %bb.1571:
	s_mov_b32 s16, 0x7f800000
	v_mov_b32_e32 v8, 0x7c
	v_mov_b32_e32 v9, 0x7f
	v_cmp_lt_u32_e32 vcc, s16, v7
	v_cndmask_b32_e32 v8, v8, v9, vcc
; %bb.1572:
	s_or_b64 exec, exec, s[12:13]
	global_store_byte v[4:5], v8, off
.LBB134_1573:
	s_mov_b64 s[12:13], 0
	s_mov_b64 s[16:17], -1
.LBB134_1574:
	s_andn2_b64 vcc, exec, s[12:13]
	s_mov_b64 s[12:13], 0
	s_cbranch_vccnz .LBB134_1581
; %bb.1575:
	s_cmp_gt_i32 s3, 14
	s_mov_b64 s[18:19], -1
	s_cbranch_scc0 .LBB134_1579
; %bb.1576:
	s_cmp_eq_u32 s3, 15
	s_mov_b64 s[0:1], -1
	s_cbranch_scc0 .LBB134_1578
; %bb.1577:
	v_cvt_f32_ubyte0_e32 v7, v0
	v_bfe_u32 v8, v7, 16, 1
	s_movk_i32 s0, 0x7fff
	v_add3_u32 v7, v7, v8, s0
	global_store_short_d16_hi v[4:5], v7, off
	s_mov_b64 s[0:1], 0
	s_mov_b64 s[16:17], -1
.LBB134_1578:
	s_mov_b64 s[18:19], 0
.LBB134_1579:
	s_and_b64 vcc, exec, s[18:19]
	s_cbranch_vccz .LBB134_1581
; %bb.1580:
	s_cmp_lg_u32 s3, 11
	s_mov_b64 s[12:13], -1
	s_cselect_b64 s[0:1], -1, 0
.LBB134_1581:
	s_and_b64 vcc, exec, s[0:1]
	s_cbranch_vccnz .LBB134_1989
; %bb.1582:
	s_andn2_b64 vcc, exec, s[12:13]
	s_cbranch_vccnz .LBB134_1584
.LBB134_1583:
	v_cmp_ne_u16_e32 vcc, 0, v0
	v_cndmask_b32_e64 v7, 0, 1, vcc
	s_mov_b64 s[16:17], -1
	global_store_byte v[4:5], v7, off
.LBB134_1584:
	s_mov_b64 s[0:1], 0
	s_branch .LBB134_1586
.LBB134_1585:
	s_mov_b64 s[0:1], -1
	s_mov_b64 s[16:17], 0
.LBB134_1586:
	s_and_b64 vcc, exec, s[0:1]
	s_cbranch_vccz .LBB134_1625
; %bb.1587:
	s_and_b32 s3, 0xffff, s22
	s_cmp_lt_i32 s3, 5
	s_mov_b64 s[0:1], -1
	s_cbranch_scc1 .LBB134_1608
; %bb.1588:
	s_cmp_lt_i32 s3, 8
	s_cbranch_scc1 .LBB134_1598
; %bb.1589:
	s_cmp_lt_i32 s3, 9
	s_cbranch_scc1 .LBB134_1595
; %bb.1590:
	s_cmp_gt_i32 s3, 9
	s_cbranch_scc0 .LBB134_1592
; %bb.1591:
	v_and_b32_e32 v7, 0xffff, v0
	v_cvt_f64_u32_e32 v[7:8], v7
	v_mov_b32_e32 v9, 0
	v_mov_b32_e32 v10, v9
	s_mov_b64 s[0:1], 0
	global_store_dwordx4 v[4:5], v[7:10], off
.LBB134_1592:
	s_andn2_b64 vcc, exec, s[0:1]
	s_cbranch_vccnz .LBB134_1594
; %bb.1593:
	v_cvt_f32_ubyte0_e32 v7, v0
	v_mov_b32_e32 v8, 0
	global_store_dwordx2 v[4:5], v[7:8], off
.LBB134_1594:
	s_mov_b64 s[0:1], 0
.LBB134_1595:
	s_andn2_b64 vcc, exec, s[0:1]
	s_cbranch_vccnz .LBB134_1597
; %bb.1596:
	v_cvt_f16_u16_e32 v7, v0
	global_store_dword v[4:5], v7, off
.LBB134_1597:
	s_mov_b64 s[0:1], 0
.LBB134_1598:
	s_andn2_b64 vcc, exec, s[0:1]
	s_cbranch_vccnz .LBB134_1607
; %bb.1599:
	s_cmp_lt_i32 s3, 6
	s_mov_b64 s[0:1], -1
	s_cbranch_scc1 .LBB134_1605
; %bb.1600:
	s_cmp_gt_i32 s3, 6
	s_cbranch_scc0 .LBB134_1602
; %bb.1601:
	v_and_b32_e32 v7, 0xffff, v0
	v_cvt_f64_u32_e32 v[7:8], v7
	s_mov_b64 s[0:1], 0
	global_store_dwordx2 v[4:5], v[7:8], off
.LBB134_1602:
	s_andn2_b64 vcc, exec, s[0:1]
	s_cbranch_vccnz .LBB134_1604
; %bb.1603:
	v_cvt_f32_ubyte0_e32 v7, v0
	global_store_dword v[4:5], v7, off
.LBB134_1604:
	s_mov_b64 s[0:1], 0
.LBB134_1605:
	s_andn2_b64 vcc, exec, s[0:1]
	s_cbranch_vccnz .LBB134_1607
; %bb.1606:
	v_cvt_f16_u16_e32 v7, v0
	global_store_short v[4:5], v7, off
.LBB134_1607:
	s_mov_b64 s[0:1], 0
.LBB134_1608:
	s_andn2_b64 vcc, exec, s[0:1]
	s_cbranch_vccnz .LBB134_1624
; %bb.1609:
	s_cmp_lt_i32 s3, 2
	s_mov_b64 s[0:1], -1
	s_cbranch_scc1 .LBB134_1619
; %bb.1610:
	s_cmp_lt_i32 s3, 3
	s_cbranch_scc1 .LBB134_1616
; %bb.1611:
	s_cmp_gt_i32 s3, 3
	s_cbranch_scc0 .LBB134_1613
; %bb.1612:
	s_mov_b32 s0, 0
	v_and_b32_e32 v7, 0xffff, v0
	v_mov_b32_e32 v8, s0
	global_store_dwordx2 v[4:5], v[7:8], off
	s_mov_b64 s[0:1], 0
.LBB134_1613:
	s_andn2_b64 vcc, exec, s[0:1]
	s_cbranch_vccnz .LBB134_1615
; %bb.1614:
	v_and_b32_e32 v7, 0xffff, v0
	global_store_dword v[4:5], v7, off
.LBB134_1615:
	s_mov_b64 s[0:1], 0
.LBB134_1616:
	s_andn2_b64 vcc, exec, s[0:1]
	s_cbranch_vccnz .LBB134_1618
; %bb.1617:
	global_store_short v[4:5], v0, off
.LBB134_1618:
	s_mov_b64 s[0:1], 0
.LBB134_1619:
	s_andn2_b64 vcc, exec, s[0:1]
	s_cbranch_vccnz .LBB134_1624
; %bb.1620:
	s_cmp_gt_i32 s3, 0
	s_mov_b64 s[0:1], -1
	s_cbranch_scc0 .LBB134_1622
; %bb.1621:
	global_store_byte v[4:5], v0, off
	s_mov_b64 s[0:1], 0
.LBB134_1622:
	s_andn2_b64 vcc, exec, s[0:1]
	s_cbranch_vccnz .LBB134_1624
; %bb.1623:
	global_store_byte v[4:5], v0, off
.LBB134_1624:
	s_mov_b64 s[16:17], -1
.LBB134_1625:
	s_andn2_b64 vcc, exec, s[16:17]
	s_cbranch_vccnz .LBB134_1940
; %bb.1626:
	s_lshl_b32 s20, s2, 7
	v_lshrrev_b16_sdwa v0, s23, v1 dst_sel:DWORD dst_unused:UNUSED_PAD src0_sel:DWORD src1_sel:BYTE_0
	v_add_u32_e32 v4, s20, v6
	v_cndmask_b32_e64 v5, v0, 0, s[10:11]
	v_ashrrev_i32_e32 v1, 31, v4
	v_mov_b32_e32 v6, s9
	v_add_co_u32_e32 v0, vcc, s8, v4
	s_cmp_lt_i32 s22, 11
	v_addc_co_u32_e32 v1, vcc, v6, v1, vcc
	s_cbranch_scc1 .LBB134_1704
; %bb.1627:
	s_and_b32 s21, 0xffff, s22
	s_mov_b64 s[16:17], -1
	s_mov_b64 s[2:3], 0
	s_cmp_gt_i32 s21, 25
	s_mov_b64 s[12:13], 0
	s_mov_b64 s[0:1], 0
	s_cbranch_scc0 .LBB134_1660
; %bb.1628:
	s_cmp_gt_i32 s21, 28
	s_cbranch_scc0 .LBB134_1643
; %bb.1629:
	s_cmp_gt_i32 s21, 43
	;; [unrolled: 3-line block ×3, first 2 shown]
	s_cbranch_scc0 .LBB134_1633
; %bb.1631:
	s_mov_b64 s[0:1], -1
	s_mov_b64 s[16:17], 0
	s_cmp_eq_u32 s21, 46
	s_cbranch_scc0 .LBB134_1633
; %bb.1632:
	v_cvt_f32_ubyte0_e32 v6, v5
	v_bfe_u32 v7, v6, 16, 1
	s_movk_i32 s0, 0x7fff
	v_add3_u32 v6, v6, v7, s0
	v_lshrrev_b32_e32 v6, 16, v6
	global_store_dword v[0:1], v6, off
	s_mov_b64 s[0:1], 0
	s_mov_b64 s[12:13], -1
.LBB134_1633:
	s_and_b64 vcc, exec, s[16:17]
	s_cbranch_vccz .LBB134_1638
; %bb.1634:
	s_cmp_eq_u32 s21, 44
	s_mov_b64 s[0:1], -1
	s_cbranch_scc0 .LBB134_1638
; %bb.1635:
	v_cvt_f32_ubyte0_e32 v7, v5
	v_lshrrev_b32_e32 v6, 23, v7
	s_movk_i32 s0, 0xff
	v_cmp_ne_u32_e32 vcc, s0, v6
	v_mov_b32_e32 v8, 0xff
	s_and_saveexec_b64 s[12:13], vcc
; %bb.1636:
	s_mov_b32 s0, 0x3fffff
	v_and_b32_e32 v8, 0x400000, v7
	v_and_or_b32 v7, v7, s0, v6
	v_cmp_ne_u32_e32 vcc, 0, v8
	v_cmp_ne_u32_e64 s[0:1], 0, v7
	s_and_b64 s[0:1], vcc, s[0:1]
	v_cndmask_b32_e64 v7, 0, 1, s[0:1]
	v_add_u32_e32 v8, v6, v7
; %bb.1637:
	s_or_b64 exec, exec, s[12:13]
	s_mov_b64 s[0:1], 0
	s_mov_b64 s[12:13], -1
	global_store_byte v[0:1], v8, off
.LBB134_1638:
	s_mov_b64 s[16:17], 0
.LBB134_1639:
	s_and_b64 vcc, exec, s[16:17]
	s_cbranch_vccz .LBB134_1642
; %bb.1640:
	s_cmp_eq_u32 s21, 29
	s_mov_b64 s[0:1], -1
	s_cbranch_scc0 .LBB134_1642
; %bb.1641:
	s_mov_b32 s0, 0
	v_and_b32_e32 v6, 0xffff, v5
	v_mov_b32_e32 v7, s0
	global_store_dwordx2 v[0:1], v[6:7], off
	s_mov_b64 s[0:1], 0
	s_mov_b64 s[12:13], -1
.LBB134_1642:
	s_mov_b64 s[16:17], 0
.LBB134_1643:
	s_and_b64 vcc, exec, s[16:17]
	s_cbranch_vccz .LBB134_1659
; %bb.1644:
	s_cmp_lt_i32 s21, 27
	s_mov_b64 s[12:13], -1
	s_cbranch_scc1 .LBB134_1650
; %bb.1645:
	s_cmp_gt_i32 s21, 27
	s_cbranch_scc0 .LBB134_1647
; %bb.1646:
	v_and_b32_e32 v6, 0xffff, v5
	s_mov_b64 s[12:13], 0
	global_store_dword v[0:1], v6, off
.LBB134_1647:
	s_andn2_b64 vcc, exec, s[12:13]
	s_cbranch_vccnz .LBB134_1649
; %bb.1648:
	global_store_short v[0:1], v5, off
.LBB134_1649:
	s_mov_b64 s[12:13], 0
.LBB134_1650:
	s_andn2_b64 vcc, exec, s[12:13]
	s_cbranch_vccnz .LBB134_1658
; %bb.1651:
	v_cvt_f32_ubyte0_e32 v7, v5
	s_mov_b32 s12, 0x43800000
	v_cmp_gt_u32_e32 vcc, s12, v7
	v_mov_b32_e32 v8, 0x80
	s_and_saveexec_b64 s[12:13], vcc
	s_cbranch_execz .LBB134_1657
; %bb.1652:
	s_mov_b32 s16, 0x3bffffff
	v_cmp_lt_u32_e32 vcc, s16, v7
	s_mov_b64 s[16:17], 0
                                        ; implicit-def: $vgpr6
	s_and_saveexec_b64 s[18:19], vcc
	s_xor_b64 s[18:19], exec, s[18:19]
	s_cbranch_execz .LBB134_1992
; %bb.1653:
	v_bfe_u32 v6, v7, 20, 1
	s_mov_b32 s24, 0x487ffff
	v_add3_u32 v6, v7, v6, s24
	s_mov_b64 s[16:17], exec
	v_lshrrev_b32_e32 v6, 20, v6
                                        ; implicit-def: $vgpr7
	s_andn2_saveexec_b64 s[18:19], s[18:19]
	s_cbranch_execnz .LBB134_1993
.LBB134_1654:
	s_or_b64 exec, exec, s[18:19]
	v_mov_b32_e32 v8, 0
	s_and_saveexec_b64 s[18:19], s[16:17]
.LBB134_1655:
	v_mov_b32_e32 v8, v6
.LBB134_1656:
	s_or_b64 exec, exec, s[18:19]
.LBB134_1657:
	s_or_b64 exec, exec, s[12:13]
	global_store_byte v[0:1], v8, off
.LBB134_1658:
	s_mov_b64 s[12:13], -1
.LBB134_1659:
	s_mov_b64 s[16:17], 0
.LBB134_1660:
	s_and_b64 vcc, exec, s[16:17]
	s_cbranch_vccz .LBB134_1700
; %bb.1661:
	s_cmp_gt_i32 s21, 22
	s_mov_b64 s[2:3], -1
	s_cbranch_scc0 .LBB134_1693
; %bb.1662:
	s_cmp_lt_i32 s21, 24
	s_cbranch_scc1 .LBB134_1682
; %bb.1663:
	s_cmp_gt_i32 s21, 24
	s_cbranch_scc0 .LBB134_1671
; %bb.1664:
	v_cvt_f32_ubyte0_e32 v7, v5
	s_mov_b32 s2, 0x47800000
	v_cmp_gt_u32_e32 vcc, s2, v7
	v_mov_b32_e32 v8, 0x80
	s_and_saveexec_b64 s[2:3], vcc
	s_cbranch_execz .LBB134_1670
; %bb.1665:
	s_mov_b32 s12, 0x37ffffff
	v_cmp_lt_u32_e32 vcc, s12, v7
	s_mov_b64 s[12:13], 0
                                        ; implicit-def: $vgpr6
	s_and_saveexec_b64 s[16:17], vcc
	s_xor_b64 s[16:17], exec, s[16:17]
	s_cbranch_execz .LBB134_1995
; %bb.1666:
	v_bfe_u32 v6, v7, 21, 1
	s_mov_b32 s18, 0x88fffff
	v_add3_u32 v6, v7, v6, s18
	s_mov_b64 s[12:13], exec
	v_lshrrev_b32_e32 v6, 21, v6
                                        ; implicit-def: $vgpr7
	s_andn2_saveexec_b64 s[16:17], s[16:17]
	s_cbranch_execnz .LBB134_1996
.LBB134_1667:
	s_or_b64 exec, exec, s[16:17]
	v_mov_b32_e32 v8, 0
	s_and_saveexec_b64 s[16:17], s[12:13]
.LBB134_1668:
	v_mov_b32_e32 v8, v6
.LBB134_1669:
	s_or_b64 exec, exec, s[16:17]
.LBB134_1670:
	s_or_b64 exec, exec, s[2:3]
	s_mov_b64 s[2:3], 0
	global_store_byte v[0:1], v8, off
.LBB134_1671:
	s_and_b64 vcc, exec, s[2:3]
	s_cbranch_vccz .LBB134_1681
; %bb.1672:
	v_cvt_f32_ubyte0_e32 v6, v5
	s_mov_b32 s2, 0x43f00000
	v_cmp_gt_u32_e32 vcc, s2, v6
                                        ; implicit-def: $vgpr7
	s_and_saveexec_b64 s[2:3], vcc
	s_xor_b64 s[2:3], exec, s[2:3]
	s_cbranch_execz .LBB134_1678
; %bb.1673:
	s_mov_b32 s12, 0x3c7fffff
	v_cmp_lt_u32_e32 vcc, s12, v6
                                        ; implicit-def: $vgpr7
	s_and_saveexec_b64 s[12:13], vcc
	s_xor_b64 s[12:13], exec, s[12:13]
; %bb.1674:
	v_bfe_u32 v7, v6, 20, 1
	s_mov_b32 s16, 0x407ffff
	v_add3_u32 v6, v6, v7, s16
	v_lshrrev_b32_e32 v7, 20, v6
	v_and_b32_e32 v6, 0xff00000, v6
	s_mov_b32 s16, 0x7f00000
	v_mov_b32_e32 v8, 0x7e
	v_cmp_ne_u32_e32 vcc, s16, v6
	v_cndmask_b32_e32 v7, v8, v7, vcc
                                        ; implicit-def: $vgpr6
; %bb.1675:
	s_andn2_saveexec_b64 s[12:13], s[12:13]
; %bb.1676:
	v_add_f32_e32 v7, 0x46800000, v6
; %bb.1677:
	s_or_b64 exec, exec, s[12:13]
                                        ; implicit-def: $vgpr6
.LBB134_1678:
	s_andn2_saveexec_b64 s[2:3], s[2:3]
; %bb.1679:
	s_mov_b32 s12, 0x7f800000
	v_mov_b32_e32 v7, 0x7e
	v_mov_b32_e32 v8, 0x7f
	v_cmp_lt_u32_e32 vcc, s12, v6
	v_cndmask_b32_e32 v7, v7, v8, vcc
; %bb.1680:
	s_or_b64 exec, exec, s[2:3]
	global_store_byte v[0:1], v7, off
.LBB134_1681:
	s_mov_b64 s[2:3], 0
.LBB134_1682:
	s_andn2_b64 vcc, exec, s[2:3]
	s_cbranch_vccnz .LBB134_1692
; %bb.1683:
	v_cvt_f32_ubyte0_e32 v6, v5
	s_mov_b32 s2, 0x47800000
	v_cmp_gt_u32_e32 vcc, s2, v6
                                        ; implicit-def: $vgpr7
	s_and_saveexec_b64 s[2:3], vcc
	s_xor_b64 s[2:3], exec, s[2:3]
	s_cbranch_execz .LBB134_1689
; %bb.1684:
	s_mov_b32 s12, 0x387fffff
	v_cmp_lt_u32_e32 vcc, s12, v6
                                        ; implicit-def: $vgpr7
	s_and_saveexec_b64 s[12:13], vcc
	s_xor_b64 s[12:13], exec, s[12:13]
; %bb.1685:
	v_bfe_u32 v7, v6, 21, 1
	s_mov_b32 s16, 0x80fffff
	v_add3_u32 v6, v6, v7, s16
	v_lshrrev_b32_e32 v7, 21, v6
                                        ; implicit-def: $vgpr6
; %bb.1686:
	s_andn2_saveexec_b64 s[12:13], s[12:13]
; %bb.1687:
	v_add_f32_e32 v7, 0x43000000, v6
; %bb.1688:
	s_or_b64 exec, exec, s[12:13]
                                        ; implicit-def: $vgpr6
.LBB134_1689:
	s_andn2_saveexec_b64 s[2:3], s[2:3]
; %bb.1690:
	s_mov_b32 s12, 0x7f800000
	v_mov_b32_e32 v7, 0x7c
	v_mov_b32_e32 v8, 0x7f
	v_cmp_lt_u32_e32 vcc, s12, v6
	v_cndmask_b32_e32 v7, v7, v8, vcc
; %bb.1691:
	s_or_b64 exec, exec, s[2:3]
	global_store_byte v[0:1], v7, off
.LBB134_1692:
	s_mov_b64 s[2:3], 0
	s_mov_b64 s[12:13], -1
.LBB134_1693:
	s_andn2_b64 vcc, exec, s[2:3]
	s_mov_b64 s[2:3], 0
	s_cbranch_vccnz .LBB134_1700
; %bb.1694:
	s_cmp_gt_i32 s21, 14
	s_mov_b64 s[16:17], -1
	s_cbranch_scc0 .LBB134_1698
; %bb.1695:
	s_cmp_eq_u32 s21, 15
	s_mov_b64 s[0:1], -1
	s_cbranch_scc0 .LBB134_1697
; %bb.1696:
	v_cvt_f32_ubyte0_e32 v6, v5
	v_bfe_u32 v7, v6, 16, 1
	s_movk_i32 s0, 0x7fff
	v_add3_u32 v6, v6, v7, s0
	global_store_short_d16_hi v[0:1], v6, off
	s_mov_b64 s[0:1], 0
	s_mov_b64 s[12:13], -1
.LBB134_1697:
	s_mov_b64 s[16:17], 0
.LBB134_1698:
	s_and_b64 vcc, exec, s[16:17]
	s_cbranch_vccz .LBB134_1700
; %bb.1699:
	s_cmp_lg_u32 s21, 11
	s_mov_b64 s[2:3], -1
	s_cselect_b64 s[0:1], -1, 0
.LBB134_1700:
	s_and_b64 vcc, exec, s[0:1]
	s_cbranch_vccnz .LBB134_1994
; %bb.1701:
	s_andn2_b64 vcc, exec, s[2:3]
	s_cbranch_vccnz .LBB134_1703
.LBB134_1702:
	v_cmp_ne_u16_e32 vcc, 0, v5
	v_cndmask_b32_e64 v6, 0, 1, vcc
	s_mov_b64 s[12:13], -1
	global_store_byte v[0:1], v6, off
.LBB134_1703:
	s_mov_b64 s[0:1], 0
	s_branch .LBB134_1705
.LBB134_1704:
	s_mov_b64 s[0:1], -1
	s_mov_b64 s[12:13], 0
.LBB134_1705:
	s_and_b64 vcc, exec, s[0:1]
	s_cbranch_vccz .LBB134_1744
; %bb.1706:
	s_and_b32 s2, 0xffff, s22
	s_cmp_lt_i32 s2, 5
	s_mov_b64 s[0:1], -1
	s_cbranch_scc1 .LBB134_1727
; %bb.1707:
	s_cmp_lt_i32 s2, 8
	s_cbranch_scc1 .LBB134_1717
; %bb.1708:
	s_cmp_lt_i32 s2, 9
	s_cbranch_scc1 .LBB134_1714
; %bb.1709:
	s_cmp_gt_i32 s2, 9
	s_cbranch_scc0 .LBB134_1711
; %bb.1710:
	v_and_b32_e32 v6, 0xffff, v5
	v_cvt_f64_u32_e32 v[6:7], v6
	v_mov_b32_e32 v8, 0
	v_mov_b32_e32 v9, v8
	s_mov_b64 s[0:1], 0
	global_store_dwordx4 v[0:1], v[6:9], off
.LBB134_1711:
	s_andn2_b64 vcc, exec, s[0:1]
	s_cbranch_vccnz .LBB134_1713
; %bb.1712:
	v_cvt_f32_ubyte0_e32 v6, v5
	v_mov_b32_e32 v7, 0
	global_store_dwordx2 v[0:1], v[6:7], off
.LBB134_1713:
	s_mov_b64 s[0:1], 0
.LBB134_1714:
	s_andn2_b64 vcc, exec, s[0:1]
	s_cbranch_vccnz .LBB134_1716
; %bb.1715:
	v_cvt_f16_u16_e32 v6, v5
	global_store_dword v[0:1], v6, off
.LBB134_1716:
	s_mov_b64 s[0:1], 0
.LBB134_1717:
	s_andn2_b64 vcc, exec, s[0:1]
	s_cbranch_vccnz .LBB134_1726
; %bb.1718:
	s_cmp_lt_i32 s2, 6
	s_mov_b64 s[0:1], -1
	s_cbranch_scc1 .LBB134_1724
; %bb.1719:
	s_cmp_gt_i32 s2, 6
	s_cbranch_scc0 .LBB134_1721
; %bb.1720:
	v_and_b32_e32 v6, 0xffff, v5
	v_cvt_f64_u32_e32 v[6:7], v6
	s_mov_b64 s[0:1], 0
	global_store_dwordx2 v[0:1], v[6:7], off
.LBB134_1721:
	s_andn2_b64 vcc, exec, s[0:1]
	s_cbranch_vccnz .LBB134_1723
; %bb.1722:
	v_cvt_f32_ubyte0_e32 v6, v5
	global_store_dword v[0:1], v6, off
.LBB134_1723:
	s_mov_b64 s[0:1], 0
.LBB134_1724:
	s_andn2_b64 vcc, exec, s[0:1]
	s_cbranch_vccnz .LBB134_1726
; %bb.1725:
	v_cvt_f16_u16_e32 v6, v5
	global_store_short v[0:1], v6, off
.LBB134_1726:
	s_mov_b64 s[0:1], 0
.LBB134_1727:
	s_andn2_b64 vcc, exec, s[0:1]
	s_cbranch_vccnz .LBB134_1743
; %bb.1728:
	s_cmp_lt_i32 s2, 2
	s_mov_b64 s[0:1], -1
	s_cbranch_scc1 .LBB134_1738
; %bb.1729:
	s_cmp_lt_i32 s2, 3
	s_cbranch_scc1 .LBB134_1735
; %bb.1730:
	s_cmp_gt_i32 s2, 3
	s_cbranch_scc0 .LBB134_1732
; %bb.1731:
	s_mov_b32 s0, 0
	v_and_b32_e32 v6, 0xffff, v5
	v_mov_b32_e32 v7, s0
	global_store_dwordx2 v[0:1], v[6:7], off
	s_mov_b64 s[0:1], 0
.LBB134_1732:
	s_andn2_b64 vcc, exec, s[0:1]
	s_cbranch_vccnz .LBB134_1734
; %bb.1733:
	v_and_b32_e32 v6, 0xffff, v5
	global_store_dword v[0:1], v6, off
.LBB134_1734:
	s_mov_b64 s[0:1], 0
.LBB134_1735:
	s_andn2_b64 vcc, exec, s[0:1]
	s_cbranch_vccnz .LBB134_1737
; %bb.1736:
	global_store_short v[0:1], v5, off
.LBB134_1737:
	s_mov_b64 s[0:1], 0
.LBB134_1738:
	s_andn2_b64 vcc, exec, s[0:1]
	s_cbranch_vccnz .LBB134_1743
; %bb.1739:
	s_cmp_gt_i32 s2, 0
	s_mov_b64 s[0:1], -1
	s_cbranch_scc0 .LBB134_1741
; %bb.1740:
	global_store_byte v[0:1], v5, off
	s_mov_b64 s[0:1], 0
.LBB134_1741:
	s_andn2_b64 vcc, exec, s[0:1]
	s_cbranch_vccnz .LBB134_1743
; %bb.1742:
	global_store_byte v[0:1], v5, off
.LBB134_1743:
	s_mov_b64 s[12:13], -1
.LBB134_1744:
	s_andn2_b64 vcc, exec, s[12:13]
	s_cbranch_vccnz .LBB134_1940
; %bb.1745:
	v_lshrrev_b16_sdwa v0, s23, v2 dst_sel:DWORD dst_unused:UNUSED_PAD src0_sel:DWORD src1_sel:BYTE_0
	v_add_u32_e32 v4, s20, v4
	v_cndmask_b32_e64 v2, v0, 0, s[10:11]
	v_ashrrev_i32_e32 v1, 31, v4
	v_mov_b32_e32 v5, s9
	v_add_co_u32_e32 v0, vcc, s8, v4
	s_cmp_lt_i32 s22, 11
	v_addc_co_u32_e32 v1, vcc, v5, v1, vcc
	s_cbranch_scc1 .LBB134_1823
; %bb.1746:
	s_and_b32 s21, 0xffff, s22
	s_mov_b64 s[16:17], -1
	s_mov_b64 s[2:3], 0
	s_cmp_gt_i32 s21, 25
	s_mov_b64 s[12:13], 0
	s_mov_b64 s[0:1], 0
	s_cbranch_scc0 .LBB134_1779
; %bb.1747:
	s_cmp_gt_i32 s21, 28
	s_cbranch_scc0 .LBB134_1762
; %bb.1748:
	s_cmp_gt_i32 s21, 43
	;; [unrolled: 3-line block ×3, first 2 shown]
	s_cbranch_scc0 .LBB134_1752
; %bb.1750:
	s_mov_b64 s[0:1], -1
	s_mov_b64 s[16:17], 0
	s_cmp_eq_u32 s21, 46
	s_cbranch_scc0 .LBB134_1752
; %bb.1751:
	v_cvt_f32_ubyte0_e32 v5, v2
	v_bfe_u32 v6, v5, 16, 1
	s_movk_i32 s0, 0x7fff
	v_add3_u32 v5, v5, v6, s0
	v_lshrrev_b32_e32 v5, 16, v5
	global_store_dword v[0:1], v5, off
	s_mov_b64 s[0:1], 0
	s_mov_b64 s[12:13], -1
.LBB134_1752:
	s_and_b64 vcc, exec, s[16:17]
	s_cbranch_vccz .LBB134_1757
; %bb.1753:
	s_cmp_eq_u32 s21, 44
	s_mov_b64 s[0:1], -1
	s_cbranch_scc0 .LBB134_1757
; %bb.1754:
	v_cvt_f32_ubyte0_e32 v6, v2
	v_lshrrev_b32_e32 v5, 23, v6
	s_movk_i32 s0, 0xff
	v_cmp_ne_u32_e32 vcc, s0, v5
	v_mov_b32_e32 v7, 0xff
	s_and_saveexec_b64 s[12:13], vcc
; %bb.1755:
	s_mov_b32 s0, 0x3fffff
	v_and_b32_e32 v7, 0x400000, v6
	v_and_or_b32 v6, v6, s0, v5
	v_cmp_ne_u32_e32 vcc, 0, v7
	v_cmp_ne_u32_e64 s[0:1], 0, v6
	s_and_b64 s[0:1], vcc, s[0:1]
	v_cndmask_b32_e64 v6, 0, 1, s[0:1]
	v_add_u32_e32 v7, v5, v6
; %bb.1756:
	s_or_b64 exec, exec, s[12:13]
	s_mov_b64 s[0:1], 0
	s_mov_b64 s[12:13], -1
	global_store_byte v[0:1], v7, off
.LBB134_1757:
	s_mov_b64 s[16:17], 0
.LBB134_1758:
	s_and_b64 vcc, exec, s[16:17]
	s_cbranch_vccz .LBB134_1761
; %bb.1759:
	s_cmp_eq_u32 s21, 29
	s_mov_b64 s[0:1], -1
	s_cbranch_scc0 .LBB134_1761
; %bb.1760:
	s_mov_b32 s0, 0
	v_and_b32_e32 v5, 0xffff, v2
	v_mov_b32_e32 v6, s0
	global_store_dwordx2 v[0:1], v[5:6], off
	s_mov_b64 s[0:1], 0
	s_mov_b64 s[12:13], -1
.LBB134_1761:
	s_mov_b64 s[16:17], 0
.LBB134_1762:
	s_and_b64 vcc, exec, s[16:17]
	s_cbranch_vccz .LBB134_1778
; %bb.1763:
	s_cmp_lt_i32 s21, 27
	s_mov_b64 s[12:13], -1
	s_cbranch_scc1 .LBB134_1769
; %bb.1764:
	s_cmp_gt_i32 s21, 27
	s_cbranch_scc0 .LBB134_1766
; %bb.1765:
	v_and_b32_e32 v5, 0xffff, v2
	s_mov_b64 s[12:13], 0
	global_store_dword v[0:1], v5, off
.LBB134_1766:
	s_andn2_b64 vcc, exec, s[12:13]
	s_cbranch_vccnz .LBB134_1768
; %bb.1767:
	global_store_short v[0:1], v2, off
.LBB134_1768:
	s_mov_b64 s[12:13], 0
.LBB134_1769:
	s_andn2_b64 vcc, exec, s[12:13]
	s_cbranch_vccnz .LBB134_1777
; %bb.1770:
	v_cvt_f32_ubyte0_e32 v6, v2
	s_mov_b32 s12, 0x43800000
	v_cmp_gt_u32_e32 vcc, s12, v6
	v_mov_b32_e32 v7, 0x80
	s_and_saveexec_b64 s[12:13], vcc
	s_cbranch_execz .LBB134_1776
; %bb.1771:
	s_mov_b32 s16, 0x3bffffff
	v_cmp_lt_u32_e32 vcc, s16, v6
	s_mov_b64 s[16:17], 0
                                        ; implicit-def: $vgpr5
	s_and_saveexec_b64 s[18:19], vcc
	s_xor_b64 s[18:19], exec, s[18:19]
	s_cbranch_execz .LBB134_1997
; %bb.1772:
	v_bfe_u32 v5, v6, 20, 1
	s_mov_b32 s24, 0x487ffff
	v_add3_u32 v5, v6, v5, s24
	s_mov_b64 s[16:17], exec
	v_lshrrev_b32_e32 v5, 20, v5
                                        ; implicit-def: $vgpr6
	s_andn2_saveexec_b64 s[18:19], s[18:19]
	s_cbranch_execnz .LBB134_1998
.LBB134_1773:
	s_or_b64 exec, exec, s[18:19]
	v_mov_b32_e32 v7, 0
	s_and_saveexec_b64 s[18:19], s[16:17]
.LBB134_1774:
	v_mov_b32_e32 v7, v5
.LBB134_1775:
	s_or_b64 exec, exec, s[18:19]
.LBB134_1776:
	s_or_b64 exec, exec, s[12:13]
	global_store_byte v[0:1], v7, off
.LBB134_1777:
	s_mov_b64 s[12:13], -1
.LBB134_1778:
	s_mov_b64 s[16:17], 0
.LBB134_1779:
	s_and_b64 vcc, exec, s[16:17]
	s_cbranch_vccz .LBB134_1819
; %bb.1780:
	s_cmp_gt_i32 s21, 22
	s_mov_b64 s[2:3], -1
	s_cbranch_scc0 .LBB134_1812
; %bb.1781:
	s_cmp_lt_i32 s21, 24
	s_cbranch_scc1 .LBB134_1801
; %bb.1782:
	s_cmp_gt_i32 s21, 24
	s_cbranch_scc0 .LBB134_1790
; %bb.1783:
	v_cvt_f32_ubyte0_e32 v6, v2
	s_mov_b32 s2, 0x47800000
	v_cmp_gt_u32_e32 vcc, s2, v6
	v_mov_b32_e32 v7, 0x80
	s_and_saveexec_b64 s[2:3], vcc
	s_cbranch_execz .LBB134_1789
; %bb.1784:
	s_mov_b32 s12, 0x37ffffff
	v_cmp_lt_u32_e32 vcc, s12, v6
	s_mov_b64 s[12:13], 0
                                        ; implicit-def: $vgpr5
	s_and_saveexec_b64 s[16:17], vcc
	s_xor_b64 s[16:17], exec, s[16:17]
	s_cbranch_execz .LBB134_2000
; %bb.1785:
	v_bfe_u32 v5, v6, 21, 1
	s_mov_b32 s18, 0x88fffff
	v_add3_u32 v5, v6, v5, s18
	s_mov_b64 s[12:13], exec
	v_lshrrev_b32_e32 v5, 21, v5
                                        ; implicit-def: $vgpr6
	s_andn2_saveexec_b64 s[16:17], s[16:17]
	s_cbranch_execnz .LBB134_2001
.LBB134_1786:
	s_or_b64 exec, exec, s[16:17]
	v_mov_b32_e32 v7, 0
	s_and_saveexec_b64 s[16:17], s[12:13]
.LBB134_1787:
	v_mov_b32_e32 v7, v5
.LBB134_1788:
	s_or_b64 exec, exec, s[16:17]
.LBB134_1789:
	s_or_b64 exec, exec, s[2:3]
	s_mov_b64 s[2:3], 0
	global_store_byte v[0:1], v7, off
.LBB134_1790:
	s_and_b64 vcc, exec, s[2:3]
	s_cbranch_vccz .LBB134_1800
; %bb.1791:
	v_cvt_f32_ubyte0_e32 v5, v2
	s_mov_b32 s2, 0x43f00000
	v_cmp_gt_u32_e32 vcc, s2, v5
                                        ; implicit-def: $vgpr6
	s_and_saveexec_b64 s[2:3], vcc
	s_xor_b64 s[2:3], exec, s[2:3]
	s_cbranch_execz .LBB134_1797
; %bb.1792:
	s_mov_b32 s12, 0x3c7fffff
	v_cmp_lt_u32_e32 vcc, s12, v5
                                        ; implicit-def: $vgpr6
	s_and_saveexec_b64 s[12:13], vcc
	s_xor_b64 s[12:13], exec, s[12:13]
; %bb.1793:
	v_bfe_u32 v6, v5, 20, 1
	s_mov_b32 s16, 0x407ffff
	v_add3_u32 v5, v5, v6, s16
	v_lshrrev_b32_e32 v6, 20, v5
	v_and_b32_e32 v5, 0xff00000, v5
	s_mov_b32 s16, 0x7f00000
	v_mov_b32_e32 v7, 0x7e
	v_cmp_ne_u32_e32 vcc, s16, v5
	v_cndmask_b32_e32 v6, v7, v6, vcc
                                        ; implicit-def: $vgpr5
; %bb.1794:
	s_andn2_saveexec_b64 s[12:13], s[12:13]
; %bb.1795:
	v_add_f32_e32 v6, 0x46800000, v5
; %bb.1796:
	s_or_b64 exec, exec, s[12:13]
                                        ; implicit-def: $vgpr5
.LBB134_1797:
	s_andn2_saveexec_b64 s[2:3], s[2:3]
; %bb.1798:
	s_mov_b32 s12, 0x7f800000
	v_mov_b32_e32 v6, 0x7e
	v_mov_b32_e32 v7, 0x7f
	v_cmp_lt_u32_e32 vcc, s12, v5
	v_cndmask_b32_e32 v6, v6, v7, vcc
; %bb.1799:
	s_or_b64 exec, exec, s[2:3]
	global_store_byte v[0:1], v6, off
.LBB134_1800:
	s_mov_b64 s[2:3], 0
.LBB134_1801:
	s_andn2_b64 vcc, exec, s[2:3]
	s_cbranch_vccnz .LBB134_1811
; %bb.1802:
	v_cvt_f32_ubyte0_e32 v5, v2
	s_mov_b32 s2, 0x47800000
	v_cmp_gt_u32_e32 vcc, s2, v5
                                        ; implicit-def: $vgpr6
	s_and_saveexec_b64 s[2:3], vcc
	s_xor_b64 s[2:3], exec, s[2:3]
	s_cbranch_execz .LBB134_1808
; %bb.1803:
	s_mov_b32 s12, 0x387fffff
	v_cmp_lt_u32_e32 vcc, s12, v5
                                        ; implicit-def: $vgpr6
	s_and_saveexec_b64 s[12:13], vcc
	s_xor_b64 s[12:13], exec, s[12:13]
; %bb.1804:
	v_bfe_u32 v6, v5, 21, 1
	s_mov_b32 s16, 0x80fffff
	v_add3_u32 v5, v5, v6, s16
	v_lshrrev_b32_e32 v6, 21, v5
                                        ; implicit-def: $vgpr5
; %bb.1805:
	s_andn2_saveexec_b64 s[12:13], s[12:13]
; %bb.1806:
	v_add_f32_e32 v6, 0x43000000, v5
; %bb.1807:
	s_or_b64 exec, exec, s[12:13]
                                        ; implicit-def: $vgpr5
.LBB134_1808:
	s_andn2_saveexec_b64 s[2:3], s[2:3]
; %bb.1809:
	s_mov_b32 s12, 0x7f800000
	v_mov_b32_e32 v6, 0x7c
	v_mov_b32_e32 v7, 0x7f
	v_cmp_lt_u32_e32 vcc, s12, v5
	v_cndmask_b32_e32 v6, v6, v7, vcc
; %bb.1810:
	s_or_b64 exec, exec, s[2:3]
	global_store_byte v[0:1], v6, off
.LBB134_1811:
	s_mov_b64 s[2:3], 0
	s_mov_b64 s[12:13], -1
.LBB134_1812:
	s_andn2_b64 vcc, exec, s[2:3]
	s_mov_b64 s[2:3], 0
	s_cbranch_vccnz .LBB134_1819
; %bb.1813:
	s_cmp_gt_i32 s21, 14
	s_mov_b64 s[16:17], -1
	s_cbranch_scc0 .LBB134_1817
; %bb.1814:
	s_cmp_eq_u32 s21, 15
	s_mov_b64 s[0:1], -1
	s_cbranch_scc0 .LBB134_1816
; %bb.1815:
	v_cvt_f32_ubyte0_e32 v5, v2
	v_bfe_u32 v6, v5, 16, 1
	s_movk_i32 s0, 0x7fff
	v_add3_u32 v5, v5, v6, s0
	global_store_short_d16_hi v[0:1], v5, off
	s_mov_b64 s[0:1], 0
	s_mov_b64 s[12:13], -1
.LBB134_1816:
	s_mov_b64 s[16:17], 0
.LBB134_1817:
	s_and_b64 vcc, exec, s[16:17]
	s_cbranch_vccz .LBB134_1819
; %bb.1818:
	s_cmp_lg_u32 s21, 11
	s_mov_b64 s[2:3], -1
	s_cselect_b64 s[0:1], -1, 0
.LBB134_1819:
	s_and_b64 vcc, exec, s[0:1]
	s_cbranch_vccnz .LBB134_1999
; %bb.1820:
	s_andn2_b64 vcc, exec, s[2:3]
	s_cbranch_vccnz .LBB134_1822
.LBB134_1821:
	v_cmp_ne_u16_e32 vcc, 0, v2
	v_cndmask_b32_e64 v5, 0, 1, vcc
	s_mov_b64 s[12:13], -1
	global_store_byte v[0:1], v5, off
.LBB134_1822:
	s_mov_b64 s[0:1], 0
	s_branch .LBB134_1824
.LBB134_1823:
	s_mov_b64 s[0:1], -1
	s_mov_b64 s[12:13], 0
.LBB134_1824:
	s_and_b64 vcc, exec, s[0:1]
	s_cbranch_vccz .LBB134_1863
; %bb.1825:
	s_and_b32 s2, 0xffff, s22
	s_cmp_lt_i32 s2, 5
	s_mov_b64 s[0:1], -1
	s_cbranch_scc1 .LBB134_1846
; %bb.1826:
	s_cmp_lt_i32 s2, 8
	s_cbranch_scc1 .LBB134_1836
; %bb.1827:
	s_cmp_lt_i32 s2, 9
	s_cbranch_scc1 .LBB134_1833
; %bb.1828:
	s_cmp_gt_i32 s2, 9
	s_cbranch_scc0 .LBB134_1830
; %bb.1829:
	v_and_b32_e32 v5, 0xffff, v2
	v_cvt_f64_u32_e32 v[5:6], v5
	v_mov_b32_e32 v7, 0
	v_mov_b32_e32 v8, v7
	s_mov_b64 s[0:1], 0
	global_store_dwordx4 v[0:1], v[5:8], off
.LBB134_1830:
	s_andn2_b64 vcc, exec, s[0:1]
	s_cbranch_vccnz .LBB134_1832
; %bb.1831:
	v_cvt_f32_ubyte0_e32 v5, v2
	v_mov_b32_e32 v6, 0
	global_store_dwordx2 v[0:1], v[5:6], off
.LBB134_1832:
	s_mov_b64 s[0:1], 0
.LBB134_1833:
	s_andn2_b64 vcc, exec, s[0:1]
	s_cbranch_vccnz .LBB134_1835
; %bb.1834:
	v_cvt_f16_u16_e32 v5, v2
	global_store_dword v[0:1], v5, off
.LBB134_1835:
	s_mov_b64 s[0:1], 0
.LBB134_1836:
	s_andn2_b64 vcc, exec, s[0:1]
	s_cbranch_vccnz .LBB134_1845
; %bb.1837:
	s_cmp_lt_i32 s2, 6
	s_mov_b64 s[0:1], -1
	s_cbranch_scc1 .LBB134_1843
; %bb.1838:
	s_cmp_gt_i32 s2, 6
	s_cbranch_scc0 .LBB134_1840
; %bb.1839:
	v_and_b32_e32 v5, 0xffff, v2
	v_cvt_f64_u32_e32 v[5:6], v5
	s_mov_b64 s[0:1], 0
	global_store_dwordx2 v[0:1], v[5:6], off
.LBB134_1840:
	s_andn2_b64 vcc, exec, s[0:1]
	s_cbranch_vccnz .LBB134_1842
; %bb.1841:
	v_cvt_f32_ubyte0_e32 v5, v2
	global_store_dword v[0:1], v5, off
.LBB134_1842:
	s_mov_b64 s[0:1], 0
.LBB134_1843:
	s_andn2_b64 vcc, exec, s[0:1]
	s_cbranch_vccnz .LBB134_1845
; %bb.1844:
	v_cvt_f16_u16_e32 v5, v2
	global_store_short v[0:1], v5, off
.LBB134_1845:
	s_mov_b64 s[0:1], 0
.LBB134_1846:
	s_andn2_b64 vcc, exec, s[0:1]
	s_cbranch_vccnz .LBB134_1862
; %bb.1847:
	s_cmp_lt_i32 s2, 2
	s_mov_b64 s[0:1], -1
	s_cbranch_scc1 .LBB134_1857
; %bb.1848:
	s_cmp_lt_i32 s2, 3
	s_cbranch_scc1 .LBB134_1854
; %bb.1849:
	s_cmp_gt_i32 s2, 3
	s_cbranch_scc0 .LBB134_1851
; %bb.1850:
	s_mov_b32 s0, 0
	v_and_b32_e32 v5, 0xffff, v2
	v_mov_b32_e32 v6, s0
	global_store_dwordx2 v[0:1], v[5:6], off
	s_mov_b64 s[0:1], 0
.LBB134_1851:
	s_andn2_b64 vcc, exec, s[0:1]
	s_cbranch_vccnz .LBB134_1853
; %bb.1852:
	v_and_b32_e32 v5, 0xffff, v2
	global_store_dword v[0:1], v5, off
.LBB134_1853:
	s_mov_b64 s[0:1], 0
.LBB134_1854:
	s_andn2_b64 vcc, exec, s[0:1]
	s_cbranch_vccnz .LBB134_1856
; %bb.1855:
	global_store_short v[0:1], v2, off
.LBB134_1856:
	s_mov_b64 s[0:1], 0
.LBB134_1857:
	s_andn2_b64 vcc, exec, s[0:1]
	s_cbranch_vccnz .LBB134_1862
; %bb.1858:
	s_cmp_gt_i32 s2, 0
	s_mov_b64 s[0:1], -1
	s_cbranch_scc0 .LBB134_1860
; %bb.1859:
	global_store_byte v[0:1], v2, off
	s_mov_b64 s[0:1], 0
.LBB134_1860:
	s_andn2_b64 vcc, exec, s[0:1]
	s_cbranch_vccnz .LBB134_1862
; %bb.1861:
	global_store_byte v[0:1], v2, off
.LBB134_1862:
	s_mov_b64 s[12:13], -1
.LBB134_1863:
	s_andn2_b64 vcc, exec, s[12:13]
	s_cbranch_vccnz .LBB134_1940
; %bb.1864:
	v_lshrrev_b16_sdwa v0, s23, v3 dst_sel:DWORD dst_unused:UNUSED_PAD src0_sel:DWORD src1_sel:BYTE_0
	v_cndmask_b32_e64 v2, v0, 0, s[10:11]
	v_add_u32_e32 v0, s20, v4
	v_ashrrev_i32_e32 v1, 31, v0
	v_mov_b32_e32 v3, s9
	v_add_co_u32_e32 v0, vcc, s8, v0
	s_cmp_lt_i32 s22, 11
	v_addc_co_u32_e32 v1, vcc, v3, v1, vcc
	s_cbranch_scc1 .LBB134_1985
; %bb.1865:
	s_and_b32 s16, 0xffff, s22
	s_mov_b64 s[8:9], -1
	s_mov_b64 s[2:3], 0
	s_cmp_gt_i32 s16, 25
	s_mov_b64 s[0:1], 0
	s_cbranch_scc0 .LBB134_1898
; %bb.1866:
	s_cmp_gt_i32 s16, 28
	s_cbranch_scc0 .LBB134_1882
; %bb.1867:
	s_cmp_gt_i32 s16, 43
	s_cbranch_scc0 .LBB134_1878
; %bb.1868:
	s_cmp_gt_i32 s16, 45
	s_cbranch_scc0 .LBB134_1872
; %bb.1869:
	s_cmp_eq_u32 s16, 46
	s_mov_b64 s[0:1], -1
	s_cbranch_scc0 .LBB134_1871
; %bb.1870:
	v_cvt_f32_ubyte0_e32 v3, v2
	v_bfe_u32 v4, v3, 16, 1
	s_movk_i32 s0, 0x7fff
	v_add3_u32 v3, v3, v4, s0
	v_lshrrev_b32_e32 v3, 16, v3
	global_store_dword v[0:1], v3, off
	s_mov_b64 s[0:1], 0
.LBB134_1871:
	s_mov_b64 s[8:9], 0
.LBB134_1872:
	s_and_b64 vcc, exec, s[8:9]
	s_cbranch_vccz .LBB134_1877
; %bb.1873:
	s_cmp_eq_u32 s16, 44
	s_mov_b64 s[0:1], -1
	s_cbranch_scc0 .LBB134_1877
; %bb.1874:
	v_cvt_f32_ubyte0_e32 v4, v2
	v_lshrrev_b32_e32 v3, 23, v4
	s_movk_i32 s0, 0xff
	v_cmp_ne_u32_e32 vcc, s0, v3
	v_mov_b32_e32 v5, 0xff
	s_and_saveexec_b64 s[8:9], vcc
; %bb.1875:
	s_mov_b32 s0, 0x3fffff
	v_and_b32_e32 v5, 0x400000, v4
	v_and_or_b32 v4, v4, s0, v3
	v_cmp_ne_u32_e32 vcc, 0, v5
	v_cmp_ne_u32_e64 s[0:1], 0, v4
	s_and_b64 s[0:1], vcc, s[0:1]
	v_cndmask_b32_e64 v4, 0, 1, s[0:1]
	v_add_u32_e32 v5, v3, v4
; %bb.1876:
	s_or_b64 exec, exec, s[8:9]
	s_mov_b64 s[0:1], 0
	global_store_byte v[0:1], v5, off
.LBB134_1877:
	s_mov_b64 s[8:9], 0
.LBB134_1878:
	s_and_b64 vcc, exec, s[8:9]
	s_cbranch_vccz .LBB134_1881
; %bb.1879:
	s_cmp_eq_u32 s16, 29
	s_mov_b64 s[0:1], -1
	s_cbranch_scc0 .LBB134_1881
; %bb.1880:
	s_mov_b32 s0, 0
	v_and_b32_e32 v3, 0xffff, v2
	v_mov_b32_e32 v4, s0
	global_store_dwordx2 v[0:1], v[3:4], off
	s_mov_b64 s[0:1], 0
.LBB134_1881:
	s_mov_b64 s[8:9], 0
.LBB134_1882:
	s_and_b64 vcc, exec, s[8:9]
	s_cbranch_vccz .LBB134_1897
; %bb.1883:
	s_cmp_lt_i32 s16, 27
	s_mov_b64 s[8:9], -1
	s_cbranch_scc1 .LBB134_1889
; %bb.1884:
	s_cmp_gt_i32 s16, 27
	s_cbranch_scc0 .LBB134_1886
; %bb.1885:
	v_and_b32_e32 v3, 0xffff, v2
	global_store_dword v[0:1], v3, off
	s_mov_b64 s[8:9], 0
.LBB134_1886:
	s_andn2_b64 vcc, exec, s[8:9]
	s_cbranch_vccnz .LBB134_1888
; %bb.1887:
	global_store_short v[0:1], v2, off
.LBB134_1888:
	s_mov_b64 s[8:9], 0
.LBB134_1889:
	s_andn2_b64 vcc, exec, s[8:9]
	s_cbranch_vccnz .LBB134_1897
; %bb.1890:
	v_cvt_f32_ubyte0_e32 v4, v2
	s_mov_b32 s8, 0x43800000
	v_cmp_gt_u32_e32 vcc, s8, v4
	v_mov_b32_e32 v5, 0x80
	s_and_saveexec_b64 s[8:9], vcc
	s_cbranch_execz .LBB134_1896
; %bb.1891:
	s_mov_b32 s10, 0x3bffffff
	v_cmp_lt_u32_e32 vcc, s10, v4
	s_mov_b64 s[10:11], 0
                                        ; implicit-def: $vgpr3
	s_and_saveexec_b64 s[12:13], vcc
	s_xor_b64 s[12:13], exec, s[12:13]
	s_cbranch_execz .LBB134_2002
; %bb.1892:
	v_bfe_u32 v3, v4, 20, 1
	s_mov_b32 s17, 0x487ffff
	v_add3_u32 v3, v4, v3, s17
	s_mov_b64 s[10:11], exec
	v_lshrrev_b32_e32 v3, 20, v3
                                        ; implicit-def: $vgpr4
	s_andn2_saveexec_b64 s[12:13], s[12:13]
	s_cbranch_execnz .LBB134_2003
.LBB134_1893:
	s_or_b64 exec, exec, s[12:13]
	v_mov_b32_e32 v5, 0
	s_and_saveexec_b64 s[12:13], s[10:11]
.LBB134_1894:
	v_mov_b32_e32 v5, v3
.LBB134_1895:
	s_or_b64 exec, exec, s[12:13]
.LBB134_1896:
	s_or_b64 exec, exec, s[8:9]
	global_store_byte v[0:1], v5, off
.LBB134_1897:
	s_mov_b64 s[8:9], 0
.LBB134_1898:
	s_and_b64 vcc, exec, s[8:9]
	s_cbranch_vccz .LBB134_1938
; %bb.1899:
	s_cmp_gt_i32 s16, 22
	s_mov_b64 s[2:3], -1
	s_cbranch_scc0 .LBB134_1931
; %bb.1900:
	s_cmp_lt_i32 s16, 24
	s_cbranch_scc1 .LBB134_1920
; %bb.1901:
	s_cmp_gt_i32 s16, 24
	s_cbranch_scc0 .LBB134_1909
; %bb.1902:
	v_cvt_f32_ubyte0_e32 v4, v2
	s_mov_b32 s2, 0x47800000
	v_cmp_gt_u32_e32 vcc, s2, v4
	v_mov_b32_e32 v5, 0x80
	s_and_saveexec_b64 s[2:3], vcc
	s_cbranch_execz .LBB134_1908
; %bb.1903:
	s_mov_b32 s8, 0x37ffffff
	v_cmp_lt_u32_e32 vcc, s8, v4
	s_mov_b64 s[8:9], 0
                                        ; implicit-def: $vgpr3
	s_and_saveexec_b64 s[10:11], vcc
	s_xor_b64 s[10:11], exec, s[10:11]
	s_cbranch_execz .LBB134_2005
; %bb.1904:
	v_bfe_u32 v3, v4, 21, 1
	s_mov_b32 s12, 0x88fffff
	v_add3_u32 v3, v4, v3, s12
	s_mov_b64 s[8:9], exec
	v_lshrrev_b32_e32 v3, 21, v3
                                        ; implicit-def: $vgpr4
	s_andn2_saveexec_b64 s[10:11], s[10:11]
	s_cbranch_execnz .LBB134_2006
.LBB134_1905:
	s_or_b64 exec, exec, s[10:11]
	v_mov_b32_e32 v5, 0
	s_and_saveexec_b64 s[10:11], s[8:9]
.LBB134_1906:
	v_mov_b32_e32 v5, v3
.LBB134_1907:
	s_or_b64 exec, exec, s[10:11]
.LBB134_1908:
	s_or_b64 exec, exec, s[2:3]
	s_mov_b64 s[2:3], 0
	global_store_byte v[0:1], v5, off
.LBB134_1909:
	s_and_b64 vcc, exec, s[2:3]
	s_cbranch_vccz .LBB134_1919
; %bb.1910:
	v_cvt_f32_ubyte0_e32 v3, v2
	s_mov_b32 s2, 0x43f00000
	v_cmp_gt_u32_e32 vcc, s2, v3
                                        ; implicit-def: $vgpr4
	s_and_saveexec_b64 s[2:3], vcc
	s_xor_b64 s[2:3], exec, s[2:3]
	s_cbranch_execz .LBB134_1916
; %bb.1911:
	s_mov_b32 s8, 0x3c7fffff
	v_cmp_lt_u32_e32 vcc, s8, v3
                                        ; implicit-def: $vgpr4
	s_and_saveexec_b64 s[8:9], vcc
	s_xor_b64 s[8:9], exec, s[8:9]
; %bb.1912:
	v_bfe_u32 v4, v3, 20, 1
	s_mov_b32 s10, 0x407ffff
	v_add3_u32 v3, v3, v4, s10
	v_lshrrev_b32_e32 v4, 20, v3
	v_and_b32_e32 v3, 0xff00000, v3
	s_mov_b32 s10, 0x7f00000
	v_mov_b32_e32 v5, 0x7e
	v_cmp_ne_u32_e32 vcc, s10, v3
	v_cndmask_b32_e32 v4, v5, v4, vcc
                                        ; implicit-def: $vgpr3
; %bb.1913:
	s_andn2_saveexec_b64 s[8:9], s[8:9]
; %bb.1914:
	v_add_f32_e32 v4, 0x46800000, v3
; %bb.1915:
	s_or_b64 exec, exec, s[8:9]
                                        ; implicit-def: $vgpr3
.LBB134_1916:
	s_andn2_saveexec_b64 s[2:3], s[2:3]
; %bb.1917:
	s_mov_b32 s8, 0x7f800000
	v_mov_b32_e32 v4, 0x7e
	v_mov_b32_e32 v5, 0x7f
	v_cmp_lt_u32_e32 vcc, s8, v3
	v_cndmask_b32_e32 v4, v4, v5, vcc
; %bb.1918:
	s_or_b64 exec, exec, s[2:3]
	global_store_byte v[0:1], v4, off
.LBB134_1919:
	s_mov_b64 s[2:3], 0
.LBB134_1920:
	s_andn2_b64 vcc, exec, s[2:3]
	s_cbranch_vccnz .LBB134_1930
; %bb.1921:
	v_cvt_f32_ubyte0_e32 v3, v2
	s_mov_b32 s2, 0x47800000
	v_cmp_gt_u32_e32 vcc, s2, v3
                                        ; implicit-def: $vgpr4
	s_and_saveexec_b64 s[2:3], vcc
	s_xor_b64 s[2:3], exec, s[2:3]
	s_cbranch_execz .LBB134_1927
; %bb.1922:
	s_mov_b32 s8, 0x387fffff
	v_cmp_lt_u32_e32 vcc, s8, v3
                                        ; implicit-def: $vgpr4
	s_and_saveexec_b64 s[8:9], vcc
	s_xor_b64 s[8:9], exec, s[8:9]
; %bb.1923:
	v_bfe_u32 v4, v3, 21, 1
	s_mov_b32 s10, 0x80fffff
	v_add3_u32 v3, v3, v4, s10
	v_lshrrev_b32_e32 v4, 21, v3
                                        ; implicit-def: $vgpr3
; %bb.1924:
	s_andn2_saveexec_b64 s[8:9], s[8:9]
; %bb.1925:
	v_add_f32_e32 v4, 0x43000000, v3
; %bb.1926:
	s_or_b64 exec, exec, s[8:9]
                                        ; implicit-def: $vgpr3
.LBB134_1927:
	s_andn2_saveexec_b64 s[2:3], s[2:3]
; %bb.1928:
	s_mov_b32 s8, 0x7f800000
	v_mov_b32_e32 v4, 0x7c
	v_mov_b32_e32 v5, 0x7f
	v_cmp_lt_u32_e32 vcc, s8, v3
	v_cndmask_b32_e32 v4, v4, v5, vcc
; %bb.1929:
	s_or_b64 exec, exec, s[2:3]
	global_store_byte v[0:1], v4, off
.LBB134_1930:
	s_mov_b64 s[2:3], 0
.LBB134_1931:
	s_andn2_b64 vcc, exec, s[2:3]
	s_mov_b64 s[2:3], 0
	s_cbranch_vccnz .LBB134_1938
; %bb.1932:
	s_cmp_gt_i32 s16, 14
	s_mov_b64 s[8:9], -1
	s_cbranch_scc0 .LBB134_1936
; %bb.1933:
	s_cmp_eq_u32 s16, 15
	s_mov_b64 s[0:1], -1
	s_cbranch_scc0 .LBB134_1935
; %bb.1934:
	v_cvt_f32_ubyte0_e32 v3, v2
	v_bfe_u32 v4, v3, 16, 1
	s_movk_i32 s0, 0x7fff
	v_add3_u32 v3, v3, v4, s0
	global_store_short_d16_hi v[0:1], v3, off
	s_mov_b64 s[0:1], 0
.LBB134_1935:
	s_mov_b64 s[8:9], 0
.LBB134_1936:
	s_and_b64 vcc, exec, s[8:9]
	s_cbranch_vccz .LBB134_1938
; %bb.1937:
	s_cmp_lg_u32 s16, 11
	s_mov_b64 s[2:3], -1
	s_cselect_b64 s[0:1], -1, 0
.LBB134_1938:
	s_and_b64 vcc, exec, s[0:1]
	s_cbranch_vccnz .LBB134_2004
.LBB134_1939:
	s_mov_b64 s[0:1], 0
	s_branch .LBB134_1941
.LBB134_1940:
	s_mov_b64 s[0:1], 0
	s_mov_b64 s[2:3], 0
                                        ; implicit-def: $sgpr22
                                        ; implicit-def: $vgpr0_vgpr1
                                        ; implicit-def: $vgpr2
.LBB134_1941:
	s_and_b64 s[12:13], s[2:3], exec
	s_andn2_b64 s[2:3], s[6:7], exec
	s_and_b64 s[6:7], s[14:15], exec
	s_and_b64 s[0:1], s[0:1], exec
	s_or_b64 s[6:7], s[2:3], s[6:7]
.LBB134_1942:
	s_or_b64 exec, exec, s[4:5]
	s_and_saveexec_b64 s[2:3], s[6:7]
	s_cbranch_execz .LBB134_1945
; %bb.1943:
	; divergent unreachable
	s_or_b64 exec, exec, s[2:3]
	s_and_saveexec_b64 s[2:3], s[12:13]
	s_xor_b64 s[2:3], exec, s[2:3]
	s_cbranch_execnz .LBB134_1946
.LBB134_1944:
	s_or_b64 exec, exec, s[2:3]
	s_and_saveexec_b64 s[2:3], s[0:1]
	s_cbranch_execnz .LBB134_1947
	s_branch .LBB134_1984
.LBB134_1945:
	s_or_b64 exec, exec, s[2:3]
	s_and_saveexec_b64 s[2:3], s[12:13]
	s_xor_b64 s[2:3], exec, s[2:3]
	s_cbranch_execz .LBB134_1944
.LBB134_1946:
	s_waitcnt vmcnt(0)
	v_mov_b32_e32 v3, 0
	v_cmp_ne_u16_sdwa s[4:5], v2, v3 src0_sel:BYTE_0 src1_sel:DWORD
	v_cndmask_b32_e64 v3, 0, 1, s[4:5]
	global_store_byte v[0:1], v3, off
	s_or_b64 exec, exec, s[2:3]
	s_and_saveexec_b64 s[2:3], s[0:1]
	s_cbranch_execz .LBB134_1984
.LBB134_1947:
	s_sext_i32_i16 s2, s22
	s_cmp_lt_i32 s2, 5
	s_mov_b64 s[0:1], -1
	s_cbranch_scc1 .LBB134_1968
; %bb.1948:
	s_cmp_lt_i32 s2, 8
	s_cbranch_scc1 .LBB134_1958
; %bb.1949:
	s_cmp_lt_i32 s2, 9
	s_cbranch_scc1 .LBB134_1955
; %bb.1950:
	s_cmp_gt_i32 s2, 9
	s_cbranch_scc0 .LBB134_1952
; %bb.1951:
	s_mov_b32 s0, 0xffff
	s_waitcnt vmcnt(0)
	v_and_b32_sdwa v3, s0, v2 dst_sel:DWORD dst_unused:UNUSED_PAD src0_sel:DWORD src1_sel:BYTE_0
	v_cvt_f64_u32_e32 v[3:4], v3
	v_mov_b32_e32 v5, 0
	v_mov_b32_e32 v6, v5
	s_mov_b64 s[0:1], 0
	global_store_dwordx4 v[0:1], v[3:6], off
.LBB134_1952:
	s_andn2_b64 vcc, exec, s[0:1]
	s_cbranch_vccnz .LBB134_1954
; %bb.1953:
	s_waitcnt vmcnt(0)
	v_cvt_f32_ubyte0_e32 v3, v2
	v_mov_b32_e32 v4, 0
	global_store_dwordx2 v[0:1], v[3:4], off
.LBB134_1954:
	s_mov_b64 s[0:1], 0
.LBB134_1955:
	s_andn2_b64 vcc, exec, s[0:1]
	s_cbranch_vccnz .LBB134_1957
; %bb.1956:
	s_waitcnt vmcnt(0)
	v_cvt_f16_u16_sdwa v3, v2 dst_sel:DWORD dst_unused:UNUSED_PAD src0_sel:BYTE_0
	global_store_dword v[0:1], v3, off
.LBB134_1957:
	s_mov_b64 s[0:1], 0
.LBB134_1958:
	s_andn2_b64 vcc, exec, s[0:1]
	s_cbranch_vccnz .LBB134_1967
; %bb.1959:
	s_sext_i32_i16 s2, s22
	s_cmp_lt_i32 s2, 6
	s_mov_b64 s[0:1], -1
	s_cbranch_scc1 .LBB134_1965
; %bb.1960:
	s_cmp_gt_i32 s2, 6
	s_cbranch_scc0 .LBB134_1962
; %bb.1961:
	s_mov_b32 s0, 0xffff
	s_waitcnt vmcnt(0)
	v_and_b32_sdwa v3, s0, v2 dst_sel:DWORD dst_unused:UNUSED_PAD src0_sel:DWORD src1_sel:BYTE_0
	v_cvt_f64_u32_e32 v[3:4], v3
	s_mov_b64 s[0:1], 0
	global_store_dwordx2 v[0:1], v[3:4], off
.LBB134_1962:
	s_andn2_b64 vcc, exec, s[0:1]
	s_cbranch_vccnz .LBB134_1964
; %bb.1963:
	s_waitcnt vmcnt(0)
	v_cvt_f32_ubyte0_e32 v3, v2
	global_store_dword v[0:1], v3, off
.LBB134_1964:
	s_mov_b64 s[0:1], 0
.LBB134_1965:
	s_andn2_b64 vcc, exec, s[0:1]
	s_cbranch_vccnz .LBB134_1967
; %bb.1966:
	s_waitcnt vmcnt(0)
	v_cvt_f16_u16_sdwa v3, v2 dst_sel:DWORD dst_unused:UNUSED_PAD src0_sel:BYTE_0
	global_store_short v[0:1], v3, off
.LBB134_1967:
	s_mov_b64 s[0:1], 0
.LBB134_1968:
	s_andn2_b64 vcc, exec, s[0:1]
	s_cbranch_vccnz .LBB134_1984
; %bb.1969:
	s_sext_i32_i16 s2, s22
	s_cmp_lt_i32 s2, 2
	s_mov_b64 s[0:1], -1
	s_cbranch_scc1 .LBB134_1979
; %bb.1970:
	s_cmp_lt_i32 s2, 3
	s_cbranch_scc1 .LBB134_1976
; %bb.1971:
	s_cmp_gt_i32 s2, 3
	s_cbranch_scc0 .LBB134_1973
; %bb.1972:
	s_waitcnt vmcnt(0)
	v_and_b32_e32 v3, 0xff, v2
	v_mov_b32_e32 v4, 0
	global_store_dwordx2 v[0:1], v[3:4], off
	s_mov_b64 s[0:1], 0
.LBB134_1973:
	s_andn2_b64 vcc, exec, s[0:1]
	s_cbranch_vccnz .LBB134_1975
; %bb.1974:
	s_waitcnt vmcnt(0)
	v_and_b32_e32 v3, 0xff, v2
	global_store_dword v[0:1], v3, off
.LBB134_1975:
	s_mov_b64 s[0:1], 0
.LBB134_1976:
	s_andn2_b64 vcc, exec, s[0:1]
	s_cbranch_vccnz .LBB134_1978
; %bb.1977:
	s_waitcnt vmcnt(0)
	v_and_b32_e32 v3, 0xff, v2
	global_store_short v[0:1], v3, off
.LBB134_1978:
	s_mov_b64 s[0:1], 0
.LBB134_1979:
	s_andn2_b64 vcc, exec, s[0:1]
	s_cbranch_vccnz .LBB134_1984
; %bb.1980:
	s_sext_i32_i16 s0, s22
	s_cmp_gt_i32 s0, 0
	s_mov_b64 s[0:1], -1
	s_cbranch_scc0 .LBB134_1982
; %bb.1981:
	s_waitcnt vmcnt(0)
	global_store_byte v[0:1], v2, off
	s_mov_b64 s[0:1], 0
.LBB134_1982:
	s_andn2_b64 vcc, exec, s[0:1]
	s_cbranch_vccnz .LBB134_1984
; %bb.1983:
	s_waitcnt vmcnt(0)
	global_store_byte v[0:1], v2, off
	s_endpgm
.LBB134_1984:
	s_endpgm
.LBB134_1985:
	s_mov_b64 s[2:3], 0
	s_mov_b64 s[0:1], -1
	s_branch .LBB134_1941
.LBB134_1986:
	s_trap 2
	s_or_b64 s[14:15], s[14:15], exec
	s_cbranch_execz .LBB134_1455
	s_branch .LBB134_1456
.LBB134_1987:
	s_andn2_saveexec_b64 s[20:21], s[20:21]
	s_cbranch_execz .LBB134_1535
.LBB134_1988:
	v_add_f32_e32 v7, 0x46000000, v8
	v_and_b32_e32 v7, 0xff, v7
	v_cmp_ne_u32_e32 vcc, 0, v7
	s_andn2_b64 s[18:19], s[18:19], exec
	s_and_b64 s[24:25], vcc, exec
	s_or_b64 s[18:19], s[18:19], s[24:25]
	s_or_b64 exec, exec, s[20:21]
	v_mov_b32_e32 v9, 0
	s_and_saveexec_b64 s[20:21], s[18:19]
	s_cbranch_execnz .LBB134_1536
	s_branch .LBB134_1537
.LBB134_1989:
	s_trap 2
	s_or_b64 s[14:15], s[14:15], exec
	s_cbranch_execz .LBB134_1583
	s_branch .LBB134_1584
.LBB134_1990:
	s_andn2_saveexec_b64 s[18:19], s[18:19]
	s_cbranch_execz .LBB134_1548
.LBB134_1991:
	v_add_f32_e32 v7, 0x42800000, v8
	v_and_b32_e32 v7, 0xff, v7
	v_cmp_ne_u32_e32 vcc, 0, v7
	s_andn2_b64 s[16:17], s[16:17], exec
	s_and_b64 s[20:21], vcc, exec
	s_or_b64 s[16:17], s[16:17], s[20:21]
	s_or_b64 exec, exec, s[18:19]
	v_mov_b32_e32 v9, 0
	s_and_saveexec_b64 s[18:19], s[16:17]
	s_cbranch_execnz .LBB134_1549
	s_branch .LBB134_1550
.LBB134_1992:
	s_andn2_saveexec_b64 s[18:19], s[18:19]
	s_cbranch_execz .LBB134_1654
.LBB134_1993:
	v_add_f32_e32 v6, 0x46000000, v7
	v_and_b32_e32 v6, 0xff, v6
	v_cmp_ne_u32_e32 vcc, 0, v6
	s_andn2_b64 s[16:17], s[16:17], exec
	s_and_b64 s[24:25], vcc, exec
	s_or_b64 s[16:17], s[16:17], s[24:25]
	s_or_b64 exec, exec, s[18:19]
	v_mov_b32_e32 v8, 0
	s_and_saveexec_b64 s[18:19], s[16:17]
	s_cbranch_execnz .LBB134_1655
	s_branch .LBB134_1656
.LBB134_1994:
	s_trap 2
	s_or_b64 s[14:15], s[14:15], exec
	s_cbranch_execz .LBB134_1702
	s_branch .LBB134_1703
.LBB134_1995:
	s_andn2_saveexec_b64 s[16:17], s[16:17]
	s_cbranch_execz .LBB134_1667
.LBB134_1996:
	v_add_f32_e32 v6, 0x42800000, v7
	v_and_b32_e32 v6, 0xff, v6
	v_cmp_ne_u32_e32 vcc, 0, v6
	s_andn2_b64 s[12:13], s[12:13], exec
	s_and_b64 s[18:19], vcc, exec
	s_or_b64 s[12:13], s[12:13], s[18:19]
	s_or_b64 exec, exec, s[16:17]
	v_mov_b32_e32 v8, 0
	s_and_saveexec_b64 s[16:17], s[12:13]
	s_cbranch_execnz .LBB134_1668
	s_branch .LBB134_1669
.LBB134_1997:
	s_andn2_saveexec_b64 s[18:19], s[18:19]
	s_cbranch_execz .LBB134_1773
.LBB134_1998:
	v_add_f32_e32 v5, 0x46000000, v6
	v_and_b32_e32 v5, 0xff, v5
	v_cmp_ne_u32_e32 vcc, 0, v5
	s_andn2_b64 s[16:17], s[16:17], exec
	s_and_b64 s[24:25], vcc, exec
	s_or_b64 s[16:17], s[16:17], s[24:25]
	s_or_b64 exec, exec, s[18:19]
	v_mov_b32_e32 v7, 0
	s_and_saveexec_b64 s[18:19], s[16:17]
	s_cbranch_execnz .LBB134_1774
	s_branch .LBB134_1775
.LBB134_1999:
	s_trap 2
	s_or_b64 s[14:15], s[14:15], exec
	s_cbranch_execz .LBB134_1821
	s_branch .LBB134_1822
.LBB134_2000:
	s_andn2_saveexec_b64 s[16:17], s[16:17]
	s_cbranch_execz .LBB134_1786
.LBB134_2001:
	v_add_f32_e32 v5, 0x42800000, v6
	v_and_b32_e32 v5, 0xff, v5
	v_cmp_ne_u32_e32 vcc, 0, v5
	s_andn2_b64 s[12:13], s[12:13], exec
	s_and_b64 s[18:19], vcc, exec
	s_or_b64 s[12:13], s[12:13], s[18:19]
	s_or_b64 exec, exec, s[16:17]
	v_mov_b32_e32 v7, 0
	s_and_saveexec_b64 s[16:17], s[12:13]
	s_cbranch_execnz .LBB134_1787
	s_branch .LBB134_1788
.LBB134_2002:
	s_andn2_saveexec_b64 s[12:13], s[12:13]
	s_cbranch_execz .LBB134_1893
.LBB134_2003:
	v_add_f32_e32 v3, 0x46000000, v4
	v_and_b32_e32 v3, 0xff, v3
	v_cmp_ne_u32_e32 vcc, 0, v3
	s_andn2_b64 s[10:11], s[10:11], exec
	s_and_b64 s[18:19], vcc, exec
	s_or_b64 s[10:11], s[10:11], s[18:19]
	s_or_b64 exec, exec, s[12:13]
	v_mov_b32_e32 v5, 0
	s_and_saveexec_b64 s[12:13], s[10:11]
	s_cbranch_execnz .LBB134_1894
	s_branch .LBB134_1895
.LBB134_2004:
	s_mov_b64 s[2:3], 0
	s_or_b64 s[14:15], s[14:15], exec
	s_trap 2
	s_branch .LBB134_1939
.LBB134_2005:
	s_andn2_saveexec_b64 s[10:11], s[10:11]
	s_cbranch_execz .LBB134_1905
.LBB134_2006:
	v_add_f32_e32 v3, 0x42800000, v4
	v_and_b32_e32 v3, 0xff, v3
	v_cmp_ne_u32_e32 vcc, 0, v3
	s_andn2_b64 s[8:9], s[8:9], exec
	s_and_b64 s[12:13], vcc, exec
	s_or_b64 s[8:9], s[8:9], s[12:13]
	s_or_b64 exec, exec, s[10:11]
	v_mov_b32_e32 v5, 0
	s_and_saveexec_b64 s[10:11], s[8:9]
	s_cbranch_execnz .LBB134_1906
	s_branch .LBB134_1907
	.section	.rodata,"a",@progbits
	.p2align	6, 0x0
	.amdhsa_kernel _ZN2at6native32elementwise_kernel_manual_unrollILi128ELi4EZNS0_15gpu_kernel_implINS0_13BUnaryFunctorIhhhZZZNS0_18rshift_kernel_cudaERNS_18TensorIteratorBaseEENKUlvE_clEvENKUlvE_clEvEUlhhE_EEEEvS5_RKT_EUlibE_EEviT1_
		.amdhsa_group_segment_fixed_size 0
		.amdhsa_private_segment_fixed_size 0
		.amdhsa_kernarg_size 40
		.amdhsa_user_sgpr_count 6
		.amdhsa_user_sgpr_private_segment_buffer 1
		.amdhsa_user_sgpr_dispatch_ptr 0
		.amdhsa_user_sgpr_queue_ptr 0
		.amdhsa_user_sgpr_kernarg_segment_ptr 1
		.amdhsa_user_sgpr_dispatch_id 0
		.amdhsa_user_sgpr_flat_scratch_init 0
		.amdhsa_user_sgpr_private_segment_size 0
		.amdhsa_uses_dynamic_stack 0
		.amdhsa_system_sgpr_private_segment_wavefront_offset 0
		.amdhsa_system_sgpr_workgroup_id_x 1
		.amdhsa_system_sgpr_workgroup_id_y 0
		.amdhsa_system_sgpr_workgroup_id_z 0
		.amdhsa_system_sgpr_workgroup_info 0
		.amdhsa_system_vgpr_workitem_id 0
		.amdhsa_next_free_vgpr 12
		.amdhsa_next_free_sgpr 50
		.amdhsa_reserve_vcc 1
		.amdhsa_reserve_flat_scratch 0
		.amdhsa_float_round_mode_32 0
		.amdhsa_float_round_mode_16_64 0
		.amdhsa_float_denorm_mode_32 3
		.amdhsa_float_denorm_mode_16_64 3
		.amdhsa_dx10_clamp 1
		.amdhsa_ieee_mode 1
		.amdhsa_fp16_overflow 0
		.amdhsa_exception_fp_ieee_invalid_op 0
		.amdhsa_exception_fp_denorm_src 0
		.amdhsa_exception_fp_ieee_div_zero 0
		.amdhsa_exception_fp_ieee_overflow 0
		.amdhsa_exception_fp_ieee_underflow 0
		.amdhsa_exception_fp_ieee_inexact 0
		.amdhsa_exception_int_div_zero 0
	.end_amdhsa_kernel
	.section	.text._ZN2at6native32elementwise_kernel_manual_unrollILi128ELi4EZNS0_15gpu_kernel_implINS0_13BUnaryFunctorIhhhZZZNS0_18rshift_kernel_cudaERNS_18TensorIteratorBaseEENKUlvE_clEvENKUlvE_clEvEUlhhE_EEEEvS5_RKT_EUlibE_EEviT1_,"axG",@progbits,_ZN2at6native32elementwise_kernel_manual_unrollILi128ELi4EZNS0_15gpu_kernel_implINS0_13BUnaryFunctorIhhhZZZNS0_18rshift_kernel_cudaERNS_18TensorIteratorBaseEENKUlvE_clEvENKUlvE_clEvEUlhhE_EEEEvS5_RKT_EUlibE_EEviT1_,comdat
.Lfunc_end134:
	.size	_ZN2at6native32elementwise_kernel_manual_unrollILi128ELi4EZNS0_15gpu_kernel_implINS0_13BUnaryFunctorIhhhZZZNS0_18rshift_kernel_cudaERNS_18TensorIteratorBaseEENKUlvE_clEvENKUlvE_clEvEUlhhE_EEEEvS5_RKT_EUlibE_EEviT1_, .Lfunc_end134-_ZN2at6native32elementwise_kernel_manual_unrollILi128ELi4EZNS0_15gpu_kernel_implINS0_13BUnaryFunctorIhhhZZZNS0_18rshift_kernel_cudaERNS_18TensorIteratorBaseEENKUlvE_clEvENKUlvE_clEvEUlhhE_EEEEvS5_RKT_EUlibE_EEviT1_
                                        ; -- End function
	.set _ZN2at6native32elementwise_kernel_manual_unrollILi128ELi4EZNS0_15gpu_kernel_implINS0_13BUnaryFunctorIhhhZZZNS0_18rshift_kernel_cudaERNS_18TensorIteratorBaseEENKUlvE_clEvENKUlvE_clEvEUlhhE_EEEEvS5_RKT_EUlibE_EEviT1_.num_vgpr, 12
	.set _ZN2at6native32elementwise_kernel_manual_unrollILi128ELi4EZNS0_15gpu_kernel_implINS0_13BUnaryFunctorIhhhZZZNS0_18rshift_kernel_cudaERNS_18TensorIteratorBaseEENKUlvE_clEvENKUlvE_clEvEUlhhE_EEEEvS5_RKT_EUlibE_EEviT1_.num_agpr, 0
	.set _ZN2at6native32elementwise_kernel_manual_unrollILi128ELi4EZNS0_15gpu_kernel_implINS0_13BUnaryFunctorIhhhZZZNS0_18rshift_kernel_cudaERNS_18TensorIteratorBaseEENKUlvE_clEvENKUlvE_clEvEUlhhE_EEEEvS5_RKT_EUlibE_EEviT1_.numbered_sgpr, 50
	.set _ZN2at6native32elementwise_kernel_manual_unrollILi128ELi4EZNS0_15gpu_kernel_implINS0_13BUnaryFunctorIhhhZZZNS0_18rshift_kernel_cudaERNS_18TensorIteratorBaseEENKUlvE_clEvENKUlvE_clEvEUlhhE_EEEEvS5_RKT_EUlibE_EEviT1_.num_named_barrier, 0
	.set _ZN2at6native32elementwise_kernel_manual_unrollILi128ELi4EZNS0_15gpu_kernel_implINS0_13BUnaryFunctorIhhhZZZNS0_18rshift_kernel_cudaERNS_18TensorIteratorBaseEENKUlvE_clEvENKUlvE_clEvEUlhhE_EEEEvS5_RKT_EUlibE_EEviT1_.private_seg_size, 0
	.set _ZN2at6native32elementwise_kernel_manual_unrollILi128ELi4EZNS0_15gpu_kernel_implINS0_13BUnaryFunctorIhhhZZZNS0_18rshift_kernel_cudaERNS_18TensorIteratorBaseEENKUlvE_clEvENKUlvE_clEvEUlhhE_EEEEvS5_RKT_EUlibE_EEviT1_.uses_vcc, 1
	.set _ZN2at6native32elementwise_kernel_manual_unrollILi128ELi4EZNS0_15gpu_kernel_implINS0_13BUnaryFunctorIhhhZZZNS0_18rshift_kernel_cudaERNS_18TensorIteratorBaseEENKUlvE_clEvENKUlvE_clEvEUlhhE_EEEEvS5_RKT_EUlibE_EEviT1_.uses_flat_scratch, 0
	.set _ZN2at6native32elementwise_kernel_manual_unrollILi128ELi4EZNS0_15gpu_kernel_implINS0_13BUnaryFunctorIhhhZZZNS0_18rshift_kernel_cudaERNS_18TensorIteratorBaseEENKUlvE_clEvENKUlvE_clEvEUlhhE_EEEEvS5_RKT_EUlibE_EEviT1_.has_dyn_sized_stack, 0
	.set _ZN2at6native32elementwise_kernel_manual_unrollILi128ELi4EZNS0_15gpu_kernel_implINS0_13BUnaryFunctorIhhhZZZNS0_18rshift_kernel_cudaERNS_18TensorIteratorBaseEENKUlvE_clEvENKUlvE_clEvEUlhhE_EEEEvS5_RKT_EUlibE_EEviT1_.has_recursion, 0
	.set _ZN2at6native32elementwise_kernel_manual_unrollILi128ELi4EZNS0_15gpu_kernel_implINS0_13BUnaryFunctorIhhhZZZNS0_18rshift_kernel_cudaERNS_18TensorIteratorBaseEENKUlvE_clEvENKUlvE_clEvEUlhhE_EEEEvS5_RKT_EUlibE_EEviT1_.has_indirect_call, 0
	.section	.AMDGPU.csdata,"",@progbits
; Kernel info:
; codeLenInByte = 33400
; TotalNumSgprs: 54
; NumVgprs: 12
; ScratchSize: 0
; MemoryBound: 1
; FloatMode: 240
; IeeeMode: 1
; LDSByteSize: 0 bytes/workgroup (compile time only)
; SGPRBlocks: 6
; VGPRBlocks: 2
; NumSGPRsForWavesPerEU: 54
; NumVGPRsForWavesPerEU: 12
; Occupancy: 10
; WaveLimiterHint : 0
; COMPUTE_PGM_RSRC2:SCRATCH_EN: 0
; COMPUTE_PGM_RSRC2:USER_SGPR: 6
; COMPUTE_PGM_RSRC2:TRAP_HANDLER: 0
; COMPUTE_PGM_RSRC2:TGID_X_EN: 1
; COMPUTE_PGM_RSRC2:TGID_Y_EN: 0
; COMPUTE_PGM_RSRC2:TGID_Z_EN: 0
; COMPUTE_PGM_RSRC2:TIDIG_COMP_CNT: 0
	.section	.text._ZN2at6native32elementwise_kernel_manual_unrollILi128ELi4EZNS0_15gpu_kernel_implINS0_13BUnaryFunctorIhhhZZZNS0_18rshift_kernel_cudaERNS_18TensorIteratorBaseEENKUlvE_clEvENKUlvE_clEvEUlhhE_EEEEvS5_RKT_EUlibE0_EEviT1_,"axG",@progbits,_ZN2at6native32elementwise_kernel_manual_unrollILi128ELi4EZNS0_15gpu_kernel_implINS0_13BUnaryFunctorIhhhZZZNS0_18rshift_kernel_cudaERNS_18TensorIteratorBaseEENKUlvE_clEvENKUlvE_clEvEUlhhE_EEEEvS5_RKT_EUlibE0_EEviT1_,comdat
	.globl	_ZN2at6native32elementwise_kernel_manual_unrollILi128ELi4EZNS0_15gpu_kernel_implINS0_13BUnaryFunctorIhhhZZZNS0_18rshift_kernel_cudaERNS_18TensorIteratorBaseEENKUlvE_clEvENKUlvE_clEvEUlhhE_EEEEvS5_RKT_EUlibE0_EEviT1_ ; -- Begin function _ZN2at6native32elementwise_kernel_manual_unrollILi128ELi4EZNS0_15gpu_kernel_implINS0_13BUnaryFunctorIhhhZZZNS0_18rshift_kernel_cudaERNS_18TensorIteratorBaseEENKUlvE_clEvENKUlvE_clEvEUlhhE_EEEEvS5_RKT_EUlibE0_EEviT1_
	.p2align	8
	.type	_ZN2at6native32elementwise_kernel_manual_unrollILi128ELi4EZNS0_15gpu_kernel_implINS0_13BUnaryFunctorIhhhZZZNS0_18rshift_kernel_cudaERNS_18TensorIteratorBaseEENKUlvE_clEvENKUlvE_clEvEUlhhE_EEEEvS5_RKT_EUlibE0_EEviT1_,@function
_ZN2at6native32elementwise_kernel_manual_unrollILi128ELi4EZNS0_15gpu_kernel_implINS0_13BUnaryFunctorIhhhZZZNS0_18rshift_kernel_cudaERNS_18TensorIteratorBaseEENKUlvE_clEvENKUlvE_clEvEUlhhE_EEEEvS5_RKT_EUlibE0_EEviT1_: ; @_ZN2at6native32elementwise_kernel_manual_unrollILi128ELi4EZNS0_15gpu_kernel_implINS0_13BUnaryFunctorIhhhZZZNS0_18rshift_kernel_cudaERNS_18TensorIteratorBaseEENKUlvE_clEvENKUlvE_clEvEUlhhE_EEEEvS5_RKT_EUlibE0_EEviT1_
; %bb.0:
	s_load_dword s72, s[4:5], 0x0
	s_load_dword s33, s[4:5], 0x8
	s_add_u32 s34, s4, 8
	s_addc_u32 s35, s5, 0
	v_lshl_or_b32 v11, s6, 9, v0
	v_or_b32_e32 v13, 0x180, v11
	s_waitcnt lgkmcnt(0)
	s_add_i32 s74, s33, -1
	s_cmp_gt_u32 s74, 1
	v_cmp_le_i32_e32 vcc, s72, v13
	s_cselect_b64 s[40:41], -1, 0
	s_mov_b64 s[6:7], 0
	s_mov_b64 s[28:29], 0
	s_and_saveexec_b64 s[0:1], vcc
	s_xor_b64 s[42:43], exec, s[0:1]
	s_cbranch_execz .LBB135_1070
; %bb.1:
	v_mov_b32_e32 v0, 0
	global_load_ushort v1, v0, s[34:35] offset:345
	global_load_sbyte v2, v0, s[34:35] offset:347
	s_cmp_lg_u32 s33, 0
	s_load_dwordx4 s[36:39], s[34:35], 0x4
	s_load_dwordx2 s[46:47], s[34:35], 0x14
	s_load_dwordx4 s[28:31], s[34:35], 0xc4
	s_load_dwordx4 s[24:27], s[34:35], 0x148
	s_cselect_b64 s[52:53], -1, 0
	s_add_u32 s50, s34, 0xc4
	s_addc_u32 s51, s35, 0
	s_min_u32 s78, s74, 15
	s_cmp_gt_u32 s33, 1
	s_cselect_b64 s[48:49], -1, 0
	v_cmp_gt_i32_e32 vcc, s72, v11
	s_mov_b64 s[2:3], -1
	s_mov_b64 s[62:63], 0
	s_mov_b64 s[56:57], 0
	;; [unrolled: 1-line block ×3, first 2 shown]
	s_waitcnt vmcnt(1)
	v_readfirstlane_b32 s0, v1
	s_and_b32 s76, s0, 0xff
	s_lshr_b32 s75, s0, 8
	s_cmp_gt_u32 s76, 7
	s_waitcnt vmcnt(0)
	v_readfirstlane_b32 s77, v2
	s_cselect_b64 s[44:45], -1, 0
	s_and_saveexec_b64 s[58:59], vcc
	s_cbranch_execz .LBB135_262
; %bb.2:
	s_andn2_b64 vcc, exec, s[40:41]
	s_cbranch_vccnz .LBB135_7
; %bb.3:
	s_andn2_b64 vcc, exec, s[52:53]
	s_cbranch_vccnz .LBB135_8
; %bb.4:
	s_add_i32 s61, s78, 1
	s_cmp_eq_u32 s74, 2
	s_cbranch_scc1 .LBB135_9
; %bb.5:
	s_and_b32 s60, s61, 28
	v_mov_b32_e32 v2, 0
	s_mov_b32 s64, 0
	s_mov_b64 s[54:55], s[34:35]
	s_mov_b64 s[56:57], s[50:51]
	v_mov_b32_e32 v0, 0
	v_mov_b32_e32 v1, v11
.LBB135_6:                              ; =>This Inner Loop Header: Depth=1
	s_load_dwordx8 s[16:23], s[54:55], 0x4
	s_load_dwordx4 s[0:3], s[54:55], 0x24
	s_load_dwordx8 s[8:15], s[56:57], 0x0
	s_add_u32 s54, s54, 48
	s_addc_u32 s55, s55, 0
	s_waitcnt lgkmcnt(0)
	v_mul_hi_u32 v3, s17, v1
	s_add_i32 s64, s64, 4
	s_add_u32 s56, s56, 32
	s_addc_u32 s57, s57, 0
	v_add_u32_e32 v3, v1, v3
	v_lshrrev_b32_e32 v3, s18, v3
	v_mul_lo_u32 v4, v3, s16
	v_mul_hi_u32 v5, s20, v3
	s_cmp_lg_u32 s60, s64
	v_sub_u32_e32 v1, v1, v4
	v_add_u32_e32 v4, v3, v5
	v_mul_lo_u32 v5, v1, s8
	v_mul_lo_u32 v6, v1, s9
	v_lshrrev_b32_e32 v1, s21, v4
	v_mul_lo_u32 v4, v1, s19
	v_mul_hi_u32 v7, s23, v1
	v_sub_u32_e32 v3, v3, v4
	v_add_u32_e32 v4, v1, v7
	v_lshrrev_b32_e32 v4, s0, v4
	v_mul_hi_u32 v8, s2, v4
	v_mul_lo_u32 v9, v4, s22
	v_mul_lo_u32 v7, v3, s10
	;; [unrolled: 1-line block ×3, first 2 shown]
	v_sub_u32_e32 v9, v1, v9
	v_add_u32_e32 v1, v4, v8
	v_lshrrev_b32_e32 v1, s3, v1
	v_mul_lo_u32 v8, v1, s1
	v_mul_lo_u32 v10, v9, s12
	;; [unrolled: 1-line block ×3, first 2 shown]
	v_add3_u32 v0, v5, v0, v7
	v_sub_u32_e32 v4, v4, v8
	v_mul_lo_u32 v8, v4, s14
	v_mul_lo_u32 v4, v4, s15
	v_add3_u32 v2, v6, v2, v3
	v_add3_u32 v0, v10, v0, v8
	;; [unrolled: 1-line block ×3, first 2 shown]
	s_cbranch_scc1 .LBB135_6
	s_branch .LBB135_10
.LBB135_7:
                                        ; implicit-def: $vgpr0
                                        ; implicit-def: $vgpr2
	s_branch .LBB135_14
.LBB135_8:
	v_mov_b32_e32 v0, 0
	v_mov_b32_e32 v2, 0
	s_branch .LBB135_13
.LBB135_9:
	s_mov_b32 s60, 0
	v_mov_b32_e32 v0, 0
	v_mov_b32_e32 v2, 0
	;; [unrolled: 1-line block ×3, first 2 shown]
.LBB135_10:
	s_and_b32 s8, s61, 3
	s_cmp_eq_u32 s8, 0
	s_cbranch_scc1 .LBB135_13
; %bb.11:
	s_lshl_b32 s0, s60, 3
	s_add_u32 s0, s34, s0
	s_addc_u32 s1, s35, 0
	s_add_u32 s0, s0, 0xc4
	s_addc_u32 s1, s1, 0
	s_mul_i32 s2, s60, 12
	s_add_u32 s2, s34, s2
	s_addc_u32 s3, s35, 0
.LBB135_12:                             ; =>This Inner Loop Header: Depth=1
	s_load_dwordx2 s[10:11], s[2:3], 0x4
	s_load_dword s9, s[2:3], 0xc
	s_load_dwordx2 s[12:13], s[0:1], 0x0
	s_add_u32 s2, s2, 12
	s_addc_u32 s3, s3, 0
	s_waitcnt lgkmcnt(0)
	v_mul_hi_u32 v3, s11, v1
	s_add_u32 s0, s0, 8
	s_addc_u32 s1, s1, 0
	s_add_i32 s8, s8, -1
	v_add_u32_e32 v3, v1, v3
	v_lshrrev_b32_e32 v4, s9, v3
	v_mul_lo_u32 v3, v4, s10
	s_cmp_lg_u32 s8, 0
	v_sub_u32_e32 v3, v1, v3
	v_mad_u64_u32 v[0:1], s[10:11], v3, s12, v[0:1]
	v_mad_u64_u32 v[2:3], s[10:11], v3, s13, v[2:3]
	v_mov_b32_e32 v1, v4
	s_cbranch_scc1 .LBB135_12
.LBB135_13:
	s_cbranch_execnz .LBB135_16
.LBB135_14:
	s_waitcnt lgkmcnt(0)
	v_mul_hi_u32 v0, s37, v11
	s_andn2_b64 vcc, exec, s[48:49]
	v_add_u32_e32 v0, v11, v0
	v_lshrrev_b32_e32 v1, s38, v0
	v_mul_lo_u32 v0, v1, s36
	v_sub_u32_e32 v2, v11, v0
	v_mul_lo_u32 v0, v2, s28
	v_mul_lo_u32 v2, v2, s29
	s_cbranch_vccnz .LBB135_16
; %bb.15:
	v_mul_hi_u32 v3, s46, v1
	v_add_u32_e32 v3, v1, v3
	v_lshrrev_b32_e32 v3, s47, v3
	v_mul_lo_u32 v3, v3, s39
	v_sub_u32_e32 v3, v1, v3
	v_mad_u64_u32 v[0:1], s[0:1], v3, s30, v[0:1]
	v_mad_u64_u32 v[2:3], s[0:1], v3, s31, v[2:3]
.LBB135_16:
	s_waitcnt lgkmcnt(0)
	v_mov_b32_e32 v3, s27
	s_and_b32 s10, s77, 0xff
	v_add_co_u32_e32 v1, vcc, s26, v2
	s_cmp_lt_i32 s10, 11
	v_addc_co_u32_e32 v2, vcc, 0, v3, vcc
	s_cbranch_scc1 .LBB135_23
; %bb.17:
	s_and_b32 s11, 0xffff, s10
	s_cmp_gt_i32 s11, 25
	s_cbranch_scc0 .LBB135_32
; %bb.18:
	s_cmp_gt_i32 s11, 28
	s_cbranch_scc0 .LBB135_35
; %bb.19:
	;; [unrolled: 3-line block ×4, first 2 shown]
	s_cmp_eq_u32 s11, 46
	s_mov_b64 s[8:9], 0
	s_cbranch_scc0 .LBB135_41
; %bb.22:
	global_load_dword v3, v[1:2], off
	s_mov_b32 s0, 0x2f800000
	s_mov_b32 s1, 0xcf800000
	s_mov_b64 s[2:3], 0
	s_waitcnt vmcnt(0)
	v_lshlrev_b32_e32 v3, 16, v3
	v_trunc_f32_e32 v3, v3
	v_mul_f32_e64 v4, |v3|, s0
	v_floor_f32_e32 v4, v4
	v_fma_f32 v4, v4, s1, |v3|
	v_cvt_u32_f32_e32 v4, v4
	v_ashrrev_i32_e32 v3, 31, v3
	s_mov_b64 s[0:1], -1
	v_xor_b32_e32 v4, v4, v3
	v_sub_u32_e32 v3, v4, v3
	s_branch .LBB135_43
.LBB135_23:
	s_mov_b64 s[2:3], 0
                                        ; implicit-def: $vgpr3
	s_mov_b64 s[0:1], 0
	s_cbranch_execnz .LBB135_212
.LBB135_24:
	s_andn2_b64 vcc, exec, s[0:1]
	s_cbranch_vccnz .LBB135_259
.LBB135_25:
	s_waitcnt vmcnt(0)
	v_lshrrev_b16_sdwa v1, s76, v3 dst_sel:DWORD dst_unused:UNUSED_PAD src0_sel:DWORD src1_sel:BYTE_0
	v_cndmask_b32_e64 v2, v1, 0, s[44:45]
	v_mov_b32_e32 v1, s25
	s_and_b32 s14, s75, 0xff
	v_add_co_u32_e32 v0, vcc, s24, v0
	s_cmp_lt_i32 s14, 11
	v_addc_co_u32_e32 v1, vcc, 0, v1, vcc
	s_cbranch_scc1 .LBB135_33
; %bb.26:
	s_and_b32 s15, 0xffff, s14
	s_cmp_gt_i32 s15, 25
	s_cbranch_scc0 .LBB135_36
; %bb.27:
	s_cmp_gt_i32 s15, 28
	s_cbranch_scc0 .LBB135_38
; %bb.28:
	;; [unrolled: 3-line block ×4, first 2 shown]
	s_mov_b64 s[10:11], 0
	s_mov_b64 s[0:1], -1
	s_cmp_eq_u32 s15, 46
	s_mov_b64 s[8:9], 0
	s_cbranch_scc0 .LBB135_47
; %bb.31:
	v_cvt_f32_ubyte0_e32 v3, v2
	v_bfe_u32 v4, v3, 16, 1
	s_movk_i32 s0, 0x7fff
	v_add3_u32 v3, v3, v4, s0
	v_lshrrev_b32_e32 v3, 16, v3
	global_store_dword v[0:1], v3, off
	s_mov_b64 s[8:9], -1
	s_mov_b64 s[0:1], 0
	s_branch .LBB135_47
.LBB135_32:
	s_mov_b64 s[2:3], 0
	s_mov_b64 s[0:1], 0
                                        ; implicit-def: $vgpr3
	s_cbranch_execnz .LBB135_179
	s_branch .LBB135_211
.LBB135_33:
	s_mov_b64 s[0:1], 0
	s_mov_b64 s[8:9], 0
	s_cbranch_execnz .LBB135_116
.LBB135_34:
	s_andn2_b64 vcc, exec, s[8:9]
	s_cbranch_vccnz .LBB135_260
	s_branch .LBB135_154
.LBB135_35:
	s_mov_b64 s[8:9], -1
	s_mov_b64 s[2:3], 0
	s_mov_b64 s[0:1], 0
                                        ; implicit-def: $vgpr3
	s_branch .LBB135_162
.LBB135_36:
	s_mov_b64 s[10:11], -1
	s_mov_b64 s[0:1], 0
	s_mov_b64 s[8:9], 0
	s_branch .LBB135_74
.LBB135_37:
	s_mov_b64 s[8:9], -1
	s_mov_b64 s[2:3], 0
	s_mov_b64 s[0:1], 0
                                        ; implicit-def: $vgpr3
	s_branch .LBB135_157
.LBB135_38:
	s_mov_b64 s[10:11], -1
	s_mov_b64 s[0:1], 0
	s_mov_b64 s[8:9], 0
	s_branch .LBB135_57
.LBB135_39:
	s_mov_b64 s[8:9], -1
	s_mov_b64 s[2:3], 0
	s_branch .LBB135_42
.LBB135_40:
	s_mov_b64 s[10:11], -1
	s_mov_b64 s[0:1], 0
	s_mov_b64 s[8:9], 0
	s_branch .LBB135_53
.LBB135_41:
	s_mov_b64 s[2:3], -1
.LBB135_42:
	s_mov_b64 s[0:1], 0
                                        ; implicit-def: $vgpr3
.LBB135_43:
	s_and_b64 vcc, exec, s[8:9]
	s_cbranch_vccz .LBB135_156
; %bb.44:
	s_cmp_eq_u32 s11, 44
	s_cbranch_scc0 .LBB135_155
; %bb.45:
	global_load_ubyte v3, v[1:2], off
	s_mov_b32 s0, 0x2f800000
	s_mov_b32 s1, 0xcf800000
	s_mov_b64 s[2:3], 0
	s_waitcnt vmcnt(0)
	v_lshlrev_b32_e32 v4, 23, v3
	v_trunc_f32_e32 v4, v4
	v_mul_f32_e64 v5, |v4|, s0
	v_floor_f32_e32 v5, v5
	v_fma_f32 v5, v5, s1, |v4|
	v_cvt_u32_f32_e32 v5, v5
	v_ashrrev_i32_e32 v4, 31, v4
	v_cmp_ne_u32_e32 vcc, 0, v3
	s_mov_b64 s[0:1], -1
	v_xor_b32_e32 v5, v5, v4
	v_sub_u32_e32 v4, v5, v4
	v_cndmask_b32_e32 v3, 0, v4, vcc
	s_branch .LBB135_156
.LBB135_46:
	s_mov_b64 s[10:11], -1
	s_mov_b64 s[0:1], 0
	s_mov_b64 s[8:9], 0
.LBB135_47:
	s_and_b64 vcc, exec, s[10:11]
	s_cbranch_vccz .LBB135_52
; %bb.48:
	s_cmp_eq_u32 s15, 44
	s_mov_b64 s[0:1], -1
	s_cbranch_scc0 .LBB135_52
; %bb.49:
	v_cvt_f32_ubyte0_e32 v4, v2
	v_lshrrev_b32_e32 v3, 23, v4
	s_movk_i32 s0, 0xff
	v_cmp_ne_u32_e32 vcc, s0, v3
	v_mov_b32_e32 v5, 0xff
	s_and_saveexec_b64 s[8:9], vcc
; %bb.50:
	s_mov_b32 s0, 0x3fffff
	v_and_b32_e32 v5, 0x400000, v4
	v_and_or_b32 v4, v4, s0, v3
	v_cmp_ne_u32_e32 vcc, 0, v5
	v_cmp_ne_u32_e64 s[0:1], 0, v4
	s_and_b64 s[0:1], vcc, s[0:1]
	v_cndmask_b32_e64 v4, 0, 1, s[0:1]
	v_add_u32_e32 v5, v3, v4
; %bb.51:
	s_or_b64 exec, exec, s[8:9]
	s_mov_b64 s[8:9], -1
	s_mov_b64 s[0:1], 0
	global_store_byte v[0:1], v5, off
.LBB135_52:
	s_mov_b64 s[10:11], 0
.LBB135_53:
	s_and_b64 vcc, exec, s[10:11]
	s_cbranch_vccz .LBB135_56
; %bb.54:
	s_cmp_eq_u32 s15, 29
	s_mov_b64 s[0:1], -1
	s_cbranch_scc0 .LBB135_56
; %bb.55:
	s_mov_b32 s0, 0
	v_and_b32_e32 v3, 0xffff, v2
	v_mov_b32_e32 v4, s0
	global_store_dwordx2 v[0:1], v[3:4], off
	s_mov_b64 s[8:9], -1
	s_mov_b64 s[0:1], 0
.LBB135_56:
	s_mov_b64 s[10:11], 0
.LBB135_57:
	s_and_b64 vcc, exec, s[10:11]
	s_cbranch_vccz .LBB135_73
; %bb.58:
	s_cmp_lt_i32 s15, 27
	s_mov_b64 s[8:9], -1
	s_cbranch_scc1 .LBB135_64
; %bb.59:
	s_cmp_gt_i32 s15, 27
	s_cbranch_scc0 .LBB135_61
; %bb.60:
	v_and_b32_e32 v3, 0xffff, v2
	s_mov_b64 s[8:9], 0
	global_store_dword v[0:1], v3, off
.LBB135_61:
	s_andn2_b64 vcc, exec, s[8:9]
	s_cbranch_vccnz .LBB135_63
; %bb.62:
	global_store_short v[0:1], v2, off
.LBB135_63:
	s_mov_b64 s[8:9], 0
.LBB135_64:
	s_andn2_b64 vcc, exec, s[8:9]
	s_cbranch_vccnz .LBB135_72
; %bb.65:
	v_cvt_f32_ubyte0_e32 v4, v2
	s_mov_b32 s8, 0x43800000
	v_cmp_gt_u32_e32 vcc, s8, v4
	v_mov_b32_e32 v5, 0x80
	s_and_saveexec_b64 s[8:9], vcc
	s_cbranch_execz .LBB135_71
; %bb.66:
	s_mov_b32 s10, 0x3bffffff
	v_cmp_lt_u32_e32 vcc, s10, v4
	s_mov_b64 s[10:11], 0
                                        ; implicit-def: $vgpr3
	s_and_saveexec_b64 s[12:13], vcc
	s_xor_b64 s[12:13], exec, s[12:13]
	s_cbranch_execz .LBB135_303
; %bb.67:
	v_bfe_u32 v3, v4, 20, 1
	s_mov_b32 s16, 0x487ffff
	v_add3_u32 v3, v4, v3, s16
	s_mov_b64 s[10:11], exec
	v_lshrrev_b32_e32 v3, 20, v3
                                        ; implicit-def: $vgpr4
	s_andn2_saveexec_b64 s[12:13], s[12:13]
	s_cbranch_execnz .LBB135_304
.LBB135_68:
	s_or_b64 exec, exec, s[12:13]
	v_mov_b32_e32 v5, 0
	s_and_saveexec_b64 s[12:13], s[10:11]
.LBB135_69:
	v_mov_b32_e32 v5, v3
.LBB135_70:
	s_or_b64 exec, exec, s[12:13]
.LBB135_71:
	s_or_b64 exec, exec, s[8:9]
	global_store_byte v[0:1], v5, off
.LBB135_72:
	s_mov_b64 s[8:9], -1
.LBB135_73:
	s_mov_b64 s[10:11], 0
.LBB135_74:
	s_and_b64 vcc, exec, s[10:11]
	s_cbranch_vccz .LBB135_115
; %bb.75:
	s_cmp_gt_i32 s15, 22
	s_mov_b64 s[10:11], -1
	s_cbranch_scc0 .LBB135_107
; %bb.76:
	s_cmp_lt_i32 s15, 24
	s_mov_b64 s[8:9], -1
	s_cbranch_scc1 .LBB135_96
; %bb.77:
	s_cmp_gt_i32 s15, 24
	s_cbranch_scc0 .LBB135_85
; %bb.78:
	v_cvt_f32_ubyte0_e32 v4, v2
	s_mov_b32 s8, 0x47800000
	v_cmp_gt_u32_e32 vcc, s8, v4
	v_mov_b32_e32 v5, 0x80
	s_and_saveexec_b64 s[8:9], vcc
	s_cbranch_execz .LBB135_84
; %bb.79:
	s_mov_b32 s10, 0x37ffffff
	v_cmp_lt_u32_e32 vcc, s10, v4
	s_mov_b64 s[10:11], 0
                                        ; implicit-def: $vgpr3
	s_and_saveexec_b64 s[12:13], vcc
	s_xor_b64 s[12:13], exec, s[12:13]
	s_cbranch_execz .LBB135_307
; %bb.80:
	v_bfe_u32 v3, v4, 21, 1
	s_mov_b32 s16, 0x88fffff
	v_add3_u32 v3, v4, v3, s16
	s_mov_b64 s[10:11], exec
	v_lshrrev_b32_e32 v3, 21, v3
                                        ; implicit-def: $vgpr4
	s_andn2_saveexec_b64 s[12:13], s[12:13]
	s_cbranch_execnz .LBB135_308
.LBB135_81:
	s_or_b64 exec, exec, s[12:13]
	v_mov_b32_e32 v5, 0
	s_and_saveexec_b64 s[12:13], s[10:11]
.LBB135_82:
	v_mov_b32_e32 v5, v3
.LBB135_83:
	s_or_b64 exec, exec, s[12:13]
.LBB135_84:
	s_or_b64 exec, exec, s[8:9]
	s_mov_b64 s[8:9], 0
	global_store_byte v[0:1], v5, off
.LBB135_85:
	s_and_b64 vcc, exec, s[8:9]
	s_cbranch_vccz .LBB135_95
; %bb.86:
	v_cvt_f32_ubyte0_e32 v3, v2
	s_mov_b32 s8, 0x43f00000
	v_cmp_gt_u32_e32 vcc, s8, v3
                                        ; implicit-def: $vgpr4
	s_and_saveexec_b64 s[8:9], vcc
	s_xor_b64 s[8:9], exec, s[8:9]
	s_cbranch_execz .LBB135_92
; %bb.87:
	s_mov_b32 s10, 0x3c7fffff
	v_cmp_lt_u32_e32 vcc, s10, v3
                                        ; implicit-def: $vgpr4
	s_and_saveexec_b64 s[10:11], vcc
	s_xor_b64 s[10:11], exec, s[10:11]
; %bb.88:
	v_bfe_u32 v4, v3, 20, 1
	s_mov_b32 s12, 0x407ffff
	v_add3_u32 v3, v3, v4, s12
	v_lshrrev_b32_e32 v4, 20, v3
	v_and_b32_e32 v3, 0xff00000, v3
	s_mov_b32 s12, 0x7f00000
	v_mov_b32_e32 v5, 0x7e
	v_cmp_ne_u32_e32 vcc, s12, v3
	v_cndmask_b32_e32 v4, v5, v4, vcc
                                        ; implicit-def: $vgpr3
; %bb.89:
	s_andn2_saveexec_b64 s[10:11], s[10:11]
; %bb.90:
	v_add_f32_e32 v4, 0x46800000, v3
; %bb.91:
	s_or_b64 exec, exec, s[10:11]
                                        ; implicit-def: $vgpr3
.LBB135_92:
	s_andn2_saveexec_b64 s[8:9], s[8:9]
; %bb.93:
	s_mov_b32 s10, 0x7f800000
	v_mov_b32_e32 v4, 0x7e
	v_mov_b32_e32 v5, 0x7f
	v_cmp_lt_u32_e32 vcc, s10, v3
	v_cndmask_b32_e32 v4, v4, v5, vcc
; %bb.94:
	s_or_b64 exec, exec, s[8:9]
	global_store_byte v[0:1], v4, off
.LBB135_95:
	s_mov_b64 s[8:9], 0
.LBB135_96:
	s_andn2_b64 vcc, exec, s[8:9]
	s_cbranch_vccnz .LBB135_106
; %bb.97:
	v_cvt_f32_ubyte0_e32 v3, v2
	s_mov_b32 s8, 0x47800000
	v_cmp_gt_u32_e32 vcc, s8, v3
                                        ; implicit-def: $vgpr4
	s_and_saveexec_b64 s[8:9], vcc
	s_xor_b64 s[8:9], exec, s[8:9]
	s_cbranch_execz .LBB135_103
; %bb.98:
	s_mov_b32 s10, 0x387fffff
	v_cmp_lt_u32_e32 vcc, s10, v3
                                        ; implicit-def: $vgpr4
	s_and_saveexec_b64 s[10:11], vcc
	s_xor_b64 s[10:11], exec, s[10:11]
; %bb.99:
	v_bfe_u32 v4, v3, 21, 1
	s_mov_b32 s12, 0x80fffff
	v_add3_u32 v3, v3, v4, s12
	v_lshrrev_b32_e32 v4, 21, v3
                                        ; implicit-def: $vgpr3
; %bb.100:
	s_andn2_saveexec_b64 s[10:11], s[10:11]
; %bb.101:
	v_add_f32_e32 v4, 0x43000000, v3
; %bb.102:
	s_or_b64 exec, exec, s[10:11]
                                        ; implicit-def: $vgpr3
.LBB135_103:
	s_andn2_saveexec_b64 s[8:9], s[8:9]
; %bb.104:
	s_mov_b32 s10, 0x7f800000
	v_mov_b32_e32 v4, 0x7c
	v_mov_b32_e32 v5, 0x7f
	v_cmp_lt_u32_e32 vcc, s10, v3
	v_cndmask_b32_e32 v4, v4, v5, vcc
; %bb.105:
	s_or_b64 exec, exec, s[8:9]
	global_store_byte v[0:1], v4, off
.LBB135_106:
	s_mov_b64 s[10:11], 0
	s_mov_b64 s[8:9], -1
.LBB135_107:
	s_andn2_b64 vcc, exec, s[10:11]
	s_cbranch_vccnz .LBB135_115
; %bb.108:
	s_cmp_gt_i32 s15, 14
	s_mov_b64 s[10:11], -1
	s_cbranch_scc0 .LBB135_112
; %bb.109:
	s_cmp_eq_u32 s15, 15
	s_mov_b64 s[0:1], -1
	s_cbranch_scc0 .LBB135_111
; %bb.110:
	v_cvt_f32_ubyte0_e32 v3, v2
	v_bfe_u32 v4, v3, 16, 1
	s_movk_i32 s0, 0x7fff
	v_add3_u32 v3, v3, v4, s0
	global_store_short_d16_hi v[0:1], v3, off
	s_mov_b64 s[8:9], -1
	s_mov_b64 s[0:1], 0
.LBB135_111:
	s_mov_b64 s[10:11], 0
.LBB135_112:
	s_and_b64 vcc, exec, s[10:11]
	s_cbranch_vccz .LBB135_115
; %bb.113:
	s_cmp_eq_u32 s15, 11
	s_mov_b64 s[0:1], -1
	s_cbranch_scc0 .LBB135_115
; %bb.114:
	v_cmp_ne_u16_e32 vcc, 0, v2
	v_cndmask_b32_e64 v3, 0, 1, vcc
	s_mov_b64 s[8:9], -1
	s_mov_b64 s[0:1], 0
	global_store_byte v[0:1], v3, off
.LBB135_115:
	s_branch .LBB135_34
.LBB135_116:
	s_and_b32 s10, 0xffff, s14
	s_cmp_lt_i32 s10, 5
	s_mov_b64 s[8:9], -1
	s_cbranch_scc1 .LBB135_137
; %bb.117:
	s_cmp_lt_i32 s10, 8
	s_cbranch_scc1 .LBB135_127
; %bb.118:
	s_cmp_lt_i32 s10, 9
	s_cbranch_scc1 .LBB135_124
; %bb.119:
	s_cmp_gt_i32 s10, 9
	s_cbranch_scc0 .LBB135_121
; %bb.120:
	v_and_b32_e32 v3, 0xffff, v2
	v_cvt_f64_u32_e32 v[3:4], v3
	v_mov_b32_e32 v5, 0
	v_mov_b32_e32 v6, v5
	s_mov_b64 s[8:9], 0
	global_store_dwordx4 v[0:1], v[3:6], off
.LBB135_121:
	s_andn2_b64 vcc, exec, s[8:9]
	s_cbranch_vccnz .LBB135_123
; %bb.122:
	v_cvt_f32_ubyte0_e32 v3, v2
	v_mov_b32_e32 v4, 0
	global_store_dwordx2 v[0:1], v[3:4], off
.LBB135_123:
	s_mov_b64 s[8:9], 0
.LBB135_124:
	s_andn2_b64 vcc, exec, s[8:9]
	s_cbranch_vccnz .LBB135_126
; %bb.125:
	v_cvt_f16_u16_e32 v3, v2
	global_store_dword v[0:1], v3, off
.LBB135_126:
	s_mov_b64 s[8:9], 0
.LBB135_127:
	s_andn2_b64 vcc, exec, s[8:9]
	s_cbranch_vccnz .LBB135_136
; %bb.128:
	s_cmp_lt_i32 s10, 6
	s_mov_b64 s[8:9], -1
	s_cbranch_scc1 .LBB135_134
; %bb.129:
	s_cmp_gt_i32 s10, 6
	s_cbranch_scc0 .LBB135_131
; %bb.130:
	v_and_b32_e32 v3, 0xffff, v2
	v_cvt_f64_u32_e32 v[3:4], v3
	s_mov_b64 s[8:9], 0
	global_store_dwordx2 v[0:1], v[3:4], off
.LBB135_131:
	s_andn2_b64 vcc, exec, s[8:9]
	s_cbranch_vccnz .LBB135_133
; %bb.132:
	v_cvt_f32_ubyte0_e32 v3, v2
	global_store_dword v[0:1], v3, off
.LBB135_133:
	s_mov_b64 s[8:9], 0
.LBB135_134:
	s_andn2_b64 vcc, exec, s[8:9]
	s_cbranch_vccnz .LBB135_136
; %bb.135:
	v_cvt_f16_u16_e32 v3, v2
	global_store_short v[0:1], v3, off
.LBB135_136:
	s_mov_b64 s[8:9], 0
.LBB135_137:
	s_andn2_b64 vcc, exec, s[8:9]
	s_cbranch_vccnz .LBB135_153
; %bb.138:
	s_cmp_lt_i32 s10, 2
	s_mov_b64 s[8:9], -1
	s_cbranch_scc1 .LBB135_148
; %bb.139:
	s_cmp_lt_i32 s10, 3
	s_cbranch_scc1 .LBB135_145
; %bb.140:
	s_cmp_gt_i32 s10, 3
	s_cbranch_scc0 .LBB135_142
; %bb.141:
	s_mov_b32 s8, 0
	v_and_b32_e32 v3, 0xffff, v2
	v_mov_b32_e32 v4, s8
	global_store_dwordx2 v[0:1], v[3:4], off
	s_mov_b64 s[8:9], 0
.LBB135_142:
	s_andn2_b64 vcc, exec, s[8:9]
	s_cbranch_vccnz .LBB135_144
; %bb.143:
	v_and_b32_e32 v3, 0xffff, v2
	global_store_dword v[0:1], v3, off
.LBB135_144:
	s_mov_b64 s[8:9], 0
.LBB135_145:
	s_andn2_b64 vcc, exec, s[8:9]
	s_cbranch_vccnz .LBB135_147
; %bb.146:
	global_store_short v[0:1], v2, off
.LBB135_147:
	s_mov_b64 s[8:9], 0
.LBB135_148:
	s_andn2_b64 vcc, exec, s[8:9]
	s_cbranch_vccnz .LBB135_153
; %bb.149:
	s_cmp_gt_i32 s10, 0
	s_mov_b64 s[8:9], -1
	s_cbranch_scc0 .LBB135_151
; %bb.150:
	global_store_byte v[0:1], v2, off
	s_mov_b64 s[8:9], 0
.LBB135_151:
	s_andn2_b64 vcc, exec, s[8:9]
	s_cbranch_vccnz .LBB135_153
; %bb.152:
	global_store_byte v[0:1], v2, off
.LBB135_153:
.LBB135_154:
	v_add_u32_e32 v11, 0x80, v11
	s_mov_b64 s[8:9], -1
	s_branch .LBB135_261
.LBB135_155:
	s_mov_b64 s[2:3], -1
                                        ; implicit-def: $vgpr3
.LBB135_156:
	s_mov_b64 s[8:9], 0
.LBB135_157:
	s_and_b64 vcc, exec, s[8:9]
	s_cbranch_vccz .LBB135_161
; %bb.158:
	s_cmp_eq_u32 s11, 29
	s_cbranch_scc0 .LBB135_160
; %bb.159:
	global_load_dwordx2 v[3:4], v[1:2], off
	s_mov_b64 s[0:1], -1
	s_mov_b64 s[2:3], 0
	s_branch .LBB135_161
.LBB135_160:
	s_mov_b64 s[2:3], -1
                                        ; implicit-def: $vgpr3
.LBB135_161:
	s_mov_b64 s[8:9], 0
.LBB135_162:
	s_and_b64 vcc, exec, s[8:9]
	s_cbranch_vccz .LBB135_178
; %bb.163:
	s_cmp_lt_i32 s11, 27
	s_cbranch_scc1 .LBB135_166
; %bb.164:
	s_cmp_gt_i32 s11, 27
	s_cbranch_scc0 .LBB135_167
; %bb.165:
	global_load_dword v3, v[1:2], off
	s_mov_b64 s[0:1], 0
	s_branch .LBB135_168
.LBB135_166:
	s_mov_b64 s[0:1], -1
                                        ; implicit-def: $vgpr3
	s_branch .LBB135_171
.LBB135_167:
	s_mov_b64 s[0:1], -1
                                        ; implicit-def: $vgpr3
.LBB135_168:
	s_andn2_b64 vcc, exec, s[0:1]
	s_cbranch_vccnz .LBB135_170
; %bb.169:
	global_load_ushort v3, v[1:2], off
.LBB135_170:
	s_mov_b64 s[0:1], 0
.LBB135_171:
	s_andn2_b64 vcc, exec, s[0:1]
	s_cbranch_vccnz .LBB135_177
; %bb.172:
	global_load_ubyte v4, v[1:2], off
	s_movk_i32 s0, 0x7f
	s_mov_b64 s[8:9], 0
	s_waitcnt vmcnt(0)
	v_cmp_lt_i16_e32 vcc, s0, v4
	s_and_saveexec_b64 s[0:1], vcc
	s_xor_b64 s[0:1], exec, s[0:1]
	s_cbranch_execz .LBB135_188
; %bb.173:
	s_movk_i32 s8, 0x80
	v_cmp_ne_u16_e32 vcc, s8, v4
	s_and_b64 s[8:9], vcc, exec
	s_andn2_saveexec_b64 s[0:1], s[0:1]
	s_cbranch_execnz .LBB135_189
.LBB135_174:
	s_or_b64 exec, exec, s[0:1]
	v_mov_b32_e32 v3, 0
	s_and_saveexec_b64 s[0:1], s[8:9]
	s_cbranch_execz .LBB135_176
.LBB135_175:
	v_lshlrev_b32_e32 v3, 24, v4
	v_and_b32_e32 v4, 0xffff, v4
	v_and_b32_e32 v5, 7, v4
	v_ffbh_u32_e32 v7, v5
	v_min_u32_e32 v7, 32, v7
	v_subrev_u32_e32 v8, 28, v7
	v_bfe_u32 v6, v4, 3, 4
	v_lshlrev_b32_e32 v4, v8, v4
	v_sub_u32_e32 v7, 29, v7
	v_and_b32_e32 v4, 7, v4
	v_cmp_eq_u32_e32 vcc, 0, v6
	v_cndmask_b32_e32 v6, v6, v7, vcc
	v_cndmask_b32_e32 v4, v5, v4, vcc
	v_mov_b32_e32 v5, 0x3b800000
	v_lshlrev_b32_e32 v4, 20, v4
	v_and_b32_e32 v3, 0x80000000, v3
	v_lshl_add_u32 v5, v6, 23, v5
	v_or3_b32 v3, v3, v5, v4
	v_trunc_f32_e32 v3, v3
	s_mov_b32 s8, 0x2f800000
	v_mul_f32_e64 v4, |v3|, s8
	v_floor_f32_e32 v4, v4
	s_mov_b32 s8, 0xcf800000
	v_fma_f32 v4, v4, s8, |v3|
	v_cvt_u32_f32_e32 v4, v4
	v_ashrrev_i32_e32 v3, 31, v3
	v_xor_b32_e32 v4, v4, v3
	v_sub_u32_e32 v3, v4, v3
.LBB135_176:
	s_or_b64 exec, exec, s[0:1]
.LBB135_177:
	s_mov_b64 s[0:1], -1
.LBB135_178:
	s_branch .LBB135_211
.LBB135_179:
	s_cmp_gt_i32 s11, 22
	s_cbranch_scc0 .LBB135_187
; %bb.180:
	s_cmp_lt_i32 s11, 24
	s_cbranch_scc1 .LBB135_190
; %bb.181:
	s_cmp_gt_i32 s11, 24
	s_cbranch_scc0 .LBB135_191
; %bb.182:
	global_load_ubyte v4, v[1:2], off
	s_movk_i32 s0, 0x7f
	s_mov_b64 s[8:9], 0
	s_waitcnt vmcnt(0)
	v_cmp_lt_i16_e32 vcc, s0, v4
	s_and_saveexec_b64 s[0:1], vcc
	s_xor_b64 s[0:1], exec, s[0:1]
	s_cbranch_execz .LBB135_203
; %bb.183:
	s_movk_i32 s8, 0x80
	v_cmp_ne_u16_e32 vcc, s8, v4
	s_and_b64 s[8:9], vcc, exec
	s_andn2_saveexec_b64 s[0:1], s[0:1]
	s_cbranch_execnz .LBB135_204
.LBB135_184:
	s_or_b64 exec, exec, s[0:1]
	v_mov_b32_e32 v3, 0
	s_and_saveexec_b64 s[0:1], s[8:9]
	s_cbranch_execz .LBB135_186
.LBB135_185:
	v_lshlrev_b32_e32 v3, 24, v4
	v_and_b32_e32 v4, 0xffff, v4
	v_and_b32_e32 v5, 3, v4
	v_ffbh_u32_e32 v7, v5
	v_min_u32_e32 v7, 32, v7
	v_subrev_u32_e32 v8, 29, v7
	v_bfe_u32 v6, v4, 2, 5
	v_lshlrev_b32_e32 v4, v8, v4
	v_sub_u32_e32 v7, 30, v7
	v_and_b32_e32 v4, 3, v4
	v_cmp_eq_u32_e32 vcc, 0, v6
	v_cndmask_b32_e32 v6, v6, v7, vcc
	v_cndmask_b32_e32 v4, v5, v4, vcc
	v_mov_b32_e32 v5, 0x37800000
	v_lshlrev_b32_e32 v4, 21, v4
	v_and_b32_e32 v3, 0x80000000, v3
	v_lshl_add_u32 v5, v6, 23, v5
	v_or3_b32 v3, v3, v5, v4
	v_trunc_f32_e32 v3, v3
	s_mov_b32 s8, 0x2f800000
	v_mul_f32_e64 v4, |v3|, s8
	v_floor_f32_e32 v4, v4
	s_mov_b32 s8, 0xcf800000
	v_fma_f32 v4, v4, s8, |v3|
	v_cvt_u32_f32_e32 v4, v4
	v_ashrrev_i32_e32 v3, 31, v3
	v_xor_b32_e32 v4, v4, v3
	v_sub_u32_e32 v3, v4, v3
.LBB135_186:
	s_or_b64 exec, exec, s[0:1]
	s_mov_b64 s[0:1], 0
	s_branch .LBB135_192
.LBB135_187:
	s_mov_b64 s[8:9], -1
                                        ; implicit-def: $vgpr3
	s_branch .LBB135_198
.LBB135_188:
	s_andn2_saveexec_b64 s[0:1], s[0:1]
	s_cbranch_execz .LBB135_174
.LBB135_189:
	v_cmp_ne_u16_e32 vcc, 0, v4
	s_andn2_b64 s[8:9], s[8:9], exec
	s_and_b64 s[12:13], vcc, exec
	s_or_b64 s[8:9], s[8:9], s[12:13]
	s_or_b64 exec, exec, s[0:1]
	v_mov_b32_e32 v3, 0
	s_and_saveexec_b64 s[0:1], s[8:9]
	s_cbranch_execnz .LBB135_175
	s_branch .LBB135_176
.LBB135_190:
	s_mov_b64 s[0:1], -1
                                        ; implicit-def: $vgpr3
	s_branch .LBB135_195
.LBB135_191:
	s_mov_b64 s[0:1], -1
                                        ; implicit-def: $vgpr3
.LBB135_192:
	s_and_b64 vcc, exec, s[0:1]
	s_cbranch_vccz .LBB135_194
; %bb.193:
	global_load_ubyte v3, v[1:2], off
	s_mov_b32 s0, 0x7f800000
	s_brev_b32 s1, 1
	s_mov_b32 s8, 0x2f800000
	s_waitcnt vmcnt(0)
	v_lshlrev_b32_e32 v3, 24, v3
	v_and_b32_e32 v4, 0x7f000000, v3
	v_ffbh_u32_e32 v5, v4
	v_min_u32_e32 v5, 32, v5
	v_sub_u32_e64 v5, v5, 4 clamp
	v_lshlrev_b32_e32 v7, v5, v4
	v_lshlrev_b32_e32 v5, 23, v5
	v_lshrrev_b32_e32 v7, 4, v7
	v_add_u32_e32 v6, 0x1000000, v4
	v_sub_u32_e32 v5, v7, v5
	v_ashrrev_i32_e32 v6, 8, v6
	v_add_u32_e32 v5, 0x3c000000, v5
	v_and_or_b32 v5, v6, s0, v5
	v_cmp_ne_u32_e32 vcc, 0, v4
	v_cndmask_b32_e32 v4, 0, v5, vcc
	v_and_or_b32 v3, v3, s1, v4
	v_trunc_f32_e32 v3, v3
	v_mul_f32_e64 v4, |v3|, s8
	v_floor_f32_e32 v4, v4
	s_mov_b32 s0, 0xcf800000
	v_fma_f32 v4, v4, s0, |v3|
	v_cvt_u32_f32_e32 v4, v4
	v_ashrrev_i32_e32 v3, 31, v3
	v_xor_b32_e32 v4, v4, v3
	v_sub_u32_e32 v3, v4, v3
.LBB135_194:
	s_mov_b64 s[0:1], 0
.LBB135_195:
	s_andn2_b64 vcc, exec, s[0:1]
	s_cbranch_vccnz .LBB135_197
; %bb.196:
	global_load_ubyte v3, v[1:2], off
	s_movk_i32 s0, 0x7f00
	s_brev_b32 s1, 16
	s_brev_b32 s8, 1
	s_mov_b32 s9, 0x2f800000
	s_waitcnt vmcnt(0)
	v_lshlrev_b16_e32 v4, 8, v3
	v_lshlrev_b32_e32 v3, 25, v3
	v_lshrrev_b32_e32 v5, 4, v3
	v_and_or_b32 v6, v4, s0, 0.5
	v_or_b32_e32 v5, 0x70000000, v5
	v_add_f32_e32 v6, -0.5, v6
	v_mul_f32_e32 v5, 0x7800000, v5
	v_cmp_gt_u32_e32 vcc, s1, v3
	v_bfe_i32 v4, v4, 0, 16
	v_cndmask_b32_e32 v3, v5, v6, vcc
	v_and_or_b32 v3, v4, s8, v3
	v_trunc_f32_e32 v3, v3
	v_mul_f32_e64 v4, |v3|, s9
	v_floor_f32_e32 v4, v4
	s_mov_b32 s0, 0xcf800000
	v_fma_f32 v4, v4, s0, |v3|
	v_cvt_u32_f32_e32 v4, v4
	v_ashrrev_i32_e32 v3, 31, v3
	v_xor_b32_e32 v4, v4, v3
	v_sub_u32_e32 v3, v4, v3
.LBB135_197:
	s_mov_b64 s[8:9], 0
	s_mov_b64 s[0:1], -1
.LBB135_198:
	s_andn2_b64 vcc, exec, s[8:9]
	s_cbranch_vccnz .LBB135_211
; %bb.199:
	s_cmp_gt_i32 s11, 14
	s_cbranch_scc0 .LBB135_202
; %bb.200:
	s_cmp_eq_u32 s11, 15
	s_cbranch_scc0 .LBB135_205
; %bb.201:
	global_load_ushort v3, v[1:2], off
	s_mov_b32 s0, 0x2f800000
	s_mov_b32 s1, 0xcf800000
	s_mov_b64 s[2:3], 0
	s_waitcnt vmcnt(0)
	v_lshlrev_b32_e32 v3, 16, v3
	v_trunc_f32_e32 v3, v3
	v_mul_f32_e64 v4, |v3|, s0
	v_floor_f32_e32 v4, v4
	v_fma_f32 v4, v4, s1, |v3|
	v_cvt_u32_f32_e32 v4, v4
	v_ashrrev_i32_e32 v3, 31, v3
	s_mov_b64 s[0:1], -1
	v_xor_b32_e32 v4, v4, v3
	v_sub_u32_e32 v3, v4, v3
	s_branch .LBB135_206
.LBB135_202:
	s_mov_b64 s[8:9], -1
                                        ; implicit-def: $vgpr3
	s_branch .LBB135_207
.LBB135_203:
	s_andn2_saveexec_b64 s[0:1], s[0:1]
	s_cbranch_execz .LBB135_184
.LBB135_204:
	v_cmp_ne_u16_e32 vcc, 0, v4
	s_andn2_b64 s[8:9], s[8:9], exec
	s_and_b64 s[12:13], vcc, exec
	s_or_b64 s[8:9], s[8:9], s[12:13]
	s_or_b64 exec, exec, s[0:1]
	v_mov_b32_e32 v3, 0
	s_and_saveexec_b64 s[0:1], s[8:9]
	s_cbranch_execnz .LBB135_185
	s_branch .LBB135_186
.LBB135_205:
	s_mov_b64 s[2:3], -1
                                        ; implicit-def: $vgpr3
.LBB135_206:
	s_mov_b64 s[8:9], 0
.LBB135_207:
	s_and_b64 vcc, exec, s[8:9]
	s_cbranch_vccz .LBB135_211
; %bb.208:
	s_cmp_eq_u32 s11, 11
	s_cbranch_scc0 .LBB135_210
; %bb.209:
	global_load_ubyte v3, v[1:2], off
	s_mov_b64 s[0:1], -1
	s_mov_b64 s[2:3], 0
	s_waitcnt vmcnt(0)
	v_cmp_ne_u16_e32 vcc, 0, v3
	v_cndmask_b32_e64 v3, 0, 1, vcc
	s_branch .LBB135_211
.LBB135_210:
	s_mov_b64 s[2:3], -1
                                        ; implicit-def: $vgpr3
.LBB135_211:
	s_branch .LBB135_24
.LBB135_212:
	s_and_b32 s8, 0xffff, s10
	s_cmp_lt_i32 s8, 5
	s_cbranch_scc1 .LBB135_217
; %bb.213:
	s_cmp_lt_i32 s8, 8
	s_cbranch_scc1 .LBB135_218
; %bb.214:
	;; [unrolled: 3-line block ×3, first 2 shown]
	s_cmp_gt_i32 s8, 9
	s_cbranch_scc0 .LBB135_220
; %bb.216:
	global_load_dwordx2 v[3:4], v[1:2], off
	s_movk_i32 s0, 0xffe0
	s_waitcnt vmcnt(0)
	v_trunc_f64_e32 v[3:4], v[3:4]
	v_ldexp_f64 v[5:6], v[3:4], s0
	s_mov_b32 s0, 0
	s_mov_b32 s1, 0xc1f00000
	v_floor_f64_e32 v[5:6], v[5:6]
	v_fma_f64 v[3:4], v[5:6], s[0:1], v[3:4]
	s_mov_b64 s[0:1], 0
	v_cvt_u32_f64_e32 v3, v[3:4]
	s_branch .LBB135_221
.LBB135_217:
                                        ; implicit-def: $vgpr3
	s_branch .LBB135_239
.LBB135_218:
	s_mov_b64 s[0:1], -1
                                        ; implicit-def: $vgpr3
	s_branch .LBB135_227
.LBB135_219:
	s_mov_b64 s[0:1], -1
                                        ; implicit-def: $vgpr3
	s_branch .LBB135_224
.LBB135_220:
	s_mov_b64 s[0:1], -1
                                        ; implicit-def: $vgpr3
.LBB135_221:
	s_andn2_b64 vcc, exec, s[0:1]
	s_cbranch_vccnz .LBB135_223
; %bb.222:
	global_load_dword v3, v[1:2], off
	s_mov_b32 s0, 0x2f800000
	s_waitcnt vmcnt(0)
	v_trunc_f32_e32 v3, v3
	v_mul_f32_e64 v4, |v3|, s0
	v_floor_f32_e32 v4, v4
	s_mov_b32 s0, 0xcf800000
	v_fma_f32 v4, v4, s0, |v3|
	v_cvt_u32_f32_e32 v4, v4
	v_ashrrev_i32_e32 v3, 31, v3
	v_xor_b32_e32 v4, v4, v3
	v_sub_u32_e32 v3, v4, v3
.LBB135_223:
	s_mov_b64 s[0:1], 0
.LBB135_224:
	s_andn2_b64 vcc, exec, s[0:1]
	s_cbranch_vccnz .LBB135_226
; %bb.225:
	global_load_dword v3, v[1:2], off
	s_waitcnt vmcnt(0)
	v_cvt_f32_f16_e32 v3, v3
	v_cvt_i32_f32_e32 v3, v3
.LBB135_226:
	s_mov_b64 s[0:1], 0
.LBB135_227:
	s_andn2_b64 vcc, exec, s[0:1]
	s_cbranch_vccnz .LBB135_238
; %bb.228:
	s_cmp_lt_i32 s8, 6
	s_cbranch_scc1 .LBB135_231
; %bb.229:
	s_cmp_gt_i32 s8, 6
	s_cbranch_scc0 .LBB135_232
; %bb.230:
	global_load_dwordx2 v[3:4], v[1:2], off
	s_movk_i32 s0, 0xffe0
	s_waitcnt vmcnt(0)
	v_trunc_f64_e32 v[3:4], v[3:4]
	v_ldexp_f64 v[5:6], v[3:4], s0
	s_mov_b32 s0, 0
	s_mov_b32 s1, 0xc1f00000
	v_floor_f64_e32 v[5:6], v[5:6]
	v_fma_f64 v[3:4], v[5:6], s[0:1], v[3:4]
	s_mov_b64 s[0:1], 0
	v_cvt_u32_f64_e32 v3, v[3:4]
	s_branch .LBB135_233
.LBB135_231:
	s_mov_b64 s[0:1], -1
                                        ; implicit-def: $vgpr3
	s_branch .LBB135_236
.LBB135_232:
	s_mov_b64 s[0:1], -1
                                        ; implicit-def: $vgpr3
.LBB135_233:
	s_andn2_b64 vcc, exec, s[0:1]
	s_cbranch_vccnz .LBB135_235
; %bb.234:
	global_load_dword v3, v[1:2], off
	s_mov_b32 s0, 0x2f800000
	s_waitcnt vmcnt(0)
	v_trunc_f32_e32 v3, v3
	v_mul_f32_e64 v4, |v3|, s0
	v_floor_f32_e32 v4, v4
	s_mov_b32 s0, 0xcf800000
	v_fma_f32 v4, v4, s0, |v3|
	v_cvt_u32_f32_e32 v4, v4
	v_ashrrev_i32_e32 v3, 31, v3
	v_xor_b32_e32 v4, v4, v3
	v_sub_u32_e32 v3, v4, v3
.LBB135_235:
	s_mov_b64 s[0:1], 0
.LBB135_236:
	s_andn2_b64 vcc, exec, s[0:1]
	s_cbranch_vccnz .LBB135_238
; %bb.237:
	global_load_ushort v3, v[1:2], off
	s_waitcnt vmcnt(0)
	v_cvt_f32_f16_e32 v3, v3
	v_cvt_i32_f32_e32 v3, v3
.LBB135_238:
	s_cbranch_execnz .LBB135_258
.LBB135_239:
	s_cmp_lt_i32 s8, 2
	s_cbranch_scc1 .LBB135_243
; %bb.240:
	s_cmp_lt_i32 s8, 3
	s_cbranch_scc1 .LBB135_244
; %bb.241:
	s_cmp_gt_i32 s8, 3
	s_cbranch_scc0 .LBB135_245
; %bb.242:
	global_load_dwordx2 v[3:4], v[1:2], off
	s_mov_b64 s[0:1], 0
	s_branch .LBB135_246
.LBB135_243:
	s_mov_b64 s[0:1], -1
                                        ; implicit-def: $vgpr3
	s_branch .LBB135_252
.LBB135_244:
	s_mov_b64 s[0:1], -1
                                        ; implicit-def: $vgpr3
	s_branch .LBB135_249
.LBB135_245:
	s_mov_b64 s[0:1], -1
                                        ; implicit-def: $vgpr3
.LBB135_246:
	s_andn2_b64 vcc, exec, s[0:1]
	s_cbranch_vccnz .LBB135_248
; %bb.247:
	global_load_dword v3, v[1:2], off
.LBB135_248:
	s_mov_b64 s[0:1], 0
.LBB135_249:
	s_andn2_b64 vcc, exec, s[0:1]
	s_cbranch_vccnz .LBB135_251
; %bb.250:
	global_load_ushort v3, v[1:2], off
.LBB135_251:
	s_mov_b64 s[0:1], 0
.LBB135_252:
	s_andn2_b64 vcc, exec, s[0:1]
	s_cbranch_vccnz .LBB135_258
; %bb.253:
	s_cmp_gt_i32 s8, 0
	s_cbranch_scc0 .LBB135_255
; %bb.254:
	global_load_ubyte v3, v[1:2], off
	s_mov_b64 s[0:1], 0
	s_branch .LBB135_256
.LBB135_255:
	s_mov_b64 s[0:1], -1
                                        ; implicit-def: $vgpr3
.LBB135_256:
	s_andn2_b64 vcc, exec, s[0:1]
	s_cbranch_vccnz .LBB135_258
; %bb.257:
	global_load_ubyte v3, v[1:2], off
.LBB135_258:
	s_branch .LBB135_25
.LBB135_259:
	s_mov_b64 s[0:1], 0
.LBB135_260:
	s_mov_b64 s[8:9], 0
                                        ; implicit-def: $vgpr11
.LBB135_261:
	s_and_b64 s[54:55], s[0:1], exec
	s_and_b64 s[56:57], s[2:3], exec
	s_orn2_b64 s[2:3], s[8:9], exec
.LBB135_262:
	s_or_b64 exec, exec, s[58:59]
	s_mov_b64 s[10:11], 0
	s_mov_b64 s[0:1], 0
                                        ; implicit-def: $sgpr14
                                        ; implicit-def: $vgpr1_vgpr2
                                        ; implicit-def: $vgpr0
                                        ; implicit-def: $vgpr3
	s_and_saveexec_b64 s[58:59], s[2:3]
	s_cbranch_execz .LBB135_269
; %bb.263:
	v_cmp_gt_i32_e32 vcc, s72, v11
	s_mov_b64 s[0:1], -1
	s_mov_b64 s[60:61], s[56:57]
	s_mov_b64 s[62:63], s[54:55]
	s_and_saveexec_b64 s[64:65], vcc
	s_cbranch_execz .LBB135_534
; %bb.264:
	s_andn2_b64 vcc, exec, s[40:41]
	s_cbranch_vccnz .LBB135_272
; %bb.265:
	s_andn2_b64 vcc, exec, s[52:53]
	s_cbranch_vccnz .LBB135_273
; %bb.266:
	s_add_i32 s67, s78, 1
	s_cmp_eq_u32 s74, 2
	s_cbranch_scc1 .LBB135_274
; %bb.267:
	s_and_b32 s66, s67, 28
	v_mov_b32_e32 v2, 0
	s_mov_b32 s68, 0
	s_mov_b64 s[60:61], s[34:35]
	s_mov_b64 s[62:63], s[50:51]
	v_mov_b32_e32 v0, 0
	v_mov_b32_e32 v1, v11
.LBB135_268:                            ; =>This Inner Loop Header: Depth=1
	s_load_dwordx8 s[16:23], s[60:61], 0x4
	s_load_dwordx4 s[0:3], s[60:61], 0x24
	s_load_dwordx8 s[8:15], s[62:63], 0x0
	s_add_u32 s60, s60, 48
	s_addc_u32 s61, s61, 0
	s_waitcnt vmcnt(0) lgkmcnt(0)
	v_mul_hi_u32 v3, s17, v1
	s_add_i32 s68, s68, 4
	s_add_u32 s62, s62, 32
	s_addc_u32 s63, s63, 0
	v_add_u32_e32 v3, v1, v3
	v_lshrrev_b32_e32 v3, s18, v3
	v_mul_lo_u32 v4, v3, s16
	v_mul_hi_u32 v5, s20, v3
	s_cmp_eq_u32 s66, s68
	v_sub_u32_e32 v1, v1, v4
	v_add_u32_e32 v4, v3, v5
	v_mul_lo_u32 v5, v1, s8
	v_mul_lo_u32 v6, v1, s9
	v_lshrrev_b32_e32 v1, s21, v4
	v_mul_lo_u32 v4, v1, s19
	v_mul_hi_u32 v7, s23, v1
	v_sub_u32_e32 v3, v3, v4
	v_add_u32_e32 v4, v1, v7
	v_lshrrev_b32_e32 v4, s0, v4
	v_mul_hi_u32 v8, s2, v4
	v_mul_lo_u32 v9, v4, s22
	v_mul_lo_u32 v7, v3, s10
	;; [unrolled: 1-line block ×3, first 2 shown]
	v_sub_u32_e32 v9, v1, v9
	v_add_u32_e32 v1, v4, v8
	v_lshrrev_b32_e32 v1, s3, v1
	v_mul_lo_u32 v8, v1, s1
	v_mul_lo_u32 v10, v9, s12
	;; [unrolled: 1-line block ×3, first 2 shown]
	v_add3_u32 v0, v5, v0, v7
	v_sub_u32_e32 v4, v4, v8
	v_mul_lo_u32 v8, v4, s14
	v_mul_lo_u32 v4, v4, s15
	v_add3_u32 v2, v6, v2, v3
	v_add3_u32 v0, v10, v0, v8
	;; [unrolled: 1-line block ×3, first 2 shown]
	s_cbranch_scc0 .LBB135_268
	s_branch .LBB135_275
.LBB135_269:
	s_or_b64 exec, exec, s[58:59]
	s_mov_b64 s[2:3], 0
	s_and_saveexec_b64 s[8:9], s[56:57]
	s_cbranch_execnz .LBB135_902
.LBB135_270:
	s_or_b64 exec, exec, s[8:9]
	s_and_saveexec_b64 s[8:9], s[62:63]
	s_xor_b64 s[8:9], exec, s[8:9]
	s_cbranch_execz .LBB135_903
.LBB135_271:
	global_load_ubyte v3, v[1:2], off
	s_or_b64 s[0:1], s[0:1], exec
	s_waitcnt vmcnt(0)
	v_cmp_ne_u16_e32 vcc, 0, v3
	v_cndmask_b32_e64 v3, 0, 1, vcc
	s_or_b64 exec, exec, s[8:9]
	s_and_saveexec_b64 s[8:9], s[10:11]
	s_cbranch_execz .LBB135_949
	s_branch .LBB135_904
.LBB135_272:
                                        ; implicit-def: $vgpr0
                                        ; implicit-def: $vgpr2
	s_andn2_b64 vcc, exec, s[0:1]
	s_cbranch_vccz .LBB135_279
	s_branch .LBB135_281
.LBB135_273:
	v_mov_b32_e32 v0, 0
	v_mov_b32_e32 v2, 0
	s_branch .LBB135_278
.LBB135_274:
	s_mov_b32 s66, 0
	v_mov_b32_e32 v0, 0
	v_mov_b32_e32 v2, 0
	;; [unrolled: 1-line block ×3, first 2 shown]
.LBB135_275:
	s_and_b32 s8, s67, 3
	s_cmp_eq_u32 s8, 0
	s_cbranch_scc1 .LBB135_278
; %bb.276:
	s_lshl_b32 s0, s66, 3
	s_add_u32 s0, s34, s0
	s_addc_u32 s1, s35, 0
	s_add_u32 s0, s0, 0xc4
	s_addc_u32 s1, s1, 0
	s_mul_i32 s2, s66, 12
	s_add_u32 s2, s34, s2
	s_addc_u32 s3, s35, 0
.LBB135_277:                            ; =>This Inner Loop Header: Depth=1
	s_load_dwordx2 s[10:11], s[2:3], 0x4
	s_load_dword s9, s[2:3], 0xc
	s_load_dwordx2 s[12:13], s[0:1], 0x0
	s_add_u32 s2, s2, 12
	s_addc_u32 s3, s3, 0
	s_waitcnt vmcnt(0) lgkmcnt(0)
	v_mul_hi_u32 v3, s11, v1
	s_add_u32 s0, s0, 8
	s_addc_u32 s1, s1, 0
	s_add_i32 s8, s8, -1
	v_add_u32_e32 v3, v1, v3
	v_lshrrev_b32_e32 v4, s9, v3
	v_mul_lo_u32 v3, v4, s10
	s_cmp_lg_u32 s8, 0
	v_sub_u32_e32 v3, v1, v3
	v_mad_u64_u32 v[0:1], s[10:11], v3, s12, v[0:1]
	v_mad_u64_u32 v[2:3], s[10:11], v3, s13, v[2:3]
	v_mov_b32_e32 v1, v4
	s_cbranch_scc1 .LBB135_277
.LBB135_278:
	s_cbranch_execnz .LBB135_281
.LBB135_279:
	s_waitcnt lgkmcnt(0)
	v_mul_hi_u32 v0, s37, v11
	s_andn2_b64 vcc, exec, s[48:49]
	v_add_u32_e32 v0, v11, v0
	v_lshrrev_b32_e32 v1, s38, v0
	v_mul_lo_u32 v0, v1, s36
	v_sub_u32_e32 v2, v11, v0
	v_mul_lo_u32 v0, v2, s28
	v_mul_lo_u32 v2, v2, s29
	s_cbranch_vccnz .LBB135_281
; %bb.280:
	s_waitcnt vmcnt(0)
	v_mul_hi_u32 v3, s46, v1
	v_add_u32_e32 v3, v1, v3
	v_lshrrev_b32_e32 v3, s47, v3
	v_mul_lo_u32 v3, v3, s39
	v_sub_u32_e32 v3, v1, v3
	v_mad_u64_u32 v[0:1], s[0:1], v3, s30, v[0:1]
	v_mad_u64_u32 v[2:3], s[0:1], v3, s31, v[2:3]
.LBB135_281:
	s_waitcnt vmcnt(0) lgkmcnt(0)
	v_mov_b32_e32 v3, s27
	s_and_b32 s10, s77, 0xff
	v_add_co_u32_e32 v1, vcc, s26, v2
	s_cmp_lt_i32 s10, 11
	v_addc_co_u32_e32 v2, vcc, 0, v3, vcc
	s_cbranch_scc1 .LBB135_288
; %bb.282:
	s_and_b32 s11, 0xffff, s10
	s_cmp_gt_i32 s11, 25
	s_cbranch_scc0 .LBB135_297
; %bb.283:
	s_cmp_gt_i32 s11, 28
	s_cbranch_scc0 .LBB135_299
; %bb.284:
	;; [unrolled: 3-line block ×4, first 2 shown]
	s_cmp_eq_u32 s11, 46
	s_mov_b64 s[8:9], 0
	s_cbranch_scc0 .LBB135_309
; %bb.287:
	global_load_dword v3, v[1:2], off
	s_mov_b32 s0, 0x2f800000
	s_mov_b32 s1, 0xcf800000
	s_mov_b64 s[2:3], 0
	s_waitcnt vmcnt(0)
	v_lshlrev_b32_e32 v3, 16, v3
	v_trunc_f32_e32 v3, v3
	v_mul_f32_e64 v4, |v3|, s0
	v_floor_f32_e32 v4, v4
	v_fma_f32 v4, v4, s1, |v3|
	v_cvt_u32_f32_e32 v4, v4
	v_ashrrev_i32_e32 v3, 31, v3
	s_mov_b64 s[0:1], -1
	v_xor_b32_e32 v4, v4, v3
	v_sub_u32_e32 v3, v4, v3
	s_branch .LBB135_310
.LBB135_288:
	s_mov_b64 s[0:1], 0
                                        ; implicit-def: $vgpr3
	s_mov_b64 s[2:3], s[56:57]
	s_cbranch_execnz .LBB135_483
.LBB135_289:
	s_andn2_b64 vcc, exec, s[0:1]
	s_cbranch_vccnz .LBB135_531
.LBB135_290:
	s_waitcnt vmcnt(0)
	v_lshrrev_b16_sdwa v1, s76, v3 dst_sel:DWORD dst_unused:UNUSED_PAD src0_sel:DWORD src1_sel:BYTE_0
	v_cndmask_b32_e64 v2, v1, 0, s[44:45]
	v_mov_b32_e32 v1, s25
	s_and_b32 s14, s75, 0xff
	v_add_co_u32_e32 v0, vcc, s24, v0
	s_cmp_lt_i32 s14, 11
	v_addc_co_u32_e32 v1, vcc, 0, v1, vcc
	s_cbranch_scc1 .LBB135_298
; %bb.291:
	s_and_b32 s15, 0xffff, s14
	s_cmp_gt_i32 s15, 25
	s_cbranch_scc0 .LBB135_300
; %bb.292:
	s_cmp_gt_i32 s15, 28
	s_cbranch_scc0 .LBB135_302
; %bb.293:
	;; [unrolled: 3-line block ×4, first 2 shown]
	s_mov_b64 s[10:11], 0
	s_mov_b64 s[0:1], -1
	s_cmp_eq_u32 s15, 46
	s_mov_b64 s[8:9], 0
	s_cbranch_scc0 .LBB135_314
; %bb.296:
	v_cvt_f32_ubyte0_e32 v3, v2
	v_bfe_u32 v4, v3, 16, 1
	s_movk_i32 s0, 0x7fff
	v_add3_u32 v3, v3, v4, s0
	v_lshrrev_b32_e32 v3, 16, v3
	global_store_dword v[0:1], v3, off
	s_mov_b64 s[8:9], -1
	s_mov_b64 s[0:1], 0
	s_branch .LBB135_314
.LBB135_297:
	s_mov_b64 s[8:9], -1
	s_mov_b64 s[0:1], 0
	s_mov_b64 s[2:3], s[56:57]
                                        ; implicit-def: $vgpr3
	s_branch .LBB135_449
.LBB135_298:
	s_mov_b64 s[10:11], -1
	s_mov_b64 s[8:9], 0
	s_mov_b64 s[0:1], s[54:55]
	s_branch .LBB135_383
.LBB135_299:
	s_mov_b64 s[8:9], -1
	s_mov_b64 s[0:1], 0
	s_mov_b64 s[2:3], s[56:57]
                                        ; implicit-def: $vgpr3
	s_branch .LBB135_432
.LBB135_300:
	s_mov_b64 s[10:11], -1
	s_mov_b64 s[8:9], 0
	s_mov_b64 s[0:1], s[54:55]
	s_branch .LBB135_341
.LBB135_301:
	s_mov_b64 s[8:9], -1
	s_mov_b64 s[0:1], 0
	s_mov_b64 s[2:3], s[56:57]
                                        ; implicit-def: $vgpr3
	s_branch .LBB135_427
.LBB135_302:
	s_mov_b64 s[10:11], -1
	s_mov_b64 s[8:9], 0
	s_mov_b64 s[0:1], s[54:55]
	s_branch .LBB135_324
.LBB135_303:
	s_andn2_saveexec_b64 s[12:13], s[12:13]
	s_cbranch_execz .LBB135_68
.LBB135_304:
	v_add_f32_e32 v3, 0x46000000, v4
	v_and_b32_e32 v3, 0xff, v3
	v_cmp_ne_u32_e32 vcc, 0, v3
	s_andn2_b64 s[10:11], s[10:11], exec
	s_and_b64 s[16:17], vcc, exec
	s_or_b64 s[10:11], s[10:11], s[16:17]
	s_or_b64 exec, exec, s[12:13]
	v_mov_b32_e32 v5, 0
	s_and_saveexec_b64 s[12:13], s[10:11]
	s_cbranch_execnz .LBB135_69
	s_branch .LBB135_70
.LBB135_305:
	s_mov_b64 s[8:9], -1
	s_mov_b64 s[0:1], 0
	s_mov_b64 s[2:3], s[56:57]
                                        ; implicit-def: $vgpr3
	s_branch .LBB135_310
.LBB135_306:
	s_mov_b64 s[10:11], -1
	s_mov_b64 s[8:9], 0
	s_mov_b64 s[0:1], s[54:55]
	s_branch .LBB135_320
.LBB135_307:
	s_andn2_saveexec_b64 s[12:13], s[12:13]
	s_cbranch_execz .LBB135_81
.LBB135_308:
	v_add_f32_e32 v3, 0x42800000, v4
	v_and_b32_e32 v3, 0xff, v3
	v_cmp_ne_u32_e32 vcc, 0, v3
	s_andn2_b64 s[10:11], s[10:11], exec
	s_and_b64 s[16:17], vcc, exec
	s_or_b64 s[10:11], s[10:11], s[16:17]
	s_or_b64 exec, exec, s[12:13]
	v_mov_b32_e32 v5, 0
	s_and_saveexec_b64 s[12:13], s[10:11]
	s_cbranch_execnz .LBB135_82
	s_branch .LBB135_83
.LBB135_309:
	s_mov_b64 s[2:3], -1
                                        ; implicit-def: $vgpr3
	s_mov_b64 s[0:1], 0
.LBB135_310:
	s_and_b64 vcc, exec, s[8:9]
	s_cbranch_vccz .LBB135_426
; %bb.311:
	s_cmp_eq_u32 s11, 44
	s_cbranch_scc0 .LBB135_425
; %bb.312:
	global_load_ubyte v3, v[1:2], off
	s_mov_b32 s0, 0x2f800000
	s_mov_b32 s1, 0xcf800000
	s_mov_b64 s[2:3], 0
	s_waitcnt vmcnt(0)
	v_lshlrev_b32_e32 v4, 23, v3
	v_trunc_f32_e32 v4, v4
	v_mul_f32_e64 v5, |v4|, s0
	v_floor_f32_e32 v5, v5
	v_fma_f32 v5, v5, s1, |v4|
	v_cvt_u32_f32_e32 v5, v5
	v_ashrrev_i32_e32 v4, 31, v4
	v_cmp_ne_u32_e32 vcc, 0, v3
	s_mov_b64 s[0:1], -1
	v_xor_b32_e32 v5, v5, v4
	v_sub_u32_e32 v4, v5, v4
	v_cndmask_b32_e32 v3, 0, v4, vcc
	s_branch .LBB135_426
.LBB135_313:
	s_mov_b64 s[10:11], -1
	s_mov_b64 s[8:9], 0
	s_mov_b64 s[0:1], s[54:55]
.LBB135_314:
	s_and_b64 vcc, exec, s[10:11]
	s_cbranch_vccz .LBB135_319
; %bb.315:
	s_cmp_eq_u32 s15, 44
	s_mov_b64 s[0:1], -1
	s_cbranch_scc0 .LBB135_319
; %bb.316:
	v_cvt_f32_ubyte0_e32 v4, v2
	v_lshrrev_b32_e32 v3, 23, v4
	s_movk_i32 s0, 0xff
	v_cmp_ne_u32_e32 vcc, s0, v3
	v_mov_b32_e32 v5, 0xff
	s_and_saveexec_b64 s[8:9], vcc
; %bb.317:
	s_mov_b32 s0, 0x3fffff
	v_and_b32_e32 v5, 0x400000, v4
	v_and_or_b32 v4, v4, s0, v3
	v_cmp_ne_u32_e32 vcc, 0, v5
	v_cmp_ne_u32_e64 s[0:1], 0, v4
	s_and_b64 s[0:1], vcc, s[0:1]
	v_cndmask_b32_e64 v4, 0, 1, s[0:1]
	v_add_u32_e32 v5, v3, v4
; %bb.318:
	s_or_b64 exec, exec, s[8:9]
	s_mov_b64 s[8:9], -1
	s_mov_b64 s[0:1], 0
	global_store_byte v[0:1], v5, off
.LBB135_319:
	s_mov_b64 s[10:11], 0
.LBB135_320:
	s_and_b64 vcc, exec, s[10:11]
	s_cbranch_vccz .LBB135_323
; %bb.321:
	s_cmp_eq_u32 s15, 29
	s_mov_b64 s[0:1], -1
	s_cbranch_scc0 .LBB135_323
; %bb.322:
	s_mov_b32 s0, 0
	v_and_b32_e32 v3, 0xffff, v2
	v_mov_b32_e32 v4, s0
	global_store_dwordx2 v[0:1], v[3:4], off
	s_mov_b64 s[8:9], -1
	s_mov_b64 s[0:1], 0
.LBB135_323:
	s_mov_b64 s[10:11], 0
.LBB135_324:
	s_and_b64 vcc, exec, s[10:11]
	s_cbranch_vccz .LBB135_340
; %bb.325:
	s_cmp_lt_i32 s15, 27
	s_mov_b64 s[8:9], -1
	s_cbranch_scc1 .LBB135_331
; %bb.326:
	s_cmp_gt_i32 s15, 27
	s_cbranch_scc0 .LBB135_328
; %bb.327:
	v_and_b32_e32 v3, 0xffff, v2
	s_mov_b64 s[8:9], 0
	global_store_dword v[0:1], v3, off
.LBB135_328:
	s_andn2_b64 vcc, exec, s[8:9]
	s_cbranch_vccnz .LBB135_330
; %bb.329:
	global_store_short v[0:1], v2, off
.LBB135_330:
	s_mov_b64 s[8:9], 0
.LBB135_331:
	s_andn2_b64 vcc, exec, s[8:9]
	s_cbranch_vccnz .LBB135_339
; %bb.332:
	v_cvt_f32_ubyte0_e32 v4, v2
	s_mov_b32 s8, 0x43800000
	v_cmp_gt_u32_e32 vcc, s8, v4
	v_mov_b32_e32 v5, 0x80
	s_and_saveexec_b64 s[8:9], vcc
	s_cbranch_execz .LBB135_338
; %bb.333:
	s_mov_b32 s10, 0x3bffffff
	v_cmp_lt_u32_e32 vcc, s10, v4
	s_mov_b64 s[10:11], 0
                                        ; implicit-def: $vgpr3
	s_and_saveexec_b64 s[12:13], vcc
	s_xor_b64 s[12:13], exec, s[12:13]
	s_cbranch_execz .LBB135_562
; %bb.334:
	v_bfe_u32 v3, v4, 20, 1
	s_mov_b32 s16, 0x487ffff
	v_add3_u32 v3, v4, v3, s16
	s_mov_b64 s[10:11], exec
	v_lshrrev_b32_e32 v3, 20, v3
                                        ; implicit-def: $vgpr4
	s_andn2_saveexec_b64 s[12:13], s[12:13]
	s_cbranch_execnz .LBB135_563
.LBB135_335:
	s_or_b64 exec, exec, s[12:13]
	v_mov_b32_e32 v5, 0
	s_and_saveexec_b64 s[12:13], s[10:11]
.LBB135_336:
	v_mov_b32_e32 v5, v3
.LBB135_337:
	s_or_b64 exec, exec, s[12:13]
.LBB135_338:
	s_or_b64 exec, exec, s[8:9]
	global_store_byte v[0:1], v5, off
.LBB135_339:
	s_mov_b64 s[8:9], -1
.LBB135_340:
	s_mov_b64 s[10:11], 0
.LBB135_341:
	s_and_b64 vcc, exec, s[10:11]
	s_cbranch_vccz .LBB135_382
; %bb.342:
	s_cmp_gt_i32 s15, 22
	s_mov_b64 s[10:11], -1
	s_cbranch_scc0 .LBB135_374
; %bb.343:
	s_cmp_lt_i32 s15, 24
	s_mov_b64 s[8:9], -1
	s_cbranch_scc1 .LBB135_363
; %bb.344:
	s_cmp_gt_i32 s15, 24
	s_cbranch_scc0 .LBB135_352
; %bb.345:
	v_cvt_f32_ubyte0_e32 v4, v2
	s_mov_b32 s8, 0x47800000
	v_cmp_gt_u32_e32 vcc, s8, v4
	v_mov_b32_e32 v5, 0x80
	s_and_saveexec_b64 s[8:9], vcc
	s_cbranch_execz .LBB135_351
; %bb.346:
	s_mov_b32 s10, 0x37ffffff
	v_cmp_lt_u32_e32 vcc, s10, v4
	s_mov_b64 s[10:11], 0
                                        ; implicit-def: $vgpr3
	s_and_saveexec_b64 s[12:13], vcc
	s_xor_b64 s[12:13], exec, s[12:13]
	s_cbranch_execz .LBB135_565
; %bb.347:
	v_bfe_u32 v3, v4, 21, 1
	s_mov_b32 s16, 0x88fffff
	v_add3_u32 v3, v4, v3, s16
	s_mov_b64 s[10:11], exec
	v_lshrrev_b32_e32 v3, 21, v3
                                        ; implicit-def: $vgpr4
	s_andn2_saveexec_b64 s[12:13], s[12:13]
	s_cbranch_execnz .LBB135_566
.LBB135_348:
	s_or_b64 exec, exec, s[12:13]
	v_mov_b32_e32 v5, 0
	s_and_saveexec_b64 s[12:13], s[10:11]
.LBB135_349:
	v_mov_b32_e32 v5, v3
.LBB135_350:
	s_or_b64 exec, exec, s[12:13]
.LBB135_351:
	s_or_b64 exec, exec, s[8:9]
	s_mov_b64 s[8:9], 0
	global_store_byte v[0:1], v5, off
.LBB135_352:
	s_and_b64 vcc, exec, s[8:9]
	s_cbranch_vccz .LBB135_362
; %bb.353:
	v_cvt_f32_ubyte0_e32 v3, v2
	s_mov_b32 s8, 0x43f00000
	v_cmp_gt_u32_e32 vcc, s8, v3
                                        ; implicit-def: $vgpr4
	s_and_saveexec_b64 s[8:9], vcc
	s_xor_b64 s[8:9], exec, s[8:9]
	s_cbranch_execz .LBB135_359
; %bb.354:
	s_mov_b32 s10, 0x3c7fffff
	v_cmp_lt_u32_e32 vcc, s10, v3
                                        ; implicit-def: $vgpr4
	s_and_saveexec_b64 s[10:11], vcc
	s_xor_b64 s[10:11], exec, s[10:11]
; %bb.355:
	v_bfe_u32 v4, v3, 20, 1
	s_mov_b32 s12, 0x407ffff
	v_add3_u32 v3, v3, v4, s12
	v_lshrrev_b32_e32 v4, 20, v3
	v_and_b32_e32 v3, 0xff00000, v3
	s_mov_b32 s12, 0x7f00000
	v_mov_b32_e32 v5, 0x7e
	v_cmp_ne_u32_e32 vcc, s12, v3
	v_cndmask_b32_e32 v4, v5, v4, vcc
                                        ; implicit-def: $vgpr3
; %bb.356:
	s_andn2_saveexec_b64 s[10:11], s[10:11]
; %bb.357:
	v_add_f32_e32 v4, 0x46800000, v3
; %bb.358:
	s_or_b64 exec, exec, s[10:11]
                                        ; implicit-def: $vgpr3
.LBB135_359:
	s_andn2_saveexec_b64 s[8:9], s[8:9]
; %bb.360:
	s_mov_b32 s10, 0x7f800000
	v_mov_b32_e32 v4, 0x7e
	v_mov_b32_e32 v5, 0x7f
	v_cmp_lt_u32_e32 vcc, s10, v3
	v_cndmask_b32_e32 v4, v4, v5, vcc
; %bb.361:
	s_or_b64 exec, exec, s[8:9]
	global_store_byte v[0:1], v4, off
.LBB135_362:
	s_mov_b64 s[8:9], 0
.LBB135_363:
	s_andn2_b64 vcc, exec, s[8:9]
	s_cbranch_vccnz .LBB135_373
; %bb.364:
	v_cvt_f32_ubyte0_e32 v3, v2
	s_mov_b32 s8, 0x47800000
	v_cmp_gt_u32_e32 vcc, s8, v3
                                        ; implicit-def: $vgpr4
	s_and_saveexec_b64 s[8:9], vcc
	s_xor_b64 s[8:9], exec, s[8:9]
	s_cbranch_execz .LBB135_370
; %bb.365:
	s_mov_b32 s10, 0x387fffff
	v_cmp_lt_u32_e32 vcc, s10, v3
                                        ; implicit-def: $vgpr4
	s_and_saveexec_b64 s[10:11], vcc
	s_xor_b64 s[10:11], exec, s[10:11]
; %bb.366:
	v_bfe_u32 v4, v3, 21, 1
	s_mov_b32 s12, 0x80fffff
	v_add3_u32 v3, v3, v4, s12
	v_lshrrev_b32_e32 v4, 21, v3
                                        ; implicit-def: $vgpr3
; %bb.367:
	s_andn2_saveexec_b64 s[10:11], s[10:11]
; %bb.368:
	v_add_f32_e32 v4, 0x43000000, v3
; %bb.369:
	s_or_b64 exec, exec, s[10:11]
                                        ; implicit-def: $vgpr3
.LBB135_370:
	s_andn2_saveexec_b64 s[8:9], s[8:9]
; %bb.371:
	s_mov_b32 s10, 0x7f800000
	v_mov_b32_e32 v4, 0x7c
	v_mov_b32_e32 v5, 0x7f
	v_cmp_lt_u32_e32 vcc, s10, v3
	v_cndmask_b32_e32 v4, v4, v5, vcc
; %bb.372:
	s_or_b64 exec, exec, s[8:9]
	global_store_byte v[0:1], v4, off
.LBB135_373:
	s_mov_b64 s[10:11], 0
	s_mov_b64 s[8:9], -1
.LBB135_374:
	s_andn2_b64 vcc, exec, s[10:11]
	s_cbranch_vccnz .LBB135_382
; %bb.375:
	s_cmp_gt_i32 s15, 14
	s_mov_b64 s[10:11], -1
	s_cbranch_scc0 .LBB135_379
; %bb.376:
	s_cmp_eq_u32 s15, 15
	s_mov_b64 s[0:1], -1
	s_cbranch_scc0 .LBB135_378
; %bb.377:
	v_cvt_f32_ubyte0_e32 v3, v2
	v_bfe_u32 v4, v3, 16, 1
	s_movk_i32 s0, 0x7fff
	v_add3_u32 v3, v3, v4, s0
	global_store_short_d16_hi v[0:1], v3, off
	s_mov_b64 s[8:9], -1
	s_mov_b64 s[0:1], 0
.LBB135_378:
	s_mov_b64 s[10:11], 0
.LBB135_379:
	s_and_b64 vcc, exec, s[10:11]
	s_cbranch_vccz .LBB135_382
; %bb.380:
	s_cmp_eq_u32 s15, 11
	s_mov_b64 s[0:1], -1
	s_cbranch_scc0 .LBB135_382
; %bb.381:
	v_cmp_ne_u16_e32 vcc, 0, v2
	v_cndmask_b32_e64 v3, 0, 1, vcc
	s_mov_b64 s[8:9], -1
	s_mov_b64 s[0:1], 0
	global_store_byte v[0:1], v3, off
.LBB135_382:
	s_mov_b64 s[10:11], 0
.LBB135_383:
	s_and_b64 vcc, exec, s[10:11]
	s_cbranch_vccz .LBB135_422
; %bb.384:
	s_and_b32 s10, 0xffff, s14
	s_cmp_lt_i32 s10, 5
	s_mov_b64 s[8:9], -1
	s_cbranch_scc1 .LBB135_405
; %bb.385:
	s_cmp_lt_i32 s10, 8
	s_cbranch_scc1 .LBB135_395
; %bb.386:
	s_cmp_lt_i32 s10, 9
	s_cbranch_scc1 .LBB135_392
; %bb.387:
	s_cmp_gt_i32 s10, 9
	s_cbranch_scc0 .LBB135_389
; %bb.388:
	v_and_b32_e32 v3, 0xffff, v2
	v_cvt_f64_u32_e32 v[3:4], v3
	v_mov_b32_e32 v5, 0
	v_mov_b32_e32 v6, v5
	s_mov_b64 s[8:9], 0
	global_store_dwordx4 v[0:1], v[3:6], off
.LBB135_389:
	s_andn2_b64 vcc, exec, s[8:9]
	s_cbranch_vccnz .LBB135_391
; %bb.390:
	v_cvt_f32_ubyte0_e32 v3, v2
	v_mov_b32_e32 v4, 0
	global_store_dwordx2 v[0:1], v[3:4], off
.LBB135_391:
	s_mov_b64 s[8:9], 0
.LBB135_392:
	s_andn2_b64 vcc, exec, s[8:9]
	s_cbranch_vccnz .LBB135_394
; %bb.393:
	v_cvt_f16_u16_e32 v3, v2
	global_store_dword v[0:1], v3, off
.LBB135_394:
	s_mov_b64 s[8:9], 0
.LBB135_395:
	s_andn2_b64 vcc, exec, s[8:9]
	s_cbranch_vccnz .LBB135_404
; %bb.396:
	s_cmp_lt_i32 s10, 6
	s_mov_b64 s[8:9], -1
	s_cbranch_scc1 .LBB135_402
; %bb.397:
	s_cmp_gt_i32 s10, 6
	s_cbranch_scc0 .LBB135_399
; %bb.398:
	v_and_b32_e32 v3, 0xffff, v2
	v_cvt_f64_u32_e32 v[3:4], v3
	s_mov_b64 s[8:9], 0
	global_store_dwordx2 v[0:1], v[3:4], off
.LBB135_399:
	s_andn2_b64 vcc, exec, s[8:9]
	s_cbranch_vccnz .LBB135_401
; %bb.400:
	v_cvt_f32_ubyte0_e32 v3, v2
	global_store_dword v[0:1], v3, off
.LBB135_401:
	s_mov_b64 s[8:9], 0
.LBB135_402:
	s_andn2_b64 vcc, exec, s[8:9]
	s_cbranch_vccnz .LBB135_404
; %bb.403:
	v_cvt_f16_u16_e32 v3, v2
	global_store_short v[0:1], v3, off
.LBB135_404:
	s_mov_b64 s[8:9], 0
.LBB135_405:
	s_andn2_b64 vcc, exec, s[8:9]
	s_cbranch_vccnz .LBB135_421
; %bb.406:
	s_cmp_lt_i32 s10, 2
	s_mov_b64 s[8:9], -1
	s_cbranch_scc1 .LBB135_416
; %bb.407:
	s_cmp_lt_i32 s10, 3
	s_cbranch_scc1 .LBB135_413
; %bb.408:
	s_cmp_gt_i32 s10, 3
	s_cbranch_scc0 .LBB135_410
; %bb.409:
	s_mov_b32 s8, 0
	v_and_b32_e32 v3, 0xffff, v2
	v_mov_b32_e32 v4, s8
	s_mov_b64 s[8:9], 0
	global_store_dwordx2 v[0:1], v[3:4], off
.LBB135_410:
	s_andn2_b64 vcc, exec, s[8:9]
	s_cbranch_vccnz .LBB135_412
; %bb.411:
	v_and_b32_e32 v3, 0xffff, v2
	global_store_dword v[0:1], v3, off
.LBB135_412:
	s_mov_b64 s[8:9], 0
.LBB135_413:
	s_andn2_b64 vcc, exec, s[8:9]
	s_cbranch_vccnz .LBB135_415
; %bb.414:
	global_store_short v[0:1], v2, off
.LBB135_415:
	s_mov_b64 s[8:9], 0
.LBB135_416:
	s_andn2_b64 vcc, exec, s[8:9]
	s_cbranch_vccnz .LBB135_421
; %bb.417:
	s_cmp_gt_i32 s10, 0
	s_mov_b64 s[8:9], -1
	s_cbranch_scc0 .LBB135_419
; %bb.418:
	s_mov_b64 s[8:9], 0
	global_store_byte v[0:1], v2, off
.LBB135_419:
	s_andn2_b64 vcc, exec, s[8:9]
	s_cbranch_vccnz .LBB135_421
; %bb.420:
	global_store_byte v[0:1], v2, off
.LBB135_421:
	s_mov_b64 s[8:9], -1
.LBB135_422:
	s_andn2_b64 vcc, exec, s[8:9]
	s_cbranch_vccnz .LBB135_424
; %bb.423:
	v_add_u32_e32 v11, 0x80, v11
	s_mov_b64 s[8:9], -1
	s_branch .LBB135_533
.LBB135_424:
	s_mov_b64 s[8:9], 0
	s_branch .LBB135_532
.LBB135_425:
	s_mov_b64 s[2:3], -1
                                        ; implicit-def: $vgpr3
.LBB135_426:
	s_mov_b64 s[8:9], 0
.LBB135_427:
	s_and_b64 vcc, exec, s[8:9]
	s_cbranch_vccz .LBB135_431
; %bb.428:
	s_cmp_eq_u32 s11, 29
	s_cbranch_scc0 .LBB135_430
; %bb.429:
	global_load_dwordx2 v[3:4], v[1:2], off
	s_mov_b64 s[0:1], -1
	s_mov_b64 s[2:3], 0
	s_branch .LBB135_431
.LBB135_430:
	s_mov_b64 s[2:3], -1
                                        ; implicit-def: $vgpr3
.LBB135_431:
	s_mov_b64 s[8:9], 0
.LBB135_432:
	s_and_b64 vcc, exec, s[8:9]
	s_cbranch_vccz .LBB135_448
; %bb.433:
	s_cmp_lt_i32 s11, 27
	s_cbranch_scc1 .LBB135_436
; %bb.434:
	s_cmp_gt_i32 s11, 27
	s_cbranch_scc0 .LBB135_437
; %bb.435:
	global_load_dword v3, v[1:2], off
	s_mov_b64 s[0:1], 0
	s_branch .LBB135_438
.LBB135_436:
	s_mov_b64 s[0:1], -1
                                        ; implicit-def: $vgpr3
	s_branch .LBB135_441
.LBB135_437:
	s_mov_b64 s[0:1], -1
                                        ; implicit-def: $vgpr3
.LBB135_438:
	s_andn2_b64 vcc, exec, s[0:1]
	s_cbranch_vccnz .LBB135_440
; %bb.439:
	global_load_ushort v3, v[1:2], off
.LBB135_440:
	s_mov_b64 s[0:1], 0
.LBB135_441:
	s_andn2_b64 vcc, exec, s[0:1]
	s_cbranch_vccnz .LBB135_447
; %bb.442:
	global_load_ubyte v4, v[1:2], off
	s_movk_i32 s0, 0x7f
	s_mov_b64 s[8:9], 0
	s_waitcnt vmcnt(0)
	v_cmp_lt_i16_e32 vcc, s0, v4
	s_and_saveexec_b64 s[0:1], vcc
	s_xor_b64 s[0:1], exec, s[0:1]
	s_cbranch_execz .LBB135_459
; %bb.443:
	s_movk_i32 s8, 0x80
	v_cmp_ne_u16_e32 vcc, s8, v4
	s_and_b64 s[8:9], vcc, exec
	s_andn2_saveexec_b64 s[0:1], s[0:1]
	s_cbranch_execnz .LBB135_460
.LBB135_444:
	s_or_b64 exec, exec, s[0:1]
	v_mov_b32_e32 v3, 0
	s_and_saveexec_b64 s[0:1], s[8:9]
	s_cbranch_execz .LBB135_446
.LBB135_445:
	v_lshlrev_b32_e32 v3, 24, v4
	v_and_b32_e32 v4, 0xffff, v4
	v_and_b32_e32 v5, 7, v4
	v_ffbh_u32_e32 v7, v5
	v_min_u32_e32 v7, 32, v7
	v_subrev_u32_e32 v8, 28, v7
	v_bfe_u32 v6, v4, 3, 4
	v_lshlrev_b32_e32 v4, v8, v4
	v_sub_u32_e32 v7, 29, v7
	v_and_b32_e32 v4, 7, v4
	v_cmp_eq_u32_e32 vcc, 0, v6
	v_cndmask_b32_e32 v6, v6, v7, vcc
	v_cndmask_b32_e32 v4, v5, v4, vcc
	v_mov_b32_e32 v5, 0x3b800000
	v_lshlrev_b32_e32 v4, 20, v4
	v_and_b32_e32 v3, 0x80000000, v3
	v_lshl_add_u32 v5, v6, 23, v5
	v_or3_b32 v3, v3, v5, v4
	v_trunc_f32_e32 v3, v3
	s_mov_b32 s8, 0x2f800000
	v_mul_f32_e64 v4, |v3|, s8
	v_floor_f32_e32 v4, v4
	s_mov_b32 s8, 0xcf800000
	v_fma_f32 v4, v4, s8, |v3|
	v_cvt_u32_f32_e32 v4, v4
	v_ashrrev_i32_e32 v3, 31, v3
	v_xor_b32_e32 v4, v4, v3
	v_sub_u32_e32 v3, v4, v3
.LBB135_446:
	s_or_b64 exec, exec, s[0:1]
.LBB135_447:
	s_mov_b64 s[0:1], -1
.LBB135_448:
	s_mov_b64 s[8:9], 0
.LBB135_449:
	s_and_b64 vcc, exec, s[8:9]
	s_cbranch_vccz .LBB135_482
; %bb.450:
	s_cmp_gt_i32 s11, 22
	s_cbranch_scc0 .LBB135_458
; %bb.451:
	s_cmp_lt_i32 s11, 24
	s_cbranch_scc1 .LBB135_461
; %bb.452:
	s_cmp_gt_i32 s11, 24
	s_cbranch_scc0 .LBB135_462
; %bb.453:
	global_load_ubyte v4, v[1:2], off
	s_movk_i32 s0, 0x7f
	s_mov_b64 s[8:9], 0
	s_waitcnt vmcnt(0)
	v_cmp_lt_i16_e32 vcc, s0, v4
	s_and_saveexec_b64 s[0:1], vcc
	s_xor_b64 s[0:1], exec, s[0:1]
	s_cbranch_execz .LBB135_474
; %bb.454:
	s_movk_i32 s8, 0x80
	v_cmp_ne_u16_e32 vcc, s8, v4
	s_and_b64 s[8:9], vcc, exec
	s_andn2_saveexec_b64 s[0:1], s[0:1]
	s_cbranch_execnz .LBB135_475
.LBB135_455:
	s_or_b64 exec, exec, s[0:1]
	v_mov_b32_e32 v3, 0
	s_and_saveexec_b64 s[0:1], s[8:9]
	s_cbranch_execz .LBB135_457
.LBB135_456:
	v_lshlrev_b32_e32 v3, 24, v4
	v_and_b32_e32 v4, 0xffff, v4
	v_and_b32_e32 v5, 3, v4
	v_ffbh_u32_e32 v7, v5
	v_min_u32_e32 v7, 32, v7
	v_subrev_u32_e32 v8, 29, v7
	v_bfe_u32 v6, v4, 2, 5
	v_lshlrev_b32_e32 v4, v8, v4
	v_sub_u32_e32 v7, 30, v7
	v_and_b32_e32 v4, 3, v4
	v_cmp_eq_u32_e32 vcc, 0, v6
	v_cndmask_b32_e32 v6, v6, v7, vcc
	v_cndmask_b32_e32 v4, v5, v4, vcc
	v_mov_b32_e32 v5, 0x37800000
	v_lshlrev_b32_e32 v4, 21, v4
	v_and_b32_e32 v3, 0x80000000, v3
	v_lshl_add_u32 v5, v6, 23, v5
	v_or3_b32 v3, v3, v5, v4
	v_trunc_f32_e32 v3, v3
	s_mov_b32 s8, 0x2f800000
	v_mul_f32_e64 v4, |v3|, s8
	v_floor_f32_e32 v4, v4
	s_mov_b32 s8, 0xcf800000
	v_fma_f32 v4, v4, s8, |v3|
	v_cvt_u32_f32_e32 v4, v4
	v_ashrrev_i32_e32 v3, 31, v3
	v_xor_b32_e32 v4, v4, v3
	v_sub_u32_e32 v3, v4, v3
.LBB135_457:
	s_or_b64 exec, exec, s[0:1]
	s_mov_b64 s[0:1], 0
	s_branch .LBB135_463
.LBB135_458:
	s_mov_b64 s[8:9], -1
                                        ; implicit-def: $vgpr3
	s_branch .LBB135_469
.LBB135_459:
	s_andn2_saveexec_b64 s[0:1], s[0:1]
	s_cbranch_execz .LBB135_444
.LBB135_460:
	v_cmp_ne_u16_e32 vcc, 0, v4
	s_andn2_b64 s[8:9], s[8:9], exec
	s_and_b64 s[12:13], vcc, exec
	s_or_b64 s[8:9], s[8:9], s[12:13]
	s_or_b64 exec, exec, s[0:1]
	v_mov_b32_e32 v3, 0
	s_and_saveexec_b64 s[0:1], s[8:9]
	s_cbranch_execnz .LBB135_445
	s_branch .LBB135_446
.LBB135_461:
	s_mov_b64 s[0:1], -1
                                        ; implicit-def: $vgpr3
	s_branch .LBB135_466
.LBB135_462:
	s_mov_b64 s[0:1], -1
                                        ; implicit-def: $vgpr3
.LBB135_463:
	s_and_b64 vcc, exec, s[0:1]
	s_cbranch_vccz .LBB135_465
; %bb.464:
	global_load_ubyte v3, v[1:2], off
	s_mov_b32 s0, 0x7f800000
	s_brev_b32 s1, 1
	s_mov_b32 s8, 0x2f800000
	s_waitcnt vmcnt(0)
	v_lshlrev_b32_e32 v3, 24, v3
	v_and_b32_e32 v4, 0x7f000000, v3
	v_ffbh_u32_e32 v5, v4
	v_min_u32_e32 v5, 32, v5
	v_sub_u32_e64 v5, v5, 4 clamp
	v_lshlrev_b32_e32 v7, v5, v4
	v_lshlrev_b32_e32 v5, 23, v5
	v_lshrrev_b32_e32 v7, 4, v7
	v_add_u32_e32 v6, 0x1000000, v4
	v_sub_u32_e32 v5, v7, v5
	v_ashrrev_i32_e32 v6, 8, v6
	v_add_u32_e32 v5, 0x3c000000, v5
	v_and_or_b32 v5, v6, s0, v5
	v_cmp_ne_u32_e32 vcc, 0, v4
	v_cndmask_b32_e32 v4, 0, v5, vcc
	v_and_or_b32 v3, v3, s1, v4
	v_trunc_f32_e32 v3, v3
	v_mul_f32_e64 v4, |v3|, s8
	v_floor_f32_e32 v4, v4
	s_mov_b32 s0, 0xcf800000
	v_fma_f32 v4, v4, s0, |v3|
	v_cvt_u32_f32_e32 v4, v4
	v_ashrrev_i32_e32 v3, 31, v3
	v_xor_b32_e32 v4, v4, v3
	v_sub_u32_e32 v3, v4, v3
.LBB135_465:
	s_mov_b64 s[0:1], 0
.LBB135_466:
	s_andn2_b64 vcc, exec, s[0:1]
	s_cbranch_vccnz .LBB135_468
; %bb.467:
	global_load_ubyte v3, v[1:2], off
	s_movk_i32 s0, 0x7f00
	s_brev_b32 s1, 16
	s_brev_b32 s8, 1
	s_mov_b32 s9, 0x2f800000
	s_waitcnt vmcnt(0)
	v_lshlrev_b16_e32 v4, 8, v3
	v_lshlrev_b32_e32 v3, 25, v3
	v_lshrrev_b32_e32 v5, 4, v3
	v_and_or_b32 v6, v4, s0, 0.5
	v_or_b32_e32 v5, 0x70000000, v5
	v_add_f32_e32 v6, -0.5, v6
	v_mul_f32_e32 v5, 0x7800000, v5
	v_cmp_gt_u32_e32 vcc, s1, v3
	v_bfe_i32 v4, v4, 0, 16
	v_cndmask_b32_e32 v3, v5, v6, vcc
	v_and_or_b32 v3, v4, s8, v3
	v_trunc_f32_e32 v3, v3
	v_mul_f32_e64 v4, |v3|, s9
	v_floor_f32_e32 v4, v4
	s_mov_b32 s0, 0xcf800000
	v_fma_f32 v4, v4, s0, |v3|
	v_cvt_u32_f32_e32 v4, v4
	v_ashrrev_i32_e32 v3, 31, v3
	v_xor_b32_e32 v4, v4, v3
	v_sub_u32_e32 v3, v4, v3
.LBB135_468:
	s_mov_b64 s[8:9], 0
	s_mov_b64 s[0:1], -1
.LBB135_469:
	s_andn2_b64 vcc, exec, s[8:9]
	s_cbranch_vccnz .LBB135_482
; %bb.470:
	s_cmp_gt_i32 s11, 14
	s_cbranch_scc0 .LBB135_473
; %bb.471:
	s_cmp_eq_u32 s11, 15
	s_cbranch_scc0 .LBB135_476
; %bb.472:
	global_load_ushort v3, v[1:2], off
	s_mov_b32 s0, 0x2f800000
	s_mov_b32 s1, 0xcf800000
	s_mov_b64 s[2:3], 0
	s_waitcnt vmcnt(0)
	v_lshlrev_b32_e32 v3, 16, v3
	v_trunc_f32_e32 v3, v3
	v_mul_f32_e64 v4, |v3|, s0
	v_floor_f32_e32 v4, v4
	v_fma_f32 v4, v4, s1, |v3|
	v_cvt_u32_f32_e32 v4, v4
	v_ashrrev_i32_e32 v3, 31, v3
	s_mov_b64 s[0:1], -1
	v_xor_b32_e32 v4, v4, v3
	v_sub_u32_e32 v3, v4, v3
	s_branch .LBB135_477
.LBB135_473:
	s_mov_b64 s[8:9], -1
                                        ; implicit-def: $vgpr3
	s_branch .LBB135_478
.LBB135_474:
	s_andn2_saveexec_b64 s[0:1], s[0:1]
	s_cbranch_execz .LBB135_455
.LBB135_475:
	v_cmp_ne_u16_e32 vcc, 0, v4
	s_andn2_b64 s[8:9], s[8:9], exec
	s_and_b64 s[12:13], vcc, exec
	s_or_b64 s[8:9], s[8:9], s[12:13]
	s_or_b64 exec, exec, s[0:1]
	v_mov_b32_e32 v3, 0
	s_and_saveexec_b64 s[0:1], s[8:9]
	s_cbranch_execnz .LBB135_456
	s_branch .LBB135_457
.LBB135_476:
	s_mov_b64 s[2:3], -1
                                        ; implicit-def: $vgpr3
.LBB135_477:
	s_mov_b64 s[8:9], 0
.LBB135_478:
	s_and_b64 vcc, exec, s[8:9]
	s_cbranch_vccz .LBB135_482
; %bb.479:
	s_cmp_eq_u32 s11, 11
	s_cbranch_scc0 .LBB135_481
; %bb.480:
	global_load_ubyte v3, v[1:2], off
	s_mov_b64 s[0:1], -1
	s_mov_b64 s[2:3], 0
	s_waitcnt vmcnt(0)
	v_cmp_ne_u16_e32 vcc, 0, v3
	v_cndmask_b32_e64 v3, 0, 1, vcc
	s_branch .LBB135_482
.LBB135_481:
	s_mov_b64 s[2:3], -1
                                        ; implicit-def: $vgpr3
.LBB135_482:
	s_branch .LBB135_289
.LBB135_483:
	s_and_b32 s8, 0xffff, s10
	s_cmp_lt_i32 s8, 5
	s_cbranch_scc1 .LBB135_488
; %bb.484:
	s_cmp_lt_i32 s8, 8
	s_cbranch_scc1 .LBB135_489
; %bb.485:
	s_cmp_lt_i32 s8, 9
	s_cbranch_scc1 .LBB135_490
; %bb.486:
	s_cmp_gt_i32 s8, 9
	s_cbranch_scc0 .LBB135_491
; %bb.487:
	global_load_dwordx2 v[3:4], v[1:2], off
	s_movk_i32 s0, 0xffe0
	s_waitcnt vmcnt(0)
	v_trunc_f64_e32 v[3:4], v[3:4]
	v_ldexp_f64 v[5:6], v[3:4], s0
	s_mov_b32 s0, 0
	s_mov_b32 s1, 0xc1f00000
	v_floor_f64_e32 v[5:6], v[5:6]
	v_fma_f64 v[3:4], v[5:6], s[0:1], v[3:4]
	s_mov_b64 s[0:1], 0
	v_cvt_u32_f64_e32 v3, v[3:4]
	s_branch .LBB135_492
.LBB135_488:
	s_mov_b64 s[0:1], -1
                                        ; implicit-def: $vgpr3
	s_branch .LBB135_510
.LBB135_489:
	s_mov_b64 s[0:1], -1
                                        ; implicit-def: $vgpr3
	s_branch .LBB135_498
.LBB135_490:
	s_mov_b64 s[0:1], -1
                                        ; implicit-def: $vgpr3
	s_branch .LBB135_495
.LBB135_491:
	s_mov_b64 s[0:1], -1
                                        ; implicit-def: $vgpr3
.LBB135_492:
	s_andn2_b64 vcc, exec, s[0:1]
	s_cbranch_vccnz .LBB135_494
; %bb.493:
	global_load_dword v3, v[1:2], off
	s_mov_b32 s0, 0x2f800000
	s_waitcnt vmcnt(0)
	v_trunc_f32_e32 v3, v3
	v_mul_f32_e64 v4, |v3|, s0
	v_floor_f32_e32 v4, v4
	s_mov_b32 s0, 0xcf800000
	v_fma_f32 v4, v4, s0, |v3|
	v_cvt_u32_f32_e32 v4, v4
	v_ashrrev_i32_e32 v3, 31, v3
	v_xor_b32_e32 v4, v4, v3
	v_sub_u32_e32 v3, v4, v3
.LBB135_494:
	s_mov_b64 s[0:1], 0
.LBB135_495:
	s_andn2_b64 vcc, exec, s[0:1]
	s_cbranch_vccnz .LBB135_497
; %bb.496:
	global_load_dword v3, v[1:2], off
	s_waitcnt vmcnt(0)
	v_cvt_f32_f16_e32 v3, v3
	v_cvt_i32_f32_e32 v3, v3
.LBB135_497:
	s_mov_b64 s[0:1], 0
.LBB135_498:
	s_andn2_b64 vcc, exec, s[0:1]
	s_cbranch_vccnz .LBB135_509
; %bb.499:
	s_cmp_lt_i32 s8, 6
	s_cbranch_scc1 .LBB135_502
; %bb.500:
	s_cmp_gt_i32 s8, 6
	s_cbranch_scc0 .LBB135_503
; %bb.501:
	global_load_dwordx2 v[3:4], v[1:2], off
	s_movk_i32 s0, 0xffe0
	s_waitcnt vmcnt(0)
	v_trunc_f64_e32 v[3:4], v[3:4]
	v_ldexp_f64 v[5:6], v[3:4], s0
	s_mov_b32 s0, 0
	s_mov_b32 s1, 0xc1f00000
	v_floor_f64_e32 v[5:6], v[5:6]
	v_fma_f64 v[3:4], v[5:6], s[0:1], v[3:4]
	s_mov_b64 s[0:1], 0
	v_cvt_u32_f64_e32 v3, v[3:4]
	s_branch .LBB135_504
.LBB135_502:
	s_mov_b64 s[0:1], -1
                                        ; implicit-def: $vgpr3
	s_branch .LBB135_507
.LBB135_503:
	s_mov_b64 s[0:1], -1
                                        ; implicit-def: $vgpr3
.LBB135_504:
	s_andn2_b64 vcc, exec, s[0:1]
	s_cbranch_vccnz .LBB135_506
; %bb.505:
	global_load_dword v3, v[1:2], off
	s_mov_b32 s0, 0x2f800000
	s_waitcnt vmcnt(0)
	v_trunc_f32_e32 v3, v3
	v_mul_f32_e64 v4, |v3|, s0
	v_floor_f32_e32 v4, v4
	s_mov_b32 s0, 0xcf800000
	v_fma_f32 v4, v4, s0, |v3|
	v_cvt_u32_f32_e32 v4, v4
	v_ashrrev_i32_e32 v3, 31, v3
	v_xor_b32_e32 v4, v4, v3
	v_sub_u32_e32 v3, v4, v3
.LBB135_506:
	s_mov_b64 s[0:1], 0
.LBB135_507:
	s_andn2_b64 vcc, exec, s[0:1]
	s_cbranch_vccnz .LBB135_509
; %bb.508:
	global_load_ushort v3, v[1:2], off
	s_waitcnt vmcnt(0)
	v_cvt_f32_f16_e32 v3, v3
	v_cvt_i32_f32_e32 v3, v3
.LBB135_509:
	s_mov_b64 s[0:1], 0
.LBB135_510:
	s_andn2_b64 vcc, exec, s[0:1]
	s_cbranch_vccnz .LBB135_530
; %bb.511:
	s_cmp_lt_i32 s8, 2
	s_cbranch_scc1 .LBB135_515
; %bb.512:
	s_cmp_lt_i32 s8, 3
	s_cbranch_scc1 .LBB135_516
; %bb.513:
	s_cmp_gt_i32 s8, 3
	s_cbranch_scc0 .LBB135_517
; %bb.514:
	global_load_dwordx2 v[3:4], v[1:2], off
	s_mov_b64 s[0:1], 0
	s_branch .LBB135_518
.LBB135_515:
	s_mov_b64 s[0:1], -1
                                        ; implicit-def: $vgpr3
	s_branch .LBB135_524
.LBB135_516:
	s_mov_b64 s[0:1], -1
                                        ; implicit-def: $vgpr3
	s_branch .LBB135_521
.LBB135_517:
	s_mov_b64 s[0:1], -1
                                        ; implicit-def: $vgpr3
.LBB135_518:
	s_andn2_b64 vcc, exec, s[0:1]
	s_cbranch_vccnz .LBB135_520
; %bb.519:
	global_load_dword v3, v[1:2], off
.LBB135_520:
	s_mov_b64 s[0:1], 0
.LBB135_521:
	s_andn2_b64 vcc, exec, s[0:1]
	s_cbranch_vccnz .LBB135_523
; %bb.522:
	global_load_ushort v3, v[1:2], off
.LBB135_523:
	s_mov_b64 s[0:1], 0
.LBB135_524:
	s_andn2_b64 vcc, exec, s[0:1]
	s_cbranch_vccnz .LBB135_530
; %bb.525:
	s_cmp_gt_i32 s8, 0
	s_cbranch_scc0 .LBB135_527
; %bb.526:
	global_load_ubyte v3, v[1:2], off
	s_mov_b64 s[0:1], 0
	s_branch .LBB135_528
.LBB135_527:
	s_mov_b64 s[0:1], -1
                                        ; implicit-def: $vgpr3
.LBB135_528:
	s_andn2_b64 vcc, exec, s[0:1]
	s_cbranch_vccnz .LBB135_530
; %bb.529:
	global_load_ubyte v3, v[1:2], off
.LBB135_530:
	s_branch .LBB135_290
.LBB135_531:
	s_mov_b64 s[8:9], 0
	s_mov_b64 s[0:1], s[54:55]
.LBB135_532:
                                        ; implicit-def: $vgpr11
.LBB135_533:
	s_andn2_b64 s[10:11], s[54:55], exec
	s_and_b64 s[0:1], s[0:1], exec
	s_or_b64 s[62:63], s[10:11], s[0:1]
	s_andn2_b64 s[0:1], s[56:57], exec
	s_and_b64 s[2:3], s[2:3], exec
	s_or_b64 s[60:61], s[0:1], s[2:3]
	s_orn2_b64 s[0:1], s[8:9], exec
.LBB135_534:
	s_or_b64 exec, exec, s[64:65]
	s_mov_b64 s[2:3], 0
	s_mov_b64 s[8:9], 0
	;; [unrolled: 1-line block ×3, first 2 shown]
                                        ; implicit-def: $sgpr14
                                        ; implicit-def: $vgpr1_vgpr2
                                        ; implicit-def: $vgpr0
                                        ; implicit-def: $vgpr3
	s_and_saveexec_b64 s[64:65], s[0:1]
	s_cbranch_execz .LBB135_901
; %bb.535:
	v_cmp_gt_i32_e32 vcc, s72, v11
	s_mov_b64 s[2:3], -1
	s_mov_b64 s[68:69], s[60:61]
	s_mov_b64 s[70:71], s[62:63]
	s_and_saveexec_b64 s[66:67], vcc
	s_cbranch_execz .LBB135_805
; %bb.536:
	s_andn2_b64 vcc, exec, s[40:41]
	s_cbranch_vccnz .LBB135_541
; %bb.537:
	s_andn2_b64 vcc, exec, s[52:53]
	s_cbranch_vccnz .LBB135_542
; %bb.538:
	s_add_i32 s79, s78, 1
	s_cmp_eq_u32 s74, 2
	s_cbranch_scc1 .LBB135_543
; %bb.539:
	s_and_b32 s73, s79, 28
	v_mov_b32_e32 v2, 0
	s_mov_b32 s80, 0
	s_mov_b64 s[68:69], s[34:35]
	s_mov_b64 s[70:71], s[50:51]
	v_mov_b32_e32 v0, 0
	v_mov_b32_e32 v1, v11
.LBB135_540:                            ; =>This Inner Loop Header: Depth=1
	s_load_dwordx8 s[16:23], s[68:69], 0x4
	s_load_dwordx4 s[0:3], s[68:69], 0x24
	s_load_dwordx8 s[8:15], s[70:71], 0x0
	s_add_u32 s68, s68, 48
	s_addc_u32 s69, s69, 0
	s_waitcnt vmcnt(0) lgkmcnt(0)
	v_mul_hi_u32 v3, s17, v1
	s_add_i32 s80, s80, 4
	s_add_u32 s70, s70, 32
	s_addc_u32 s71, s71, 0
	v_add_u32_e32 v3, v1, v3
	v_lshrrev_b32_e32 v3, s18, v3
	v_mul_lo_u32 v4, v3, s16
	v_mul_hi_u32 v5, s20, v3
	s_cmp_eq_u32 s73, s80
	v_sub_u32_e32 v1, v1, v4
	v_add_u32_e32 v4, v3, v5
	v_mul_lo_u32 v5, v1, s8
	v_mul_lo_u32 v6, v1, s9
	v_lshrrev_b32_e32 v1, s21, v4
	v_mul_lo_u32 v4, v1, s19
	v_mul_hi_u32 v7, s23, v1
	v_sub_u32_e32 v3, v3, v4
	v_add_u32_e32 v4, v1, v7
	v_lshrrev_b32_e32 v4, s0, v4
	v_mul_hi_u32 v8, s2, v4
	v_mul_lo_u32 v9, v4, s22
	v_mul_lo_u32 v7, v3, s10
	;; [unrolled: 1-line block ×3, first 2 shown]
	v_sub_u32_e32 v9, v1, v9
	v_add_u32_e32 v1, v4, v8
	v_lshrrev_b32_e32 v1, s3, v1
	v_mul_lo_u32 v8, v1, s1
	v_mul_lo_u32 v10, v9, s12
	;; [unrolled: 1-line block ×3, first 2 shown]
	v_add3_u32 v0, v5, v0, v7
	v_sub_u32_e32 v4, v4, v8
	v_mul_lo_u32 v8, v4, s14
	v_mul_lo_u32 v4, v4, s15
	v_add3_u32 v2, v6, v2, v3
	v_add3_u32 v0, v10, v0, v8
	v_add3_u32 v2, v9, v2, v4
	s_cbranch_scc0 .LBB135_540
	s_branch .LBB135_544
.LBB135_541:
	s_mov_b64 s[0:1], -1
                                        ; implicit-def: $vgpr0
                                        ; implicit-def: $vgpr2
	s_branch .LBB135_548
.LBB135_542:
	v_mov_b32_e32 v0, 0
	v_mov_b32_e32 v2, 0
	s_branch .LBB135_547
.LBB135_543:
	s_mov_b32 s73, 0
	v_mov_b32_e32 v0, 0
	v_mov_b32_e32 v2, 0
	;; [unrolled: 1-line block ×3, first 2 shown]
.LBB135_544:
	s_and_b32 s8, s79, 3
	s_cmp_eq_u32 s8, 0
	s_cbranch_scc1 .LBB135_547
; %bb.545:
	s_lshl_b32 s0, s73, 3
	s_add_u32 s0, s34, s0
	s_addc_u32 s1, s35, 0
	s_add_u32 s0, s0, 0xc4
	s_addc_u32 s1, s1, 0
	s_mul_i32 s2, s73, 12
	s_add_u32 s2, s34, s2
	s_addc_u32 s3, s35, 0
.LBB135_546:                            ; =>This Inner Loop Header: Depth=1
	s_load_dwordx2 s[10:11], s[2:3], 0x4
	s_load_dword s9, s[2:3], 0xc
	s_load_dwordx2 s[12:13], s[0:1], 0x0
	s_add_u32 s2, s2, 12
	s_addc_u32 s3, s3, 0
	s_waitcnt vmcnt(0) lgkmcnt(0)
	v_mul_hi_u32 v3, s11, v1
	s_add_u32 s0, s0, 8
	s_addc_u32 s1, s1, 0
	s_add_i32 s8, s8, -1
	v_add_u32_e32 v3, v1, v3
	v_lshrrev_b32_e32 v4, s9, v3
	v_mul_lo_u32 v3, v4, s10
	s_cmp_lg_u32 s8, 0
	v_sub_u32_e32 v3, v1, v3
	v_mad_u64_u32 v[0:1], s[10:11], v3, s12, v[0:1]
	v_mad_u64_u32 v[2:3], s[10:11], v3, s13, v[2:3]
	v_mov_b32_e32 v1, v4
	s_cbranch_scc1 .LBB135_546
.LBB135_547:
	s_mov_b64 s[0:1], 0
.LBB135_548:
	s_andn2_b64 vcc, exec, s[0:1]
	s_cbranch_vccnz .LBB135_551
; %bb.549:
	s_waitcnt lgkmcnt(0)
	v_mul_hi_u32 v0, s37, v11
	s_andn2_b64 vcc, exec, s[48:49]
	v_add_u32_e32 v0, v11, v0
	v_lshrrev_b32_e32 v1, s38, v0
	v_mul_lo_u32 v0, v1, s36
	v_sub_u32_e32 v2, v11, v0
	v_mul_lo_u32 v0, v2, s28
	v_mul_lo_u32 v2, v2, s29
	s_cbranch_vccnz .LBB135_551
; %bb.550:
	s_waitcnt vmcnt(0)
	v_mul_hi_u32 v3, s46, v1
	v_add_u32_e32 v3, v1, v3
	v_lshrrev_b32_e32 v3, s47, v3
	v_mul_lo_u32 v3, v3, s39
	v_sub_u32_e32 v3, v1, v3
	v_mad_u64_u32 v[0:1], s[0:1], v3, s30, v[0:1]
	v_mad_u64_u32 v[2:3], s[0:1], v3, s31, v[2:3]
.LBB135_551:
	s_waitcnt vmcnt(0) lgkmcnt(0)
	v_mov_b32_e32 v3, s27
	s_and_b32 s10, s77, 0xff
	v_add_co_u32_e32 v1, vcc, s26, v2
	s_cmp_lt_i32 s10, 11
	v_addc_co_u32_e32 v2, vcc, 0, v3, vcc
	s_cbranch_scc1 .LBB135_558
; %bb.552:
	s_and_b32 s11, 0xffff, s10
	s_cmp_gt_i32 s11, 25
	s_cbranch_scc0 .LBB135_559
; %bb.553:
	s_cmp_gt_i32 s11, 28
	s_cbranch_scc0 .LBB135_560
; %bb.554:
	;; [unrolled: 3-line block ×4, first 2 shown]
	s_cmp_eq_u32 s11, 46
	s_mov_b64 s[8:9], 0
	s_cbranch_scc0 .LBB135_567
; %bb.557:
	global_load_dword v3, v[1:2], off
	s_mov_b32 s0, 0x2f800000
	s_mov_b32 s1, 0xcf800000
	s_mov_b64 s[2:3], 0
	s_waitcnt vmcnt(0)
	v_lshlrev_b32_e32 v3, 16, v3
	v_trunc_f32_e32 v3, v3
	v_mul_f32_e64 v4, |v3|, s0
	v_floor_f32_e32 v4, v4
	v_fma_f32 v4, v4, s1, |v3|
	v_cvt_u32_f32_e32 v4, v4
	v_ashrrev_i32_e32 v3, 31, v3
	s_mov_b64 s[0:1], -1
	v_xor_b32_e32 v4, v4, v3
	v_sub_u32_e32 v3, v4, v3
	s_branch .LBB135_568
.LBB135_558:
	s_mov_b64 s[8:9], -1
	s_mov_b64 s[0:1], 0
                                        ; implicit-def: $vgpr3
	s_mov_b64 s[2:3], s[60:61]
	s_branch .LBB135_629
.LBB135_559:
	s_mov_b64 s[8:9], -1
	s_mov_b64 s[0:1], 0
	s_mov_b64 s[2:3], s[60:61]
                                        ; implicit-def: $vgpr3
	s_branch .LBB135_595
.LBB135_560:
	s_mov_b64 s[8:9], -1
	s_mov_b64 s[0:1], 0
	s_mov_b64 s[2:3], s[60:61]
                                        ; implicit-def: $vgpr3
	s_branch .LBB135_578
.LBB135_561:
	s_mov_b64 s[8:9], -1
	s_mov_b64 s[0:1], 0
	s_mov_b64 s[2:3], s[60:61]
                                        ; implicit-def: $vgpr3
	s_branch .LBB135_573
.LBB135_562:
	s_andn2_saveexec_b64 s[12:13], s[12:13]
	s_cbranch_execz .LBB135_335
.LBB135_563:
	v_add_f32_e32 v3, 0x46000000, v4
	v_and_b32_e32 v3, 0xff, v3
	v_cmp_ne_u32_e32 vcc, 0, v3
	s_andn2_b64 s[10:11], s[10:11], exec
	s_and_b64 s[16:17], vcc, exec
	s_or_b64 s[10:11], s[10:11], s[16:17]
	s_or_b64 exec, exec, s[12:13]
	v_mov_b32_e32 v5, 0
	s_and_saveexec_b64 s[12:13], s[10:11]
	s_cbranch_execnz .LBB135_336
	s_branch .LBB135_337
.LBB135_564:
	s_mov_b64 s[8:9], -1
	s_mov_b64 s[0:1], 0
	s_mov_b64 s[2:3], s[60:61]
                                        ; implicit-def: $vgpr3
	s_branch .LBB135_568
.LBB135_565:
	s_andn2_saveexec_b64 s[12:13], s[12:13]
	s_cbranch_execz .LBB135_348
.LBB135_566:
	v_add_f32_e32 v3, 0x42800000, v4
	v_and_b32_e32 v3, 0xff, v3
	v_cmp_ne_u32_e32 vcc, 0, v3
	s_andn2_b64 s[10:11], s[10:11], exec
	s_and_b64 s[16:17], vcc, exec
	s_or_b64 s[10:11], s[10:11], s[16:17]
	s_or_b64 exec, exec, s[12:13]
	v_mov_b32_e32 v5, 0
	s_and_saveexec_b64 s[12:13], s[10:11]
	s_cbranch_execnz .LBB135_349
	s_branch .LBB135_350
.LBB135_567:
	s_mov_b64 s[2:3], -1
                                        ; implicit-def: $vgpr3
	s_mov_b64 s[0:1], 0
.LBB135_568:
	s_and_b64 vcc, exec, s[8:9]
	s_cbranch_vccz .LBB135_572
; %bb.569:
	s_cmp_eq_u32 s11, 44
	s_cbranch_scc0 .LBB135_571
; %bb.570:
	global_load_ubyte v3, v[1:2], off
	s_mov_b32 s0, 0x2f800000
	s_mov_b32 s1, 0xcf800000
	s_mov_b64 s[2:3], 0
	s_waitcnt vmcnt(0)
	v_lshlrev_b32_e32 v4, 23, v3
	v_trunc_f32_e32 v4, v4
	v_mul_f32_e64 v5, |v4|, s0
	v_floor_f32_e32 v5, v5
	v_fma_f32 v5, v5, s1, |v4|
	v_cvt_u32_f32_e32 v5, v5
	v_ashrrev_i32_e32 v4, 31, v4
	v_cmp_ne_u32_e32 vcc, 0, v3
	s_mov_b64 s[0:1], -1
	v_xor_b32_e32 v5, v5, v4
	v_sub_u32_e32 v4, v5, v4
	v_cndmask_b32_e32 v3, 0, v4, vcc
	s_branch .LBB135_572
.LBB135_571:
	s_mov_b64 s[2:3], -1
                                        ; implicit-def: $vgpr3
.LBB135_572:
	s_mov_b64 s[8:9], 0
.LBB135_573:
	s_and_b64 vcc, exec, s[8:9]
	s_cbranch_vccz .LBB135_577
; %bb.574:
	s_cmp_eq_u32 s11, 29
	s_cbranch_scc0 .LBB135_576
; %bb.575:
	global_load_dwordx2 v[3:4], v[1:2], off
	s_mov_b64 s[0:1], -1
	s_mov_b64 s[2:3], 0
	s_branch .LBB135_577
.LBB135_576:
	s_mov_b64 s[2:3], -1
                                        ; implicit-def: $vgpr3
.LBB135_577:
	s_mov_b64 s[8:9], 0
.LBB135_578:
	s_and_b64 vcc, exec, s[8:9]
	s_cbranch_vccz .LBB135_594
; %bb.579:
	s_cmp_lt_i32 s11, 27
	s_cbranch_scc1 .LBB135_582
; %bb.580:
	s_cmp_gt_i32 s11, 27
	s_cbranch_scc0 .LBB135_583
; %bb.581:
	global_load_dword v3, v[1:2], off
	s_mov_b64 s[0:1], 0
	s_branch .LBB135_584
.LBB135_582:
	s_mov_b64 s[0:1], -1
                                        ; implicit-def: $vgpr3
	s_branch .LBB135_587
.LBB135_583:
	s_mov_b64 s[0:1], -1
                                        ; implicit-def: $vgpr3
.LBB135_584:
	s_andn2_b64 vcc, exec, s[0:1]
	s_cbranch_vccnz .LBB135_586
; %bb.585:
	global_load_ushort v3, v[1:2], off
.LBB135_586:
	s_mov_b64 s[0:1], 0
.LBB135_587:
	s_andn2_b64 vcc, exec, s[0:1]
	s_cbranch_vccnz .LBB135_593
; %bb.588:
	global_load_ubyte v4, v[1:2], off
	s_movk_i32 s0, 0x7f
	s_mov_b64 s[8:9], 0
	s_waitcnt vmcnt(0)
	v_cmp_lt_i16_e32 vcc, s0, v4
	s_and_saveexec_b64 s[0:1], vcc
	s_xor_b64 s[0:1], exec, s[0:1]
	s_cbranch_execz .LBB135_605
; %bb.589:
	s_movk_i32 s8, 0x80
	v_cmp_ne_u16_e32 vcc, s8, v4
	s_and_b64 s[8:9], vcc, exec
	s_andn2_saveexec_b64 s[0:1], s[0:1]
	s_cbranch_execnz .LBB135_606
.LBB135_590:
	s_or_b64 exec, exec, s[0:1]
	v_mov_b32_e32 v3, 0
	s_and_saveexec_b64 s[0:1], s[8:9]
	s_cbranch_execz .LBB135_592
.LBB135_591:
	v_lshlrev_b32_e32 v3, 24, v4
	v_and_b32_e32 v4, 0xffff, v4
	v_and_b32_e32 v5, 7, v4
	v_ffbh_u32_e32 v7, v5
	v_min_u32_e32 v7, 32, v7
	v_subrev_u32_e32 v8, 28, v7
	v_bfe_u32 v6, v4, 3, 4
	v_lshlrev_b32_e32 v4, v8, v4
	v_sub_u32_e32 v7, 29, v7
	v_and_b32_e32 v4, 7, v4
	v_cmp_eq_u32_e32 vcc, 0, v6
	v_cndmask_b32_e32 v6, v6, v7, vcc
	v_cndmask_b32_e32 v4, v5, v4, vcc
	v_mov_b32_e32 v5, 0x3b800000
	v_lshlrev_b32_e32 v4, 20, v4
	v_and_b32_e32 v3, 0x80000000, v3
	v_lshl_add_u32 v5, v6, 23, v5
	v_or3_b32 v3, v3, v5, v4
	v_trunc_f32_e32 v3, v3
	s_mov_b32 s8, 0x2f800000
	v_mul_f32_e64 v4, |v3|, s8
	v_floor_f32_e32 v4, v4
	s_mov_b32 s8, 0xcf800000
	v_fma_f32 v4, v4, s8, |v3|
	v_cvt_u32_f32_e32 v4, v4
	v_ashrrev_i32_e32 v3, 31, v3
	v_xor_b32_e32 v4, v4, v3
	v_sub_u32_e32 v3, v4, v3
.LBB135_592:
	s_or_b64 exec, exec, s[0:1]
.LBB135_593:
	s_mov_b64 s[0:1], -1
.LBB135_594:
	s_mov_b64 s[8:9], 0
.LBB135_595:
	s_and_b64 vcc, exec, s[8:9]
	s_cbranch_vccz .LBB135_628
; %bb.596:
	s_cmp_gt_i32 s11, 22
	s_cbranch_scc0 .LBB135_604
; %bb.597:
	s_cmp_lt_i32 s11, 24
	s_cbranch_scc1 .LBB135_607
; %bb.598:
	s_cmp_gt_i32 s11, 24
	s_cbranch_scc0 .LBB135_608
; %bb.599:
	global_load_ubyte v4, v[1:2], off
	s_movk_i32 s0, 0x7f
	s_mov_b64 s[8:9], 0
	s_waitcnt vmcnt(0)
	v_cmp_lt_i16_e32 vcc, s0, v4
	s_and_saveexec_b64 s[0:1], vcc
	s_xor_b64 s[0:1], exec, s[0:1]
	s_cbranch_execz .LBB135_620
; %bb.600:
	s_movk_i32 s8, 0x80
	v_cmp_ne_u16_e32 vcc, s8, v4
	s_and_b64 s[8:9], vcc, exec
	s_andn2_saveexec_b64 s[0:1], s[0:1]
	s_cbranch_execnz .LBB135_621
.LBB135_601:
	s_or_b64 exec, exec, s[0:1]
	v_mov_b32_e32 v3, 0
	s_and_saveexec_b64 s[0:1], s[8:9]
	s_cbranch_execz .LBB135_603
.LBB135_602:
	v_lshlrev_b32_e32 v3, 24, v4
	v_and_b32_e32 v4, 0xffff, v4
	v_and_b32_e32 v5, 3, v4
	v_ffbh_u32_e32 v7, v5
	v_min_u32_e32 v7, 32, v7
	v_subrev_u32_e32 v8, 29, v7
	v_bfe_u32 v6, v4, 2, 5
	v_lshlrev_b32_e32 v4, v8, v4
	v_sub_u32_e32 v7, 30, v7
	v_and_b32_e32 v4, 3, v4
	v_cmp_eq_u32_e32 vcc, 0, v6
	v_cndmask_b32_e32 v6, v6, v7, vcc
	v_cndmask_b32_e32 v4, v5, v4, vcc
	v_mov_b32_e32 v5, 0x37800000
	v_lshlrev_b32_e32 v4, 21, v4
	v_and_b32_e32 v3, 0x80000000, v3
	v_lshl_add_u32 v5, v6, 23, v5
	v_or3_b32 v3, v3, v5, v4
	v_trunc_f32_e32 v3, v3
	s_mov_b32 s8, 0x2f800000
	v_mul_f32_e64 v4, |v3|, s8
	v_floor_f32_e32 v4, v4
	s_mov_b32 s8, 0xcf800000
	v_fma_f32 v4, v4, s8, |v3|
	v_cvt_u32_f32_e32 v4, v4
	v_ashrrev_i32_e32 v3, 31, v3
	v_xor_b32_e32 v4, v4, v3
	v_sub_u32_e32 v3, v4, v3
.LBB135_603:
	s_or_b64 exec, exec, s[0:1]
	s_mov_b64 s[0:1], 0
	s_branch .LBB135_609
.LBB135_604:
	s_mov_b64 s[8:9], -1
                                        ; implicit-def: $vgpr3
	s_branch .LBB135_615
.LBB135_605:
	s_andn2_saveexec_b64 s[0:1], s[0:1]
	s_cbranch_execz .LBB135_590
.LBB135_606:
	v_cmp_ne_u16_e32 vcc, 0, v4
	s_andn2_b64 s[8:9], s[8:9], exec
	s_and_b64 s[12:13], vcc, exec
	s_or_b64 s[8:9], s[8:9], s[12:13]
	s_or_b64 exec, exec, s[0:1]
	v_mov_b32_e32 v3, 0
	s_and_saveexec_b64 s[0:1], s[8:9]
	s_cbranch_execnz .LBB135_591
	s_branch .LBB135_592
.LBB135_607:
	s_mov_b64 s[0:1], -1
                                        ; implicit-def: $vgpr3
	s_branch .LBB135_612
.LBB135_608:
	s_mov_b64 s[0:1], -1
                                        ; implicit-def: $vgpr3
.LBB135_609:
	s_and_b64 vcc, exec, s[0:1]
	s_cbranch_vccz .LBB135_611
; %bb.610:
	global_load_ubyte v3, v[1:2], off
	s_mov_b32 s0, 0x7f800000
	s_brev_b32 s1, 1
	s_mov_b32 s8, 0x2f800000
	s_waitcnt vmcnt(0)
	v_lshlrev_b32_e32 v3, 24, v3
	v_and_b32_e32 v4, 0x7f000000, v3
	v_ffbh_u32_e32 v5, v4
	v_min_u32_e32 v5, 32, v5
	v_sub_u32_e64 v5, v5, 4 clamp
	v_lshlrev_b32_e32 v7, v5, v4
	v_lshlrev_b32_e32 v5, 23, v5
	v_lshrrev_b32_e32 v7, 4, v7
	v_add_u32_e32 v6, 0x1000000, v4
	v_sub_u32_e32 v5, v7, v5
	v_ashrrev_i32_e32 v6, 8, v6
	v_add_u32_e32 v5, 0x3c000000, v5
	v_and_or_b32 v5, v6, s0, v5
	v_cmp_ne_u32_e32 vcc, 0, v4
	v_cndmask_b32_e32 v4, 0, v5, vcc
	v_and_or_b32 v3, v3, s1, v4
	v_trunc_f32_e32 v3, v3
	v_mul_f32_e64 v4, |v3|, s8
	v_floor_f32_e32 v4, v4
	s_mov_b32 s0, 0xcf800000
	v_fma_f32 v4, v4, s0, |v3|
	v_cvt_u32_f32_e32 v4, v4
	v_ashrrev_i32_e32 v3, 31, v3
	v_xor_b32_e32 v4, v4, v3
	v_sub_u32_e32 v3, v4, v3
.LBB135_611:
	s_mov_b64 s[0:1], 0
.LBB135_612:
	s_andn2_b64 vcc, exec, s[0:1]
	s_cbranch_vccnz .LBB135_614
; %bb.613:
	global_load_ubyte v3, v[1:2], off
	s_movk_i32 s0, 0x7f00
	s_brev_b32 s1, 16
	s_brev_b32 s8, 1
	s_mov_b32 s9, 0x2f800000
	s_waitcnt vmcnt(0)
	v_lshlrev_b16_e32 v4, 8, v3
	v_lshlrev_b32_e32 v3, 25, v3
	v_lshrrev_b32_e32 v5, 4, v3
	v_and_or_b32 v6, v4, s0, 0.5
	v_or_b32_e32 v5, 0x70000000, v5
	v_add_f32_e32 v6, -0.5, v6
	v_mul_f32_e32 v5, 0x7800000, v5
	v_cmp_gt_u32_e32 vcc, s1, v3
	v_bfe_i32 v4, v4, 0, 16
	v_cndmask_b32_e32 v3, v5, v6, vcc
	v_and_or_b32 v3, v4, s8, v3
	v_trunc_f32_e32 v3, v3
	v_mul_f32_e64 v4, |v3|, s9
	v_floor_f32_e32 v4, v4
	s_mov_b32 s0, 0xcf800000
	v_fma_f32 v4, v4, s0, |v3|
	v_cvt_u32_f32_e32 v4, v4
	v_ashrrev_i32_e32 v3, 31, v3
	v_xor_b32_e32 v4, v4, v3
	v_sub_u32_e32 v3, v4, v3
.LBB135_614:
	s_mov_b64 s[8:9], 0
	s_mov_b64 s[0:1], -1
.LBB135_615:
	s_andn2_b64 vcc, exec, s[8:9]
	s_cbranch_vccnz .LBB135_628
; %bb.616:
	s_cmp_gt_i32 s11, 14
	s_cbranch_scc0 .LBB135_619
; %bb.617:
	s_cmp_eq_u32 s11, 15
	s_cbranch_scc0 .LBB135_622
; %bb.618:
	global_load_ushort v3, v[1:2], off
	s_mov_b32 s0, 0x2f800000
	s_mov_b32 s1, 0xcf800000
	s_mov_b64 s[2:3], 0
	s_waitcnt vmcnt(0)
	v_lshlrev_b32_e32 v3, 16, v3
	v_trunc_f32_e32 v3, v3
	v_mul_f32_e64 v4, |v3|, s0
	v_floor_f32_e32 v4, v4
	v_fma_f32 v4, v4, s1, |v3|
	v_cvt_u32_f32_e32 v4, v4
	v_ashrrev_i32_e32 v3, 31, v3
	s_mov_b64 s[0:1], -1
	v_xor_b32_e32 v4, v4, v3
	v_sub_u32_e32 v3, v4, v3
	s_branch .LBB135_623
.LBB135_619:
	s_mov_b64 s[8:9], -1
                                        ; implicit-def: $vgpr3
	s_branch .LBB135_624
.LBB135_620:
	s_andn2_saveexec_b64 s[0:1], s[0:1]
	s_cbranch_execz .LBB135_601
.LBB135_621:
	v_cmp_ne_u16_e32 vcc, 0, v4
	s_andn2_b64 s[8:9], s[8:9], exec
	s_and_b64 s[12:13], vcc, exec
	s_or_b64 s[8:9], s[8:9], s[12:13]
	s_or_b64 exec, exec, s[0:1]
	v_mov_b32_e32 v3, 0
	s_and_saveexec_b64 s[0:1], s[8:9]
	s_cbranch_execnz .LBB135_602
	s_branch .LBB135_603
.LBB135_622:
	s_mov_b64 s[2:3], -1
                                        ; implicit-def: $vgpr3
.LBB135_623:
	s_mov_b64 s[8:9], 0
.LBB135_624:
	s_and_b64 vcc, exec, s[8:9]
	s_cbranch_vccz .LBB135_628
; %bb.625:
	s_cmp_eq_u32 s11, 11
	s_cbranch_scc0 .LBB135_627
; %bb.626:
	global_load_ubyte v3, v[1:2], off
	s_mov_b64 s[0:1], -1
	s_mov_b64 s[2:3], 0
	s_waitcnt vmcnt(0)
	v_cmp_ne_u16_e32 vcc, 0, v3
	v_cndmask_b32_e64 v3, 0, 1, vcc
	s_branch .LBB135_628
.LBB135_627:
	s_mov_b64 s[2:3], -1
                                        ; implicit-def: $vgpr3
.LBB135_628:
	s_mov_b64 s[8:9], 0
.LBB135_629:
	s_and_b64 vcc, exec, s[8:9]
	s_cbranch_vccz .LBB135_678
; %bb.630:
	s_and_b32 s8, 0xffff, s10
	s_cmp_lt_i32 s8, 5
	s_cbranch_scc1 .LBB135_635
; %bb.631:
	s_cmp_lt_i32 s8, 8
	s_cbranch_scc1 .LBB135_636
; %bb.632:
	;; [unrolled: 3-line block ×3, first 2 shown]
	s_cmp_gt_i32 s8, 9
	s_cbranch_scc0 .LBB135_638
; %bb.634:
	global_load_dwordx2 v[3:4], v[1:2], off
	s_movk_i32 s0, 0xffe0
	s_waitcnt vmcnt(0)
	v_trunc_f64_e32 v[3:4], v[3:4]
	v_ldexp_f64 v[5:6], v[3:4], s0
	s_mov_b32 s0, 0
	s_mov_b32 s1, 0xc1f00000
	v_floor_f64_e32 v[5:6], v[5:6]
	v_fma_f64 v[3:4], v[5:6], s[0:1], v[3:4]
	s_mov_b64 s[0:1], 0
	v_cvt_u32_f64_e32 v3, v[3:4]
	s_branch .LBB135_639
.LBB135_635:
	s_mov_b64 s[0:1], -1
                                        ; implicit-def: $vgpr3
	s_branch .LBB135_657
.LBB135_636:
	s_mov_b64 s[0:1], -1
                                        ; implicit-def: $vgpr3
	s_branch .LBB135_645
.LBB135_637:
	s_mov_b64 s[0:1], -1
                                        ; implicit-def: $vgpr3
	s_branch .LBB135_642
.LBB135_638:
	s_mov_b64 s[0:1], -1
                                        ; implicit-def: $vgpr3
.LBB135_639:
	s_andn2_b64 vcc, exec, s[0:1]
	s_cbranch_vccnz .LBB135_641
; %bb.640:
	global_load_dword v3, v[1:2], off
	s_mov_b32 s0, 0x2f800000
	s_waitcnt vmcnt(0)
	v_trunc_f32_e32 v3, v3
	v_mul_f32_e64 v4, |v3|, s0
	v_floor_f32_e32 v4, v4
	s_mov_b32 s0, 0xcf800000
	v_fma_f32 v4, v4, s0, |v3|
	v_cvt_u32_f32_e32 v4, v4
	v_ashrrev_i32_e32 v3, 31, v3
	v_xor_b32_e32 v4, v4, v3
	v_sub_u32_e32 v3, v4, v3
.LBB135_641:
	s_mov_b64 s[0:1], 0
.LBB135_642:
	s_andn2_b64 vcc, exec, s[0:1]
	s_cbranch_vccnz .LBB135_644
; %bb.643:
	global_load_dword v3, v[1:2], off
	s_waitcnt vmcnt(0)
	v_cvt_f32_f16_e32 v3, v3
	v_cvt_i32_f32_e32 v3, v3
.LBB135_644:
	s_mov_b64 s[0:1], 0
.LBB135_645:
	s_andn2_b64 vcc, exec, s[0:1]
	s_cbranch_vccnz .LBB135_656
; %bb.646:
	s_cmp_lt_i32 s8, 6
	s_cbranch_scc1 .LBB135_649
; %bb.647:
	s_cmp_gt_i32 s8, 6
	s_cbranch_scc0 .LBB135_650
; %bb.648:
	global_load_dwordx2 v[3:4], v[1:2], off
	s_movk_i32 s0, 0xffe0
	s_waitcnt vmcnt(0)
	v_trunc_f64_e32 v[3:4], v[3:4]
	v_ldexp_f64 v[5:6], v[3:4], s0
	s_mov_b32 s0, 0
	s_mov_b32 s1, 0xc1f00000
	v_floor_f64_e32 v[5:6], v[5:6]
	v_fma_f64 v[3:4], v[5:6], s[0:1], v[3:4]
	s_mov_b64 s[0:1], 0
	v_cvt_u32_f64_e32 v3, v[3:4]
	s_branch .LBB135_651
.LBB135_649:
	s_mov_b64 s[0:1], -1
                                        ; implicit-def: $vgpr3
	s_branch .LBB135_654
.LBB135_650:
	s_mov_b64 s[0:1], -1
                                        ; implicit-def: $vgpr3
.LBB135_651:
	s_andn2_b64 vcc, exec, s[0:1]
	s_cbranch_vccnz .LBB135_653
; %bb.652:
	global_load_dword v3, v[1:2], off
	s_mov_b32 s0, 0x2f800000
	s_waitcnt vmcnt(0)
	v_trunc_f32_e32 v3, v3
	v_mul_f32_e64 v4, |v3|, s0
	v_floor_f32_e32 v4, v4
	s_mov_b32 s0, 0xcf800000
	v_fma_f32 v4, v4, s0, |v3|
	v_cvt_u32_f32_e32 v4, v4
	v_ashrrev_i32_e32 v3, 31, v3
	v_xor_b32_e32 v4, v4, v3
	v_sub_u32_e32 v3, v4, v3
.LBB135_653:
	s_mov_b64 s[0:1], 0
.LBB135_654:
	s_andn2_b64 vcc, exec, s[0:1]
	s_cbranch_vccnz .LBB135_656
; %bb.655:
	global_load_ushort v3, v[1:2], off
	s_waitcnt vmcnt(0)
	v_cvt_f32_f16_e32 v3, v3
	v_cvt_i32_f32_e32 v3, v3
.LBB135_656:
	s_mov_b64 s[0:1], 0
.LBB135_657:
	s_andn2_b64 vcc, exec, s[0:1]
	s_cbranch_vccnz .LBB135_677
; %bb.658:
	s_cmp_lt_i32 s8, 2
	s_cbranch_scc1 .LBB135_662
; %bb.659:
	s_cmp_lt_i32 s8, 3
	s_cbranch_scc1 .LBB135_663
; %bb.660:
	s_cmp_gt_i32 s8, 3
	s_cbranch_scc0 .LBB135_664
; %bb.661:
	global_load_dwordx2 v[3:4], v[1:2], off
	s_mov_b64 s[0:1], 0
	s_branch .LBB135_665
.LBB135_662:
	s_mov_b64 s[0:1], -1
                                        ; implicit-def: $vgpr3
	s_branch .LBB135_671
.LBB135_663:
	s_mov_b64 s[0:1], -1
                                        ; implicit-def: $vgpr3
	s_branch .LBB135_668
.LBB135_664:
	s_mov_b64 s[0:1], -1
                                        ; implicit-def: $vgpr3
.LBB135_665:
	s_andn2_b64 vcc, exec, s[0:1]
	s_cbranch_vccnz .LBB135_667
; %bb.666:
	global_load_dword v3, v[1:2], off
.LBB135_667:
	s_mov_b64 s[0:1], 0
.LBB135_668:
	s_andn2_b64 vcc, exec, s[0:1]
	s_cbranch_vccnz .LBB135_670
; %bb.669:
	global_load_ushort v3, v[1:2], off
.LBB135_670:
	s_mov_b64 s[0:1], 0
.LBB135_671:
	s_andn2_b64 vcc, exec, s[0:1]
	s_cbranch_vccnz .LBB135_677
; %bb.672:
	s_cmp_gt_i32 s8, 0
	s_cbranch_scc0 .LBB135_674
; %bb.673:
	global_load_ubyte v3, v[1:2], off
	s_mov_b64 s[0:1], 0
	s_branch .LBB135_675
.LBB135_674:
	s_mov_b64 s[0:1], -1
                                        ; implicit-def: $vgpr3
.LBB135_675:
	s_andn2_b64 vcc, exec, s[0:1]
	s_cbranch_vccnz .LBB135_677
; %bb.676:
	global_load_ubyte v3, v[1:2], off
.LBB135_677:
	s_mov_b64 s[0:1], -1
.LBB135_678:
	s_andn2_b64 vcc, exec, s[0:1]
	s_cbranch_vccnz .LBB135_686
; %bb.679:
	s_waitcnt vmcnt(0)
	v_lshrrev_b16_sdwa v1, s76, v3 dst_sel:DWORD dst_unused:UNUSED_PAD src0_sel:DWORD src1_sel:BYTE_0
	v_cndmask_b32_e64 v2, v1, 0, s[44:45]
	v_mov_b32_e32 v1, s25
	s_and_b32 s14, s75, 0xff
	v_add_co_u32_e32 v0, vcc, s24, v0
	s_cmp_lt_i32 s14, 11
	v_addc_co_u32_e32 v1, vcc, 0, v1, vcc
	s_cbranch_scc1 .LBB135_687
; %bb.680:
	s_and_b32 s15, 0xffff, s14
	s_cmp_gt_i32 s15, 25
	s_cbranch_scc0 .LBB135_688
; %bb.681:
	s_cmp_gt_i32 s15, 28
	s_cbranch_scc0 .LBB135_689
; %bb.682:
	;; [unrolled: 3-line block ×4, first 2 shown]
	s_mov_b64 s[10:11], 0
	s_mov_b64 s[0:1], -1
	s_cmp_eq_u32 s15, 46
	s_mov_b64 s[8:9], 0
	s_cbranch_scc0 .LBB135_692
; %bb.685:
	v_cvt_f32_ubyte0_e32 v3, v2
	v_bfe_u32 v4, v3, 16, 1
	s_movk_i32 s0, 0x7fff
	v_add3_u32 v3, v3, v4, s0
	v_lshrrev_b32_e32 v3, 16, v3
	global_store_dword v[0:1], v3, off
	s_mov_b64 s[8:9], -1
	s_mov_b64 s[0:1], 0
	s_branch .LBB135_692
.LBB135_686:
	s_mov_b64 s[8:9], 0
	s_mov_b64 s[0:1], s[62:63]
	s_branch .LBB135_803
.LBB135_687:
	s_mov_b64 s[10:11], -1
	s_mov_b64 s[8:9], 0
	s_mov_b64 s[0:1], s[62:63]
	s_branch .LBB135_761
.LBB135_688:
	s_mov_b64 s[10:11], -1
	s_mov_b64 s[8:9], 0
	s_mov_b64 s[0:1], s[62:63]
	s_branch .LBB135_719
.LBB135_689:
	s_mov_b64 s[10:11], -1
	s_mov_b64 s[8:9], 0
	s_mov_b64 s[0:1], s[62:63]
	s_branch .LBB135_702
.LBB135_690:
	s_mov_b64 s[10:11], -1
	s_mov_b64 s[8:9], 0
	s_mov_b64 s[0:1], s[62:63]
	s_branch .LBB135_698
.LBB135_691:
	s_mov_b64 s[10:11], -1
	s_mov_b64 s[8:9], 0
	s_mov_b64 s[0:1], s[62:63]
.LBB135_692:
	s_and_b64 vcc, exec, s[10:11]
	s_cbranch_vccz .LBB135_697
; %bb.693:
	s_cmp_eq_u32 s15, 44
	s_mov_b64 s[0:1], -1
	s_cbranch_scc0 .LBB135_697
; %bb.694:
	v_cvt_f32_ubyte0_e32 v4, v2
	v_lshrrev_b32_e32 v3, 23, v4
	s_movk_i32 s0, 0xff
	v_cmp_ne_u32_e32 vcc, s0, v3
	v_mov_b32_e32 v5, 0xff
	s_and_saveexec_b64 s[8:9], vcc
; %bb.695:
	s_mov_b32 s0, 0x3fffff
	v_and_b32_e32 v5, 0x400000, v4
	v_and_or_b32 v4, v4, s0, v3
	v_cmp_ne_u32_e32 vcc, 0, v5
	v_cmp_ne_u32_e64 s[0:1], 0, v4
	s_and_b64 s[0:1], vcc, s[0:1]
	v_cndmask_b32_e64 v4, 0, 1, s[0:1]
	v_add_u32_e32 v5, v3, v4
; %bb.696:
	s_or_b64 exec, exec, s[8:9]
	s_mov_b64 s[8:9], -1
	s_mov_b64 s[0:1], 0
	global_store_byte v[0:1], v5, off
.LBB135_697:
	s_mov_b64 s[10:11], 0
.LBB135_698:
	s_and_b64 vcc, exec, s[10:11]
	s_cbranch_vccz .LBB135_701
; %bb.699:
	s_cmp_eq_u32 s15, 29
	s_mov_b64 s[0:1], -1
	s_cbranch_scc0 .LBB135_701
; %bb.700:
	s_mov_b32 s0, 0
	v_and_b32_e32 v3, 0xffff, v2
	v_mov_b32_e32 v4, s0
	global_store_dwordx2 v[0:1], v[3:4], off
	s_mov_b64 s[8:9], -1
	s_mov_b64 s[0:1], 0
.LBB135_701:
	s_mov_b64 s[10:11], 0
.LBB135_702:
	s_and_b64 vcc, exec, s[10:11]
	s_cbranch_vccz .LBB135_718
; %bb.703:
	s_cmp_lt_i32 s15, 27
	s_mov_b64 s[8:9], -1
	s_cbranch_scc1 .LBB135_709
; %bb.704:
	s_cmp_gt_i32 s15, 27
	s_cbranch_scc0 .LBB135_706
; %bb.705:
	v_and_b32_e32 v3, 0xffff, v2
	s_mov_b64 s[8:9], 0
	global_store_dword v[0:1], v3, off
.LBB135_706:
	s_andn2_b64 vcc, exec, s[8:9]
	s_cbranch_vccnz .LBB135_708
; %bb.707:
	global_store_short v[0:1], v2, off
.LBB135_708:
	s_mov_b64 s[8:9], 0
.LBB135_709:
	s_andn2_b64 vcc, exec, s[8:9]
	s_cbranch_vccnz .LBB135_717
; %bb.710:
	v_cvt_f32_ubyte0_e32 v4, v2
	s_mov_b32 s8, 0x43800000
	v_cmp_gt_u32_e32 vcc, s8, v4
	v_mov_b32_e32 v5, 0x80
	s_and_saveexec_b64 s[8:9], vcc
	s_cbranch_execz .LBB135_716
; %bb.711:
	s_mov_b32 s10, 0x3bffffff
	v_cmp_lt_u32_e32 vcc, s10, v4
	s_mov_b64 s[10:11], 0
                                        ; implicit-def: $vgpr3
	s_and_saveexec_b64 s[12:13], vcc
	s_xor_b64 s[12:13], exec, s[12:13]
	s_cbranch_execz .LBB135_833
; %bb.712:
	v_bfe_u32 v3, v4, 20, 1
	s_mov_b32 s16, 0x487ffff
	v_add3_u32 v3, v4, v3, s16
	s_mov_b64 s[10:11], exec
	v_lshrrev_b32_e32 v3, 20, v3
                                        ; implicit-def: $vgpr4
	s_andn2_saveexec_b64 s[12:13], s[12:13]
	s_cbranch_execnz .LBB135_834
.LBB135_713:
	s_or_b64 exec, exec, s[12:13]
	v_mov_b32_e32 v5, 0
	s_and_saveexec_b64 s[12:13], s[10:11]
.LBB135_714:
	v_mov_b32_e32 v5, v3
.LBB135_715:
	s_or_b64 exec, exec, s[12:13]
.LBB135_716:
	s_or_b64 exec, exec, s[8:9]
	global_store_byte v[0:1], v5, off
.LBB135_717:
	s_mov_b64 s[8:9], -1
.LBB135_718:
	s_mov_b64 s[10:11], 0
.LBB135_719:
	s_and_b64 vcc, exec, s[10:11]
	s_cbranch_vccz .LBB135_760
; %bb.720:
	s_cmp_gt_i32 s15, 22
	s_mov_b64 s[10:11], -1
	s_cbranch_scc0 .LBB135_752
; %bb.721:
	s_cmp_lt_i32 s15, 24
	s_mov_b64 s[8:9], -1
	s_cbranch_scc1 .LBB135_741
; %bb.722:
	s_cmp_gt_i32 s15, 24
	s_cbranch_scc0 .LBB135_730
; %bb.723:
	v_cvt_f32_ubyte0_e32 v4, v2
	s_mov_b32 s8, 0x47800000
	v_cmp_gt_u32_e32 vcc, s8, v4
	v_mov_b32_e32 v5, 0x80
	s_and_saveexec_b64 s[8:9], vcc
	s_cbranch_execz .LBB135_729
; %bb.724:
	s_mov_b32 s10, 0x37ffffff
	v_cmp_lt_u32_e32 vcc, s10, v4
	s_mov_b64 s[10:11], 0
                                        ; implicit-def: $vgpr3
	s_and_saveexec_b64 s[12:13], vcc
	s_xor_b64 s[12:13], exec, s[12:13]
	s_cbranch_execz .LBB135_836
; %bb.725:
	v_bfe_u32 v3, v4, 21, 1
	s_mov_b32 s16, 0x88fffff
	v_add3_u32 v3, v4, v3, s16
	s_mov_b64 s[10:11], exec
	v_lshrrev_b32_e32 v3, 21, v3
                                        ; implicit-def: $vgpr4
	s_andn2_saveexec_b64 s[12:13], s[12:13]
	s_cbranch_execnz .LBB135_837
.LBB135_726:
	s_or_b64 exec, exec, s[12:13]
	v_mov_b32_e32 v5, 0
	s_and_saveexec_b64 s[12:13], s[10:11]
.LBB135_727:
	v_mov_b32_e32 v5, v3
.LBB135_728:
	s_or_b64 exec, exec, s[12:13]
.LBB135_729:
	s_or_b64 exec, exec, s[8:9]
	s_mov_b64 s[8:9], 0
	global_store_byte v[0:1], v5, off
.LBB135_730:
	s_and_b64 vcc, exec, s[8:9]
	s_cbranch_vccz .LBB135_740
; %bb.731:
	v_cvt_f32_ubyte0_e32 v3, v2
	s_mov_b32 s8, 0x43f00000
	v_cmp_gt_u32_e32 vcc, s8, v3
                                        ; implicit-def: $vgpr4
	s_and_saveexec_b64 s[8:9], vcc
	s_xor_b64 s[8:9], exec, s[8:9]
	s_cbranch_execz .LBB135_737
; %bb.732:
	s_mov_b32 s10, 0x3c7fffff
	v_cmp_lt_u32_e32 vcc, s10, v3
                                        ; implicit-def: $vgpr4
	s_and_saveexec_b64 s[10:11], vcc
	s_xor_b64 s[10:11], exec, s[10:11]
; %bb.733:
	v_bfe_u32 v4, v3, 20, 1
	s_mov_b32 s12, 0x407ffff
	v_add3_u32 v3, v3, v4, s12
	v_lshrrev_b32_e32 v4, 20, v3
	v_and_b32_e32 v3, 0xff00000, v3
	s_mov_b32 s12, 0x7f00000
	v_mov_b32_e32 v5, 0x7e
	v_cmp_ne_u32_e32 vcc, s12, v3
	v_cndmask_b32_e32 v4, v5, v4, vcc
                                        ; implicit-def: $vgpr3
; %bb.734:
	s_andn2_saveexec_b64 s[10:11], s[10:11]
; %bb.735:
	v_add_f32_e32 v4, 0x46800000, v3
; %bb.736:
	s_or_b64 exec, exec, s[10:11]
                                        ; implicit-def: $vgpr3
.LBB135_737:
	s_andn2_saveexec_b64 s[8:9], s[8:9]
; %bb.738:
	s_mov_b32 s10, 0x7f800000
	v_mov_b32_e32 v4, 0x7e
	v_mov_b32_e32 v5, 0x7f
	v_cmp_lt_u32_e32 vcc, s10, v3
	v_cndmask_b32_e32 v4, v4, v5, vcc
; %bb.739:
	s_or_b64 exec, exec, s[8:9]
	global_store_byte v[0:1], v4, off
.LBB135_740:
	s_mov_b64 s[8:9], 0
.LBB135_741:
	s_andn2_b64 vcc, exec, s[8:9]
	s_cbranch_vccnz .LBB135_751
; %bb.742:
	v_cvt_f32_ubyte0_e32 v3, v2
	s_mov_b32 s8, 0x47800000
	v_cmp_gt_u32_e32 vcc, s8, v3
                                        ; implicit-def: $vgpr4
	s_and_saveexec_b64 s[8:9], vcc
	s_xor_b64 s[8:9], exec, s[8:9]
	s_cbranch_execz .LBB135_748
; %bb.743:
	s_mov_b32 s10, 0x387fffff
	v_cmp_lt_u32_e32 vcc, s10, v3
                                        ; implicit-def: $vgpr4
	s_and_saveexec_b64 s[10:11], vcc
	s_xor_b64 s[10:11], exec, s[10:11]
; %bb.744:
	v_bfe_u32 v4, v3, 21, 1
	s_mov_b32 s12, 0x80fffff
	v_add3_u32 v3, v3, v4, s12
	v_lshrrev_b32_e32 v4, 21, v3
                                        ; implicit-def: $vgpr3
; %bb.745:
	s_andn2_saveexec_b64 s[10:11], s[10:11]
; %bb.746:
	v_add_f32_e32 v4, 0x43000000, v3
; %bb.747:
	s_or_b64 exec, exec, s[10:11]
                                        ; implicit-def: $vgpr3
.LBB135_748:
	s_andn2_saveexec_b64 s[8:9], s[8:9]
; %bb.749:
	s_mov_b32 s10, 0x7f800000
	v_mov_b32_e32 v4, 0x7c
	v_mov_b32_e32 v5, 0x7f
	v_cmp_lt_u32_e32 vcc, s10, v3
	v_cndmask_b32_e32 v4, v4, v5, vcc
; %bb.750:
	s_or_b64 exec, exec, s[8:9]
	global_store_byte v[0:1], v4, off
.LBB135_751:
	s_mov_b64 s[10:11], 0
	s_mov_b64 s[8:9], -1
.LBB135_752:
	s_andn2_b64 vcc, exec, s[10:11]
	s_cbranch_vccnz .LBB135_760
; %bb.753:
	s_cmp_gt_i32 s15, 14
	s_mov_b64 s[10:11], -1
	s_cbranch_scc0 .LBB135_757
; %bb.754:
	s_cmp_eq_u32 s15, 15
	s_mov_b64 s[0:1], -1
	s_cbranch_scc0 .LBB135_756
; %bb.755:
	v_cvt_f32_ubyte0_e32 v3, v2
	v_bfe_u32 v4, v3, 16, 1
	s_movk_i32 s0, 0x7fff
	v_add3_u32 v3, v3, v4, s0
	global_store_short_d16_hi v[0:1], v3, off
	s_mov_b64 s[8:9], -1
	s_mov_b64 s[0:1], 0
.LBB135_756:
	s_mov_b64 s[10:11], 0
.LBB135_757:
	s_and_b64 vcc, exec, s[10:11]
	s_cbranch_vccz .LBB135_760
; %bb.758:
	s_cmp_eq_u32 s15, 11
	s_mov_b64 s[0:1], -1
	s_cbranch_scc0 .LBB135_760
; %bb.759:
	v_cmp_ne_u16_e32 vcc, 0, v2
	v_cndmask_b32_e64 v3, 0, 1, vcc
	s_mov_b64 s[8:9], -1
	s_mov_b64 s[0:1], 0
	global_store_byte v[0:1], v3, off
.LBB135_760:
	s_mov_b64 s[10:11], 0
.LBB135_761:
	s_and_b64 vcc, exec, s[10:11]
	s_cbranch_vccz .LBB135_800
; %bb.762:
	s_and_b32 s10, 0xffff, s14
	s_cmp_lt_i32 s10, 5
	s_mov_b64 s[8:9], -1
	s_cbranch_scc1 .LBB135_783
; %bb.763:
	s_cmp_lt_i32 s10, 8
	s_cbranch_scc1 .LBB135_773
; %bb.764:
	s_cmp_lt_i32 s10, 9
	s_cbranch_scc1 .LBB135_770
; %bb.765:
	s_cmp_gt_i32 s10, 9
	s_cbranch_scc0 .LBB135_767
; %bb.766:
	v_and_b32_e32 v3, 0xffff, v2
	v_cvt_f64_u32_e32 v[3:4], v3
	v_mov_b32_e32 v5, 0
	v_mov_b32_e32 v6, v5
	s_mov_b64 s[8:9], 0
	global_store_dwordx4 v[0:1], v[3:6], off
.LBB135_767:
	s_andn2_b64 vcc, exec, s[8:9]
	s_cbranch_vccnz .LBB135_769
; %bb.768:
	v_cvt_f32_ubyte0_e32 v3, v2
	v_mov_b32_e32 v4, 0
	global_store_dwordx2 v[0:1], v[3:4], off
.LBB135_769:
	s_mov_b64 s[8:9], 0
.LBB135_770:
	s_andn2_b64 vcc, exec, s[8:9]
	s_cbranch_vccnz .LBB135_772
; %bb.771:
	v_cvt_f16_u16_e32 v3, v2
	global_store_dword v[0:1], v3, off
.LBB135_772:
	s_mov_b64 s[8:9], 0
.LBB135_773:
	s_andn2_b64 vcc, exec, s[8:9]
	s_cbranch_vccnz .LBB135_782
; %bb.774:
	s_cmp_lt_i32 s10, 6
	s_mov_b64 s[8:9], -1
	s_cbranch_scc1 .LBB135_780
; %bb.775:
	s_cmp_gt_i32 s10, 6
	s_cbranch_scc0 .LBB135_777
; %bb.776:
	v_and_b32_e32 v3, 0xffff, v2
	v_cvt_f64_u32_e32 v[3:4], v3
	s_mov_b64 s[8:9], 0
	global_store_dwordx2 v[0:1], v[3:4], off
.LBB135_777:
	s_andn2_b64 vcc, exec, s[8:9]
	s_cbranch_vccnz .LBB135_779
; %bb.778:
	v_cvt_f32_ubyte0_e32 v3, v2
	global_store_dword v[0:1], v3, off
.LBB135_779:
	s_mov_b64 s[8:9], 0
.LBB135_780:
	s_andn2_b64 vcc, exec, s[8:9]
	s_cbranch_vccnz .LBB135_782
; %bb.781:
	v_cvt_f16_u16_e32 v3, v2
	global_store_short v[0:1], v3, off
.LBB135_782:
	s_mov_b64 s[8:9], 0
.LBB135_783:
	s_andn2_b64 vcc, exec, s[8:9]
	s_cbranch_vccnz .LBB135_799
; %bb.784:
	s_cmp_lt_i32 s10, 2
	s_mov_b64 s[8:9], -1
	s_cbranch_scc1 .LBB135_794
; %bb.785:
	s_cmp_lt_i32 s10, 3
	s_cbranch_scc1 .LBB135_791
; %bb.786:
	s_cmp_gt_i32 s10, 3
	s_cbranch_scc0 .LBB135_788
; %bb.787:
	s_mov_b32 s8, 0
	v_and_b32_e32 v3, 0xffff, v2
	v_mov_b32_e32 v4, s8
	s_mov_b64 s[8:9], 0
	global_store_dwordx2 v[0:1], v[3:4], off
.LBB135_788:
	s_andn2_b64 vcc, exec, s[8:9]
	s_cbranch_vccnz .LBB135_790
; %bb.789:
	v_and_b32_e32 v3, 0xffff, v2
	global_store_dword v[0:1], v3, off
.LBB135_790:
	s_mov_b64 s[8:9], 0
.LBB135_791:
	s_andn2_b64 vcc, exec, s[8:9]
	s_cbranch_vccnz .LBB135_793
; %bb.792:
	global_store_short v[0:1], v2, off
.LBB135_793:
	s_mov_b64 s[8:9], 0
.LBB135_794:
	s_andn2_b64 vcc, exec, s[8:9]
	s_cbranch_vccnz .LBB135_799
; %bb.795:
	s_cmp_gt_i32 s10, 0
	s_mov_b64 s[8:9], -1
	s_cbranch_scc0 .LBB135_797
; %bb.796:
	s_mov_b64 s[8:9], 0
	global_store_byte v[0:1], v2, off
.LBB135_797:
	s_andn2_b64 vcc, exec, s[8:9]
	s_cbranch_vccnz .LBB135_799
; %bb.798:
	global_store_byte v[0:1], v2, off
.LBB135_799:
	s_mov_b64 s[8:9], -1
.LBB135_800:
	s_andn2_b64 vcc, exec, s[8:9]
	s_cbranch_vccnz .LBB135_802
; %bb.801:
	v_add_u32_e32 v11, 0x80, v11
	s_mov_b64 s[8:9], -1
	s_branch .LBB135_804
.LBB135_802:
	s_mov_b64 s[8:9], 0
.LBB135_803:
                                        ; implicit-def: $vgpr11
.LBB135_804:
	s_andn2_b64 s[10:11], s[62:63], exec
	s_and_b64 s[0:1], s[0:1], exec
	s_or_b64 s[70:71], s[10:11], s[0:1]
	s_andn2_b64 s[0:1], s[60:61], exec
	s_and_b64 s[2:3], s[2:3], exec
	s_or_b64 s[68:69], s[0:1], s[2:3]
	s_orn2_b64 s[2:3], s[8:9], exec
.LBB135_805:
	s_or_b64 exec, exec, s[66:67]
	s_mov_b64 s[0:1], 0
	s_mov_b64 s[8:9], 0
	;; [unrolled: 1-line block ×3, first 2 shown]
                                        ; implicit-def: $sgpr14
                                        ; implicit-def: $vgpr1_vgpr2
                                        ; implicit-def: $vgpr0
                                        ; implicit-def: $vgpr3
	s_and_saveexec_b64 s[66:67], s[2:3]
	s_cbranch_execz .LBB135_900
; %bb.806:
	v_cmp_gt_i32_e32 vcc, s72, v11
	s_mov_b64 s[2:3], 0
	s_mov_b64 s[12:13], s[68:69]
                                        ; implicit-def: $sgpr14
                                        ; implicit-def: $vgpr1_vgpr2
                                        ; implicit-def: $vgpr0
                                        ; implicit-def: $vgpr3
	s_and_saveexec_b64 s[72:73], vcc
	s_cbranch_execz .LBB135_899
; %bb.807:
	s_andn2_b64 vcc, exec, s[40:41]
	s_cbranch_vccnz .LBB135_812
; %bb.808:
	s_andn2_b64 vcc, exec, s[52:53]
	s_cbranch_vccnz .LBB135_813
; %bb.809:
	s_add_i32 s79, s78, 1
	s_cmp_eq_u32 s74, 2
	s_cbranch_scc1 .LBB135_814
; %bb.810:
	s_and_b32 s78, s79, 28
	v_mov_b32_e32 v2, 0
	s_mov_b32 s80, 0
	s_mov_b64 s[52:53], s[34:35]
	v_mov_b32_e32 v0, 0
	v_mov_b32_e32 v1, v11
.LBB135_811:                            ; =>This Inner Loop Header: Depth=1
	s_load_dwordx8 s[16:23], s[52:53], 0x4
	s_load_dwordx4 s[0:3], s[52:53], 0x24
	s_load_dwordx8 s[8:15], s[50:51], 0x0
	s_add_u32 s52, s52, 48
	s_addc_u32 s53, s53, 0
	s_waitcnt vmcnt(0) lgkmcnt(0)
	v_mul_hi_u32 v3, s17, v1
	s_add_i32 s80, s80, 4
	s_add_u32 s50, s50, 32
	s_addc_u32 s51, s51, 0
	v_add_u32_e32 v3, v1, v3
	v_lshrrev_b32_e32 v3, s18, v3
	v_mul_lo_u32 v4, v3, s16
	v_mul_hi_u32 v5, s20, v3
	s_cmp_eq_u32 s78, s80
	v_sub_u32_e32 v1, v1, v4
	v_add_u32_e32 v4, v3, v5
	v_mul_lo_u32 v5, v1, s8
	v_mul_lo_u32 v6, v1, s9
	v_lshrrev_b32_e32 v1, s21, v4
	v_mul_lo_u32 v4, v1, s19
	v_mul_hi_u32 v7, s23, v1
	v_sub_u32_e32 v3, v3, v4
	v_add_u32_e32 v4, v1, v7
	v_lshrrev_b32_e32 v4, s0, v4
	v_mul_hi_u32 v8, s2, v4
	v_mul_lo_u32 v9, v4, s22
	v_mul_lo_u32 v7, v3, s10
	;; [unrolled: 1-line block ×3, first 2 shown]
	v_sub_u32_e32 v9, v1, v9
	v_add_u32_e32 v1, v4, v8
	v_lshrrev_b32_e32 v1, s3, v1
	v_mul_lo_u32 v8, v1, s1
	v_mul_lo_u32 v10, v9, s12
	;; [unrolled: 1-line block ×3, first 2 shown]
	v_add3_u32 v0, v5, v0, v7
	v_sub_u32_e32 v4, v4, v8
	v_mul_lo_u32 v8, v4, s14
	v_mul_lo_u32 v4, v4, s15
	v_add3_u32 v2, v6, v2, v3
	v_add3_u32 v0, v10, v0, v8
	v_add3_u32 v2, v9, v2, v4
	s_cbranch_scc0 .LBB135_811
	s_branch .LBB135_815
.LBB135_812:
	s_mov_b64 s[0:1], -1
                                        ; implicit-def: $vgpr0
                                        ; implicit-def: $vgpr2
	s_branch .LBB135_819
.LBB135_813:
	v_mov_b32_e32 v0, 0
	v_mov_b32_e32 v2, 0
	s_branch .LBB135_818
.LBB135_814:
	s_mov_b32 s78, 0
	v_mov_b32_e32 v0, 0
	v_mov_b32_e32 v2, 0
	;; [unrolled: 1-line block ×3, first 2 shown]
.LBB135_815:
	s_and_b32 s8, s79, 3
	s_cmp_eq_u32 s8, 0
	s_cbranch_scc1 .LBB135_818
; %bb.816:
	s_lshl_b32 s0, s78, 3
	s_add_u32 s0, s34, s0
	s_addc_u32 s1, s35, 0
	s_add_u32 s0, s0, 0xc4
	s_addc_u32 s1, s1, 0
	s_mul_i32 s2, s78, 12
	s_add_u32 s2, s34, s2
	s_addc_u32 s3, s35, 0
.LBB135_817:                            ; =>This Inner Loop Header: Depth=1
	s_load_dwordx2 s[10:11], s[2:3], 0x4
	s_load_dword s9, s[2:3], 0xc
	s_load_dwordx2 s[12:13], s[0:1], 0x0
	s_add_u32 s2, s2, 12
	s_addc_u32 s3, s3, 0
	s_waitcnt vmcnt(0) lgkmcnt(0)
	v_mul_hi_u32 v3, s11, v1
	s_add_u32 s0, s0, 8
	s_addc_u32 s1, s1, 0
	s_add_i32 s8, s8, -1
	v_add_u32_e32 v3, v1, v3
	v_lshrrev_b32_e32 v4, s9, v3
	v_mul_lo_u32 v3, v4, s10
	s_cmp_lg_u32 s8, 0
	v_sub_u32_e32 v3, v1, v3
	v_mad_u64_u32 v[0:1], s[10:11], v3, s12, v[0:1]
	v_mad_u64_u32 v[2:3], s[10:11], v3, s13, v[2:3]
	v_mov_b32_e32 v1, v4
	s_cbranch_scc1 .LBB135_817
.LBB135_818:
	s_mov_b64 s[0:1], 0
.LBB135_819:
	s_andn2_b64 vcc, exec, s[0:1]
	s_cbranch_vccnz .LBB135_822
; %bb.820:
	s_waitcnt lgkmcnt(0)
	v_mul_hi_u32 v0, s37, v11
	s_andn2_b64 vcc, exec, s[48:49]
	v_add_u32_e32 v0, v11, v0
	v_lshrrev_b32_e32 v1, s38, v0
	v_mul_lo_u32 v0, v1, s36
	v_sub_u32_e32 v2, v11, v0
	v_mul_lo_u32 v0, v2, s28
	v_mul_lo_u32 v2, v2, s29
	s_cbranch_vccnz .LBB135_822
; %bb.821:
	s_waitcnt vmcnt(0)
	v_mul_hi_u32 v3, s46, v1
	v_add_u32_e32 v3, v1, v3
	v_lshrrev_b32_e32 v3, s47, v3
	v_mul_lo_u32 v3, v3, s39
	v_sub_u32_e32 v3, v1, v3
	v_mad_u64_u32 v[0:1], s[0:1], v3, s30, v[0:1]
	v_mad_u64_u32 v[2:3], s[0:1], v3, s31, v[2:3]
.LBB135_822:
	s_waitcnt vmcnt(0) lgkmcnt(0)
	v_mov_b32_e32 v3, s27
	s_and_b32 s14, s77, 0xff
	v_add_co_u32_e32 v1, vcc, s26, v2
	s_cmp_lt_i32 s14, 11
	v_addc_co_u32_e32 v2, vcc, 0, v3, vcc
	s_cbranch_scc1 .LBB135_829
; %bb.823:
	s_and_b32 s12, 0xffff, s14
	s_cmp_gt_i32 s12, 25
	s_mov_b64 s[2:3], 0
	s_cbranch_scc0 .LBB135_830
; %bb.824:
	s_cmp_gt_i32 s12, 28
	s_cbranch_scc0 .LBB135_831
; %bb.825:
	s_cmp_gt_i32 s12, 43
	;; [unrolled: 3-line block ×3, first 2 shown]
	s_cbranch_scc0 .LBB135_835
; %bb.827:
	s_cmp_eq_u32 s12, 46
	s_mov_b64 s[10:11], 0
	s_cbranch_scc0 .LBB135_838
; %bb.828:
	global_load_dword v3, v[1:2], off
	s_mov_b32 s0, 0x2f800000
	s_mov_b32 s1, 0xcf800000
	s_mov_b64 s[8:9], -1
	s_waitcnt vmcnt(0)
	v_lshlrev_b32_e32 v3, 16, v3
	v_trunc_f32_e32 v3, v3
	v_mul_f32_e64 v4, |v3|, s0
	v_floor_f32_e32 v4, v4
	v_fma_f32 v4, v4, s1, |v3|
	v_cvt_u32_f32_e32 v4, v4
	v_ashrrev_i32_e32 v3, 31, v3
	s_mov_b64 s[0:1], 0
	v_xor_b32_e32 v4, v4, v3
	v_sub_u32_e32 v3, v4, v3
	s_branch .LBB135_839
.LBB135_829:
	s_mov_b64 s[12:13], -1
	s_mov_b64 s[8:9], 0
	s_mov_b64 s[2:3], 0
	;; [unrolled: 1-line block ×3, first 2 shown]
                                        ; implicit-def: $vgpr3
	s_branch .LBB135_898
.LBB135_830:
	s_mov_b64 s[10:11], -1
	s_mov_b64 s[8:9], 0
	s_mov_b64 s[0:1], s[68:69]
                                        ; implicit-def: $vgpr3
	s_branch .LBB135_866
.LBB135_831:
	s_mov_b64 s[10:11], -1
	s_mov_b64 s[8:9], 0
	s_mov_b64 s[0:1], s[68:69]
                                        ; implicit-def: $vgpr3
	s_branch .LBB135_849
.LBB135_832:
	s_mov_b64 s[10:11], -1
	s_mov_b64 s[8:9], 0
	s_mov_b64 s[0:1], s[68:69]
                                        ; implicit-def: $vgpr3
	s_branch .LBB135_844
.LBB135_833:
	s_andn2_saveexec_b64 s[12:13], s[12:13]
	s_cbranch_execz .LBB135_713
.LBB135_834:
	v_add_f32_e32 v3, 0x46000000, v4
	v_and_b32_e32 v3, 0xff, v3
	v_cmp_ne_u32_e32 vcc, 0, v3
	s_andn2_b64 s[10:11], s[10:11], exec
	s_and_b64 s[16:17], vcc, exec
	s_or_b64 s[10:11], s[10:11], s[16:17]
	s_or_b64 exec, exec, s[12:13]
	v_mov_b32_e32 v5, 0
	s_and_saveexec_b64 s[12:13], s[10:11]
	s_cbranch_execnz .LBB135_714
	s_branch .LBB135_715
.LBB135_835:
	s_mov_b64 s[10:11], -1
	s_mov_b64 s[8:9], 0
	s_mov_b64 s[0:1], s[68:69]
                                        ; implicit-def: $vgpr3
	s_branch .LBB135_839
.LBB135_836:
	s_andn2_saveexec_b64 s[12:13], s[12:13]
	s_cbranch_execz .LBB135_726
.LBB135_837:
	v_add_f32_e32 v3, 0x42800000, v4
	v_and_b32_e32 v3, 0xff, v3
	v_cmp_ne_u32_e32 vcc, 0, v3
	s_andn2_b64 s[10:11], s[10:11], exec
	s_and_b64 s[16:17], vcc, exec
	s_or_b64 s[10:11], s[10:11], s[16:17]
	s_or_b64 exec, exec, s[12:13]
	v_mov_b32_e32 v5, 0
	s_and_saveexec_b64 s[12:13], s[10:11]
	s_cbranch_execnz .LBB135_727
	s_branch .LBB135_728
.LBB135_838:
	s_mov_b64 s[0:1], -1
                                        ; implicit-def: $vgpr3
	s_mov_b64 s[8:9], 0
.LBB135_839:
	s_and_b64 vcc, exec, s[10:11]
	s_cbranch_vccz .LBB135_843
; %bb.840:
	s_cmp_eq_u32 s12, 44
	s_cbranch_scc0 .LBB135_842
; %bb.841:
	global_load_ubyte v3, v[1:2], off
	s_mov_b32 s0, 0x2f800000
	s_mov_b32 s1, 0xcf800000
	s_mov_b64 s[8:9], -1
	s_waitcnt vmcnt(0)
	v_lshlrev_b32_e32 v4, 23, v3
	v_trunc_f32_e32 v4, v4
	v_mul_f32_e64 v5, |v4|, s0
	v_floor_f32_e32 v5, v5
	v_fma_f32 v5, v5, s1, |v4|
	v_cvt_u32_f32_e32 v5, v5
	v_ashrrev_i32_e32 v4, 31, v4
	v_cmp_ne_u32_e32 vcc, 0, v3
	s_mov_b64 s[0:1], 0
	v_xor_b32_e32 v5, v5, v4
	v_sub_u32_e32 v4, v5, v4
	v_cndmask_b32_e32 v3, 0, v4, vcc
	s_branch .LBB135_843
.LBB135_842:
	s_mov_b64 s[0:1], -1
                                        ; implicit-def: $vgpr3
.LBB135_843:
	s_mov_b64 s[10:11], 0
.LBB135_844:
	s_and_b64 vcc, exec, s[10:11]
	s_cbranch_vccz .LBB135_848
; %bb.845:
	s_cmp_eq_u32 s12, 29
	s_cbranch_scc0 .LBB135_847
; %bb.846:
	global_load_dwordx2 v[3:4], v[1:2], off
	s_mov_b64 s[0:1], 0
	s_mov_b64 s[8:9], -1
	s_branch .LBB135_848
.LBB135_847:
	s_mov_b64 s[0:1], -1
                                        ; implicit-def: $vgpr3
.LBB135_848:
	s_mov_b64 s[10:11], 0
.LBB135_849:
	s_and_b64 vcc, exec, s[10:11]
	s_cbranch_vccz .LBB135_865
; %bb.850:
	s_cmp_lt_i32 s12, 27
	s_cbranch_scc1 .LBB135_853
; %bb.851:
	s_cmp_gt_i32 s12, 27
	s_cbranch_scc0 .LBB135_854
; %bb.852:
	global_load_dword v3, v[1:2], off
	s_mov_b64 s[8:9], 0
	s_branch .LBB135_855
.LBB135_853:
	s_mov_b64 s[8:9], -1
                                        ; implicit-def: $vgpr3
	s_branch .LBB135_858
.LBB135_854:
	s_mov_b64 s[8:9], -1
                                        ; implicit-def: $vgpr3
.LBB135_855:
	s_andn2_b64 vcc, exec, s[8:9]
	s_cbranch_vccnz .LBB135_857
; %bb.856:
	global_load_ushort v3, v[1:2], off
.LBB135_857:
	s_mov_b64 s[8:9], 0
.LBB135_858:
	s_andn2_b64 vcc, exec, s[8:9]
	s_cbranch_vccnz .LBB135_864
; %bb.859:
	global_load_ubyte v4, v[1:2], off
	s_movk_i32 s8, 0x7f
	s_mov_b64 s[10:11], 0
	s_waitcnt vmcnt(0)
	v_cmp_lt_i16_e32 vcc, s8, v4
	s_and_saveexec_b64 s[8:9], vcc
	s_xor_b64 s[8:9], exec, s[8:9]
	s_cbranch_execz .LBB135_876
; %bb.860:
	s_movk_i32 s10, 0x80
	v_cmp_ne_u16_e32 vcc, s10, v4
	s_and_b64 s[10:11], vcc, exec
	s_andn2_saveexec_b64 s[8:9], s[8:9]
	s_cbranch_execnz .LBB135_877
.LBB135_861:
	s_or_b64 exec, exec, s[8:9]
	v_mov_b32_e32 v3, 0
	s_and_saveexec_b64 s[8:9], s[10:11]
	s_cbranch_execz .LBB135_863
.LBB135_862:
	v_lshlrev_b32_e32 v3, 24, v4
	v_and_b32_e32 v4, 0xffff, v4
	v_and_b32_e32 v5, 7, v4
	v_ffbh_u32_e32 v7, v5
	v_min_u32_e32 v7, 32, v7
	v_subrev_u32_e32 v8, 28, v7
	v_bfe_u32 v6, v4, 3, 4
	v_lshlrev_b32_e32 v4, v8, v4
	v_sub_u32_e32 v7, 29, v7
	v_and_b32_e32 v4, 7, v4
	v_cmp_eq_u32_e32 vcc, 0, v6
	v_cndmask_b32_e32 v6, v6, v7, vcc
	v_cndmask_b32_e32 v4, v5, v4, vcc
	v_mov_b32_e32 v5, 0x3b800000
	v_lshlrev_b32_e32 v4, 20, v4
	v_and_b32_e32 v3, 0x80000000, v3
	v_lshl_add_u32 v5, v6, 23, v5
	v_or3_b32 v3, v3, v5, v4
	v_trunc_f32_e32 v3, v3
	s_mov_b32 s10, 0x2f800000
	v_mul_f32_e64 v4, |v3|, s10
	v_floor_f32_e32 v4, v4
	s_mov_b32 s10, 0xcf800000
	v_fma_f32 v4, v4, s10, |v3|
	v_cvt_u32_f32_e32 v4, v4
	v_ashrrev_i32_e32 v3, 31, v3
	v_xor_b32_e32 v4, v4, v3
	v_sub_u32_e32 v3, v4, v3
.LBB135_863:
	s_or_b64 exec, exec, s[8:9]
.LBB135_864:
	s_mov_b64 s[8:9], -1
.LBB135_865:
	s_mov_b64 s[10:11], 0
.LBB135_866:
	s_and_b64 vcc, exec, s[10:11]
	s_cbranch_vccz .LBB135_897
; %bb.867:
	s_cmp_gt_i32 s12, 22
	s_cbranch_scc0 .LBB135_875
; %bb.868:
	s_cmp_lt_i32 s12, 24
	s_cbranch_scc1 .LBB135_878
; %bb.869:
	s_cmp_gt_i32 s12, 24
	s_cbranch_scc0 .LBB135_879
; %bb.870:
	global_load_ubyte v4, v[1:2], off
	s_movk_i32 s2, 0x7f
	s_mov_b64 s[8:9], 0
	s_waitcnt vmcnt(0)
	v_cmp_lt_i16_e32 vcc, s2, v4
	s_and_saveexec_b64 s[2:3], vcc
	s_xor_b64 s[2:3], exec, s[2:3]
	s_cbranch_execz .LBB135_891
; %bb.871:
	s_movk_i32 s8, 0x80
	v_cmp_ne_u16_e32 vcc, s8, v4
	s_and_b64 s[8:9], vcc, exec
	s_andn2_saveexec_b64 s[2:3], s[2:3]
	s_cbranch_execnz .LBB135_892
.LBB135_872:
	s_or_b64 exec, exec, s[2:3]
	v_mov_b32_e32 v3, 0
	s_and_saveexec_b64 s[2:3], s[8:9]
	s_cbranch_execz .LBB135_874
.LBB135_873:
	v_lshlrev_b32_e32 v3, 24, v4
	v_and_b32_e32 v4, 0xffff, v4
	v_and_b32_e32 v5, 3, v4
	v_ffbh_u32_e32 v7, v5
	v_min_u32_e32 v7, 32, v7
	v_subrev_u32_e32 v8, 29, v7
	v_bfe_u32 v6, v4, 2, 5
	v_lshlrev_b32_e32 v4, v8, v4
	v_sub_u32_e32 v7, 30, v7
	v_and_b32_e32 v4, 3, v4
	v_cmp_eq_u32_e32 vcc, 0, v6
	v_cndmask_b32_e32 v6, v6, v7, vcc
	v_cndmask_b32_e32 v4, v5, v4, vcc
	v_mov_b32_e32 v5, 0x37800000
	v_lshlrev_b32_e32 v4, 21, v4
	v_and_b32_e32 v3, 0x80000000, v3
	v_lshl_add_u32 v5, v6, 23, v5
	v_or3_b32 v3, v3, v5, v4
	v_trunc_f32_e32 v3, v3
	s_mov_b32 s8, 0x2f800000
	v_mul_f32_e64 v4, |v3|, s8
	v_floor_f32_e32 v4, v4
	s_mov_b32 s8, 0xcf800000
	v_fma_f32 v4, v4, s8, |v3|
	v_cvt_u32_f32_e32 v4, v4
	v_ashrrev_i32_e32 v3, 31, v3
	v_xor_b32_e32 v4, v4, v3
	v_sub_u32_e32 v3, v4, v3
.LBB135_874:
	s_or_b64 exec, exec, s[2:3]
	s_mov_b64 s[2:3], 0
	s_branch .LBB135_880
.LBB135_875:
	s_mov_b64 s[2:3], -1
                                        ; implicit-def: $vgpr3
	s_branch .LBB135_886
.LBB135_876:
	s_andn2_saveexec_b64 s[8:9], s[8:9]
	s_cbranch_execz .LBB135_861
.LBB135_877:
	v_cmp_ne_u16_e32 vcc, 0, v4
	s_andn2_b64 s[10:11], s[10:11], exec
	s_and_b64 s[16:17], vcc, exec
	s_or_b64 s[10:11], s[10:11], s[16:17]
	s_or_b64 exec, exec, s[8:9]
	v_mov_b32_e32 v3, 0
	s_and_saveexec_b64 s[8:9], s[10:11]
	s_cbranch_execnz .LBB135_862
	s_branch .LBB135_863
.LBB135_878:
	s_mov_b64 s[2:3], -1
                                        ; implicit-def: $vgpr3
	s_branch .LBB135_883
.LBB135_879:
	s_mov_b64 s[2:3], -1
                                        ; implicit-def: $vgpr3
.LBB135_880:
	s_and_b64 vcc, exec, s[2:3]
	s_cbranch_vccz .LBB135_882
; %bb.881:
	global_load_ubyte v3, v[1:2], off
	s_mov_b32 s2, 0x7f800000
	s_brev_b32 s3, 1
	s_mov_b32 s8, 0x2f800000
	s_waitcnt vmcnt(0)
	v_lshlrev_b32_e32 v3, 24, v3
	v_and_b32_e32 v4, 0x7f000000, v3
	v_ffbh_u32_e32 v5, v4
	v_min_u32_e32 v5, 32, v5
	v_sub_u32_e64 v5, v5, 4 clamp
	v_lshlrev_b32_e32 v7, v5, v4
	v_lshlrev_b32_e32 v5, 23, v5
	v_lshrrev_b32_e32 v7, 4, v7
	v_add_u32_e32 v6, 0x1000000, v4
	v_sub_u32_e32 v5, v7, v5
	v_ashrrev_i32_e32 v6, 8, v6
	v_add_u32_e32 v5, 0x3c000000, v5
	v_and_or_b32 v5, v6, s2, v5
	v_cmp_ne_u32_e32 vcc, 0, v4
	v_cndmask_b32_e32 v4, 0, v5, vcc
	v_and_or_b32 v3, v3, s3, v4
	v_trunc_f32_e32 v3, v3
	v_mul_f32_e64 v4, |v3|, s8
	v_floor_f32_e32 v4, v4
	s_mov_b32 s2, 0xcf800000
	v_fma_f32 v4, v4, s2, |v3|
	v_cvt_u32_f32_e32 v4, v4
	v_ashrrev_i32_e32 v3, 31, v3
	v_xor_b32_e32 v4, v4, v3
	v_sub_u32_e32 v3, v4, v3
.LBB135_882:
	s_mov_b64 s[2:3], 0
.LBB135_883:
	s_andn2_b64 vcc, exec, s[2:3]
	s_cbranch_vccnz .LBB135_885
; %bb.884:
	global_load_ubyte v3, v[1:2], off
	s_movk_i32 s2, 0x7f00
	s_brev_b32 s3, 16
	s_brev_b32 s8, 1
	s_mov_b32 s9, 0x2f800000
	s_waitcnt vmcnt(0)
	v_lshlrev_b16_e32 v4, 8, v3
	v_lshlrev_b32_e32 v3, 25, v3
	v_lshrrev_b32_e32 v5, 4, v3
	v_and_or_b32 v6, v4, s2, 0.5
	v_or_b32_e32 v5, 0x70000000, v5
	v_add_f32_e32 v6, -0.5, v6
	v_mul_f32_e32 v5, 0x7800000, v5
	v_cmp_gt_u32_e32 vcc, s3, v3
	v_bfe_i32 v4, v4, 0, 16
	v_cndmask_b32_e32 v3, v5, v6, vcc
	v_and_or_b32 v3, v4, s8, v3
	v_trunc_f32_e32 v3, v3
	v_mul_f32_e64 v4, |v3|, s9
	v_floor_f32_e32 v4, v4
	s_mov_b32 s2, 0xcf800000
	v_fma_f32 v4, v4, s2, |v3|
	v_cvt_u32_f32_e32 v4, v4
	v_ashrrev_i32_e32 v3, 31, v3
	v_xor_b32_e32 v4, v4, v3
	v_sub_u32_e32 v3, v4, v3
.LBB135_885:
	s_mov_b64 s[2:3], 0
	s_mov_b64 s[8:9], -1
.LBB135_886:
	s_andn2_b64 vcc, exec, s[2:3]
	s_mov_b64 s[2:3], 0
	s_cbranch_vccnz .LBB135_897
; %bb.887:
	s_cmp_gt_i32 s12, 14
	s_cbranch_scc0 .LBB135_890
; %bb.888:
	s_cmp_eq_u32 s12, 15
	s_cbranch_scc0 .LBB135_893
; %bb.889:
	global_load_ushort v3, v[1:2], off
	s_mov_b32 s0, 0x2f800000
	s_mov_b32 s1, 0xcf800000
	s_mov_b64 s[8:9], -1
	s_waitcnt vmcnt(0)
	v_lshlrev_b32_e32 v3, 16, v3
	v_trunc_f32_e32 v3, v3
	v_mul_f32_e64 v4, |v3|, s0
	v_floor_f32_e32 v4, v4
	v_fma_f32 v4, v4, s1, |v3|
	v_cvt_u32_f32_e32 v4, v4
	v_ashrrev_i32_e32 v3, 31, v3
	s_mov_b64 s[0:1], 0
	v_xor_b32_e32 v4, v4, v3
	v_sub_u32_e32 v3, v4, v3
	s_branch .LBB135_894
.LBB135_890:
	s_mov_b64 s[10:11], -1
                                        ; implicit-def: $vgpr3
	s_branch .LBB135_895
.LBB135_891:
	s_andn2_saveexec_b64 s[2:3], s[2:3]
	s_cbranch_execz .LBB135_872
.LBB135_892:
	v_cmp_ne_u16_e32 vcc, 0, v4
	s_andn2_b64 s[8:9], s[8:9], exec
	s_and_b64 s[10:11], vcc, exec
	s_or_b64 s[8:9], s[8:9], s[10:11]
	s_or_b64 exec, exec, s[2:3]
	v_mov_b32_e32 v3, 0
	s_and_saveexec_b64 s[2:3], s[8:9]
	s_cbranch_execnz .LBB135_873
	s_branch .LBB135_874
.LBB135_893:
	s_mov_b64 s[0:1], -1
                                        ; implicit-def: $vgpr3
.LBB135_894:
	s_mov_b64 s[10:11], 0
.LBB135_895:
	s_and_b64 vcc, exec, s[10:11]
	s_cbranch_vccz .LBB135_897
; %bb.896:
	s_cmp_lg_u32 s12, 11
	s_cselect_b64 s[10:11], -1, 0
	s_andn2_b64 s[0:1], s[0:1], exec
	s_and_b64 s[10:11], s[10:11], exec
	s_mov_b64 s[2:3], -1
	s_or_b64 s[0:1], s[0:1], s[10:11]
.LBB135_897:
	s_mov_b64 s[12:13], 0
.LBB135_898:
	s_and_b64 s[10:11], s[8:9], exec
	s_and_b64 s[8:9], s[12:13], exec
	s_andn2_b64 s[12:13], s[68:69], exec
	s_and_b64 s[0:1], s[0:1], exec
	s_and_b64 s[2:3], s[2:3], exec
	s_or_b64 s[12:13], s[12:13], s[0:1]
.LBB135_899:
	s_or_b64 exec, exec, s[72:73]
	s_and_b64 s[0:1], s[2:3], exec
	s_andn2_b64 s[2:3], s[68:69], exec
	s_and_b64 s[12:13], s[12:13], exec
	s_and_b64 s[10:11], s[10:11], exec
	;; [unrolled: 1-line block ×3, first 2 shown]
	s_or_b64 s[68:69], s[2:3], s[12:13]
.LBB135_900:
	s_or_b64 exec, exec, s[66:67]
	s_andn2_b64 s[2:3], s[62:63], exec
	s_and_b64 s[12:13], s[70:71], exec
	s_or_b64 s[62:63], s[2:3], s[12:13]
	s_and_b64 s[2:3], s[0:1], exec
	s_andn2_b64 s[0:1], s[60:61], exec
	s_and_b64 s[12:13], s[68:69], exec
	s_and_b64 s[10:11], s[10:11], exec
	;; [unrolled: 1-line block ×3, first 2 shown]
	s_or_b64 s[60:61], s[0:1], s[12:13]
.LBB135_901:
	s_or_b64 exec, exec, s[64:65]
	s_andn2_b64 s[0:1], s[54:55], exec
	s_and_b64 s[12:13], s[62:63], exec
	s_or_b64 s[54:55], s[0:1], s[12:13]
	s_and_b64 s[0:1], s[10:11], exec
	s_and_b64 s[10:11], s[8:9], exec
	;; [unrolled: 1-line block ×3, first 2 shown]
	s_andn2_b64 s[2:3], s[56:57], exec
	s_and_b64 s[8:9], s[60:61], exec
	s_or_b64 s[56:57], s[2:3], s[8:9]
	s_or_b64 exec, exec, s[58:59]
	s_mov_b64 s[2:3], 0
	s_and_saveexec_b64 s[8:9], s[56:57]
	s_cbranch_execz .LBB135_270
.LBB135_902:
	s_mov_b64 s[2:3], exec
	s_andn2_b64 s[62:63], s[62:63], exec
	s_trap 2
	s_or_b64 exec, exec, s[8:9]
	s_and_saveexec_b64 s[8:9], s[62:63]
	s_xor_b64 s[8:9], exec, s[8:9]
	s_cbranch_execnz .LBB135_271
.LBB135_903:
	s_or_b64 exec, exec, s[8:9]
	s_and_saveexec_b64 s[8:9], s[10:11]
	s_cbranch_execz .LBB135_949
.LBB135_904:
	s_sext_i32_i16 s10, s14
	s_cmp_lt_i32 s10, 5
	s_cbranch_scc1 .LBB135_909
; %bb.905:
	s_cmp_lt_i32 s10, 8
	s_cbranch_scc1 .LBB135_910
; %bb.906:
	;; [unrolled: 3-line block ×3, first 2 shown]
	s_cmp_gt_i32 s10, 9
	s_cbranch_scc0 .LBB135_912
; %bb.908:
	global_load_dwordx2 v[3:4], v[1:2], off
	s_movk_i32 s10, 0xffe0
	s_waitcnt vmcnt(0)
	v_trunc_f64_e32 v[3:4], v[3:4]
	v_ldexp_f64 v[5:6], v[3:4], s10
	s_mov_b32 s10, 0
	s_mov_b32 s11, 0xc1f00000
	v_floor_f64_e32 v[5:6], v[5:6]
	v_fma_f64 v[3:4], v[5:6], s[10:11], v[3:4]
	s_mov_b64 s[10:11], 0
	v_cvt_u32_f64_e32 v3, v[3:4]
	s_branch .LBB135_913
.LBB135_909:
                                        ; implicit-def: $vgpr3
	s_branch .LBB135_930
.LBB135_910:
                                        ; implicit-def: $vgpr3
	s_branch .LBB135_919
.LBB135_911:
	s_mov_b64 s[10:11], -1
                                        ; implicit-def: $vgpr3
	s_branch .LBB135_916
.LBB135_912:
	s_mov_b64 s[10:11], -1
                                        ; implicit-def: $vgpr3
.LBB135_913:
	s_andn2_b64 vcc, exec, s[10:11]
	s_cbranch_vccnz .LBB135_915
; %bb.914:
	global_load_dword v3, v[1:2], off
	s_mov_b32 s10, 0x2f800000
	s_waitcnt vmcnt(0)
	v_trunc_f32_e32 v3, v3
	v_mul_f32_e64 v4, |v3|, s10
	v_floor_f32_e32 v4, v4
	s_mov_b32 s10, 0xcf800000
	v_fma_f32 v4, v4, s10, |v3|
	v_cvt_u32_f32_e32 v4, v4
	v_ashrrev_i32_e32 v3, 31, v3
	v_xor_b32_e32 v4, v4, v3
	v_sub_u32_e32 v3, v4, v3
.LBB135_915:
	s_mov_b64 s[10:11], 0
.LBB135_916:
	s_andn2_b64 vcc, exec, s[10:11]
	s_cbranch_vccnz .LBB135_918
; %bb.917:
	global_load_dword v3, v[1:2], off
	s_waitcnt vmcnt(0)
	v_cvt_f32_f16_e32 v3, v3
	v_cvt_i32_f32_e32 v3, v3
.LBB135_918:
	s_cbranch_execnz .LBB135_929
.LBB135_919:
	s_sext_i32_i16 s10, s14
	s_cmp_lt_i32 s10, 6
	s_cbranch_scc1 .LBB135_922
; %bb.920:
	s_cmp_gt_i32 s10, 6
	s_cbranch_scc0 .LBB135_923
; %bb.921:
	global_load_dwordx2 v[3:4], v[1:2], off
	s_movk_i32 s10, 0xffe0
	s_waitcnt vmcnt(0)
	v_trunc_f64_e32 v[3:4], v[3:4]
	v_ldexp_f64 v[5:6], v[3:4], s10
	s_mov_b32 s10, 0
	s_mov_b32 s11, 0xc1f00000
	v_floor_f64_e32 v[5:6], v[5:6]
	v_fma_f64 v[3:4], v[5:6], s[10:11], v[3:4]
	s_mov_b64 s[10:11], 0
	v_cvt_u32_f64_e32 v3, v[3:4]
	s_branch .LBB135_924
.LBB135_922:
	s_mov_b64 s[10:11], -1
                                        ; implicit-def: $vgpr3
	s_branch .LBB135_927
.LBB135_923:
	s_mov_b64 s[10:11], -1
                                        ; implicit-def: $vgpr3
.LBB135_924:
	s_andn2_b64 vcc, exec, s[10:11]
	s_cbranch_vccnz .LBB135_926
; %bb.925:
	global_load_dword v3, v[1:2], off
	s_mov_b32 s10, 0x2f800000
	s_waitcnt vmcnt(0)
	v_trunc_f32_e32 v3, v3
	v_mul_f32_e64 v4, |v3|, s10
	v_floor_f32_e32 v4, v4
	s_mov_b32 s10, 0xcf800000
	v_fma_f32 v4, v4, s10, |v3|
	v_cvt_u32_f32_e32 v4, v4
	v_ashrrev_i32_e32 v3, 31, v3
	v_xor_b32_e32 v4, v4, v3
	v_sub_u32_e32 v3, v4, v3
.LBB135_926:
	s_mov_b64 s[10:11], 0
.LBB135_927:
	s_andn2_b64 vcc, exec, s[10:11]
	s_cbranch_vccnz .LBB135_929
; %bb.928:
	global_load_ushort v3, v[1:2], off
	s_waitcnt vmcnt(0)
	v_cvt_f32_f16_e32 v3, v3
	v_cvt_i32_f32_e32 v3, v3
.LBB135_929:
	s_cbranch_execnz .LBB135_948
.LBB135_930:
	s_sext_i32_i16 s10, s14
	s_cmp_lt_i32 s10, 2
	s_cbranch_scc1 .LBB135_934
; %bb.931:
	s_cmp_lt_i32 s10, 3
	s_cbranch_scc1 .LBB135_935
; %bb.932:
	s_cmp_gt_i32 s10, 3
	s_cbranch_scc0 .LBB135_936
; %bb.933:
	global_load_dwordx2 v[3:4], v[1:2], off
	s_mov_b64 s[10:11], 0
	s_branch .LBB135_937
.LBB135_934:
                                        ; implicit-def: $vgpr3
	s_branch .LBB135_943
.LBB135_935:
	s_mov_b64 s[10:11], -1
                                        ; implicit-def: $vgpr3
	s_branch .LBB135_940
.LBB135_936:
	s_mov_b64 s[10:11], -1
                                        ; implicit-def: $vgpr3
.LBB135_937:
	s_andn2_b64 vcc, exec, s[10:11]
	s_cbranch_vccnz .LBB135_939
; %bb.938:
	global_load_dword v3, v[1:2], off
.LBB135_939:
	s_mov_b64 s[10:11], 0
.LBB135_940:
	s_andn2_b64 vcc, exec, s[10:11]
	s_cbranch_vccnz .LBB135_942
; %bb.941:
	global_load_ushort v3, v[1:2], off
.LBB135_942:
	s_cbranch_execnz .LBB135_948
.LBB135_943:
	s_sext_i32_i16 s10, s14
	s_cmp_gt_i32 s10, 0
	s_cbranch_scc0 .LBB135_945
; %bb.944:
	global_load_ubyte v3, v[1:2], off
	s_mov_b64 s[10:11], 0
	s_branch .LBB135_946
.LBB135_945:
	s_mov_b64 s[10:11], -1
                                        ; implicit-def: $vgpr3
.LBB135_946:
	s_andn2_b64 vcc, exec, s[10:11]
	s_cbranch_vccnz .LBB135_948
; %bb.947:
	global_load_ubyte v3, v[1:2], off
.LBB135_948:
	s_or_b64 s[0:1], s[0:1], exec
.LBB135_949:
	s_or_b64 exec, exec, s[8:9]
	s_mov_b64 s[12:13], 0
	s_mov_b64 s[10:11], 0
                                        ; implicit-def: $sgpr18
                                        ; implicit-def: $vgpr1_vgpr2
                                        ; implicit-def: $vgpr4
	s_and_saveexec_b64 s[8:9], s[0:1]
	s_cbranch_execz .LBB135_1024
; %bb.950:
	s_waitcnt vmcnt(0)
	v_lshrrev_b16_sdwa v1, s76, v3 dst_sel:DWORD dst_unused:UNUSED_PAD src0_sel:DWORD src1_sel:BYTE_0
	v_cndmask_b32_e64 v4, v1, 0, s[44:45]
	s_waitcnt lgkmcnt(0)
	v_mov_b32_e32 v2, s25
	s_and_b32 s18, s75, 0xff
	v_add_co_u32_e32 v1, vcc, s24, v0
	s_cmp_lt_i32 s18, 11
	v_addc_co_u32_e32 v2, vcc, 0, v2, vcc
	s_cbranch_scc1 .LBB135_1027
; %bb.951:
	s_and_b32 s19, 0xffff, s18
	s_mov_b64 s[12:13], -1
	s_cmp_gt_i32 s19, 25
	s_mov_b64 s[0:1], s[54:55]
	s_cbranch_scc0 .LBB135_984
; %bb.952:
	s_mov_b64 s[10:11], -1
	s_cmp_gt_i32 s19, 28
	s_mov_b64 s[0:1], s[54:55]
	s_cbranch_scc0 .LBB135_968
; %bb.953:
	s_cmp_gt_i32 s19, 43
	s_mov_b64 s[0:1], s[54:55]
	s_cbranch_scc0 .LBB135_964
; %bb.954:
	s_cmp_gt_i32 s19, 45
	s_mov_b64 s[0:1], s[54:55]
	s_cbranch_scc0 .LBB135_958
; %bb.955:
	s_cmp_eq_u32 s19, 46
	s_mov_b64 s[0:1], -1
	s_cbranch_scc0 .LBB135_957
; %bb.956:
	v_cvt_f32_ubyte0_e32 v0, v4
	v_bfe_u32 v3, v0, 16, 1
	s_movk_i32 s0, 0x7fff
	v_add3_u32 v0, v0, v3, s0
	v_lshrrev_b32_e32 v0, 16, v0
	global_store_dword v[1:2], v0, off
	s_mov_b64 s[0:1], 0
.LBB135_957:
	s_mov_b64 s[10:11], 0
.LBB135_958:
	s_and_b64 vcc, exec, s[10:11]
	s_cbranch_vccz .LBB135_963
; %bb.959:
	s_cmp_eq_u32 s19, 44
	s_mov_b64 s[0:1], -1
	s_cbranch_scc0 .LBB135_963
; %bb.960:
	v_cvt_f32_ubyte0_e32 v3, v4
	v_lshrrev_b32_e32 v0, 23, v3
	s_movk_i32 s0, 0xff
	v_cmp_ne_u32_e32 vcc, s0, v0
	v_mov_b32_e32 v5, 0xff
	s_and_saveexec_b64 s[10:11], vcc
; %bb.961:
	s_mov_b32 s0, 0x3fffff
	v_and_b32_e32 v5, 0x400000, v3
	v_and_or_b32 v3, v3, s0, v0
	v_cmp_ne_u32_e32 vcc, 0, v5
	v_cmp_ne_u32_e64 s[0:1], 0, v3
	s_and_b64 s[0:1], vcc, s[0:1]
	v_cndmask_b32_e64 v3, 0, 1, s[0:1]
	v_add_u32_e32 v5, v0, v3
; %bb.962:
	s_or_b64 exec, exec, s[10:11]
	s_mov_b64 s[0:1], 0
	global_store_byte v[1:2], v5, off
.LBB135_963:
	s_mov_b64 s[10:11], 0
.LBB135_964:
	s_and_b64 vcc, exec, s[10:11]
	s_cbranch_vccz .LBB135_967
; %bb.965:
	s_cmp_eq_u32 s19, 29
	s_mov_b64 s[0:1], -1
	s_cbranch_scc0 .LBB135_967
; %bb.966:
	s_mov_b32 s0, 0
	v_and_b32_e32 v5, 0xffff, v4
	v_mov_b32_e32 v6, s0
	global_store_dwordx2 v[1:2], v[5:6], off
	s_mov_b64 s[0:1], 0
.LBB135_967:
	s_mov_b64 s[10:11], 0
.LBB135_968:
	s_and_b64 vcc, exec, s[10:11]
	s_cbranch_vccz .LBB135_983
; %bb.969:
	s_cmp_lt_i32 s19, 27
	s_mov_b64 s[10:11], -1
	s_cbranch_scc1 .LBB135_975
; %bb.970:
	s_cmp_gt_i32 s19, 27
	s_cbranch_scc0 .LBB135_972
; %bb.971:
	v_and_b32_e32 v0, 0xffff, v4
	s_mov_b64 s[10:11], 0
	global_store_dword v[1:2], v0, off
.LBB135_972:
	s_andn2_b64 vcc, exec, s[10:11]
	s_cbranch_vccnz .LBB135_974
; %bb.973:
	global_store_short v[1:2], v4, off
.LBB135_974:
	s_mov_b64 s[10:11], 0
.LBB135_975:
	s_andn2_b64 vcc, exec, s[10:11]
	s_cbranch_vccnz .LBB135_983
; %bb.976:
	v_cvt_f32_ubyte0_e32 v3, v4
	s_mov_b32 s10, 0x43800000
	v_cmp_gt_u32_e32 vcc, s10, v3
	v_mov_b32_e32 v5, 0x80
	s_and_saveexec_b64 s[10:11], vcc
	s_cbranch_execz .LBB135_982
; %bb.977:
	s_mov_b32 s12, 0x3bffffff
	v_cmp_lt_u32_e32 vcc, s12, v3
	s_mov_b64 s[12:13], 0
                                        ; implicit-def: $vgpr0
	s_and_saveexec_b64 s[14:15], vcc
	s_xor_b64 s[14:15], exec, s[14:15]
	s_cbranch_execz .LBB135_1140
; %bb.978:
	v_bfe_u32 v0, v3, 20, 1
	s_mov_b32 s16, 0x487ffff
	v_add3_u32 v0, v3, v0, s16
	s_mov_b64 s[12:13], exec
	v_lshrrev_b32_e32 v0, 20, v0
                                        ; implicit-def: $vgpr3
	s_andn2_saveexec_b64 s[14:15], s[14:15]
	s_cbranch_execnz .LBB135_1141
.LBB135_979:
	s_or_b64 exec, exec, s[14:15]
	v_mov_b32_e32 v5, 0
	s_and_saveexec_b64 s[14:15], s[12:13]
.LBB135_980:
	v_mov_b32_e32 v5, v0
.LBB135_981:
	s_or_b64 exec, exec, s[14:15]
.LBB135_982:
	s_or_b64 exec, exec, s[10:11]
	global_store_byte v[1:2], v5, off
.LBB135_983:
	s_mov_b64 s[12:13], 0
.LBB135_984:
	s_mov_b64 s[10:11], 0
	s_and_b64 vcc, exec, s[12:13]
	s_cbranch_vccz .LBB135_1028
; %bb.985:
	s_cmp_gt_i32 s19, 22
	s_mov_b64 s[12:13], -1
	s_cbranch_scc0 .LBB135_1017
; %bb.986:
	s_cmp_lt_i32 s19, 24
	s_cbranch_scc1 .LBB135_1006
; %bb.987:
	s_cmp_gt_i32 s19, 24
	s_cbranch_scc0 .LBB135_995
; %bb.988:
	v_cvt_f32_ubyte0_e32 v3, v4
	s_mov_b32 s12, 0x47800000
	v_cmp_gt_u32_e32 vcc, s12, v3
	v_mov_b32_e32 v5, 0x80
	s_and_saveexec_b64 s[12:13], vcc
	s_cbranch_execz .LBB135_994
; %bb.989:
	s_mov_b32 s14, 0x37ffffff
	v_cmp_lt_u32_e32 vcc, s14, v3
	s_mov_b64 s[14:15], 0
                                        ; implicit-def: $vgpr0
	s_and_saveexec_b64 s[16:17], vcc
	s_xor_b64 s[16:17], exec, s[16:17]
	s_cbranch_execz .LBB135_1260
; %bb.990:
	v_bfe_u32 v0, v3, 21, 1
	s_mov_b32 s20, 0x88fffff
	v_add3_u32 v0, v3, v0, s20
	s_mov_b64 s[14:15], exec
	v_lshrrev_b32_e32 v0, 21, v0
                                        ; implicit-def: $vgpr3
	s_andn2_saveexec_b64 s[16:17], s[16:17]
	s_cbranch_execnz .LBB135_1261
.LBB135_991:
	s_or_b64 exec, exec, s[16:17]
	v_mov_b32_e32 v5, 0
	s_and_saveexec_b64 s[16:17], s[14:15]
.LBB135_992:
	v_mov_b32_e32 v5, v0
.LBB135_993:
	s_or_b64 exec, exec, s[16:17]
.LBB135_994:
	s_or_b64 exec, exec, s[12:13]
	s_mov_b64 s[12:13], 0
	global_store_byte v[1:2], v5, off
.LBB135_995:
	s_and_b64 vcc, exec, s[12:13]
	s_cbranch_vccz .LBB135_1005
; %bb.996:
	v_cvt_f32_ubyte0_e32 v0, v4
	s_mov_b32 s12, 0x43f00000
	v_cmp_gt_u32_e32 vcc, s12, v0
                                        ; implicit-def: $vgpr3
	s_and_saveexec_b64 s[12:13], vcc
	s_xor_b64 s[12:13], exec, s[12:13]
	s_cbranch_execz .LBB135_1002
; %bb.997:
	s_mov_b32 s14, 0x3c7fffff
	v_cmp_lt_u32_e32 vcc, s14, v0
                                        ; implicit-def: $vgpr3
	s_and_saveexec_b64 s[14:15], vcc
	s_xor_b64 s[14:15], exec, s[14:15]
; %bb.998:
	v_bfe_u32 v3, v0, 20, 1
	s_mov_b32 s16, 0x407ffff
	v_add3_u32 v0, v0, v3, s16
	v_lshrrev_b32_e32 v3, 20, v0
	v_and_b32_e32 v0, 0xff00000, v0
	s_mov_b32 s16, 0x7f00000
	v_mov_b32_e32 v5, 0x7e
	v_cmp_ne_u32_e32 vcc, s16, v0
	v_cndmask_b32_e32 v3, v5, v3, vcc
                                        ; implicit-def: $vgpr0
; %bb.999:
	s_andn2_saveexec_b64 s[14:15], s[14:15]
; %bb.1000:
	v_add_f32_e32 v3, 0x46800000, v0
; %bb.1001:
	s_or_b64 exec, exec, s[14:15]
                                        ; implicit-def: $vgpr0
.LBB135_1002:
	s_andn2_saveexec_b64 s[12:13], s[12:13]
; %bb.1003:
	s_mov_b32 s14, 0x7f800000
	v_mov_b32_e32 v3, 0x7e
	v_mov_b32_e32 v5, 0x7f
	v_cmp_lt_u32_e32 vcc, s14, v0
	v_cndmask_b32_e32 v3, v3, v5, vcc
; %bb.1004:
	s_or_b64 exec, exec, s[12:13]
	global_store_byte v[1:2], v3, off
.LBB135_1005:
	s_mov_b64 s[12:13], 0
.LBB135_1006:
	s_andn2_b64 vcc, exec, s[12:13]
	s_cbranch_vccnz .LBB135_1016
; %bb.1007:
	v_cvt_f32_ubyte0_e32 v0, v4
	s_mov_b32 s12, 0x47800000
	v_cmp_gt_u32_e32 vcc, s12, v0
                                        ; implicit-def: $vgpr3
	s_and_saveexec_b64 s[12:13], vcc
	s_xor_b64 s[12:13], exec, s[12:13]
	s_cbranch_execz .LBB135_1013
; %bb.1008:
	s_mov_b32 s14, 0x387fffff
	v_cmp_lt_u32_e32 vcc, s14, v0
                                        ; implicit-def: $vgpr3
	s_and_saveexec_b64 s[14:15], vcc
	s_xor_b64 s[14:15], exec, s[14:15]
; %bb.1009:
	v_bfe_u32 v3, v0, 21, 1
	s_mov_b32 s16, 0x80fffff
	v_add3_u32 v0, v0, v3, s16
	v_lshrrev_b32_e32 v3, 21, v0
                                        ; implicit-def: $vgpr0
; %bb.1010:
	s_andn2_saveexec_b64 s[14:15], s[14:15]
; %bb.1011:
	v_add_f32_e32 v3, 0x43000000, v0
; %bb.1012:
	s_or_b64 exec, exec, s[14:15]
                                        ; implicit-def: $vgpr0
.LBB135_1013:
	s_andn2_saveexec_b64 s[12:13], s[12:13]
; %bb.1014:
	s_mov_b32 s14, 0x7f800000
	v_mov_b32_e32 v3, 0x7c
	v_mov_b32_e32 v5, 0x7f
	v_cmp_lt_u32_e32 vcc, s14, v0
	v_cndmask_b32_e32 v3, v3, v5, vcc
; %bb.1015:
	s_or_b64 exec, exec, s[12:13]
	global_store_byte v[1:2], v3, off
.LBB135_1016:
	s_mov_b64 s[12:13], 0
.LBB135_1017:
	s_andn2_b64 vcc, exec, s[12:13]
	s_mov_b64 s[12:13], 0
	s_cbranch_vccnz .LBB135_1029
; %bb.1018:
	s_cmp_gt_i32 s19, 14
	s_mov_b64 s[14:15], -1
	s_cbranch_scc0 .LBB135_1022
; %bb.1019:
	s_cmp_eq_u32 s19, 15
	s_mov_b64 s[0:1], -1
	s_cbranch_scc0 .LBB135_1021
; %bb.1020:
	v_cvt_f32_ubyte0_e32 v0, v4
	v_bfe_u32 v3, v0, 16, 1
	s_movk_i32 s0, 0x7fff
	v_add3_u32 v0, v0, v3, s0
	global_store_short_d16_hi v[1:2], v0, off
	s_mov_b64 s[0:1], 0
.LBB135_1021:
	s_mov_b64 s[14:15], 0
.LBB135_1022:
	s_and_b64 vcc, exec, s[14:15]
	s_cbranch_vccz .LBB135_1029
; %bb.1023:
	s_cmp_lg_u32 s19, 11
	s_cselect_b64 s[14:15], -1, 0
	s_andn2_b64 s[0:1], s[0:1], exec
	s_and_b64 s[14:15], s[14:15], exec
	s_mov_b64 s[12:13], -1
	s_or_b64 s[0:1], s[0:1], s[14:15]
	s_branch .LBB135_1029
.LBB135_1024:
	s_or_b64 exec, exec, s[8:9]
	s_and_saveexec_b64 s[0:1], s[54:55]
	s_cbranch_execnz .LBB135_1030
.LBB135_1025:
	s_or_b64 exec, exec, s[0:1]
	s_and_saveexec_b64 s[0:1], s[12:13]
	s_xor_b64 s[0:1], exec, s[0:1]
	s_cbranch_execz .LBB135_1031
.LBB135_1026:
	v_mov_b32_e32 v0, 0
	s_waitcnt vmcnt(0)
	v_cmp_ne_u16_sdwa s[8:9], v4, v0 src0_sel:BYTE_0 src1_sel:DWORD
	v_cndmask_b32_e64 v0, 0, 1, s[8:9]
	global_store_byte v[1:2], v0, off
	s_or_b64 exec, exec, s[0:1]
	s_and_saveexec_b64 s[0:1], s[10:11]
	s_xor_b64 s[0:1], exec, s[0:1]
	s_cbranch_execz .LBB135_1069
	s_branch .LBB135_1032
.LBB135_1027:
	s_mov_b64 s[10:11], -1
	s_mov_b64 s[0:1], s[54:55]
	s_branch .LBB135_1029
.LBB135_1028:
	s_mov_b64 s[12:13], 0
.LBB135_1029:
	s_andn2_b64 s[14:15], s[54:55], exec
	s_and_b64 s[0:1], s[0:1], exec
	s_and_b64 s[10:11], s[10:11], exec
	;; [unrolled: 1-line block ×3, first 2 shown]
	s_or_b64 s[54:55], s[14:15], s[0:1]
	s_or_b64 exec, exec, s[8:9]
	s_and_saveexec_b64 s[0:1], s[54:55]
	s_cbranch_execz .LBB135_1025
.LBB135_1030:
	s_or_b64 s[2:3], s[2:3], exec
	s_andn2_b64 s[12:13], s[12:13], exec
	s_trap 2
	s_or_b64 exec, exec, s[0:1]
	s_and_saveexec_b64 s[0:1], s[12:13]
	s_xor_b64 s[0:1], exec, s[0:1]
	s_cbranch_execnz .LBB135_1026
.LBB135_1031:
	s_or_b64 exec, exec, s[0:1]
	s_and_saveexec_b64 s[0:1], s[10:11]
	s_xor_b64 s[0:1], exec, s[0:1]
	s_cbranch_execz .LBB135_1069
.LBB135_1032:
	s_sext_i32_i16 s10, s18
	s_cmp_lt_i32 s10, 5
	s_mov_b64 s[8:9], -1
	s_cbranch_scc1 .LBB135_1053
; %bb.1033:
	s_cmp_lt_i32 s10, 8
	s_cbranch_scc1 .LBB135_1043
; %bb.1034:
	s_cmp_lt_i32 s10, 9
	s_cbranch_scc1 .LBB135_1040
; %bb.1035:
	s_cmp_gt_i32 s10, 9
	s_cbranch_scc0 .LBB135_1037
; %bb.1036:
	s_mov_b32 s8, 0xffff
	s_waitcnt vmcnt(0)
	v_and_b32_sdwa v0, s8, v4 dst_sel:DWORD dst_unused:UNUSED_PAD src0_sel:DWORD src1_sel:BYTE_0
	v_cvt_f64_u32_e32 v[5:6], v0
	v_mov_b32_e32 v7, 0
	v_mov_b32_e32 v8, v7
	s_mov_b64 s[8:9], 0
	global_store_dwordx4 v[1:2], v[5:8], off
.LBB135_1037:
	s_andn2_b64 vcc, exec, s[8:9]
	s_cbranch_vccnz .LBB135_1039
; %bb.1038:
	s_waitcnt vmcnt(0)
	v_cvt_f32_ubyte0_e32 v5, v4
	v_mov_b32_e32 v6, 0
	global_store_dwordx2 v[1:2], v[5:6], off
.LBB135_1039:
	s_mov_b64 s[8:9], 0
.LBB135_1040:
	s_andn2_b64 vcc, exec, s[8:9]
	s_cbranch_vccnz .LBB135_1042
; %bb.1041:
	s_waitcnt vmcnt(0)
	v_cvt_f16_u16_sdwa v0, v4 dst_sel:DWORD dst_unused:UNUSED_PAD src0_sel:BYTE_0
	global_store_dword v[1:2], v0, off
.LBB135_1042:
	s_mov_b64 s[8:9], 0
.LBB135_1043:
	s_andn2_b64 vcc, exec, s[8:9]
	s_cbranch_vccnz .LBB135_1052
; %bb.1044:
	s_sext_i32_i16 s10, s18
	s_cmp_lt_i32 s10, 6
	s_mov_b64 s[8:9], -1
	s_cbranch_scc1 .LBB135_1050
; %bb.1045:
	s_cmp_gt_i32 s10, 6
	s_cbranch_scc0 .LBB135_1047
; %bb.1046:
	s_mov_b32 s8, 0xffff
	s_waitcnt vmcnt(0)
	v_and_b32_sdwa v0, s8, v4 dst_sel:DWORD dst_unused:UNUSED_PAD src0_sel:DWORD src1_sel:BYTE_0
	v_cvt_f64_u32_e32 v[5:6], v0
	s_mov_b64 s[8:9], 0
	global_store_dwordx2 v[1:2], v[5:6], off
.LBB135_1047:
	s_andn2_b64 vcc, exec, s[8:9]
	s_cbranch_vccnz .LBB135_1049
; %bb.1048:
	s_waitcnt vmcnt(0)
	v_cvt_f32_ubyte0_e32 v0, v4
	global_store_dword v[1:2], v0, off
.LBB135_1049:
	s_mov_b64 s[8:9], 0
.LBB135_1050:
	s_andn2_b64 vcc, exec, s[8:9]
	s_cbranch_vccnz .LBB135_1052
; %bb.1051:
	s_waitcnt vmcnt(0)
	v_cvt_f16_u16_sdwa v0, v4 dst_sel:DWORD dst_unused:UNUSED_PAD src0_sel:BYTE_0
	global_store_short v[1:2], v0, off
.LBB135_1052:
	s_mov_b64 s[8:9], 0
.LBB135_1053:
	s_andn2_b64 vcc, exec, s[8:9]
	s_cbranch_vccnz .LBB135_1069
; %bb.1054:
	s_sext_i32_i16 s10, s18
	s_cmp_lt_i32 s10, 2
	s_mov_b64 s[8:9], -1
	s_cbranch_scc1 .LBB135_1064
; %bb.1055:
	s_cmp_lt_i32 s10, 3
	s_cbranch_scc1 .LBB135_1061
; %bb.1056:
	s_cmp_gt_i32 s10, 3
	s_cbranch_scc0 .LBB135_1058
; %bb.1057:
	s_waitcnt vmcnt(0)
	v_and_b32_e32 v5, 0xff, v4
	v_mov_b32_e32 v6, 0
	s_mov_b64 s[8:9], 0
	global_store_dwordx2 v[1:2], v[5:6], off
.LBB135_1058:
	s_andn2_b64 vcc, exec, s[8:9]
	s_cbranch_vccnz .LBB135_1060
; %bb.1059:
	s_waitcnt vmcnt(0)
	v_and_b32_e32 v0, 0xff, v4
	global_store_dword v[1:2], v0, off
.LBB135_1060:
	s_mov_b64 s[8:9], 0
.LBB135_1061:
	s_andn2_b64 vcc, exec, s[8:9]
	s_cbranch_vccnz .LBB135_1063
; %bb.1062:
	s_waitcnt vmcnt(0)
	v_and_b32_e32 v0, 0xff, v4
	global_store_short v[1:2], v0, off
.LBB135_1063:
	s_mov_b64 s[8:9], 0
.LBB135_1064:
	s_andn2_b64 vcc, exec, s[8:9]
	s_cbranch_vccnz .LBB135_1069
; %bb.1065:
	s_sext_i32_i16 s8, s18
	s_cmp_gt_i32 s8, 0
	s_mov_b64 s[8:9], -1
	s_cbranch_scc0 .LBB135_1067
; %bb.1066:
	s_mov_b64 s[8:9], 0
	s_waitcnt vmcnt(0)
	global_store_byte v[1:2], v4, off
.LBB135_1067:
	s_andn2_b64 vcc, exec, s[8:9]
	s_cbranch_vccnz .LBB135_1069
; %bb.1068:
	s_waitcnt vmcnt(0)
	global_store_byte v[1:2], v4, off
.LBB135_1069:
	s_or_b64 exec, exec, s[0:1]
	s_waitcnt lgkmcnt(0)
	s_and_b64 s[28:29], s[2:3], exec
                                        ; implicit-def: $vgpr13
                                        ; implicit-def: $vgpr11
.LBB135_1070:
	s_or_saveexec_b64 s[30:31], s[42:43]
	s_mov_b64 s[0:1], 0
                                        ; implicit-def: $vgpr0_vgpr1
                                        ; implicit-def: $sgpr16
                                        ; implicit-def: $vgpr2
	s_xor_b64 exec, exec, s[30:31]
	s_cbranch_execz .LBB135_2057
; %bb.1071:
	v_cndmask_b32_e64 v0, 0, 1, s[40:41]
	v_cmp_ne_u32_e64 s[0:1], 1, v0
	s_andn2_b64 vcc, exec, s[40:41]
	s_cbranch_vccnz .LBB135_1077
; %bb.1072:
	s_cmp_lg_u32 s33, 0
	s_mov_b32 s36, 0
	s_cbranch_scc0 .LBB135_1078
; %bb.1073:
	s_min_u32 s37, s74, 15
	s_add_i32 s37, s37, 1
	s_cmp_eq_u32 s74, 2
	s_cbranch_scc1 .LBB135_1079
; %bb.1074:
	s_and_b32 s36, s37, 28
	s_add_u32 s2, s34, 0xc4
	s_addc_u32 s3, s35, 0
	v_mov_b32_e32 v8, 0
	s_mov_b32 s38, 0
	s_mov_b64 s[6:7], s[34:35]
	v_mov_b32_e32 v6, 0
	v_mov_b32_e32 v0, v11
.LBB135_1075:                           ; =>This Inner Loop Header: Depth=1
	s_load_dwordx8 s[16:23], s[6:7], 0x4
	s_load_dwordx4 s[24:27], s[6:7], 0x24
	s_load_dwordx8 s[8:15], s[2:3], 0x0
	s_add_u32 s6, s6, 48
	s_addc_u32 s7, s7, 0
	s_waitcnt lgkmcnt(0)
	v_mul_hi_u32 v1, s17, v0
	s_add_i32 s38, s38, 4
	s_add_u32 s2, s2, 32
	s_addc_u32 s3, s3, 0
	v_add_u32_e32 v1, v0, v1
	v_lshrrev_b32_e32 v1, s18, v1
	v_mul_lo_u32 v2, v1, s16
	s_waitcnt vmcnt(0)
	v_mul_hi_u32 v3, s20, v1
	s_cmp_lg_u32 s36, s38
	v_sub_u32_e32 v0, v0, v2
	v_add_u32_e32 v2, v1, v3
	v_mul_lo_u32 v3, v0, s8
	v_mul_lo_u32 v4, v0, s9
	v_lshrrev_b32_e32 v0, s21, v2
	v_mul_lo_u32 v2, v0, s19
	v_mul_hi_u32 v5, s23, v0
	v_sub_u32_e32 v1, v1, v2
	v_add_u32_e32 v2, v0, v5
	v_lshrrev_b32_e32 v2, s24, v2
	v_mul_hi_u32 v7, s26, v2
	v_mul_lo_u32 v9, v2, s22
	v_mul_lo_u32 v5, v1, s10
	;; [unrolled: 1-line block ×3, first 2 shown]
	v_sub_u32_e32 v9, v0, v9
	v_add_u32_e32 v0, v2, v7
	v_lshrrev_b32_e32 v0, s27, v0
	v_mul_lo_u32 v7, v0, s25
	v_mul_lo_u32 v10, v9, s12
	;; [unrolled: 1-line block ×3, first 2 shown]
	v_add3_u32 v3, v3, v6, v5
	v_sub_u32_e32 v2, v2, v7
	v_mul_lo_u32 v7, v2, s14
	v_mul_lo_u32 v2, v2, s15
	v_add3_u32 v1, v4, v8, v1
	v_add3_u32 v6, v10, v3, v7
	;; [unrolled: 1-line block ×3, first 2 shown]
	s_cbranch_scc1 .LBB135_1075
; %bb.1076:
	s_and_b32 s8, s37, 3
	s_cmp_eq_u32 s8, 0
	s_cbranch_scc0 .LBB135_1080
	s_branch .LBB135_1082
.LBB135_1077:
                                        ; implicit-def: $vgpr6
                                        ; implicit-def: $vgpr8
	s_branch .LBB135_1083
.LBB135_1078:
	v_mov_b32_e32 v6, 0
	v_mov_b32_e32 v8, 0
	s_branch .LBB135_1082
.LBB135_1079:
	v_mov_b32_e32 v6, 0
	v_mov_b32_e32 v8, 0
	;; [unrolled: 1-line block ×3, first 2 shown]
	s_and_b32 s8, s37, 3
	s_cmp_eq_u32 s8, 0
	s_cbranch_scc1 .LBB135_1082
.LBB135_1080:
	s_lshl_b32 s2, s36, 3
	s_add_u32 s2, s34, s2
	s_addc_u32 s3, s35, 0
	s_add_u32 s2, s2, 0xc4
	s_addc_u32 s3, s3, 0
	s_mul_i32 s6, s36, 12
	s_add_u32 s6, s34, s6
	s_addc_u32 s7, s35, 0
.LBB135_1081:                           ; =>This Inner Loop Header: Depth=1
	s_load_dwordx2 s[10:11], s[6:7], 0x4
	s_load_dword s9, s[6:7], 0xc
	s_load_dwordx2 s[12:13], s[2:3], 0x0
	s_add_u32 s6, s6, 12
	s_addc_u32 s7, s7, 0
	s_waitcnt lgkmcnt(0)
	v_mul_hi_u32 v1, s11, v0
	s_add_u32 s2, s2, 8
	s_addc_u32 s3, s3, 0
	s_add_i32 s8, s8, -1
	v_add_u32_e32 v1, v0, v1
	v_lshrrev_b32_e32 v1, s9, v1
	v_mul_lo_u32 v2, v1, s10
	s_cmp_lg_u32 s8, 0
	v_sub_u32_e32 v0, v0, v2
	v_mad_u64_u32 v[6:7], s[10:11], v0, s12, v[6:7]
	v_mad_u64_u32 v[8:9], s[10:11], v0, s13, v[8:9]
	v_mov_b32_e32 v0, v1
	s_cbranch_scc1 .LBB135_1081
.LBB135_1082:
	s_cbranch_execnz .LBB135_1085
.LBB135_1083:
	s_load_dwordx4 s[8:11], s[34:35], 0x4
	s_load_dwordx2 s[2:3], s[34:35], 0xc4
	s_cmp_lt_u32 s33, 2
	s_waitcnt lgkmcnt(0)
	v_mul_hi_u32 v0, s9, v11
	v_add_u32_e32 v0, v11, v0
	v_lshrrev_b32_e32 v0, s10, v0
	v_mul_lo_u32 v1, v0, s8
	v_sub_u32_e32 v1, v11, v1
	v_mul_lo_u32 v6, v1, s2
	v_mul_lo_u32 v8, v1, s3
	s_cbranch_scc1 .LBB135_1085
; %bb.1084:
	s_load_dwordx4 s[8:11], s[34:35], 0x10
	s_load_dwordx2 s[2:3], s[34:35], 0xcc
	s_waitcnt lgkmcnt(0)
	v_mul_hi_u32 v1, s9, v0
	v_add_u32_e32 v1, v0, v1
	v_lshrrev_b32_e32 v1, s10, v1
	v_mul_lo_u32 v1, v1, s8
	v_sub_u32_e32 v0, v0, v1
	v_mad_u64_u32 v[6:7], s[6:7], v0, s2, v[6:7]
	v_mad_u64_u32 v[8:9], s[2:3], v0, s3, v[8:9]
.LBB135_1085:
	s_and_b64 vcc, exec, s[0:1]
	v_add_u32_e32 v0, 0x80, v11
	s_cbranch_vccnz .LBB135_1091
; %bb.1086:
	s_cmp_lg_u32 s33, 0
	s_mov_b32 s36, 0
	s_cbranch_scc0 .LBB135_1092
; %bb.1087:
	s_min_u32 s37, s74, 15
	s_add_i32 s37, s37, 1
	s_cmp_eq_u32 s74, 2
	s_cbranch_scc1 .LBB135_1093
; %bb.1088:
	s_and_b32 s36, s37, 28
	s_add_u32 s2, s34, 0xc4
	s_addc_u32 s3, s35, 0
	v_mov_b32_e32 v9, 0
	s_mov_b32 s38, 0
	s_mov_b64 s[6:7], s[34:35]
	s_waitcnt vmcnt(0)
	v_mov_b32_e32 v4, 0
	v_mov_b32_e32 v1, v0
.LBB135_1089:                           ; =>This Inner Loop Header: Depth=1
	s_load_dwordx8 s[16:23], s[6:7], 0x4
	s_load_dwordx4 s[24:27], s[6:7], 0x24
	s_load_dwordx8 s[8:15], s[2:3], 0x0
	s_add_u32 s6, s6, 48
	s_addc_u32 s7, s7, 0
	s_waitcnt lgkmcnt(0)
	v_mul_hi_u32 v2, s17, v1
	s_add_i32 s38, s38, 4
	s_add_u32 s2, s2, 32
	s_addc_u32 s3, s3, 0
	v_add_u32_e32 v2, v1, v2
	v_lshrrev_b32_e32 v2, s18, v2
	v_mul_lo_u32 v3, v2, s16
	v_mul_hi_u32 v5, s20, v2
	s_cmp_lg_u32 s36, s38
	v_sub_u32_e32 v1, v1, v3
	v_add_u32_e32 v3, v2, v5
	v_mul_lo_u32 v5, v1, s8
	v_mul_lo_u32 v7, v1, s9
	v_lshrrev_b32_e32 v1, s21, v3
	v_mul_lo_u32 v3, v1, s19
	v_mul_hi_u32 v10, s23, v1
	v_sub_u32_e32 v2, v2, v3
	v_add_u32_e32 v3, v1, v10
	v_lshrrev_b32_e32 v3, s24, v3
	v_mul_hi_u32 v12, s26, v3
	v_mul_lo_u32 v14, v3, s22
	v_mul_lo_u32 v10, v2, s10
	;; [unrolled: 1-line block ×3, first 2 shown]
	v_sub_u32_e32 v14, v1, v14
	v_add_u32_e32 v1, v3, v12
	v_lshrrev_b32_e32 v1, s27, v1
	v_mul_lo_u32 v12, v1, s25
	v_mul_lo_u32 v15, v14, s12
	;; [unrolled: 1-line block ×3, first 2 shown]
	v_add3_u32 v4, v5, v4, v10
	v_sub_u32_e32 v3, v3, v12
	v_mul_lo_u32 v12, v3, s14
	v_mul_lo_u32 v3, v3, s15
	v_add3_u32 v2, v7, v9, v2
	v_add3_u32 v4, v15, v4, v12
	;; [unrolled: 1-line block ×3, first 2 shown]
	s_cbranch_scc1 .LBB135_1089
; %bb.1090:
	s_and_b32 s8, s37, 3
	s_cmp_eq_u32 s8, 0
	s_cbranch_scc0 .LBB135_1094
	s_branch .LBB135_1096
.LBB135_1091:
                                        ; implicit-def: $vgpr4
                                        ; implicit-def: $vgpr9
	s_branch .LBB135_1097
.LBB135_1092:
	s_waitcnt vmcnt(0)
	v_mov_b32_e32 v4, 0
	v_mov_b32_e32 v9, 0
	s_branch .LBB135_1096
.LBB135_1093:
	s_waitcnt vmcnt(0)
	v_mov_b32_e32 v4, 0
	v_mov_b32_e32 v9, 0
	;; [unrolled: 1-line block ×3, first 2 shown]
	s_and_b32 s8, s37, 3
	s_cmp_eq_u32 s8, 0
	s_cbranch_scc1 .LBB135_1096
.LBB135_1094:
	s_lshl_b32 s2, s36, 3
	s_add_u32 s2, s34, s2
	s_addc_u32 s3, s35, 0
	s_add_u32 s2, s2, 0xc4
	s_addc_u32 s3, s3, 0
	s_mul_i32 s6, s36, 12
	s_add_u32 s6, s34, s6
	s_addc_u32 s7, s35, 0
.LBB135_1095:                           ; =>This Inner Loop Header: Depth=1
	s_load_dwordx2 s[10:11], s[6:7], 0x4
	s_load_dword s9, s[6:7], 0xc
	s_load_dwordx2 s[12:13], s[2:3], 0x0
	s_add_u32 s6, s6, 12
	s_addc_u32 s7, s7, 0
	s_waitcnt lgkmcnt(0)
	v_mul_hi_u32 v2, s11, v1
	s_add_u32 s2, s2, 8
	s_addc_u32 s3, s3, 0
	s_add_i32 s8, s8, -1
	v_add_u32_e32 v2, v1, v2
	v_lshrrev_b32_e32 v2, s9, v2
	v_mul_lo_u32 v3, v2, s10
	s_cmp_lg_u32 s8, 0
	v_sub_u32_e32 v1, v1, v3
	v_mad_u64_u32 v[4:5], s[10:11], v1, s12, v[4:5]
	v_mad_u64_u32 v[9:10], s[10:11], v1, s13, v[9:10]
	v_mov_b32_e32 v1, v2
	s_cbranch_scc1 .LBB135_1095
.LBB135_1096:
	s_cbranch_execnz .LBB135_1099
.LBB135_1097:
	s_load_dwordx4 s[8:11], s[34:35], 0x4
	s_load_dwordx2 s[2:3], s[34:35], 0xc4
	s_cmp_lt_u32 s33, 2
	s_waitcnt lgkmcnt(0)
	v_mul_hi_u32 v1, s9, v0
	v_add_u32_e32 v1, v0, v1
	v_lshrrev_b32_e32 v1, s10, v1
	v_mul_lo_u32 v2, v1, s8
	v_sub_u32_e32 v0, v0, v2
	s_waitcnt vmcnt(0)
	v_mul_lo_u32 v4, v0, s2
	v_mul_lo_u32 v9, v0, s3
	s_cbranch_scc1 .LBB135_1099
; %bb.1098:
	s_load_dwordx4 s[8:11], s[34:35], 0x10
	s_load_dwordx2 s[2:3], s[34:35], 0xcc
	s_waitcnt lgkmcnt(0)
	v_mul_hi_u32 v0, s9, v1
	v_add_u32_e32 v0, v1, v0
	v_lshrrev_b32_e32 v0, s10, v0
	v_mul_lo_u32 v0, v0, s8
	v_sub_u32_e32 v0, v1, v0
	v_mad_u64_u32 v[4:5], s[6:7], v0, s2, v[4:5]
	v_mad_u64_u32 v[9:10], s[2:3], v0, s3, v[9:10]
.LBB135_1099:
	s_and_b64 vcc, exec, s[0:1]
	v_add_u32_e32 v0, 0x100, v11
	s_cbranch_vccnz .LBB135_1105
; %bb.1100:
	s_cmp_lg_u32 s33, 0
	s_mov_b32 s36, 0
	s_cbranch_scc0 .LBB135_1106
; %bb.1101:
	s_min_u32 s37, s74, 15
	s_add_i32 s37, s37, 1
	s_cmp_eq_u32 s74, 2
	s_cbranch_scc1 .LBB135_1107
; %bb.1102:
	s_and_b32 s36, s37, 28
	s_add_u32 s2, s34, 0xc4
	s_addc_u32 s3, s35, 0
	v_mov_b32_e32 v10, 0
	s_mov_b32 s38, 0
	s_mov_b64 s[6:7], s[34:35]
	v_mov_b32_e32 v2, 0
	v_mov_b32_e32 v1, v0
.LBB135_1103:                           ; =>This Inner Loop Header: Depth=1
	s_load_dwordx8 s[16:23], s[6:7], 0x4
	s_load_dwordx4 s[24:27], s[6:7], 0x24
	s_load_dwordx8 s[8:15], s[2:3], 0x0
	s_add_u32 s6, s6, 48
	s_addc_u32 s7, s7, 0
	s_waitcnt vmcnt(0) lgkmcnt(0)
	v_mul_hi_u32 v3, s17, v1
	s_add_i32 s38, s38, 4
	s_add_u32 s2, s2, 32
	s_addc_u32 s3, s3, 0
	v_add_u32_e32 v3, v1, v3
	v_lshrrev_b32_e32 v3, s18, v3
	v_mul_lo_u32 v5, v3, s16
	v_mul_hi_u32 v7, s20, v3
	s_cmp_lg_u32 s36, s38
	v_sub_u32_e32 v1, v1, v5
	v_add_u32_e32 v5, v3, v7
	v_mul_lo_u32 v7, v1, s8
	v_mul_lo_u32 v11, v1, s9
	v_lshrrev_b32_e32 v1, s21, v5
	v_mul_lo_u32 v5, v1, s19
	v_mul_hi_u32 v12, s23, v1
	v_sub_u32_e32 v3, v3, v5
	v_add_u32_e32 v5, v1, v12
	v_lshrrev_b32_e32 v5, s24, v5
	v_mul_hi_u32 v14, s26, v5
	v_mul_lo_u32 v15, v5, s22
	v_mul_lo_u32 v12, v3, s10
	;; [unrolled: 1-line block ×3, first 2 shown]
	v_sub_u32_e32 v15, v1, v15
	v_add_u32_e32 v1, v5, v14
	v_lshrrev_b32_e32 v1, s27, v1
	v_mul_lo_u32 v14, v1, s25
	v_mul_lo_u32 v16, v15, s12
	;; [unrolled: 1-line block ×3, first 2 shown]
	v_add3_u32 v2, v7, v2, v12
	v_sub_u32_e32 v5, v5, v14
	v_mul_lo_u32 v14, v5, s14
	v_mul_lo_u32 v5, v5, s15
	v_add3_u32 v3, v11, v10, v3
	v_add3_u32 v2, v16, v2, v14
	;; [unrolled: 1-line block ×3, first 2 shown]
	s_cbranch_scc1 .LBB135_1103
; %bb.1104:
	s_and_b32 s8, s37, 3
	s_cmp_eq_u32 s8, 0
	s_cbranch_scc0 .LBB135_1108
	s_branch .LBB135_1110
.LBB135_1105:
                                        ; implicit-def: $vgpr2
                                        ; implicit-def: $vgpr10
	s_branch .LBB135_1111
.LBB135_1106:
	v_mov_b32_e32 v2, 0
	v_mov_b32_e32 v10, 0
	s_branch .LBB135_1110
.LBB135_1107:
	v_mov_b32_e32 v2, 0
	v_mov_b32_e32 v10, 0
	;; [unrolled: 1-line block ×3, first 2 shown]
	s_and_b32 s8, s37, 3
	s_cmp_eq_u32 s8, 0
	s_cbranch_scc1 .LBB135_1110
.LBB135_1108:
	s_lshl_b32 s2, s36, 3
	s_add_u32 s2, s34, s2
	s_addc_u32 s3, s35, 0
	s_add_u32 s2, s2, 0xc4
	s_addc_u32 s3, s3, 0
	s_mul_i32 s6, s36, 12
	s_add_u32 s6, s34, s6
	s_addc_u32 s7, s35, 0
.LBB135_1109:                           ; =>This Inner Loop Header: Depth=1
	s_load_dwordx2 s[10:11], s[6:7], 0x4
	s_load_dword s9, s[6:7], 0xc
	s_load_dwordx2 s[12:13], s[2:3], 0x0
	s_add_u32 s6, s6, 12
	s_addc_u32 s7, s7, 0
	s_waitcnt vmcnt(0) lgkmcnt(0)
	v_mul_hi_u32 v3, s11, v1
	s_add_u32 s2, s2, 8
	s_addc_u32 s3, s3, 0
	s_add_i32 s8, s8, -1
	v_add_u32_e32 v3, v1, v3
	v_lshrrev_b32_e32 v5, s9, v3
	v_mul_lo_u32 v3, v5, s10
	s_cmp_lg_u32 s8, 0
	v_sub_u32_e32 v1, v1, v3
	v_mad_u64_u32 v[2:3], s[10:11], v1, s12, v[2:3]
	v_mad_u64_u32 v[10:11], s[10:11], v1, s13, v[10:11]
	v_mov_b32_e32 v1, v5
	s_cbranch_scc1 .LBB135_1109
.LBB135_1110:
	s_cbranch_execnz .LBB135_1113
.LBB135_1111:
	s_load_dwordx4 s[8:11], s[34:35], 0x4
	s_load_dwordx2 s[2:3], s[34:35], 0xc4
	s_cmp_lt_u32 s33, 2
	s_waitcnt lgkmcnt(0)
	v_mul_hi_u32 v1, s9, v0
	v_add_u32_e32 v1, v0, v1
	v_lshrrev_b32_e32 v1, s10, v1
	v_mul_lo_u32 v2, v1, s8
	v_sub_u32_e32 v0, v0, v2
	v_mul_lo_u32 v2, v0, s2
	v_mul_lo_u32 v10, v0, s3
	s_cbranch_scc1 .LBB135_1113
; %bb.1112:
	s_load_dwordx4 s[8:11], s[34:35], 0x10
	s_load_dwordx2 s[2:3], s[34:35], 0xcc
	s_waitcnt lgkmcnt(0)
	v_mul_hi_u32 v0, s9, v1
	v_add_u32_e32 v0, v1, v0
	v_lshrrev_b32_e32 v0, s10, v0
	v_mul_lo_u32 v0, v0, s8
	v_sub_u32_e32 v0, v1, v0
	s_waitcnt vmcnt(0)
	v_mad_u64_u32 v[2:3], s[6:7], v0, s2, v[2:3]
	v_mad_u64_u32 v[10:11], s[2:3], v0, s3, v[10:11]
.LBB135_1113:
	s_and_b64 vcc, exec, s[0:1]
	s_cbranch_vccnz .LBB135_1119
; %bb.1114:
	s_cmp_lg_u32 s33, 0
	s_mov_b32 s26, 0
	s_cbranch_scc0 .LBB135_1120
; %bb.1115:
	s_min_u32 s27, s74, 15
	s_add_i32 s27, s27, 1
	s_cmp_eq_u32 s74, 2
	s_cbranch_scc1 .LBB135_1121
; %bb.1116:
	s_and_b32 s26, s27, 28
	s_add_u32 s6, s34, 0xc4
	s_addc_u32 s7, s35, 0
	v_mov_b32_e32 v11, 0
	s_mov_b32 s36, 0
	s_mov_b64 s[24:25], s[34:35]
	v_mov_b32_e32 v0, 0
	v_mov_b32_e32 v1, v13
.LBB135_1117:                           ; =>This Inner Loop Header: Depth=1
	s_load_dwordx8 s[16:23], s[24:25], 0x4
	s_load_dwordx4 s[0:3], s[24:25], 0x24
	s_load_dwordx8 s[8:15], s[6:7], 0x0
	s_add_u32 s24, s24, 48
	s_addc_u32 s25, s25, 0
	s_waitcnt vmcnt(0) lgkmcnt(0)
	v_mul_hi_u32 v3, s17, v1
	s_add_i32 s36, s36, 4
	s_add_u32 s6, s6, 32
	s_addc_u32 s7, s7, 0
	v_add_u32_e32 v3, v1, v3
	v_lshrrev_b32_e32 v3, s18, v3
	v_mul_lo_u32 v5, v3, s16
	v_mul_hi_u32 v7, s20, v3
	s_cmp_lg_u32 s26, s36
	v_sub_u32_e32 v1, v1, v5
	v_add_u32_e32 v5, v3, v7
	v_mul_lo_u32 v7, v1, s8
	v_mul_lo_u32 v12, v1, s9
	v_lshrrev_b32_e32 v1, s21, v5
	v_mul_lo_u32 v5, v1, s19
	v_mul_hi_u32 v14, s23, v1
	v_sub_u32_e32 v3, v3, v5
	v_add_u32_e32 v5, v1, v14
	v_lshrrev_b32_e32 v5, s0, v5
	v_mul_hi_u32 v15, s2, v5
	v_mul_lo_u32 v16, v5, s22
	v_mul_lo_u32 v14, v3, s10
	;; [unrolled: 1-line block ×3, first 2 shown]
	v_sub_u32_e32 v16, v1, v16
	v_add_u32_e32 v1, v5, v15
	v_lshrrev_b32_e32 v1, s3, v1
	v_mul_lo_u32 v15, v1, s1
	v_mul_lo_u32 v17, v16, s12
	;; [unrolled: 1-line block ×3, first 2 shown]
	v_add3_u32 v0, v7, v0, v14
	v_sub_u32_e32 v5, v5, v15
	v_mul_lo_u32 v15, v5, s14
	v_mul_lo_u32 v5, v5, s15
	v_add3_u32 v3, v12, v11, v3
	v_add3_u32 v0, v17, v0, v15
	;; [unrolled: 1-line block ×3, first 2 shown]
	s_cbranch_scc1 .LBB135_1117
; %bb.1118:
	s_and_b32 s6, s27, 3
	s_cmp_eq_u32 s6, 0
	s_cbranch_scc0 .LBB135_1122
	s_branch .LBB135_1124
.LBB135_1119:
                                        ; implicit-def: $vgpr0
                                        ; implicit-def: $vgpr11
	s_branch .LBB135_1125
.LBB135_1120:
	v_mov_b32_e32 v0, 0
	v_mov_b32_e32 v11, 0
	s_branch .LBB135_1124
.LBB135_1121:
	v_mov_b32_e32 v0, 0
	v_mov_b32_e32 v11, 0
	;; [unrolled: 1-line block ×3, first 2 shown]
	s_and_b32 s6, s27, 3
	s_cmp_eq_u32 s6, 0
	s_cbranch_scc1 .LBB135_1124
.LBB135_1122:
	s_lshl_b32 s0, s26, 3
	s_add_u32 s0, s34, s0
	s_addc_u32 s1, s35, 0
	s_add_u32 s0, s0, 0xc4
	s_addc_u32 s1, s1, 0
	s_mul_i32 s2, s26, 12
	s_add_u32 s2, s34, s2
	s_addc_u32 s3, s35, 0
.LBB135_1123:                           ; =>This Inner Loop Header: Depth=1
	s_load_dwordx2 s[8:9], s[2:3], 0x4
	s_load_dword s7, s[2:3], 0xc
	s_load_dwordx2 s[10:11], s[0:1], 0x0
	s_add_u32 s2, s2, 12
	s_addc_u32 s3, s3, 0
	s_waitcnt vmcnt(0) lgkmcnt(0)
	v_mul_hi_u32 v3, s9, v1
	s_add_u32 s0, s0, 8
	s_addc_u32 s1, s1, 0
	s_add_i32 s6, s6, -1
	v_add_u32_e32 v3, v1, v3
	v_lshrrev_b32_e32 v3, s7, v3
	v_mul_lo_u32 v5, v3, s8
	s_cmp_lg_u32 s6, 0
	v_sub_u32_e32 v5, v1, v5
	v_mad_u64_u32 v[0:1], s[8:9], v5, s10, v[0:1]
	v_mad_u64_u32 v[11:12], s[8:9], v5, s11, v[11:12]
	v_mov_b32_e32 v1, v3
	s_cbranch_scc1 .LBB135_1123
.LBB135_1124:
	s_cbranch_execnz .LBB135_1127
.LBB135_1125:
	s_load_dwordx4 s[0:3], s[34:35], 0x4
	s_load_dwordx2 s[6:7], s[34:35], 0xc4
	s_cmp_lt_u32 s33, 2
	s_waitcnt lgkmcnt(0)
	v_mul_hi_u32 v0, s1, v13
	v_add_u32_e32 v0, v13, v0
	v_lshrrev_b32_e32 v1, s2, v0
	v_mul_lo_u32 v0, v1, s0
	s_waitcnt vmcnt(0)
	v_sub_u32_e32 v3, v13, v0
	v_mul_lo_u32 v0, v3, s6
	v_mul_lo_u32 v11, v3, s7
	s_cbranch_scc1 .LBB135_1127
; %bb.1126:
	s_load_dwordx4 s[0:3], s[34:35], 0x10
	s_load_dwordx2 s[6:7], s[34:35], 0xcc
	s_waitcnt lgkmcnt(0)
	v_mul_hi_u32 v3, s1, v1
	v_add_u32_e32 v3, v1, v3
	v_lshrrev_b32_e32 v3, s2, v3
	v_mul_lo_u32 v3, v3, s0
	v_sub_u32_e32 v3, v1, v3
	v_mad_u64_u32 v[0:1], s[0:1], v3, s6, v[0:1]
	v_mad_u64_u32 v[11:12], s[0:1], v3, s7, v[11:12]
.LBB135_1127:
	s_load_dword s16, s[4:5], 0x160
	s_load_dwordx4 s[8:11], s[34:35], 0x148
	s_waitcnt lgkmcnt(0)
	s_lshr_b32 s12, s16, 24
	v_mov_b32_e32 v1, s11
	v_add_co_u32_e32 v12, vcc, s10, v8
	s_cmp_lt_i32 s12, 11
	v_addc_co_u32_e32 v13, vcc, 0, v1, vcc
	s_cbranch_scc1 .LBB135_1134
; %bb.1128:
	s_and_b32 s13, 0xffff, s12
	s_cmp_gt_i32 s13, 25
	s_mov_b64 s[4:5], 0
	s_cbranch_scc0 .LBB135_1136
; %bb.1129:
	s_cmp_gt_i32 s13, 28
	s_cbranch_scc0 .LBB135_1137
; %bb.1130:
	s_cmp_gt_i32 s13, 43
	;; [unrolled: 3-line block ×3, first 2 shown]
	s_cbranch_scc0 .LBB135_1139
; %bb.1132:
	s_cmp_eq_u32 s13, 46
	s_mov_b64 s[2:3], 0
	s_cbranch_scc0 .LBB135_1142
; %bb.1133:
	global_load_dword v1, v[12:13], off
	s_mov_b32 s0, 0x2f800000
	s_mov_b32 s1, 0xcf800000
	s_mov_b64 s[6:7], -1
	s_waitcnt vmcnt(0)
	v_lshlrev_b32_e32 v1, 16, v1
	v_trunc_f32_e32 v1, v1
	v_mul_f32_e64 v3, |v1|, s0
	v_floor_f32_e32 v3, v3
	v_fma_f32 v3, v3, s1, |v1|
	v_cvt_u32_f32_e32 v3, v3
	v_ashrrev_i32_e32 v1, 31, v1
	s_mov_b64 s[0:1], 0
	v_xor_b32_e32 v3, v3, v1
	v_sub_u32_e32 v7, v3, v1
	s_branch .LBB135_1143
.LBB135_1134:
	s_mov_b64 s[6:7], 0
                                        ; implicit-def: $vgpr7
	s_mov_b64 s[2:3], s[28:29]
	s_cbranch_execnz .LBB135_1201
.LBB135_1135:
	s_andn2_b64 vcc, exec, s[6:7]
	s_cbranch_vccz .LBB135_1246
	s_branch .LBB135_2055
.LBB135_1136:
	s_mov_b64 s[6:7], 0
	s_mov_b64 s[0:1], 0
                                        ; implicit-def: $vgpr7
	s_cbranch_execnz .LBB135_1168
	s_branch .LBB135_1197
.LBB135_1137:
	s_mov_b64 s[6:7], 0
	s_mov_b64 s[0:1], 0
                                        ; implicit-def: $vgpr7
	s_cbranch_execz .LBB135_1167
	s_branch .LBB135_1152
.LBB135_1138:
	s_mov_b64 s[6:7], 0
	s_mov_b64 s[0:1], 0
                                        ; implicit-def: $vgpr7
	s_cbranch_execnz .LBB135_1148
	s_branch .LBB135_1151
.LBB135_1139:
	s_mov_b64 s[2:3], -1
	s_mov_b64 s[6:7], 0
	s_mov_b64 s[0:1], 0
                                        ; implicit-def: $vgpr7
	s_branch .LBB135_1143
.LBB135_1140:
	s_andn2_saveexec_b64 s[14:15], s[14:15]
	s_cbranch_execz .LBB135_979
.LBB135_1141:
	v_add_f32_e32 v0, 0x46000000, v3
	v_and_b32_e32 v0, 0xff, v0
	v_cmp_ne_u32_e32 vcc, 0, v0
	s_andn2_b64 s[12:13], s[12:13], exec
	s_and_b64 s[16:17], vcc, exec
	s_or_b64 s[12:13], s[12:13], s[16:17]
	s_or_b64 exec, exec, s[14:15]
	v_mov_b32_e32 v5, 0
	s_and_saveexec_b64 s[14:15], s[12:13]
	s_cbranch_execnz .LBB135_980
	s_branch .LBB135_981
.LBB135_1142:
	s_mov_b64 s[0:1], -1
                                        ; implicit-def: $vgpr7
	s_mov_b64 s[6:7], 0
.LBB135_1143:
	s_and_b64 vcc, exec, s[2:3]
	s_cbranch_vccz .LBB135_1146
; %bb.1144:
	s_cmp_eq_u32 s13, 44
	s_cbranch_scc0 .LBB135_1147
; %bb.1145:
	global_load_ubyte v1, v[12:13], off
	s_mov_b32 s0, 0x2f800000
	s_mov_b32 s1, 0xcf800000
	s_mov_b64 s[6:7], -1
	s_waitcnt vmcnt(0)
	v_lshlrev_b32_e32 v3, 23, v1
	v_trunc_f32_e32 v3, v3
	v_mul_f32_e64 v5, |v3|, s0
	v_floor_f32_e32 v5, v5
	v_fma_f32 v5, v5, s1, |v3|
	v_cvt_u32_f32_e32 v5, v5
	v_ashrrev_i32_e32 v3, 31, v3
	v_cmp_ne_u32_e32 vcc, 0, v1
	s_mov_b64 s[0:1], 0
	v_xor_b32_e32 v5, v5, v3
	v_sub_u32_e32 v3, v5, v3
	v_cndmask_b32_e32 v7, 0, v3, vcc
.LBB135_1146:
	s_branch .LBB135_1151
.LBB135_1147:
	s_mov_b64 s[0:1], -1
                                        ; implicit-def: $vgpr7
	s_branch .LBB135_1151
.LBB135_1148:
	s_cmp_eq_u32 s13, 29
	s_cbranch_scc0 .LBB135_1150
; %bb.1149:
	global_load_dwordx2 v[7:8], v[12:13], off
	s_mov_b64 s[0:1], 0
	s_mov_b64 s[6:7], -1
	s_branch .LBB135_1151
.LBB135_1150:
	s_mov_b64 s[0:1], -1
                                        ; implicit-def: $vgpr7
.LBB135_1151:
	s_branch .LBB135_1167
.LBB135_1152:
	s_cmp_lt_i32 s13, 27
	s_cbranch_scc1 .LBB135_1155
; %bb.1153:
	s_cmp_gt_i32 s13, 27
	s_cbranch_scc0 .LBB135_1156
; %bb.1154:
	global_load_dword v7, v[12:13], off
	s_mov_b64 s[2:3], 0
	s_branch .LBB135_1157
.LBB135_1155:
	s_mov_b64 s[2:3], -1
                                        ; implicit-def: $vgpr7
	s_branch .LBB135_1160
.LBB135_1156:
	s_mov_b64 s[2:3], -1
                                        ; implicit-def: $vgpr7
.LBB135_1157:
	s_andn2_b64 vcc, exec, s[2:3]
	s_cbranch_vccnz .LBB135_1159
; %bb.1158:
	global_load_ushort v7, v[12:13], off
.LBB135_1159:
	s_mov_b64 s[2:3], 0
.LBB135_1160:
	s_andn2_b64 vcc, exec, s[2:3]
	s_cbranch_vccnz .LBB135_1166
; %bb.1161:
	global_load_ubyte v1, v[12:13], off
	s_movk_i32 s2, 0x7f
	s_mov_b64 s[6:7], 0
	s_waitcnt vmcnt(0)
	v_cmp_lt_i16_e32 vcc, s2, v1
	s_and_saveexec_b64 s[2:3], vcc
	s_xor_b64 s[2:3], exec, s[2:3]
	s_cbranch_execz .LBB135_1177
; %bb.1162:
	s_movk_i32 s6, 0x80
	v_cmp_ne_u16_e32 vcc, s6, v1
	s_and_b64 s[6:7], vcc, exec
	s_andn2_saveexec_b64 s[2:3], s[2:3]
	s_cbranch_execnz .LBB135_1178
.LBB135_1163:
	s_or_b64 exec, exec, s[2:3]
	v_mov_b32_e32 v7, 0
	s_and_saveexec_b64 s[2:3], s[6:7]
	s_cbranch_execz .LBB135_1165
.LBB135_1164:
	v_lshlrev_b32_e32 v3, 24, v1
	v_and_b32_e32 v1, 0xffff, v1
	v_and_b32_e32 v5, 7, v1
	v_ffbh_u32_e32 v8, v5
	v_min_u32_e32 v8, 32, v8
	v_subrev_u32_e32 v14, 28, v8
	v_bfe_u32 v7, v1, 3, 4
	v_lshlrev_b32_e32 v1, v14, v1
	v_sub_u32_e32 v8, 29, v8
	v_and_b32_e32 v1, 7, v1
	v_cmp_eq_u32_e32 vcc, 0, v7
	v_cndmask_b32_e32 v7, v7, v8, vcc
	v_cndmask_b32_e32 v1, v5, v1, vcc
	v_mov_b32_e32 v5, 0x3b800000
	v_lshlrev_b32_e32 v1, 20, v1
	v_and_b32_e32 v3, 0x80000000, v3
	v_lshl_add_u32 v5, v7, 23, v5
	v_or3_b32 v1, v3, v5, v1
	v_trunc_f32_e32 v1, v1
	s_mov_b32 s6, 0x2f800000
	v_mul_f32_e64 v3, |v1|, s6
	v_floor_f32_e32 v3, v3
	s_mov_b32 s6, 0xcf800000
	v_fma_f32 v3, v3, s6, |v1|
	v_cvt_u32_f32_e32 v3, v3
	v_ashrrev_i32_e32 v1, 31, v1
	v_xor_b32_e32 v3, v3, v1
	v_sub_u32_e32 v7, v3, v1
.LBB135_1165:
	s_or_b64 exec, exec, s[2:3]
.LBB135_1166:
	s_mov_b64 s[6:7], -1
.LBB135_1167:
	s_branch .LBB135_1197
.LBB135_1168:
	s_cmp_gt_i32 s13, 22
	s_cbranch_scc0 .LBB135_1176
; %bb.1169:
	s_cmp_lt_i32 s13, 24
	s_cbranch_scc1 .LBB135_1179
; %bb.1170:
	s_cmp_gt_i32 s13, 24
	s_cbranch_scc0 .LBB135_1180
; %bb.1171:
	global_load_ubyte v1, v[12:13], off
	s_movk_i32 s2, 0x7f
	s_waitcnt vmcnt(0)
	v_cmp_lt_i16_e32 vcc, s2, v1
	s_and_saveexec_b64 s[2:3], vcc
	s_xor_b64 s[2:3], exec, s[2:3]
	s_cbranch_execz .LBB135_1191
; %bb.1172:
	s_movk_i32 s4, 0x80
	v_cmp_ne_u16_e32 vcc, s4, v1
	s_and_b64 s[4:5], vcc, exec
	s_andn2_saveexec_b64 s[2:3], s[2:3]
	s_cbranch_execnz .LBB135_1192
.LBB135_1173:
	s_or_b64 exec, exec, s[2:3]
	v_mov_b32_e32 v7, 0
	s_and_saveexec_b64 s[2:3], s[4:5]
	s_cbranch_execz .LBB135_1175
.LBB135_1174:
	v_lshlrev_b32_e32 v3, 24, v1
	v_and_b32_e32 v1, 0xffff, v1
	v_and_b32_e32 v5, 3, v1
	v_ffbh_u32_e32 v8, v5
	v_min_u32_e32 v8, 32, v8
	v_subrev_u32_e32 v14, 29, v8
	v_bfe_u32 v7, v1, 2, 5
	v_lshlrev_b32_e32 v1, v14, v1
	v_sub_u32_e32 v8, 30, v8
	v_and_b32_e32 v1, 3, v1
	v_cmp_eq_u32_e32 vcc, 0, v7
	v_cndmask_b32_e32 v7, v7, v8, vcc
	v_cndmask_b32_e32 v1, v5, v1, vcc
	v_mov_b32_e32 v5, 0x37800000
	v_lshlrev_b32_e32 v1, 21, v1
	v_and_b32_e32 v3, 0x80000000, v3
	v_lshl_add_u32 v5, v7, 23, v5
	v_or3_b32 v1, v3, v5, v1
	v_trunc_f32_e32 v1, v1
	s_mov_b32 s4, 0x2f800000
	v_mul_f32_e64 v3, |v1|, s4
	v_floor_f32_e32 v3, v3
	s_mov_b32 s4, 0xcf800000
	v_fma_f32 v3, v3, s4, |v1|
	v_cvt_u32_f32_e32 v3, v3
	v_ashrrev_i32_e32 v1, 31, v1
	v_xor_b32_e32 v3, v3, v1
	v_sub_u32_e32 v7, v3, v1
.LBB135_1175:
	s_or_b64 exec, exec, s[2:3]
	s_mov_b64 s[2:3], 0
	s_branch .LBB135_1181
.LBB135_1176:
                                        ; implicit-def: $vgpr7
	s_mov_b64 s[4:5], 0
	s_branch .LBB135_1187
.LBB135_1177:
	s_andn2_saveexec_b64 s[2:3], s[2:3]
	s_cbranch_execz .LBB135_1163
.LBB135_1178:
	v_cmp_ne_u16_e32 vcc, 0, v1
	s_andn2_b64 s[6:7], s[6:7], exec
	s_and_b64 s[14:15], vcc, exec
	s_or_b64 s[6:7], s[6:7], s[14:15]
	s_or_b64 exec, exec, s[2:3]
	v_mov_b32_e32 v7, 0
	s_and_saveexec_b64 s[2:3], s[6:7]
	s_cbranch_execnz .LBB135_1164
	s_branch .LBB135_1165
.LBB135_1179:
	s_mov_b64 s[2:3], -1
                                        ; implicit-def: $vgpr7
	s_branch .LBB135_1184
.LBB135_1180:
	s_mov_b64 s[2:3], -1
                                        ; implicit-def: $vgpr7
.LBB135_1181:
	s_and_b64 vcc, exec, s[2:3]
	s_cbranch_vccz .LBB135_1183
; %bb.1182:
	global_load_ubyte v1, v[12:13], off
	s_mov_b32 s2, 0x7f800000
	s_brev_b32 s3, 1
	s_mov_b32 s4, 0x2f800000
	s_waitcnt vmcnt(0)
	v_lshlrev_b32_e32 v1, 24, v1
	v_and_b32_e32 v3, 0x7f000000, v1
	v_ffbh_u32_e32 v5, v3
	v_min_u32_e32 v5, 32, v5
	v_sub_u32_e64 v5, v5, 4 clamp
	v_lshlrev_b32_e32 v8, v5, v3
	v_lshlrev_b32_e32 v5, 23, v5
	v_lshrrev_b32_e32 v8, 4, v8
	v_add_u32_e32 v7, 0x1000000, v3
	v_sub_u32_e32 v5, v8, v5
	v_ashrrev_i32_e32 v7, 8, v7
	v_add_u32_e32 v5, 0x3c000000, v5
	v_and_or_b32 v5, v7, s2, v5
	v_cmp_ne_u32_e32 vcc, 0, v3
	v_cndmask_b32_e32 v3, 0, v5, vcc
	v_and_or_b32 v1, v1, s3, v3
	v_trunc_f32_e32 v1, v1
	v_mul_f32_e64 v3, |v1|, s4
	v_floor_f32_e32 v3, v3
	s_mov_b32 s2, 0xcf800000
	v_fma_f32 v3, v3, s2, |v1|
	v_cvt_u32_f32_e32 v3, v3
	v_ashrrev_i32_e32 v1, 31, v1
	v_xor_b32_e32 v3, v3, v1
	v_sub_u32_e32 v7, v3, v1
.LBB135_1183:
	s_mov_b64 s[2:3], 0
.LBB135_1184:
	s_andn2_b64 vcc, exec, s[2:3]
	s_cbranch_vccnz .LBB135_1186
; %bb.1185:
	global_load_ubyte v1, v[12:13], off
	s_movk_i32 s2, 0x7f00
	s_brev_b32 s3, 16
	s_brev_b32 s4, 1
	s_mov_b32 s5, 0x2f800000
	s_waitcnt vmcnt(0)
	v_lshlrev_b16_e32 v3, 8, v1
	v_lshlrev_b32_e32 v1, 25, v1
	v_lshrrev_b32_e32 v5, 4, v1
	v_and_or_b32 v7, v3, s2, 0.5
	v_or_b32_e32 v5, 0x70000000, v5
	v_add_f32_e32 v7, -0.5, v7
	v_mul_f32_e32 v5, 0x7800000, v5
	v_cmp_gt_u32_e32 vcc, s3, v1
	v_bfe_i32 v3, v3, 0, 16
	v_cndmask_b32_e32 v1, v5, v7, vcc
	v_and_or_b32 v1, v3, s4, v1
	v_trunc_f32_e32 v1, v1
	v_mul_f32_e64 v3, |v1|, s5
	v_floor_f32_e32 v3, v3
	s_mov_b32 s2, 0xcf800000
	v_fma_f32 v3, v3, s2, |v1|
	v_cvt_u32_f32_e32 v3, v3
	v_ashrrev_i32_e32 v1, 31, v1
	v_xor_b32_e32 v3, v3, v1
	v_sub_u32_e32 v7, v3, v1
.LBB135_1186:
	s_mov_b64 s[6:7], -1
	s_mov_b64 s[4:5], 0
	s_cbranch_execnz .LBB135_1197
.LBB135_1187:
	s_cmp_gt_i32 s13, 14
	s_cbranch_scc0 .LBB135_1190
; %bb.1188:
	s_cmp_eq_u32 s13, 15
	s_cbranch_scc0 .LBB135_1193
; %bb.1189:
	global_load_ushort v1, v[12:13], off
	s_mov_b32 s0, 0x2f800000
	s_mov_b32 s1, 0xcf800000
	s_mov_b64 s[6:7], -1
	s_waitcnt vmcnt(0)
	v_lshlrev_b32_e32 v1, 16, v1
	v_trunc_f32_e32 v1, v1
	v_mul_f32_e64 v3, |v1|, s0
	v_floor_f32_e32 v3, v3
	v_fma_f32 v3, v3, s1, |v1|
	v_cvt_u32_f32_e32 v3, v3
	v_ashrrev_i32_e32 v1, 31, v1
	s_mov_b64 s[0:1], 0
	v_xor_b32_e32 v3, v3, v1
	v_sub_u32_e32 v7, v3, v1
	s_branch .LBB135_1194
.LBB135_1190:
	s_mov_b64 s[2:3], -1
                                        ; implicit-def: $vgpr7
	s_branch .LBB135_1195
.LBB135_1191:
	s_andn2_saveexec_b64 s[2:3], s[2:3]
	s_cbranch_execz .LBB135_1173
.LBB135_1192:
	v_cmp_ne_u16_e32 vcc, 0, v1
	s_andn2_b64 s[4:5], s[4:5], exec
	s_and_b64 s[6:7], vcc, exec
	s_or_b64 s[4:5], s[4:5], s[6:7]
	s_or_b64 exec, exec, s[2:3]
	v_mov_b32_e32 v7, 0
	s_and_saveexec_b64 s[2:3], s[4:5]
	s_cbranch_execnz .LBB135_1174
	s_branch .LBB135_1175
.LBB135_1193:
	s_mov_b64 s[0:1], -1
                                        ; implicit-def: $vgpr7
.LBB135_1194:
	s_mov_b64 s[2:3], 0
.LBB135_1195:
	s_and_b64 vcc, exec, s[2:3]
	s_cbranch_vccz .LBB135_1197
; %bb.1196:
	s_cmp_lg_u32 s13, 11
	s_mov_b64 s[4:5], -1
	s_cselect_b64 s[0:1], -1, 0
.LBB135_1197:
	s_and_b64 vcc, exec, s[0:1]
	s_mov_b64 s[2:3], s[28:29]
	s_cbranch_vccnz .LBB135_1258
; %bb.1198:
	s_andn2_b64 vcc, exec, s[4:5]
	s_cbranch_vccnz .LBB135_1200
.LBB135_1199:
	global_load_ubyte v1, v[12:13], off
	s_mov_b64 s[6:7], -1
	s_waitcnt vmcnt(0)
	v_cmp_ne_u16_e32 vcc, 0, v1
	v_cndmask_b32_e64 v7, 0, 1, vcc
.LBB135_1200:
	s_branch .LBB135_1135
.LBB135_1201:
	s_and_b32 s4, 0xffff, s12
	s_cmp_lt_i32 s4, 5
	s_cbranch_scc1 .LBB135_1206
; %bb.1202:
	s_cmp_lt_i32 s4, 8
	s_cbranch_scc1 .LBB135_1207
; %bb.1203:
	;; [unrolled: 3-line block ×3, first 2 shown]
	s_cmp_gt_i32 s4, 9
	s_cbranch_scc0 .LBB135_1209
; %bb.1205:
	global_load_dwordx2 v[7:8], v[12:13], off
	s_movk_i32 s0, 0xffe0
	s_waitcnt vmcnt(0)
	v_trunc_f64_e32 v[7:8], v[7:8]
	v_ldexp_f64 v[14:15], v[7:8], s0
	s_mov_b32 s0, 0
	s_mov_b32 s1, 0xc1f00000
	v_floor_f64_e32 v[14:15], v[14:15]
	v_fma_f64 v[7:8], v[14:15], s[0:1], v[7:8]
	s_mov_b64 s[0:1], 0
	v_cvt_u32_f64_e32 v7, v[7:8]
	s_branch .LBB135_1210
.LBB135_1206:
                                        ; implicit-def: $vgpr7
	s_branch .LBB135_1227
.LBB135_1207:
                                        ; implicit-def: $vgpr7
	s_branch .LBB135_1216
.LBB135_1208:
	s_mov_b64 s[0:1], -1
                                        ; implicit-def: $vgpr7
	s_branch .LBB135_1213
.LBB135_1209:
	s_mov_b64 s[0:1], -1
                                        ; implicit-def: $vgpr7
.LBB135_1210:
	s_andn2_b64 vcc, exec, s[0:1]
	s_cbranch_vccnz .LBB135_1212
; %bb.1211:
	global_load_dword v1, v[12:13], off
	s_mov_b32 s0, 0x2f800000
	s_waitcnt vmcnt(0)
	v_trunc_f32_e32 v1, v1
	v_mul_f32_e64 v3, |v1|, s0
	v_floor_f32_e32 v3, v3
	s_mov_b32 s0, 0xcf800000
	v_fma_f32 v3, v3, s0, |v1|
	v_cvt_u32_f32_e32 v3, v3
	v_ashrrev_i32_e32 v1, 31, v1
	v_xor_b32_e32 v3, v3, v1
	v_sub_u32_e32 v7, v3, v1
.LBB135_1212:
	s_mov_b64 s[0:1], 0
.LBB135_1213:
	s_andn2_b64 vcc, exec, s[0:1]
	s_cbranch_vccnz .LBB135_1215
; %bb.1214:
	global_load_dword v1, v[12:13], off
	s_waitcnt vmcnt(0)
	v_cvt_f32_f16_e32 v1, v1
	v_cvt_i32_f32_e32 v7, v1
.LBB135_1215:
	s_cbranch_execnz .LBB135_1226
.LBB135_1216:
	s_cmp_lt_i32 s4, 6
	s_cbranch_scc1 .LBB135_1219
; %bb.1217:
	s_cmp_gt_i32 s4, 6
	s_cbranch_scc0 .LBB135_1220
; %bb.1218:
	global_load_dwordx2 v[7:8], v[12:13], off
	s_movk_i32 s0, 0xffe0
	s_waitcnt vmcnt(0)
	v_trunc_f64_e32 v[7:8], v[7:8]
	v_ldexp_f64 v[14:15], v[7:8], s0
	s_mov_b32 s0, 0
	s_mov_b32 s1, 0xc1f00000
	v_floor_f64_e32 v[14:15], v[14:15]
	v_fma_f64 v[7:8], v[14:15], s[0:1], v[7:8]
	s_mov_b64 s[0:1], 0
	v_cvt_u32_f64_e32 v7, v[7:8]
	s_branch .LBB135_1221
.LBB135_1219:
	s_mov_b64 s[0:1], -1
                                        ; implicit-def: $vgpr7
	s_branch .LBB135_1224
.LBB135_1220:
	s_mov_b64 s[0:1], -1
                                        ; implicit-def: $vgpr7
.LBB135_1221:
	s_andn2_b64 vcc, exec, s[0:1]
	s_cbranch_vccnz .LBB135_1223
; %bb.1222:
	global_load_dword v1, v[12:13], off
	s_mov_b32 s0, 0x2f800000
	s_waitcnt vmcnt(0)
	v_trunc_f32_e32 v1, v1
	v_mul_f32_e64 v3, |v1|, s0
	v_floor_f32_e32 v3, v3
	s_mov_b32 s0, 0xcf800000
	v_fma_f32 v3, v3, s0, |v1|
	v_cvt_u32_f32_e32 v3, v3
	v_ashrrev_i32_e32 v1, 31, v1
	v_xor_b32_e32 v3, v3, v1
	v_sub_u32_e32 v7, v3, v1
.LBB135_1223:
	s_mov_b64 s[0:1], 0
.LBB135_1224:
	s_andn2_b64 vcc, exec, s[0:1]
	s_cbranch_vccnz .LBB135_1226
; %bb.1225:
	global_load_ushort v1, v[12:13], off
	s_waitcnt vmcnt(0)
	v_cvt_f32_f16_e32 v1, v1
	v_cvt_i32_f32_e32 v7, v1
.LBB135_1226:
	s_cbranch_execnz .LBB135_1245
.LBB135_1227:
	s_cmp_lt_i32 s4, 2
	s_cbranch_scc1 .LBB135_1231
; %bb.1228:
	s_cmp_lt_i32 s4, 3
	s_cbranch_scc1 .LBB135_1232
; %bb.1229:
	s_cmp_gt_i32 s4, 3
	s_cbranch_scc0 .LBB135_1233
; %bb.1230:
	global_load_dwordx2 v[7:8], v[12:13], off
	s_mov_b64 s[0:1], 0
	s_branch .LBB135_1234
.LBB135_1231:
                                        ; implicit-def: $vgpr7
	s_branch .LBB135_1240
.LBB135_1232:
	s_mov_b64 s[0:1], -1
                                        ; implicit-def: $vgpr7
	s_branch .LBB135_1237
.LBB135_1233:
	s_mov_b64 s[0:1], -1
                                        ; implicit-def: $vgpr7
.LBB135_1234:
	s_andn2_b64 vcc, exec, s[0:1]
	s_cbranch_vccnz .LBB135_1236
; %bb.1235:
	global_load_dword v7, v[12:13], off
.LBB135_1236:
	s_mov_b64 s[0:1], 0
.LBB135_1237:
	s_andn2_b64 vcc, exec, s[0:1]
	s_cbranch_vccnz .LBB135_1239
; %bb.1238:
	global_load_ushort v7, v[12:13], off
.LBB135_1239:
	s_cbranch_execnz .LBB135_1245
.LBB135_1240:
	s_cmp_gt_i32 s4, 0
	s_cbranch_scc0 .LBB135_1242
; %bb.1241:
	global_load_ubyte v7, v[12:13], off
	s_mov_b64 s[0:1], 0
	s_branch .LBB135_1243
.LBB135_1242:
	s_mov_b64 s[0:1], -1
                                        ; implicit-def: $vgpr7
.LBB135_1243:
	s_andn2_b64 vcc, exec, s[0:1]
	s_cbranch_vccnz .LBB135_1245
; %bb.1244:
	global_load_ubyte v7, v[12:13], off
.LBB135_1245:
.LBB135_1246:
	v_mov_b32_e32 v1, s11
	s_and_b32 s14, 0xffff, s12
	v_add_co_u32_e32 v12, vcc, s10, v9
	s_cmp_lt_i32 s14, 11
	v_addc_co_u32_e32 v13, vcc, 0, v1, vcc
	s_cbranch_scc1 .LBB135_1253
; %bb.1247:
	s_cmp_gt_i32 s14, 25
	s_mov_b64 s[4:5], 0
	s_cbranch_scc0 .LBB135_1255
; %bb.1248:
	s_cmp_gt_i32 s14, 28
	s_cbranch_scc0 .LBB135_1256
; %bb.1249:
	s_cmp_gt_i32 s14, 43
	;; [unrolled: 3-line block ×3, first 2 shown]
	s_cbranch_scc0 .LBB135_1259
; %bb.1251:
	s_cmp_eq_u32 s14, 46
	s_mov_b64 s[12:13], 0
	s_cbranch_scc0 .LBB135_1262
; %bb.1252:
	global_load_dword v1, v[12:13], off
	s_mov_b32 s0, 0x2f800000
	s_mov_b32 s1, 0xcf800000
	s_mov_b64 s[6:7], -1
	s_waitcnt vmcnt(0)
	v_lshlrev_b32_e32 v1, 16, v1
	v_trunc_f32_e32 v1, v1
	v_mul_f32_e64 v3, |v1|, s0
	v_floor_f32_e32 v3, v3
	v_fma_f32 v3, v3, s1, |v1|
	v_cvt_u32_f32_e32 v3, v3
	v_ashrrev_i32_e32 v1, 31, v1
	s_mov_b64 s[0:1], 0
	v_xor_b32_e32 v3, v3, v1
	v_sub_u32_e32 v8, v3, v1
	s_branch .LBB135_1263
.LBB135_1253:
	s_mov_b64 s[6:7], 0
                                        ; implicit-def: $vgpr8
	s_cbranch_execnz .LBB135_1324
.LBB135_1254:
	s_andn2_b64 vcc, exec, s[6:7]
	s_cbranch_vccnz .LBB135_2055
	s_branch .LBB135_1371
.LBB135_1255:
	s_mov_b64 s[6:7], 0
	s_mov_b64 s[0:1], 0
                                        ; implicit-def: $vgpr8
	s_cbranch_execnz .LBB135_1290
	s_branch .LBB135_1320
.LBB135_1256:
	s_mov_b64 s[12:13], -1
	s_mov_b64 s[6:7], 0
	s_mov_b64 s[0:1], 0
                                        ; implicit-def: $vgpr8
	s_branch .LBB135_1273
.LBB135_1257:
	s_mov_b64 s[12:13], -1
	s_mov_b64 s[6:7], 0
	s_mov_b64 s[0:1], 0
                                        ; implicit-def: $vgpr8
	s_branch .LBB135_1268
.LBB135_1258:
	s_or_b64 s[2:3], s[28:29], exec
	s_trap 2
	s_cbranch_execz .LBB135_1199
	s_branch .LBB135_1200
.LBB135_1259:
	s_mov_b64 s[12:13], -1
	s_mov_b64 s[6:7], 0
	s_mov_b64 s[0:1], 0
                                        ; implicit-def: $vgpr8
	s_branch .LBB135_1263
.LBB135_1260:
	s_andn2_saveexec_b64 s[16:17], s[16:17]
	s_cbranch_execz .LBB135_991
.LBB135_1261:
	v_add_f32_e32 v0, 0x42800000, v3
	v_and_b32_e32 v0, 0xff, v0
	v_cmp_ne_u32_e32 vcc, 0, v0
	s_andn2_b64 s[14:15], s[14:15], exec
	s_and_b64 s[20:21], vcc, exec
	s_or_b64 s[14:15], s[14:15], s[20:21]
	s_or_b64 exec, exec, s[16:17]
	v_mov_b32_e32 v5, 0
	s_and_saveexec_b64 s[16:17], s[14:15]
	s_cbranch_execnz .LBB135_992
	s_branch .LBB135_993
.LBB135_1262:
	s_mov_b64 s[0:1], -1
                                        ; implicit-def: $vgpr8
	s_mov_b64 s[6:7], 0
.LBB135_1263:
	s_and_b64 vcc, exec, s[12:13]
	s_cbranch_vccz .LBB135_1267
; %bb.1264:
	s_cmp_eq_u32 s14, 44
	s_cbranch_scc0 .LBB135_1266
; %bb.1265:
	global_load_ubyte v1, v[12:13], off
	s_mov_b32 s0, 0x2f800000
	s_mov_b32 s1, 0xcf800000
	s_mov_b64 s[6:7], -1
	s_waitcnt vmcnt(0)
	v_lshlrev_b32_e32 v3, 23, v1
	v_trunc_f32_e32 v3, v3
	v_mul_f32_e64 v5, |v3|, s0
	v_floor_f32_e32 v5, v5
	v_fma_f32 v5, v5, s1, |v3|
	v_cvt_u32_f32_e32 v5, v5
	v_ashrrev_i32_e32 v3, 31, v3
	v_cmp_ne_u32_e32 vcc, 0, v1
	s_mov_b64 s[0:1], 0
	v_xor_b32_e32 v5, v5, v3
	v_sub_u32_e32 v3, v5, v3
	v_cndmask_b32_e32 v8, 0, v3, vcc
	s_branch .LBB135_1267
.LBB135_1266:
	s_mov_b64 s[0:1], -1
                                        ; implicit-def: $vgpr8
.LBB135_1267:
	s_mov_b64 s[12:13], 0
.LBB135_1268:
	s_and_b64 vcc, exec, s[12:13]
	s_cbranch_vccz .LBB135_1272
; %bb.1269:
	s_cmp_eq_u32 s14, 29
	s_cbranch_scc0 .LBB135_1271
; %bb.1270:
	global_load_dwordx2 v[8:9], v[12:13], off
	s_mov_b64 s[0:1], 0
	s_mov_b64 s[6:7], -1
	s_branch .LBB135_1272
.LBB135_1271:
	s_mov_b64 s[0:1], -1
                                        ; implicit-def: $vgpr8
.LBB135_1272:
	s_mov_b64 s[12:13], 0
.LBB135_1273:
	s_and_b64 vcc, exec, s[12:13]
	s_cbranch_vccz .LBB135_1289
; %bb.1274:
	s_cmp_lt_i32 s14, 27
	s_cbranch_scc1 .LBB135_1277
; %bb.1275:
	s_cmp_gt_i32 s14, 27
	s_cbranch_scc0 .LBB135_1278
; %bb.1276:
	global_load_dword v8, v[12:13], off
	s_mov_b64 s[6:7], 0
	s_branch .LBB135_1279
.LBB135_1277:
	s_mov_b64 s[6:7], -1
                                        ; implicit-def: $vgpr8
	s_branch .LBB135_1282
.LBB135_1278:
	s_mov_b64 s[6:7], -1
                                        ; implicit-def: $vgpr8
.LBB135_1279:
	s_andn2_b64 vcc, exec, s[6:7]
	s_cbranch_vccnz .LBB135_1281
; %bb.1280:
	global_load_ushort v8, v[12:13], off
.LBB135_1281:
	s_mov_b64 s[6:7], 0
.LBB135_1282:
	s_andn2_b64 vcc, exec, s[6:7]
	s_cbranch_vccnz .LBB135_1288
; %bb.1283:
	global_load_ubyte v1, v[12:13], off
	s_movk_i32 s6, 0x7f
	s_mov_b64 s[12:13], 0
	s_waitcnt vmcnt(0)
	v_cmp_lt_i16_e32 vcc, s6, v1
	s_and_saveexec_b64 s[6:7], vcc
	s_xor_b64 s[6:7], exec, s[6:7]
	s_cbranch_execz .LBB135_1299
; %bb.1284:
	s_movk_i32 s12, 0x80
	v_cmp_ne_u16_e32 vcc, s12, v1
	s_and_b64 s[12:13], vcc, exec
	s_andn2_saveexec_b64 s[6:7], s[6:7]
	s_cbranch_execnz .LBB135_1300
.LBB135_1285:
	s_or_b64 exec, exec, s[6:7]
	v_mov_b32_e32 v8, 0
	s_and_saveexec_b64 s[6:7], s[12:13]
	s_cbranch_execz .LBB135_1287
.LBB135_1286:
	v_lshlrev_b32_e32 v3, 24, v1
	v_and_b32_e32 v1, 0xffff, v1
	v_and_b32_e32 v5, 7, v1
	v_ffbh_u32_e32 v9, v5
	v_min_u32_e32 v9, 32, v9
	v_subrev_u32_e32 v14, 28, v9
	v_bfe_u32 v8, v1, 3, 4
	v_lshlrev_b32_e32 v1, v14, v1
	v_sub_u32_e32 v9, 29, v9
	v_and_b32_e32 v1, 7, v1
	v_cmp_eq_u32_e32 vcc, 0, v8
	v_cndmask_b32_e32 v8, v8, v9, vcc
	v_cndmask_b32_e32 v1, v5, v1, vcc
	v_mov_b32_e32 v5, 0x3b800000
	v_lshlrev_b32_e32 v1, 20, v1
	v_and_b32_e32 v3, 0x80000000, v3
	v_lshl_add_u32 v5, v8, 23, v5
	v_or3_b32 v1, v3, v5, v1
	v_trunc_f32_e32 v1, v1
	s_mov_b32 s12, 0x2f800000
	v_mul_f32_e64 v3, |v1|, s12
	v_floor_f32_e32 v3, v3
	s_mov_b32 s12, 0xcf800000
	v_fma_f32 v3, v3, s12, |v1|
	v_cvt_u32_f32_e32 v3, v3
	v_ashrrev_i32_e32 v1, 31, v1
	v_xor_b32_e32 v3, v3, v1
	v_sub_u32_e32 v8, v3, v1
.LBB135_1287:
	s_or_b64 exec, exec, s[6:7]
.LBB135_1288:
	s_mov_b64 s[6:7], -1
.LBB135_1289:
	s_branch .LBB135_1320
.LBB135_1290:
	s_cmp_gt_i32 s14, 22
	s_cbranch_scc0 .LBB135_1298
; %bb.1291:
	s_cmp_lt_i32 s14, 24
	s_cbranch_scc1 .LBB135_1301
; %bb.1292:
	s_cmp_gt_i32 s14, 24
	s_cbranch_scc0 .LBB135_1302
; %bb.1293:
	global_load_ubyte v1, v[12:13], off
	s_movk_i32 s4, 0x7f
	s_mov_b64 s[6:7], 0
	s_waitcnt vmcnt(0)
	v_cmp_lt_i16_e32 vcc, s4, v1
	s_and_saveexec_b64 s[4:5], vcc
	s_xor_b64 s[4:5], exec, s[4:5]
	s_cbranch_execz .LBB135_1314
; %bb.1294:
	s_movk_i32 s6, 0x80
	v_cmp_ne_u16_e32 vcc, s6, v1
	s_and_b64 s[6:7], vcc, exec
	s_andn2_saveexec_b64 s[4:5], s[4:5]
	s_cbranch_execnz .LBB135_1315
.LBB135_1295:
	s_or_b64 exec, exec, s[4:5]
	v_mov_b32_e32 v8, 0
	s_and_saveexec_b64 s[4:5], s[6:7]
	s_cbranch_execz .LBB135_1297
.LBB135_1296:
	v_lshlrev_b32_e32 v3, 24, v1
	v_and_b32_e32 v1, 0xffff, v1
	v_and_b32_e32 v5, 3, v1
	v_ffbh_u32_e32 v9, v5
	v_min_u32_e32 v9, 32, v9
	v_subrev_u32_e32 v14, 29, v9
	v_bfe_u32 v8, v1, 2, 5
	v_lshlrev_b32_e32 v1, v14, v1
	v_sub_u32_e32 v9, 30, v9
	v_and_b32_e32 v1, 3, v1
	v_cmp_eq_u32_e32 vcc, 0, v8
	v_cndmask_b32_e32 v8, v8, v9, vcc
	v_cndmask_b32_e32 v1, v5, v1, vcc
	v_mov_b32_e32 v5, 0x37800000
	v_lshlrev_b32_e32 v1, 21, v1
	v_and_b32_e32 v3, 0x80000000, v3
	v_lshl_add_u32 v5, v8, 23, v5
	v_or3_b32 v1, v3, v5, v1
	v_trunc_f32_e32 v1, v1
	s_mov_b32 s6, 0x2f800000
	v_mul_f32_e64 v3, |v1|, s6
	v_floor_f32_e32 v3, v3
	s_mov_b32 s6, 0xcf800000
	v_fma_f32 v3, v3, s6, |v1|
	v_cvt_u32_f32_e32 v3, v3
	v_ashrrev_i32_e32 v1, 31, v1
	v_xor_b32_e32 v3, v3, v1
	v_sub_u32_e32 v8, v3, v1
.LBB135_1297:
	s_or_b64 exec, exec, s[4:5]
	s_mov_b64 s[4:5], 0
	s_branch .LBB135_1303
.LBB135_1298:
	s_mov_b64 s[4:5], -1
                                        ; implicit-def: $vgpr8
	s_branch .LBB135_1309
.LBB135_1299:
	s_andn2_saveexec_b64 s[6:7], s[6:7]
	s_cbranch_execz .LBB135_1285
.LBB135_1300:
	v_cmp_ne_u16_e32 vcc, 0, v1
	s_andn2_b64 s[12:13], s[12:13], exec
	s_and_b64 s[18:19], vcc, exec
	s_or_b64 s[12:13], s[12:13], s[18:19]
	s_or_b64 exec, exec, s[6:7]
	v_mov_b32_e32 v8, 0
	s_and_saveexec_b64 s[6:7], s[12:13]
	s_cbranch_execnz .LBB135_1286
	s_branch .LBB135_1287
.LBB135_1301:
	s_mov_b64 s[4:5], -1
                                        ; implicit-def: $vgpr8
	s_branch .LBB135_1306
.LBB135_1302:
	s_mov_b64 s[4:5], -1
                                        ; implicit-def: $vgpr8
.LBB135_1303:
	s_and_b64 vcc, exec, s[4:5]
	s_cbranch_vccz .LBB135_1305
; %bb.1304:
	global_load_ubyte v1, v[12:13], off
	s_mov_b32 s4, 0x7f800000
	s_brev_b32 s5, 1
	s_mov_b32 s6, 0x2f800000
	s_waitcnt vmcnt(0)
	v_lshlrev_b32_e32 v1, 24, v1
	v_and_b32_e32 v3, 0x7f000000, v1
	v_ffbh_u32_e32 v5, v3
	v_min_u32_e32 v5, 32, v5
	v_sub_u32_e64 v5, v5, 4 clamp
	v_lshlrev_b32_e32 v9, v5, v3
	v_lshlrev_b32_e32 v5, 23, v5
	v_lshrrev_b32_e32 v9, 4, v9
	v_add_u32_e32 v8, 0x1000000, v3
	v_sub_u32_e32 v5, v9, v5
	v_ashrrev_i32_e32 v8, 8, v8
	v_add_u32_e32 v5, 0x3c000000, v5
	v_and_or_b32 v5, v8, s4, v5
	v_cmp_ne_u32_e32 vcc, 0, v3
	v_cndmask_b32_e32 v3, 0, v5, vcc
	v_and_or_b32 v1, v1, s5, v3
	v_trunc_f32_e32 v1, v1
	v_mul_f32_e64 v3, |v1|, s6
	v_floor_f32_e32 v3, v3
	s_mov_b32 s4, 0xcf800000
	v_fma_f32 v3, v3, s4, |v1|
	v_cvt_u32_f32_e32 v3, v3
	v_ashrrev_i32_e32 v1, 31, v1
	v_xor_b32_e32 v3, v3, v1
	v_sub_u32_e32 v8, v3, v1
.LBB135_1305:
	s_mov_b64 s[4:5], 0
.LBB135_1306:
	s_andn2_b64 vcc, exec, s[4:5]
	s_cbranch_vccnz .LBB135_1308
; %bb.1307:
	global_load_ubyte v1, v[12:13], off
	s_movk_i32 s4, 0x7f00
	s_brev_b32 s5, 16
	s_brev_b32 s6, 1
	s_mov_b32 s7, 0x2f800000
	s_waitcnt vmcnt(0)
	v_lshlrev_b16_e32 v3, 8, v1
	v_lshlrev_b32_e32 v1, 25, v1
	v_lshrrev_b32_e32 v5, 4, v1
	v_and_or_b32 v8, v3, s4, 0.5
	v_or_b32_e32 v5, 0x70000000, v5
	v_add_f32_e32 v8, -0.5, v8
	v_mul_f32_e32 v5, 0x7800000, v5
	v_cmp_gt_u32_e32 vcc, s5, v1
	v_bfe_i32 v3, v3, 0, 16
	v_cndmask_b32_e32 v1, v5, v8, vcc
	v_and_or_b32 v1, v3, s6, v1
	v_trunc_f32_e32 v1, v1
	v_mul_f32_e64 v3, |v1|, s7
	v_floor_f32_e32 v3, v3
	s_mov_b32 s4, 0xcf800000
	v_fma_f32 v3, v3, s4, |v1|
	v_cvt_u32_f32_e32 v3, v3
	v_ashrrev_i32_e32 v1, 31, v1
	v_xor_b32_e32 v3, v3, v1
	v_sub_u32_e32 v8, v3, v1
.LBB135_1308:
	s_mov_b64 s[4:5], 0
	s_mov_b64 s[6:7], -1
.LBB135_1309:
	s_andn2_b64 vcc, exec, s[4:5]
	s_mov_b64 s[4:5], 0
	s_cbranch_vccnz .LBB135_1320
; %bb.1310:
	s_cmp_gt_i32 s14, 14
	s_cbranch_scc0 .LBB135_1313
; %bb.1311:
	s_cmp_eq_u32 s14, 15
	s_cbranch_scc0 .LBB135_1316
; %bb.1312:
	global_load_ushort v1, v[12:13], off
	s_mov_b32 s0, 0x2f800000
	s_mov_b32 s1, 0xcf800000
	s_mov_b64 s[6:7], -1
	s_waitcnt vmcnt(0)
	v_lshlrev_b32_e32 v1, 16, v1
	v_trunc_f32_e32 v1, v1
	v_mul_f32_e64 v3, |v1|, s0
	v_floor_f32_e32 v3, v3
	v_fma_f32 v3, v3, s1, |v1|
	v_cvt_u32_f32_e32 v3, v3
	v_ashrrev_i32_e32 v1, 31, v1
	s_mov_b64 s[0:1], 0
	v_xor_b32_e32 v3, v3, v1
	v_sub_u32_e32 v8, v3, v1
	s_branch .LBB135_1317
.LBB135_1313:
	s_mov_b64 s[12:13], -1
                                        ; implicit-def: $vgpr8
	s_branch .LBB135_1318
.LBB135_1314:
	s_andn2_saveexec_b64 s[4:5], s[4:5]
	s_cbranch_execz .LBB135_1295
.LBB135_1315:
	v_cmp_ne_u16_e32 vcc, 0, v1
	s_andn2_b64 s[6:7], s[6:7], exec
	s_and_b64 s[12:13], vcc, exec
	s_or_b64 s[6:7], s[6:7], s[12:13]
	s_or_b64 exec, exec, s[4:5]
	v_mov_b32_e32 v8, 0
	s_and_saveexec_b64 s[4:5], s[6:7]
	s_cbranch_execnz .LBB135_1296
	s_branch .LBB135_1297
.LBB135_1316:
	s_mov_b64 s[0:1], -1
                                        ; implicit-def: $vgpr8
.LBB135_1317:
	s_mov_b64 s[12:13], 0
.LBB135_1318:
	s_and_b64 vcc, exec, s[12:13]
	s_cbranch_vccz .LBB135_1320
; %bb.1319:
	s_cmp_lg_u32 s14, 11
	s_mov_b64 s[4:5], -1
	s_cselect_b64 s[0:1], -1, 0
.LBB135_1320:
	s_and_b64 vcc, exec, s[0:1]
	s_cbranch_vccnz .LBB135_1383
; %bb.1321:
	s_andn2_b64 vcc, exec, s[4:5]
	s_cbranch_vccnz .LBB135_1323
.LBB135_1322:
	global_load_ubyte v1, v[12:13], off
	s_mov_b64 s[6:7], -1
	s_waitcnt vmcnt(0)
	v_cmp_ne_u16_e32 vcc, 0, v1
	v_cndmask_b32_e64 v8, 0, 1, vcc
.LBB135_1323:
	s_branch .LBB135_1254
.LBB135_1324:
	s_cmp_lt_i32 s14, 5
	s_cbranch_scc1 .LBB135_1329
; %bb.1325:
	s_cmp_lt_i32 s14, 8
	s_cbranch_scc1 .LBB135_1330
; %bb.1326:
	;; [unrolled: 3-line block ×3, first 2 shown]
	s_cmp_gt_i32 s14, 9
	s_cbranch_scc0 .LBB135_1332
; %bb.1328:
	global_load_dwordx2 v[8:9], v[12:13], off
	s_movk_i32 s0, 0xffe0
	s_waitcnt vmcnt(0)
	v_trunc_f64_e32 v[8:9], v[8:9]
	v_ldexp_f64 v[14:15], v[8:9], s0
	s_mov_b32 s0, 0
	s_mov_b32 s1, 0xc1f00000
	v_floor_f64_e32 v[14:15], v[14:15]
	v_fma_f64 v[8:9], v[14:15], s[0:1], v[8:9]
	s_mov_b64 s[0:1], 0
	v_cvt_u32_f64_e32 v8, v[8:9]
	s_branch .LBB135_1333
.LBB135_1329:
                                        ; implicit-def: $vgpr8
	s_branch .LBB135_1351
.LBB135_1330:
	s_mov_b64 s[0:1], -1
                                        ; implicit-def: $vgpr8
	s_branch .LBB135_1339
.LBB135_1331:
	s_mov_b64 s[0:1], -1
                                        ; implicit-def: $vgpr8
	s_branch .LBB135_1336
.LBB135_1332:
	s_mov_b64 s[0:1], -1
                                        ; implicit-def: $vgpr8
.LBB135_1333:
	s_andn2_b64 vcc, exec, s[0:1]
	s_cbranch_vccnz .LBB135_1335
; %bb.1334:
	global_load_dword v1, v[12:13], off
	s_mov_b32 s0, 0x2f800000
	s_waitcnt vmcnt(0)
	v_trunc_f32_e32 v1, v1
	v_mul_f32_e64 v3, |v1|, s0
	v_floor_f32_e32 v3, v3
	s_mov_b32 s0, 0xcf800000
	v_fma_f32 v3, v3, s0, |v1|
	v_cvt_u32_f32_e32 v3, v3
	v_ashrrev_i32_e32 v1, 31, v1
	v_xor_b32_e32 v3, v3, v1
	v_sub_u32_e32 v8, v3, v1
.LBB135_1335:
	s_mov_b64 s[0:1], 0
.LBB135_1336:
	s_andn2_b64 vcc, exec, s[0:1]
	s_cbranch_vccnz .LBB135_1338
; %bb.1337:
	global_load_dword v1, v[12:13], off
	s_waitcnt vmcnt(0)
	v_cvt_f32_f16_e32 v1, v1
	v_cvt_i32_f32_e32 v8, v1
.LBB135_1338:
	s_mov_b64 s[0:1], 0
.LBB135_1339:
	s_andn2_b64 vcc, exec, s[0:1]
	s_cbranch_vccnz .LBB135_1350
; %bb.1340:
	s_cmp_lt_i32 s14, 6
	s_cbranch_scc1 .LBB135_1343
; %bb.1341:
	s_cmp_gt_i32 s14, 6
	s_cbranch_scc0 .LBB135_1344
; %bb.1342:
	global_load_dwordx2 v[8:9], v[12:13], off
	s_movk_i32 s0, 0xffe0
	s_waitcnt vmcnt(0)
	v_trunc_f64_e32 v[8:9], v[8:9]
	v_ldexp_f64 v[14:15], v[8:9], s0
	s_mov_b32 s0, 0
	s_mov_b32 s1, 0xc1f00000
	v_floor_f64_e32 v[14:15], v[14:15]
	v_fma_f64 v[8:9], v[14:15], s[0:1], v[8:9]
	s_mov_b64 s[0:1], 0
	v_cvt_u32_f64_e32 v8, v[8:9]
	s_branch .LBB135_1345
.LBB135_1343:
	s_mov_b64 s[0:1], -1
                                        ; implicit-def: $vgpr8
	s_branch .LBB135_1348
.LBB135_1344:
	s_mov_b64 s[0:1], -1
                                        ; implicit-def: $vgpr8
.LBB135_1345:
	s_andn2_b64 vcc, exec, s[0:1]
	s_cbranch_vccnz .LBB135_1347
; %bb.1346:
	global_load_dword v1, v[12:13], off
	s_mov_b32 s0, 0x2f800000
	s_waitcnt vmcnt(0)
	v_trunc_f32_e32 v1, v1
	v_mul_f32_e64 v3, |v1|, s0
	v_floor_f32_e32 v3, v3
	s_mov_b32 s0, 0xcf800000
	v_fma_f32 v3, v3, s0, |v1|
	v_cvt_u32_f32_e32 v3, v3
	v_ashrrev_i32_e32 v1, 31, v1
	v_xor_b32_e32 v3, v3, v1
	v_sub_u32_e32 v8, v3, v1
.LBB135_1347:
	s_mov_b64 s[0:1], 0
.LBB135_1348:
	s_andn2_b64 vcc, exec, s[0:1]
	s_cbranch_vccnz .LBB135_1350
; %bb.1349:
	global_load_ushort v1, v[12:13], off
	s_waitcnt vmcnt(0)
	v_cvt_f32_f16_e32 v1, v1
	v_cvt_i32_f32_e32 v8, v1
.LBB135_1350:
	s_cbranch_execnz .LBB135_1370
.LBB135_1351:
	s_cmp_lt_i32 s14, 2
	s_cbranch_scc1 .LBB135_1355
; %bb.1352:
	s_cmp_lt_i32 s14, 3
	s_cbranch_scc1 .LBB135_1356
; %bb.1353:
	s_cmp_gt_i32 s14, 3
	s_cbranch_scc0 .LBB135_1357
; %bb.1354:
	global_load_dwordx2 v[8:9], v[12:13], off
	s_mov_b64 s[0:1], 0
	s_branch .LBB135_1358
.LBB135_1355:
	s_mov_b64 s[0:1], -1
                                        ; implicit-def: $vgpr8
	s_branch .LBB135_1364
.LBB135_1356:
	s_mov_b64 s[0:1], -1
                                        ; implicit-def: $vgpr8
	s_branch .LBB135_1361
.LBB135_1357:
	s_mov_b64 s[0:1], -1
                                        ; implicit-def: $vgpr8
.LBB135_1358:
	s_andn2_b64 vcc, exec, s[0:1]
	s_cbranch_vccnz .LBB135_1360
; %bb.1359:
	global_load_dword v8, v[12:13], off
.LBB135_1360:
	s_mov_b64 s[0:1], 0
.LBB135_1361:
	s_andn2_b64 vcc, exec, s[0:1]
	s_cbranch_vccnz .LBB135_1363
; %bb.1362:
	global_load_ushort v8, v[12:13], off
.LBB135_1363:
	s_mov_b64 s[0:1], 0
.LBB135_1364:
	s_andn2_b64 vcc, exec, s[0:1]
	s_cbranch_vccnz .LBB135_1370
; %bb.1365:
	s_cmp_gt_i32 s14, 0
	s_cbranch_scc0 .LBB135_1367
; %bb.1366:
	global_load_ubyte v8, v[12:13], off
	s_mov_b64 s[0:1], 0
	s_branch .LBB135_1368
.LBB135_1367:
	s_mov_b64 s[0:1], -1
                                        ; implicit-def: $vgpr8
.LBB135_1368:
	s_andn2_b64 vcc, exec, s[0:1]
	s_cbranch_vccnz .LBB135_1370
; %bb.1369:
	global_load_ubyte v8, v[12:13], off
.LBB135_1370:
.LBB135_1371:
	v_mov_b32_e32 v1, s11
	v_add_co_u32_e32 v12, vcc, s10, v10
	s_cmp_lt_i32 s14, 11
	v_addc_co_u32_e32 v13, vcc, 0, v1, vcc
	s_cbranch_scc1 .LBB135_1378
; %bb.1372:
	s_cmp_gt_i32 s14, 25
	s_mov_b64 s[4:5], 0
	s_cbranch_scc0 .LBB135_1380
; %bb.1373:
	s_cmp_gt_i32 s14, 28
	s_cbranch_scc0 .LBB135_1381
; %bb.1374:
	s_cmp_gt_i32 s14, 43
	s_cbranch_scc0 .LBB135_1382
; %bb.1375:
	s_cmp_gt_i32 s14, 45
	s_cbranch_scc0 .LBB135_1384
; %bb.1376:
	s_cmp_eq_u32 s14, 46
	s_mov_b64 s[12:13], 0
	s_cbranch_scc0 .LBB135_1385
; %bb.1377:
	global_load_dword v1, v[12:13], off
	s_mov_b32 s0, 0x2f800000
	s_mov_b32 s1, 0xcf800000
	s_mov_b64 s[6:7], -1
	s_waitcnt vmcnt(0)
	v_lshlrev_b32_e32 v1, 16, v1
	v_trunc_f32_e32 v1, v1
	v_mul_f32_e64 v3, |v1|, s0
	v_floor_f32_e32 v3, v3
	v_fma_f32 v3, v3, s1, |v1|
	v_cvt_u32_f32_e32 v3, v3
	v_ashrrev_i32_e32 v1, 31, v1
	s_mov_b64 s[0:1], 0
	v_xor_b32_e32 v3, v3, v1
	v_sub_u32_e32 v9, v3, v1
	s_branch .LBB135_1386
.LBB135_1378:
	s_mov_b64 s[6:7], 0
                                        ; implicit-def: $vgpr9
	s_cbranch_execnz .LBB135_1448
.LBB135_1379:
	s_andn2_b64 vcc, exec, s[6:7]
	s_cbranch_vccnz .LBB135_2055
	s_branch .LBB135_1496
.LBB135_1380:
	s_mov_b64 s[12:13], -1
	s_mov_b64 s[6:7], 0
	s_mov_b64 s[0:1], 0
                                        ; implicit-def: $vgpr9
	s_branch .LBB135_1413
.LBB135_1381:
	s_mov_b64 s[12:13], -1
	s_mov_b64 s[6:7], 0
	s_mov_b64 s[0:1], 0
                                        ; implicit-def: $vgpr9
	s_branch .LBB135_1396
.LBB135_1382:
	s_mov_b64 s[12:13], -1
	s_mov_b64 s[6:7], 0
	s_mov_b64 s[0:1], 0
                                        ; implicit-def: $vgpr9
	s_branch .LBB135_1391
.LBB135_1383:
	s_trap 2
	s_or_b64 s[2:3], s[2:3], exec
	s_cbranch_execz .LBB135_1322
	s_branch .LBB135_1323
.LBB135_1384:
	s_mov_b64 s[12:13], -1
	s_mov_b64 s[6:7], 0
	s_mov_b64 s[0:1], 0
                                        ; implicit-def: $vgpr9
	s_branch .LBB135_1386
.LBB135_1385:
	s_mov_b64 s[0:1], -1
                                        ; implicit-def: $vgpr9
	s_mov_b64 s[6:7], 0
.LBB135_1386:
	s_and_b64 vcc, exec, s[12:13]
	s_cbranch_vccz .LBB135_1390
; %bb.1387:
	s_cmp_eq_u32 s14, 44
	s_cbranch_scc0 .LBB135_1389
; %bb.1388:
	global_load_ubyte v1, v[12:13], off
	s_mov_b32 s0, 0x2f800000
	s_mov_b32 s1, 0xcf800000
	s_mov_b64 s[6:7], -1
	s_waitcnt vmcnt(0)
	v_lshlrev_b32_e32 v3, 23, v1
	v_trunc_f32_e32 v3, v3
	v_mul_f32_e64 v5, |v3|, s0
	v_floor_f32_e32 v5, v5
	v_fma_f32 v5, v5, s1, |v3|
	v_cvt_u32_f32_e32 v5, v5
	v_ashrrev_i32_e32 v3, 31, v3
	v_cmp_ne_u32_e32 vcc, 0, v1
	s_mov_b64 s[0:1], 0
	v_xor_b32_e32 v5, v5, v3
	v_sub_u32_e32 v3, v5, v3
	v_cndmask_b32_e32 v9, 0, v3, vcc
	s_branch .LBB135_1390
.LBB135_1389:
	s_mov_b64 s[0:1], -1
                                        ; implicit-def: $vgpr9
.LBB135_1390:
	s_mov_b64 s[12:13], 0
.LBB135_1391:
	s_and_b64 vcc, exec, s[12:13]
	s_cbranch_vccz .LBB135_1395
; %bb.1392:
	s_cmp_eq_u32 s14, 29
	s_cbranch_scc0 .LBB135_1394
; %bb.1393:
	global_load_dwordx2 v[9:10], v[12:13], off
	s_mov_b64 s[0:1], 0
	s_mov_b64 s[6:7], -1
	s_branch .LBB135_1395
.LBB135_1394:
	s_mov_b64 s[0:1], -1
                                        ; implicit-def: $vgpr9
.LBB135_1395:
	s_mov_b64 s[12:13], 0
.LBB135_1396:
	s_and_b64 vcc, exec, s[12:13]
	s_cbranch_vccz .LBB135_1412
; %bb.1397:
	s_cmp_lt_i32 s14, 27
	s_cbranch_scc1 .LBB135_1400
; %bb.1398:
	s_cmp_gt_i32 s14, 27
	s_cbranch_scc0 .LBB135_1401
; %bb.1399:
	global_load_dword v9, v[12:13], off
	s_mov_b64 s[6:7], 0
	s_branch .LBB135_1402
.LBB135_1400:
	s_mov_b64 s[6:7], -1
                                        ; implicit-def: $vgpr9
	s_branch .LBB135_1405
.LBB135_1401:
	s_mov_b64 s[6:7], -1
                                        ; implicit-def: $vgpr9
.LBB135_1402:
	s_andn2_b64 vcc, exec, s[6:7]
	s_cbranch_vccnz .LBB135_1404
; %bb.1403:
	global_load_ushort v9, v[12:13], off
.LBB135_1404:
	s_mov_b64 s[6:7], 0
.LBB135_1405:
	s_andn2_b64 vcc, exec, s[6:7]
	s_cbranch_vccnz .LBB135_1411
; %bb.1406:
	global_load_ubyte v1, v[12:13], off
	s_movk_i32 s6, 0x7f
	s_mov_b64 s[12:13], 0
	s_waitcnt vmcnt(0)
	v_cmp_lt_i16_e32 vcc, s6, v1
	s_and_saveexec_b64 s[6:7], vcc
	s_xor_b64 s[6:7], exec, s[6:7]
	s_cbranch_execz .LBB135_1423
; %bb.1407:
	s_movk_i32 s12, 0x80
	v_cmp_ne_u16_e32 vcc, s12, v1
	s_and_b64 s[12:13], vcc, exec
	s_andn2_saveexec_b64 s[6:7], s[6:7]
	s_cbranch_execnz .LBB135_1424
.LBB135_1408:
	s_or_b64 exec, exec, s[6:7]
	v_mov_b32_e32 v9, 0
	s_and_saveexec_b64 s[6:7], s[12:13]
	s_cbranch_execz .LBB135_1410
.LBB135_1409:
	v_lshlrev_b32_e32 v3, 24, v1
	v_and_b32_e32 v1, 0xffff, v1
	v_and_b32_e32 v5, 7, v1
	v_ffbh_u32_e32 v10, v5
	v_min_u32_e32 v10, 32, v10
	v_subrev_u32_e32 v14, 28, v10
	v_bfe_u32 v9, v1, 3, 4
	v_lshlrev_b32_e32 v1, v14, v1
	v_sub_u32_e32 v10, 29, v10
	v_and_b32_e32 v1, 7, v1
	v_cmp_eq_u32_e32 vcc, 0, v9
	v_cndmask_b32_e32 v9, v9, v10, vcc
	v_cndmask_b32_e32 v1, v5, v1, vcc
	v_mov_b32_e32 v5, 0x3b800000
	v_lshlrev_b32_e32 v1, 20, v1
	v_and_b32_e32 v3, 0x80000000, v3
	v_lshl_add_u32 v5, v9, 23, v5
	v_or3_b32 v1, v3, v5, v1
	v_trunc_f32_e32 v1, v1
	s_mov_b32 s12, 0x2f800000
	v_mul_f32_e64 v3, |v1|, s12
	v_floor_f32_e32 v3, v3
	s_mov_b32 s12, 0xcf800000
	v_fma_f32 v3, v3, s12, |v1|
	v_cvt_u32_f32_e32 v3, v3
	v_ashrrev_i32_e32 v1, 31, v1
	v_xor_b32_e32 v3, v3, v1
	v_sub_u32_e32 v9, v3, v1
.LBB135_1410:
	s_or_b64 exec, exec, s[6:7]
.LBB135_1411:
	s_mov_b64 s[6:7], -1
.LBB135_1412:
	s_mov_b64 s[12:13], 0
.LBB135_1413:
	s_and_b64 vcc, exec, s[12:13]
	s_cbranch_vccz .LBB135_1444
; %bb.1414:
	s_cmp_gt_i32 s14, 22
	s_cbranch_scc0 .LBB135_1422
; %bb.1415:
	s_cmp_lt_i32 s14, 24
	s_cbranch_scc1 .LBB135_1425
; %bb.1416:
	s_cmp_gt_i32 s14, 24
	s_cbranch_scc0 .LBB135_1426
; %bb.1417:
	global_load_ubyte v1, v[12:13], off
	s_movk_i32 s4, 0x7f
	s_mov_b64 s[6:7], 0
	s_waitcnt vmcnt(0)
	v_cmp_lt_i16_e32 vcc, s4, v1
	s_and_saveexec_b64 s[4:5], vcc
	s_xor_b64 s[4:5], exec, s[4:5]
	s_cbranch_execz .LBB135_1438
; %bb.1418:
	s_movk_i32 s6, 0x80
	v_cmp_ne_u16_e32 vcc, s6, v1
	s_and_b64 s[6:7], vcc, exec
	s_andn2_saveexec_b64 s[4:5], s[4:5]
	s_cbranch_execnz .LBB135_1439
.LBB135_1419:
	s_or_b64 exec, exec, s[4:5]
	v_mov_b32_e32 v9, 0
	s_and_saveexec_b64 s[4:5], s[6:7]
	s_cbranch_execz .LBB135_1421
.LBB135_1420:
	v_lshlrev_b32_e32 v3, 24, v1
	v_and_b32_e32 v1, 0xffff, v1
	v_and_b32_e32 v5, 3, v1
	v_ffbh_u32_e32 v10, v5
	v_min_u32_e32 v10, 32, v10
	v_subrev_u32_e32 v14, 29, v10
	v_bfe_u32 v9, v1, 2, 5
	v_lshlrev_b32_e32 v1, v14, v1
	v_sub_u32_e32 v10, 30, v10
	v_and_b32_e32 v1, 3, v1
	v_cmp_eq_u32_e32 vcc, 0, v9
	v_cndmask_b32_e32 v9, v9, v10, vcc
	v_cndmask_b32_e32 v1, v5, v1, vcc
	v_mov_b32_e32 v5, 0x37800000
	v_lshlrev_b32_e32 v1, 21, v1
	v_and_b32_e32 v3, 0x80000000, v3
	v_lshl_add_u32 v5, v9, 23, v5
	v_or3_b32 v1, v3, v5, v1
	v_trunc_f32_e32 v1, v1
	s_mov_b32 s6, 0x2f800000
	v_mul_f32_e64 v3, |v1|, s6
	v_floor_f32_e32 v3, v3
	s_mov_b32 s6, 0xcf800000
	v_fma_f32 v3, v3, s6, |v1|
	v_cvt_u32_f32_e32 v3, v3
	v_ashrrev_i32_e32 v1, 31, v1
	v_xor_b32_e32 v3, v3, v1
	v_sub_u32_e32 v9, v3, v1
.LBB135_1421:
	s_or_b64 exec, exec, s[4:5]
	s_mov_b64 s[4:5], 0
	s_branch .LBB135_1427
.LBB135_1422:
	s_mov_b64 s[4:5], -1
                                        ; implicit-def: $vgpr9
	s_branch .LBB135_1433
.LBB135_1423:
	s_andn2_saveexec_b64 s[6:7], s[6:7]
	s_cbranch_execz .LBB135_1408
.LBB135_1424:
	v_cmp_ne_u16_e32 vcc, 0, v1
	s_andn2_b64 s[12:13], s[12:13], exec
	s_and_b64 s[18:19], vcc, exec
	s_or_b64 s[12:13], s[12:13], s[18:19]
	s_or_b64 exec, exec, s[6:7]
	v_mov_b32_e32 v9, 0
	s_and_saveexec_b64 s[6:7], s[12:13]
	s_cbranch_execnz .LBB135_1409
	s_branch .LBB135_1410
.LBB135_1425:
	s_mov_b64 s[4:5], -1
                                        ; implicit-def: $vgpr9
	s_branch .LBB135_1430
.LBB135_1426:
	s_mov_b64 s[4:5], -1
                                        ; implicit-def: $vgpr9
.LBB135_1427:
	s_and_b64 vcc, exec, s[4:5]
	s_cbranch_vccz .LBB135_1429
; %bb.1428:
	global_load_ubyte v1, v[12:13], off
	s_mov_b32 s4, 0x7f800000
	s_brev_b32 s5, 1
	s_mov_b32 s6, 0x2f800000
	s_waitcnt vmcnt(0)
	v_lshlrev_b32_e32 v1, 24, v1
	v_and_b32_e32 v3, 0x7f000000, v1
	v_ffbh_u32_e32 v5, v3
	v_min_u32_e32 v5, 32, v5
	v_sub_u32_e64 v5, v5, 4 clamp
	v_lshlrev_b32_e32 v10, v5, v3
	v_lshlrev_b32_e32 v5, 23, v5
	v_lshrrev_b32_e32 v10, 4, v10
	v_add_u32_e32 v9, 0x1000000, v3
	v_sub_u32_e32 v5, v10, v5
	v_ashrrev_i32_e32 v9, 8, v9
	v_add_u32_e32 v5, 0x3c000000, v5
	v_and_or_b32 v5, v9, s4, v5
	v_cmp_ne_u32_e32 vcc, 0, v3
	v_cndmask_b32_e32 v3, 0, v5, vcc
	v_and_or_b32 v1, v1, s5, v3
	v_trunc_f32_e32 v1, v1
	v_mul_f32_e64 v3, |v1|, s6
	v_floor_f32_e32 v3, v3
	s_mov_b32 s4, 0xcf800000
	v_fma_f32 v3, v3, s4, |v1|
	v_cvt_u32_f32_e32 v3, v3
	v_ashrrev_i32_e32 v1, 31, v1
	v_xor_b32_e32 v3, v3, v1
	v_sub_u32_e32 v9, v3, v1
.LBB135_1429:
	s_mov_b64 s[4:5], 0
.LBB135_1430:
	s_andn2_b64 vcc, exec, s[4:5]
	s_cbranch_vccnz .LBB135_1432
; %bb.1431:
	global_load_ubyte v1, v[12:13], off
	s_movk_i32 s4, 0x7f00
	s_brev_b32 s5, 16
	s_brev_b32 s6, 1
	s_mov_b32 s7, 0x2f800000
	s_waitcnt vmcnt(0)
	v_lshlrev_b16_e32 v3, 8, v1
	v_lshlrev_b32_e32 v1, 25, v1
	v_lshrrev_b32_e32 v5, 4, v1
	v_and_or_b32 v9, v3, s4, 0.5
	v_or_b32_e32 v5, 0x70000000, v5
	v_add_f32_e32 v9, -0.5, v9
	v_mul_f32_e32 v5, 0x7800000, v5
	v_cmp_gt_u32_e32 vcc, s5, v1
	v_bfe_i32 v3, v3, 0, 16
	v_cndmask_b32_e32 v1, v5, v9, vcc
	v_and_or_b32 v1, v3, s6, v1
	v_trunc_f32_e32 v1, v1
	v_mul_f32_e64 v3, |v1|, s7
	v_floor_f32_e32 v3, v3
	s_mov_b32 s4, 0xcf800000
	v_fma_f32 v3, v3, s4, |v1|
	v_cvt_u32_f32_e32 v3, v3
	v_ashrrev_i32_e32 v1, 31, v1
	v_xor_b32_e32 v3, v3, v1
	v_sub_u32_e32 v9, v3, v1
.LBB135_1432:
	s_mov_b64 s[4:5], 0
	s_mov_b64 s[6:7], -1
.LBB135_1433:
	s_andn2_b64 vcc, exec, s[4:5]
	s_mov_b64 s[4:5], 0
	s_cbranch_vccnz .LBB135_1444
; %bb.1434:
	s_cmp_gt_i32 s14, 14
	s_cbranch_scc0 .LBB135_1437
; %bb.1435:
	s_cmp_eq_u32 s14, 15
	s_cbranch_scc0 .LBB135_1440
; %bb.1436:
	global_load_ushort v1, v[12:13], off
	s_mov_b32 s0, 0x2f800000
	s_mov_b32 s1, 0xcf800000
	s_mov_b64 s[6:7], -1
	s_waitcnt vmcnt(0)
	v_lshlrev_b32_e32 v1, 16, v1
	v_trunc_f32_e32 v1, v1
	v_mul_f32_e64 v3, |v1|, s0
	v_floor_f32_e32 v3, v3
	v_fma_f32 v3, v3, s1, |v1|
	v_cvt_u32_f32_e32 v3, v3
	v_ashrrev_i32_e32 v1, 31, v1
	s_mov_b64 s[0:1], 0
	v_xor_b32_e32 v3, v3, v1
	v_sub_u32_e32 v9, v3, v1
	s_branch .LBB135_1441
.LBB135_1437:
	s_mov_b64 s[12:13], -1
                                        ; implicit-def: $vgpr9
	s_branch .LBB135_1442
.LBB135_1438:
	s_andn2_saveexec_b64 s[4:5], s[4:5]
	s_cbranch_execz .LBB135_1419
.LBB135_1439:
	v_cmp_ne_u16_e32 vcc, 0, v1
	s_andn2_b64 s[6:7], s[6:7], exec
	s_and_b64 s[12:13], vcc, exec
	s_or_b64 s[6:7], s[6:7], s[12:13]
	s_or_b64 exec, exec, s[4:5]
	v_mov_b32_e32 v9, 0
	s_and_saveexec_b64 s[4:5], s[6:7]
	s_cbranch_execnz .LBB135_1420
	s_branch .LBB135_1421
.LBB135_1440:
	s_mov_b64 s[0:1], -1
                                        ; implicit-def: $vgpr9
.LBB135_1441:
	s_mov_b64 s[12:13], 0
.LBB135_1442:
	s_and_b64 vcc, exec, s[12:13]
	s_cbranch_vccz .LBB135_1444
; %bb.1443:
	s_cmp_lg_u32 s14, 11
	s_mov_b64 s[4:5], -1
	s_cselect_b64 s[0:1], -1, 0
.LBB135_1444:
	s_and_b64 vcc, exec, s[0:1]
	s_cbranch_vccnz .LBB135_1507
; %bb.1445:
	s_andn2_b64 vcc, exec, s[4:5]
	s_cbranch_vccnz .LBB135_1447
.LBB135_1446:
	global_load_ubyte v1, v[12:13], off
	s_mov_b64 s[6:7], -1
	s_waitcnt vmcnt(0)
	v_cmp_ne_u16_e32 vcc, 0, v1
	v_cndmask_b32_e64 v9, 0, 1, vcc
.LBB135_1447:
	s_branch .LBB135_1379
.LBB135_1448:
	s_cmp_lt_i32 s14, 5
	s_cbranch_scc1 .LBB135_1453
; %bb.1449:
	s_cmp_lt_i32 s14, 8
	s_cbranch_scc1 .LBB135_1454
; %bb.1450:
	;; [unrolled: 3-line block ×3, first 2 shown]
	s_cmp_gt_i32 s14, 9
	s_cbranch_scc0 .LBB135_1456
; %bb.1452:
	global_load_dwordx2 v[9:10], v[12:13], off
	s_movk_i32 s0, 0xffe0
	s_waitcnt vmcnt(0)
	v_trunc_f64_e32 v[9:10], v[9:10]
	v_ldexp_f64 v[14:15], v[9:10], s0
	s_mov_b32 s0, 0
	s_mov_b32 s1, 0xc1f00000
	v_floor_f64_e32 v[14:15], v[14:15]
	v_fma_f64 v[9:10], v[14:15], s[0:1], v[9:10]
	s_mov_b64 s[0:1], 0
	v_cvt_u32_f64_e32 v9, v[9:10]
	s_branch .LBB135_1457
.LBB135_1453:
	s_mov_b64 s[0:1], -1
                                        ; implicit-def: $vgpr9
	s_branch .LBB135_1475
.LBB135_1454:
	s_mov_b64 s[0:1], -1
                                        ; implicit-def: $vgpr9
	s_branch .LBB135_1463
.LBB135_1455:
	s_mov_b64 s[0:1], -1
                                        ; implicit-def: $vgpr9
	s_branch .LBB135_1460
.LBB135_1456:
	s_mov_b64 s[0:1], -1
                                        ; implicit-def: $vgpr9
.LBB135_1457:
	s_andn2_b64 vcc, exec, s[0:1]
	s_cbranch_vccnz .LBB135_1459
; %bb.1458:
	global_load_dword v1, v[12:13], off
	s_mov_b32 s0, 0x2f800000
	s_waitcnt vmcnt(0)
	v_trunc_f32_e32 v1, v1
	v_mul_f32_e64 v3, |v1|, s0
	v_floor_f32_e32 v3, v3
	s_mov_b32 s0, 0xcf800000
	v_fma_f32 v3, v3, s0, |v1|
	v_cvt_u32_f32_e32 v3, v3
	v_ashrrev_i32_e32 v1, 31, v1
	v_xor_b32_e32 v3, v3, v1
	v_sub_u32_e32 v9, v3, v1
.LBB135_1459:
	s_mov_b64 s[0:1], 0
.LBB135_1460:
	s_andn2_b64 vcc, exec, s[0:1]
	s_cbranch_vccnz .LBB135_1462
; %bb.1461:
	global_load_dword v1, v[12:13], off
	s_waitcnt vmcnt(0)
	v_cvt_f32_f16_e32 v1, v1
	v_cvt_i32_f32_e32 v9, v1
.LBB135_1462:
	s_mov_b64 s[0:1], 0
.LBB135_1463:
	s_andn2_b64 vcc, exec, s[0:1]
	s_cbranch_vccnz .LBB135_1474
; %bb.1464:
	s_cmp_lt_i32 s14, 6
	s_cbranch_scc1 .LBB135_1467
; %bb.1465:
	s_cmp_gt_i32 s14, 6
	s_cbranch_scc0 .LBB135_1468
; %bb.1466:
	global_load_dwordx2 v[9:10], v[12:13], off
	s_movk_i32 s0, 0xffe0
	s_waitcnt vmcnt(0)
	v_trunc_f64_e32 v[9:10], v[9:10]
	v_ldexp_f64 v[14:15], v[9:10], s0
	s_mov_b32 s0, 0
	s_mov_b32 s1, 0xc1f00000
	v_floor_f64_e32 v[14:15], v[14:15]
	v_fma_f64 v[9:10], v[14:15], s[0:1], v[9:10]
	s_mov_b64 s[0:1], 0
	v_cvt_u32_f64_e32 v9, v[9:10]
	s_branch .LBB135_1469
.LBB135_1467:
	s_mov_b64 s[0:1], -1
                                        ; implicit-def: $vgpr9
	s_branch .LBB135_1472
.LBB135_1468:
	s_mov_b64 s[0:1], -1
                                        ; implicit-def: $vgpr9
.LBB135_1469:
	s_andn2_b64 vcc, exec, s[0:1]
	s_cbranch_vccnz .LBB135_1471
; %bb.1470:
	global_load_dword v1, v[12:13], off
	s_mov_b32 s0, 0x2f800000
	s_waitcnt vmcnt(0)
	v_trunc_f32_e32 v1, v1
	v_mul_f32_e64 v3, |v1|, s0
	v_floor_f32_e32 v3, v3
	s_mov_b32 s0, 0xcf800000
	v_fma_f32 v3, v3, s0, |v1|
	v_cvt_u32_f32_e32 v3, v3
	v_ashrrev_i32_e32 v1, 31, v1
	v_xor_b32_e32 v3, v3, v1
	v_sub_u32_e32 v9, v3, v1
.LBB135_1471:
	s_mov_b64 s[0:1], 0
.LBB135_1472:
	s_andn2_b64 vcc, exec, s[0:1]
	s_cbranch_vccnz .LBB135_1474
; %bb.1473:
	global_load_ushort v1, v[12:13], off
	s_waitcnt vmcnt(0)
	v_cvt_f32_f16_e32 v1, v1
	v_cvt_i32_f32_e32 v9, v1
.LBB135_1474:
	s_mov_b64 s[0:1], 0
.LBB135_1475:
	s_andn2_b64 vcc, exec, s[0:1]
	s_cbranch_vccnz .LBB135_1495
; %bb.1476:
	s_cmp_lt_i32 s14, 2
	s_cbranch_scc1 .LBB135_1480
; %bb.1477:
	s_cmp_lt_i32 s14, 3
	s_cbranch_scc1 .LBB135_1481
; %bb.1478:
	s_cmp_gt_i32 s14, 3
	s_cbranch_scc0 .LBB135_1482
; %bb.1479:
	global_load_dwordx2 v[9:10], v[12:13], off
	s_mov_b64 s[0:1], 0
	s_branch .LBB135_1483
.LBB135_1480:
	s_mov_b64 s[0:1], -1
                                        ; implicit-def: $vgpr9
	s_branch .LBB135_1489
.LBB135_1481:
	s_mov_b64 s[0:1], -1
                                        ; implicit-def: $vgpr9
	s_branch .LBB135_1486
.LBB135_1482:
	s_mov_b64 s[0:1], -1
                                        ; implicit-def: $vgpr9
.LBB135_1483:
	s_andn2_b64 vcc, exec, s[0:1]
	s_cbranch_vccnz .LBB135_1485
; %bb.1484:
	global_load_dword v9, v[12:13], off
.LBB135_1485:
	s_mov_b64 s[0:1], 0
.LBB135_1486:
	s_andn2_b64 vcc, exec, s[0:1]
	s_cbranch_vccnz .LBB135_1488
; %bb.1487:
	global_load_ushort v9, v[12:13], off
.LBB135_1488:
	s_mov_b64 s[0:1], 0
.LBB135_1489:
	s_andn2_b64 vcc, exec, s[0:1]
	s_cbranch_vccnz .LBB135_1495
; %bb.1490:
	s_cmp_gt_i32 s14, 0
	s_cbranch_scc0 .LBB135_1492
; %bb.1491:
	global_load_ubyte v9, v[12:13], off
	s_mov_b64 s[0:1], 0
	s_branch .LBB135_1493
.LBB135_1492:
	s_mov_b64 s[0:1], -1
                                        ; implicit-def: $vgpr9
.LBB135_1493:
	s_andn2_b64 vcc, exec, s[0:1]
	s_cbranch_vccnz .LBB135_1495
; %bb.1494:
	global_load_ubyte v9, v[12:13], off
.LBB135_1495:
.LBB135_1496:
	v_mov_b32_e32 v1, s11
	v_add_co_u32_e32 v12, vcc, s10, v11
	s_cmp_lt_i32 s14, 11
	v_addc_co_u32_e32 v13, vcc, 0, v1, vcc
	s_cbranch_scc1 .LBB135_1503
; %bb.1497:
	s_cmp_gt_i32 s14, 25
	s_mov_b64 s[4:5], 0
	s_cbranch_scc0 .LBB135_1504
; %bb.1498:
	s_cmp_gt_i32 s14, 28
	s_cbranch_scc0 .LBB135_1505
; %bb.1499:
	s_cmp_gt_i32 s14, 43
	;; [unrolled: 3-line block ×3, first 2 shown]
	s_cbranch_scc0 .LBB135_1508
; %bb.1501:
	s_cmp_eq_u32 s14, 46
	s_mov_b64 s[10:11], 0
	s_cbranch_scc0 .LBB135_1509
; %bb.1502:
	global_load_dword v1, v[12:13], off
	s_mov_b32 s0, 0x2f800000
	s_mov_b32 s1, 0xcf800000
	s_mov_b64 s[6:7], -1
	s_waitcnt vmcnt(0)
	v_lshlrev_b32_e32 v1, 16, v1
	v_trunc_f32_e32 v1, v1
	v_mul_f32_e64 v3, |v1|, s0
	v_floor_f32_e32 v3, v3
	v_fma_f32 v3, v3, s1, |v1|
	v_cvt_u32_f32_e32 v3, v3
	v_ashrrev_i32_e32 v1, 31, v1
	s_mov_b64 s[0:1], 0
	v_xor_b32_e32 v3, v3, v1
	v_sub_u32_e32 v10, v3, v1
	s_branch .LBB135_1510
.LBB135_1503:
	s_mov_b64 s[0:1], -1
	s_mov_b64 s[6:7], 0
                                        ; implicit-def: $vgpr10
	s_branch .LBB135_1572
.LBB135_1504:
	s_mov_b64 s[10:11], -1
	s_mov_b64 s[6:7], 0
	s_mov_b64 s[0:1], 0
                                        ; implicit-def: $vgpr10
	s_branch .LBB135_1537
.LBB135_1505:
	s_mov_b64 s[10:11], -1
	s_mov_b64 s[6:7], 0
	s_mov_b64 s[0:1], 0
                                        ; implicit-def: $vgpr10
	s_branch .LBB135_1520
.LBB135_1506:
	s_mov_b64 s[10:11], -1
	s_mov_b64 s[6:7], 0
	s_mov_b64 s[0:1], 0
                                        ; implicit-def: $vgpr10
	s_branch .LBB135_1515
.LBB135_1507:
	s_trap 2
	s_or_b64 s[2:3], s[2:3], exec
	s_cbranch_execz .LBB135_1446
	s_branch .LBB135_1447
.LBB135_1508:
	s_mov_b64 s[10:11], -1
	s_mov_b64 s[6:7], 0
	s_mov_b64 s[0:1], 0
                                        ; implicit-def: $vgpr10
	s_branch .LBB135_1510
.LBB135_1509:
	s_mov_b64 s[0:1], -1
                                        ; implicit-def: $vgpr10
	s_mov_b64 s[6:7], 0
.LBB135_1510:
	s_and_b64 vcc, exec, s[10:11]
	s_cbranch_vccz .LBB135_1514
; %bb.1511:
	s_cmp_eq_u32 s14, 44
	s_cbranch_scc0 .LBB135_1513
; %bb.1512:
	global_load_ubyte v1, v[12:13], off
	s_mov_b32 s0, 0x2f800000
	s_mov_b32 s1, 0xcf800000
	s_mov_b64 s[6:7], -1
	s_waitcnt vmcnt(0)
	v_lshlrev_b32_e32 v3, 23, v1
	v_trunc_f32_e32 v3, v3
	v_mul_f32_e64 v5, |v3|, s0
	v_floor_f32_e32 v5, v5
	v_fma_f32 v5, v5, s1, |v3|
	v_cvt_u32_f32_e32 v5, v5
	v_ashrrev_i32_e32 v3, 31, v3
	v_cmp_ne_u32_e32 vcc, 0, v1
	s_mov_b64 s[0:1], 0
	v_xor_b32_e32 v5, v5, v3
	v_sub_u32_e32 v3, v5, v3
	v_cndmask_b32_e32 v10, 0, v3, vcc
	s_branch .LBB135_1514
.LBB135_1513:
	s_mov_b64 s[0:1], -1
                                        ; implicit-def: $vgpr10
.LBB135_1514:
	s_mov_b64 s[10:11], 0
.LBB135_1515:
	s_and_b64 vcc, exec, s[10:11]
	s_cbranch_vccz .LBB135_1519
; %bb.1516:
	s_cmp_eq_u32 s14, 29
	s_cbranch_scc0 .LBB135_1518
; %bb.1517:
	global_load_dwordx2 v[10:11], v[12:13], off
	s_mov_b64 s[0:1], 0
	s_mov_b64 s[6:7], -1
	s_branch .LBB135_1519
.LBB135_1518:
	s_mov_b64 s[0:1], -1
                                        ; implicit-def: $vgpr10
.LBB135_1519:
	s_mov_b64 s[10:11], 0
.LBB135_1520:
	s_and_b64 vcc, exec, s[10:11]
	s_cbranch_vccz .LBB135_1536
; %bb.1521:
	s_cmp_lt_i32 s14, 27
	s_cbranch_scc1 .LBB135_1524
; %bb.1522:
	s_cmp_gt_i32 s14, 27
	s_cbranch_scc0 .LBB135_1525
; %bb.1523:
	global_load_dword v10, v[12:13], off
	s_mov_b64 s[6:7], 0
	s_branch .LBB135_1526
.LBB135_1524:
	s_mov_b64 s[6:7], -1
                                        ; implicit-def: $vgpr10
	s_branch .LBB135_1529
.LBB135_1525:
	s_mov_b64 s[6:7], -1
                                        ; implicit-def: $vgpr10
.LBB135_1526:
	s_andn2_b64 vcc, exec, s[6:7]
	s_cbranch_vccnz .LBB135_1528
; %bb.1527:
	global_load_ushort v10, v[12:13], off
.LBB135_1528:
	s_mov_b64 s[6:7], 0
.LBB135_1529:
	s_andn2_b64 vcc, exec, s[6:7]
	s_cbranch_vccnz .LBB135_1535
; %bb.1530:
	global_load_ubyte v1, v[12:13], off
	s_movk_i32 s6, 0x7f
	s_mov_b64 s[10:11], 0
	s_waitcnt vmcnt(0)
	v_cmp_lt_i16_e32 vcc, s6, v1
	s_and_saveexec_b64 s[6:7], vcc
	s_xor_b64 s[6:7], exec, s[6:7]
	s_cbranch_execz .LBB135_1547
; %bb.1531:
	s_movk_i32 s10, 0x80
	v_cmp_ne_u16_e32 vcc, s10, v1
	s_and_b64 s[10:11], vcc, exec
	s_andn2_saveexec_b64 s[6:7], s[6:7]
	s_cbranch_execnz .LBB135_1548
.LBB135_1532:
	s_or_b64 exec, exec, s[6:7]
	v_mov_b32_e32 v10, 0
	s_and_saveexec_b64 s[6:7], s[10:11]
	s_cbranch_execz .LBB135_1534
.LBB135_1533:
	v_lshlrev_b32_e32 v3, 24, v1
	v_and_b32_e32 v1, 0xffff, v1
	v_and_b32_e32 v5, 7, v1
	v_ffbh_u32_e32 v11, v5
	v_min_u32_e32 v11, 32, v11
	v_subrev_u32_e32 v14, 28, v11
	v_bfe_u32 v10, v1, 3, 4
	v_lshlrev_b32_e32 v1, v14, v1
	v_sub_u32_e32 v11, 29, v11
	v_and_b32_e32 v1, 7, v1
	v_cmp_eq_u32_e32 vcc, 0, v10
	v_cndmask_b32_e32 v10, v10, v11, vcc
	v_cndmask_b32_e32 v1, v5, v1, vcc
	v_mov_b32_e32 v5, 0x3b800000
	v_lshlrev_b32_e32 v1, 20, v1
	v_and_b32_e32 v3, 0x80000000, v3
	v_lshl_add_u32 v5, v10, 23, v5
	v_or3_b32 v1, v3, v5, v1
	v_trunc_f32_e32 v1, v1
	s_mov_b32 s10, 0x2f800000
	v_mul_f32_e64 v3, |v1|, s10
	v_floor_f32_e32 v3, v3
	s_mov_b32 s10, 0xcf800000
	v_fma_f32 v3, v3, s10, |v1|
	v_cvt_u32_f32_e32 v3, v3
	v_ashrrev_i32_e32 v1, 31, v1
	v_xor_b32_e32 v3, v3, v1
	v_sub_u32_e32 v10, v3, v1
.LBB135_1534:
	s_or_b64 exec, exec, s[6:7]
.LBB135_1535:
	s_mov_b64 s[6:7], -1
.LBB135_1536:
	s_mov_b64 s[10:11], 0
.LBB135_1537:
	s_and_b64 vcc, exec, s[10:11]
	s_cbranch_vccz .LBB135_1568
; %bb.1538:
	s_cmp_gt_i32 s14, 22
	s_cbranch_scc0 .LBB135_1546
; %bb.1539:
	s_cmp_lt_i32 s14, 24
	s_cbranch_scc1 .LBB135_1549
; %bb.1540:
	s_cmp_gt_i32 s14, 24
	s_cbranch_scc0 .LBB135_1550
; %bb.1541:
	global_load_ubyte v1, v[12:13], off
	s_movk_i32 s4, 0x7f
	s_mov_b64 s[6:7], 0
	s_waitcnt vmcnt(0)
	v_cmp_lt_i16_e32 vcc, s4, v1
	s_and_saveexec_b64 s[4:5], vcc
	s_xor_b64 s[4:5], exec, s[4:5]
	s_cbranch_execz .LBB135_1562
; %bb.1542:
	s_movk_i32 s6, 0x80
	v_cmp_ne_u16_e32 vcc, s6, v1
	s_and_b64 s[6:7], vcc, exec
	s_andn2_saveexec_b64 s[4:5], s[4:5]
	s_cbranch_execnz .LBB135_1563
.LBB135_1543:
	s_or_b64 exec, exec, s[4:5]
	v_mov_b32_e32 v10, 0
	s_and_saveexec_b64 s[4:5], s[6:7]
	s_cbranch_execz .LBB135_1545
.LBB135_1544:
	v_lshlrev_b32_e32 v3, 24, v1
	v_and_b32_e32 v1, 0xffff, v1
	v_and_b32_e32 v5, 3, v1
	v_ffbh_u32_e32 v11, v5
	v_min_u32_e32 v11, 32, v11
	v_subrev_u32_e32 v14, 29, v11
	v_bfe_u32 v10, v1, 2, 5
	v_lshlrev_b32_e32 v1, v14, v1
	v_sub_u32_e32 v11, 30, v11
	v_and_b32_e32 v1, 3, v1
	v_cmp_eq_u32_e32 vcc, 0, v10
	v_cndmask_b32_e32 v10, v10, v11, vcc
	v_cndmask_b32_e32 v1, v5, v1, vcc
	v_mov_b32_e32 v5, 0x37800000
	v_lshlrev_b32_e32 v1, 21, v1
	v_and_b32_e32 v3, 0x80000000, v3
	v_lshl_add_u32 v5, v10, 23, v5
	v_or3_b32 v1, v3, v5, v1
	v_trunc_f32_e32 v1, v1
	s_mov_b32 s6, 0x2f800000
	v_mul_f32_e64 v3, |v1|, s6
	v_floor_f32_e32 v3, v3
	s_mov_b32 s6, 0xcf800000
	v_fma_f32 v3, v3, s6, |v1|
	v_cvt_u32_f32_e32 v3, v3
	v_ashrrev_i32_e32 v1, 31, v1
	v_xor_b32_e32 v3, v3, v1
	v_sub_u32_e32 v10, v3, v1
.LBB135_1545:
	s_or_b64 exec, exec, s[4:5]
	s_mov_b64 s[4:5], 0
	s_branch .LBB135_1551
.LBB135_1546:
	s_mov_b64 s[4:5], -1
                                        ; implicit-def: $vgpr10
	s_branch .LBB135_1557
.LBB135_1547:
	s_andn2_saveexec_b64 s[6:7], s[6:7]
	s_cbranch_execz .LBB135_1532
.LBB135_1548:
	v_cmp_ne_u16_e32 vcc, 0, v1
	s_andn2_b64 s[10:11], s[10:11], exec
	s_and_b64 s[12:13], vcc, exec
	s_or_b64 s[10:11], s[10:11], s[12:13]
	s_or_b64 exec, exec, s[6:7]
	v_mov_b32_e32 v10, 0
	s_and_saveexec_b64 s[6:7], s[10:11]
	s_cbranch_execnz .LBB135_1533
	s_branch .LBB135_1534
.LBB135_1549:
	s_mov_b64 s[4:5], -1
                                        ; implicit-def: $vgpr10
	s_branch .LBB135_1554
.LBB135_1550:
	s_mov_b64 s[4:5], -1
                                        ; implicit-def: $vgpr10
.LBB135_1551:
	s_and_b64 vcc, exec, s[4:5]
	s_cbranch_vccz .LBB135_1553
; %bb.1552:
	global_load_ubyte v1, v[12:13], off
	s_mov_b32 s4, 0x7f800000
	s_brev_b32 s5, 1
	s_mov_b32 s6, 0x2f800000
	s_waitcnt vmcnt(0)
	v_lshlrev_b32_e32 v1, 24, v1
	v_and_b32_e32 v3, 0x7f000000, v1
	v_ffbh_u32_e32 v5, v3
	v_min_u32_e32 v5, 32, v5
	v_sub_u32_e64 v5, v5, 4 clamp
	v_lshlrev_b32_e32 v11, v5, v3
	v_lshlrev_b32_e32 v5, 23, v5
	v_lshrrev_b32_e32 v11, 4, v11
	v_add_u32_e32 v10, 0x1000000, v3
	v_sub_u32_e32 v5, v11, v5
	v_ashrrev_i32_e32 v10, 8, v10
	v_add_u32_e32 v5, 0x3c000000, v5
	v_and_or_b32 v5, v10, s4, v5
	v_cmp_ne_u32_e32 vcc, 0, v3
	v_cndmask_b32_e32 v3, 0, v5, vcc
	v_and_or_b32 v1, v1, s5, v3
	v_trunc_f32_e32 v1, v1
	v_mul_f32_e64 v3, |v1|, s6
	v_floor_f32_e32 v3, v3
	s_mov_b32 s4, 0xcf800000
	v_fma_f32 v3, v3, s4, |v1|
	v_cvt_u32_f32_e32 v3, v3
	v_ashrrev_i32_e32 v1, 31, v1
	v_xor_b32_e32 v3, v3, v1
	v_sub_u32_e32 v10, v3, v1
.LBB135_1553:
	s_mov_b64 s[4:5], 0
.LBB135_1554:
	s_andn2_b64 vcc, exec, s[4:5]
	s_cbranch_vccnz .LBB135_1556
; %bb.1555:
	global_load_ubyte v1, v[12:13], off
	s_movk_i32 s4, 0x7f00
	s_brev_b32 s5, 16
	s_brev_b32 s6, 1
	s_mov_b32 s7, 0x2f800000
	s_waitcnt vmcnt(0)
	v_lshlrev_b16_e32 v3, 8, v1
	v_lshlrev_b32_e32 v1, 25, v1
	v_lshrrev_b32_e32 v5, 4, v1
	v_and_or_b32 v10, v3, s4, 0.5
	v_or_b32_e32 v5, 0x70000000, v5
	v_add_f32_e32 v10, -0.5, v10
	v_mul_f32_e32 v5, 0x7800000, v5
	v_cmp_gt_u32_e32 vcc, s5, v1
	v_bfe_i32 v3, v3, 0, 16
	v_cndmask_b32_e32 v1, v5, v10, vcc
	v_and_or_b32 v1, v3, s6, v1
	v_trunc_f32_e32 v1, v1
	v_mul_f32_e64 v3, |v1|, s7
	v_floor_f32_e32 v3, v3
	s_mov_b32 s4, 0xcf800000
	v_fma_f32 v3, v3, s4, |v1|
	v_cvt_u32_f32_e32 v3, v3
	v_ashrrev_i32_e32 v1, 31, v1
	v_xor_b32_e32 v3, v3, v1
	v_sub_u32_e32 v10, v3, v1
.LBB135_1556:
	s_mov_b64 s[4:5], 0
	s_mov_b64 s[6:7], -1
.LBB135_1557:
	s_andn2_b64 vcc, exec, s[4:5]
	s_mov_b64 s[4:5], 0
	s_cbranch_vccnz .LBB135_1568
; %bb.1558:
	s_cmp_gt_i32 s14, 14
	s_cbranch_scc0 .LBB135_1561
; %bb.1559:
	s_cmp_eq_u32 s14, 15
	s_cbranch_scc0 .LBB135_1564
; %bb.1560:
	global_load_ushort v1, v[12:13], off
	s_mov_b32 s0, 0x2f800000
	s_mov_b32 s1, 0xcf800000
	s_mov_b64 s[6:7], -1
	s_waitcnt vmcnt(0)
	v_lshlrev_b32_e32 v1, 16, v1
	v_trunc_f32_e32 v1, v1
	v_mul_f32_e64 v3, |v1|, s0
	v_floor_f32_e32 v3, v3
	v_fma_f32 v3, v3, s1, |v1|
	v_cvt_u32_f32_e32 v3, v3
	v_ashrrev_i32_e32 v1, 31, v1
	s_mov_b64 s[0:1], 0
	v_xor_b32_e32 v3, v3, v1
	v_sub_u32_e32 v10, v3, v1
	s_branch .LBB135_1565
.LBB135_1561:
	s_mov_b64 s[10:11], -1
                                        ; implicit-def: $vgpr10
	s_branch .LBB135_1566
.LBB135_1562:
	s_andn2_saveexec_b64 s[4:5], s[4:5]
	s_cbranch_execz .LBB135_1543
.LBB135_1563:
	v_cmp_ne_u16_e32 vcc, 0, v1
	s_andn2_b64 s[6:7], s[6:7], exec
	s_and_b64 s[10:11], vcc, exec
	s_or_b64 s[6:7], s[6:7], s[10:11]
	s_or_b64 exec, exec, s[4:5]
	v_mov_b32_e32 v10, 0
	s_and_saveexec_b64 s[4:5], s[6:7]
	s_cbranch_execnz .LBB135_1544
	s_branch .LBB135_1545
.LBB135_1564:
	s_mov_b64 s[0:1], -1
                                        ; implicit-def: $vgpr10
.LBB135_1565:
	s_mov_b64 s[10:11], 0
.LBB135_1566:
	s_and_b64 vcc, exec, s[10:11]
	s_cbranch_vccz .LBB135_1568
; %bb.1567:
	s_cmp_lg_u32 s14, 11
	s_mov_b64 s[4:5], -1
	s_cselect_b64 s[0:1], -1, 0
.LBB135_1568:
	s_and_b64 vcc, exec, s[0:1]
	s_cbranch_vccnz .LBB135_2101
; %bb.1569:
	s_andn2_b64 vcc, exec, s[4:5]
	s_cbranch_vccnz .LBB135_1571
.LBB135_1570:
	global_load_ubyte v1, v[12:13], off
	s_mov_b64 s[6:7], -1
	s_waitcnt vmcnt(0)
	v_cmp_ne_u16_e32 vcc, 0, v1
	v_cndmask_b32_e64 v10, 0, 1, vcc
.LBB135_1571:
	s_mov_b64 s[0:1], 0
.LBB135_1572:
	s_and_b64 vcc, exec, s[0:1]
	s_cbranch_vccz .LBB135_1621
; %bb.1573:
	s_cmp_lt_i32 s14, 5
	s_cbranch_scc1 .LBB135_1578
; %bb.1574:
	s_cmp_lt_i32 s14, 8
	s_cbranch_scc1 .LBB135_1579
	;; [unrolled: 3-line block ×3, first 2 shown]
; %bb.1576:
	s_cmp_gt_i32 s14, 9
	s_cbranch_scc0 .LBB135_1581
; %bb.1577:
	global_load_dwordx2 v[10:11], v[12:13], off
	s_movk_i32 s0, 0xffe0
	s_waitcnt vmcnt(0)
	v_trunc_f64_e32 v[10:11], v[10:11]
	v_ldexp_f64 v[14:15], v[10:11], s0
	s_mov_b32 s0, 0
	s_mov_b32 s1, 0xc1f00000
	v_floor_f64_e32 v[14:15], v[14:15]
	v_fma_f64 v[10:11], v[14:15], s[0:1], v[10:11]
	s_mov_b64 s[0:1], 0
	v_cvt_u32_f64_e32 v10, v[10:11]
	s_branch .LBB135_1582
.LBB135_1578:
	s_mov_b64 s[0:1], -1
                                        ; implicit-def: $vgpr10
	s_branch .LBB135_1600
.LBB135_1579:
	s_mov_b64 s[0:1], -1
                                        ; implicit-def: $vgpr10
	s_branch .LBB135_1588
.LBB135_1580:
	s_mov_b64 s[0:1], -1
                                        ; implicit-def: $vgpr10
	s_branch .LBB135_1585
.LBB135_1581:
	s_mov_b64 s[0:1], -1
                                        ; implicit-def: $vgpr10
.LBB135_1582:
	s_andn2_b64 vcc, exec, s[0:1]
	s_cbranch_vccnz .LBB135_1584
; %bb.1583:
	global_load_dword v1, v[12:13], off
	s_mov_b32 s0, 0x2f800000
	s_waitcnt vmcnt(0)
	v_trunc_f32_e32 v1, v1
	v_mul_f32_e64 v3, |v1|, s0
	v_floor_f32_e32 v3, v3
	s_mov_b32 s0, 0xcf800000
	v_fma_f32 v3, v3, s0, |v1|
	v_cvt_u32_f32_e32 v3, v3
	v_ashrrev_i32_e32 v1, 31, v1
	v_xor_b32_e32 v3, v3, v1
	v_sub_u32_e32 v10, v3, v1
.LBB135_1584:
	s_mov_b64 s[0:1], 0
.LBB135_1585:
	s_andn2_b64 vcc, exec, s[0:1]
	s_cbranch_vccnz .LBB135_1587
; %bb.1586:
	global_load_dword v1, v[12:13], off
	s_waitcnt vmcnt(0)
	v_cvt_f32_f16_e32 v1, v1
	v_cvt_i32_f32_e32 v10, v1
.LBB135_1587:
	s_mov_b64 s[0:1], 0
.LBB135_1588:
	s_andn2_b64 vcc, exec, s[0:1]
	s_cbranch_vccnz .LBB135_1599
; %bb.1589:
	s_cmp_lt_i32 s14, 6
	s_cbranch_scc1 .LBB135_1592
; %bb.1590:
	s_cmp_gt_i32 s14, 6
	s_cbranch_scc0 .LBB135_1593
; %bb.1591:
	global_load_dwordx2 v[10:11], v[12:13], off
	s_movk_i32 s0, 0xffe0
	s_waitcnt vmcnt(0)
	v_trunc_f64_e32 v[10:11], v[10:11]
	v_ldexp_f64 v[14:15], v[10:11], s0
	s_mov_b32 s0, 0
	s_mov_b32 s1, 0xc1f00000
	v_floor_f64_e32 v[14:15], v[14:15]
	v_fma_f64 v[10:11], v[14:15], s[0:1], v[10:11]
	s_mov_b64 s[0:1], 0
	v_cvt_u32_f64_e32 v10, v[10:11]
	s_branch .LBB135_1594
.LBB135_1592:
	s_mov_b64 s[0:1], -1
                                        ; implicit-def: $vgpr10
	s_branch .LBB135_1597
.LBB135_1593:
	s_mov_b64 s[0:1], -1
                                        ; implicit-def: $vgpr10
.LBB135_1594:
	s_andn2_b64 vcc, exec, s[0:1]
	s_cbranch_vccnz .LBB135_1596
; %bb.1595:
	global_load_dword v1, v[12:13], off
	s_mov_b32 s0, 0x2f800000
	s_waitcnt vmcnt(0)
	v_trunc_f32_e32 v1, v1
	v_mul_f32_e64 v3, |v1|, s0
	v_floor_f32_e32 v3, v3
	s_mov_b32 s0, 0xcf800000
	v_fma_f32 v3, v3, s0, |v1|
	v_cvt_u32_f32_e32 v3, v3
	v_ashrrev_i32_e32 v1, 31, v1
	v_xor_b32_e32 v3, v3, v1
	v_sub_u32_e32 v10, v3, v1
.LBB135_1596:
	s_mov_b64 s[0:1], 0
.LBB135_1597:
	s_andn2_b64 vcc, exec, s[0:1]
	s_cbranch_vccnz .LBB135_1599
; %bb.1598:
	global_load_ushort v1, v[12:13], off
	s_waitcnt vmcnt(0)
	v_cvt_f32_f16_e32 v1, v1
	v_cvt_i32_f32_e32 v10, v1
.LBB135_1599:
	s_mov_b64 s[0:1], 0
.LBB135_1600:
	s_andn2_b64 vcc, exec, s[0:1]
	s_cbranch_vccnz .LBB135_1620
; %bb.1601:
	s_cmp_lt_i32 s14, 2
	s_cbranch_scc1 .LBB135_1605
; %bb.1602:
	s_cmp_lt_i32 s14, 3
	s_cbranch_scc1 .LBB135_1606
; %bb.1603:
	s_cmp_gt_i32 s14, 3
	s_cbranch_scc0 .LBB135_1607
; %bb.1604:
	global_load_dwordx2 v[10:11], v[12:13], off
	s_mov_b64 s[0:1], 0
	s_branch .LBB135_1608
.LBB135_1605:
	s_mov_b64 s[0:1], -1
                                        ; implicit-def: $vgpr10
	s_branch .LBB135_1614
.LBB135_1606:
	s_mov_b64 s[0:1], -1
                                        ; implicit-def: $vgpr10
	s_branch .LBB135_1611
.LBB135_1607:
	s_mov_b64 s[0:1], -1
                                        ; implicit-def: $vgpr10
.LBB135_1608:
	s_andn2_b64 vcc, exec, s[0:1]
	s_cbranch_vccnz .LBB135_1610
; %bb.1609:
	global_load_dword v10, v[12:13], off
.LBB135_1610:
	s_mov_b64 s[0:1], 0
.LBB135_1611:
	s_andn2_b64 vcc, exec, s[0:1]
	s_cbranch_vccnz .LBB135_1613
; %bb.1612:
	global_load_ushort v10, v[12:13], off
.LBB135_1613:
	s_mov_b64 s[0:1], 0
.LBB135_1614:
	s_andn2_b64 vcc, exec, s[0:1]
	s_cbranch_vccnz .LBB135_1620
; %bb.1615:
	s_cmp_gt_i32 s14, 0
	s_cbranch_scc0 .LBB135_1617
; %bb.1616:
	global_load_ubyte v10, v[12:13], off
	s_mov_b64 s[0:1], 0
	s_branch .LBB135_1618
.LBB135_1617:
	s_mov_b64 s[0:1], -1
                                        ; implicit-def: $vgpr10
.LBB135_1618:
	s_andn2_b64 vcc, exec, s[0:1]
	s_cbranch_vccnz .LBB135_1620
; %bb.1619:
	global_load_ubyte v10, v[12:13], off
.LBB135_1620:
	s_mov_b64 s[6:7], -1
.LBB135_1621:
	s_andn2_b64 vcc, exec, s[6:7]
	s_cbranch_vccnz .LBB135_2055
; %bb.1622:
	s_lshr_b32 s0, s16, 8
	s_and_b32 s17, s0, 0xff
	s_cmp_gt_u32 s17, 7
	s_waitcnt vmcnt(0)
	v_lshrrev_b16_sdwa v1, s17, v7 dst_sel:DWORD dst_unused:UNUSED_PAD src0_sel:DWORD src1_sel:BYTE_0
	s_cselect_b64 s[4:5], -1, 0
	s_bfe_u32 s18, s16, 0x80010
	v_mov_b32_e32 v3, s9
	v_add_co_u32_e32 v5, vcc, s8, v6
	v_cndmask_b32_e64 v1, v1, 0, s[4:5]
	s_cmp_lt_i32 s18, 11
	v_addc_co_u32_e32 v6, vcc, 0, v3, vcc
	s_cbranch_scc1 .LBB135_1700
; %bb.1623:
	s_and_b32 s19, 0xffff, s18
	s_mov_b64 s[12:13], -1
	s_mov_b64 s[6:7], 0
	s_cmp_gt_i32 s19, 25
	s_mov_b64 s[10:11], 0
	s_mov_b64 s[0:1], 0
	s_cbranch_scc0 .LBB135_1656
; %bb.1624:
	s_cmp_gt_i32 s19, 28
	s_cbranch_scc0 .LBB135_1639
; %bb.1625:
	s_cmp_gt_i32 s19, 43
	;; [unrolled: 3-line block ×3, first 2 shown]
	s_cbranch_scc0 .LBB135_1629
; %bb.1627:
	s_mov_b64 s[0:1], -1
	s_mov_b64 s[12:13], 0
	s_cmp_eq_u32 s19, 46
	s_cbranch_scc0 .LBB135_1629
; %bb.1628:
	v_cvt_f32_ubyte0_e32 v3, v1
	v_bfe_u32 v7, v3, 16, 1
	s_movk_i32 s0, 0x7fff
	v_add3_u32 v3, v3, v7, s0
	v_lshrrev_b32_e32 v3, 16, v3
	global_store_dword v[5:6], v3, off
	s_mov_b64 s[0:1], 0
	s_mov_b64 s[10:11], -1
.LBB135_1629:
	s_and_b64 vcc, exec, s[12:13]
	s_cbranch_vccz .LBB135_1634
; %bb.1630:
	s_cmp_eq_u32 s19, 44
	s_mov_b64 s[0:1], -1
	s_cbranch_scc0 .LBB135_1634
; %bb.1631:
	v_cvt_f32_ubyte0_e32 v7, v1
	v_lshrrev_b32_e32 v3, 23, v7
	s_movk_i32 s0, 0xff
	v_cmp_ne_u32_e32 vcc, s0, v3
	v_mov_b32_e32 v11, 0xff
	s_and_saveexec_b64 s[10:11], vcc
; %bb.1632:
	s_mov_b32 s0, 0x3fffff
	v_and_b32_e32 v11, 0x400000, v7
	v_and_or_b32 v7, v7, s0, v3
	v_cmp_ne_u32_e32 vcc, 0, v11
	v_cmp_ne_u32_e64 s[0:1], 0, v7
	s_and_b64 s[0:1], vcc, s[0:1]
	v_cndmask_b32_e64 v7, 0, 1, s[0:1]
	v_add_u32_e32 v11, v3, v7
; %bb.1633:
	s_or_b64 exec, exec, s[10:11]
	s_mov_b64 s[0:1], 0
	s_mov_b64 s[10:11], -1
	global_store_byte v[5:6], v11, off
.LBB135_1634:
	s_mov_b64 s[12:13], 0
.LBB135_1635:
	s_and_b64 vcc, exec, s[12:13]
	s_cbranch_vccz .LBB135_1638
; %bb.1636:
	s_cmp_eq_u32 s19, 29
	s_mov_b64 s[0:1], -1
	s_cbranch_scc0 .LBB135_1638
; %bb.1637:
	s_mov_b32 s0, 0
	v_and_b32_e32 v11, 0xffff, v1
	v_mov_b32_e32 v12, s0
	global_store_dwordx2 v[5:6], v[11:12], off
	s_mov_b64 s[0:1], 0
	s_mov_b64 s[10:11], -1
.LBB135_1638:
	s_mov_b64 s[12:13], 0
.LBB135_1639:
	s_and_b64 vcc, exec, s[12:13]
	s_cbranch_vccz .LBB135_1655
; %bb.1640:
	s_cmp_lt_i32 s19, 27
	s_mov_b64 s[10:11], -1
	s_cbranch_scc1 .LBB135_1646
; %bb.1641:
	s_cmp_gt_i32 s19, 27
	s_cbranch_scc0 .LBB135_1643
; %bb.1642:
	v_and_b32_e32 v3, 0xffff, v1
	s_mov_b64 s[10:11], 0
	global_store_dword v[5:6], v3, off
.LBB135_1643:
	s_andn2_b64 vcc, exec, s[10:11]
	s_cbranch_vccnz .LBB135_1645
; %bb.1644:
	global_store_short v[5:6], v1, off
.LBB135_1645:
	s_mov_b64 s[10:11], 0
.LBB135_1646:
	s_andn2_b64 vcc, exec, s[10:11]
	s_cbranch_vccnz .LBB135_1654
; %bb.1647:
	v_cvt_f32_ubyte0_e32 v7, v1
	s_mov_b32 s10, 0x43800000
	v_cmp_gt_u32_e32 vcc, s10, v7
	v_mov_b32_e32 v11, 0x80
	s_and_saveexec_b64 s[10:11], vcc
	s_cbranch_execz .LBB135_1653
; %bb.1648:
	s_mov_b32 s12, 0x3bffffff
	v_cmp_lt_u32_e32 vcc, s12, v7
	s_mov_b64 s[12:13], 0
                                        ; implicit-def: $vgpr3
	s_and_saveexec_b64 s[14:15], vcc
	s_xor_b64 s[14:15], exec, s[14:15]
	s_cbranch_execz .LBB135_2102
; %bb.1649:
	v_bfe_u32 v3, v7, 20, 1
	s_mov_b32 s20, 0x487ffff
	v_add3_u32 v3, v7, v3, s20
	s_mov_b64 s[12:13], exec
	v_lshrrev_b32_e32 v3, 20, v3
                                        ; implicit-def: $vgpr7
	s_andn2_saveexec_b64 s[14:15], s[14:15]
	s_cbranch_execnz .LBB135_2103
.LBB135_1650:
	s_or_b64 exec, exec, s[14:15]
	v_mov_b32_e32 v11, 0
	s_and_saveexec_b64 s[14:15], s[12:13]
.LBB135_1651:
	v_mov_b32_e32 v11, v3
.LBB135_1652:
	s_or_b64 exec, exec, s[14:15]
.LBB135_1653:
	s_or_b64 exec, exec, s[10:11]
	global_store_byte v[5:6], v11, off
.LBB135_1654:
	s_mov_b64 s[10:11], -1
.LBB135_1655:
	s_mov_b64 s[12:13], 0
.LBB135_1656:
	s_and_b64 vcc, exec, s[12:13]
	s_cbranch_vccz .LBB135_1696
; %bb.1657:
	s_cmp_gt_i32 s19, 22
	s_mov_b64 s[6:7], -1
	s_cbranch_scc0 .LBB135_1689
; %bb.1658:
	s_cmp_lt_i32 s19, 24
	s_cbranch_scc1 .LBB135_1678
; %bb.1659:
	s_cmp_gt_i32 s19, 24
	s_cbranch_scc0 .LBB135_1667
; %bb.1660:
	v_cvt_f32_ubyte0_e32 v7, v1
	s_mov_b32 s6, 0x47800000
	v_cmp_gt_u32_e32 vcc, s6, v7
	v_mov_b32_e32 v11, 0x80
	s_and_saveexec_b64 s[6:7], vcc
	s_cbranch_execz .LBB135_1666
; %bb.1661:
	s_mov_b32 s10, 0x37ffffff
	v_cmp_lt_u32_e32 vcc, s10, v7
	s_mov_b64 s[10:11], 0
                                        ; implicit-def: $vgpr3
	s_and_saveexec_b64 s[12:13], vcc
	s_xor_b64 s[12:13], exec, s[12:13]
	s_cbranch_execz .LBB135_2105
; %bb.1662:
	v_bfe_u32 v3, v7, 21, 1
	s_mov_b32 s14, 0x88fffff
	v_add3_u32 v3, v7, v3, s14
	s_mov_b64 s[10:11], exec
	v_lshrrev_b32_e32 v3, 21, v3
                                        ; implicit-def: $vgpr7
	s_andn2_saveexec_b64 s[12:13], s[12:13]
	s_cbranch_execnz .LBB135_2106
.LBB135_1663:
	s_or_b64 exec, exec, s[12:13]
	v_mov_b32_e32 v11, 0
	s_and_saveexec_b64 s[12:13], s[10:11]
.LBB135_1664:
	v_mov_b32_e32 v11, v3
.LBB135_1665:
	s_or_b64 exec, exec, s[12:13]
.LBB135_1666:
	s_or_b64 exec, exec, s[6:7]
	s_mov_b64 s[6:7], 0
	global_store_byte v[5:6], v11, off
.LBB135_1667:
	s_and_b64 vcc, exec, s[6:7]
	s_cbranch_vccz .LBB135_1677
; %bb.1668:
	v_cvt_f32_ubyte0_e32 v3, v1
	s_mov_b32 s6, 0x43f00000
	v_cmp_gt_u32_e32 vcc, s6, v3
                                        ; implicit-def: $vgpr7
	s_and_saveexec_b64 s[6:7], vcc
	s_xor_b64 s[6:7], exec, s[6:7]
	s_cbranch_execz .LBB135_1674
; %bb.1669:
	s_mov_b32 s10, 0x3c7fffff
	v_cmp_lt_u32_e32 vcc, s10, v3
                                        ; implicit-def: $vgpr7
	s_and_saveexec_b64 s[10:11], vcc
	s_xor_b64 s[10:11], exec, s[10:11]
; %bb.1670:
	v_bfe_u32 v7, v3, 20, 1
	s_mov_b32 s12, 0x407ffff
	v_add3_u32 v3, v3, v7, s12
	v_lshrrev_b32_e32 v7, 20, v3
	v_and_b32_e32 v3, 0xff00000, v3
	s_mov_b32 s12, 0x7f00000
	v_mov_b32_e32 v11, 0x7e
	v_cmp_ne_u32_e32 vcc, s12, v3
	v_cndmask_b32_e32 v7, v11, v7, vcc
                                        ; implicit-def: $vgpr3
; %bb.1671:
	s_andn2_saveexec_b64 s[10:11], s[10:11]
; %bb.1672:
	v_add_f32_e32 v7, 0x46800000, v3
; %bb.1673:
	s_or_b64 exec, exec, s[10:11]
                                        ; implicit-def: $vgpr3
.LBB135_1674:
	s_andn2_saveexec_b64 s[6:7], s[6:7]
; %bb.1675:
	s_mov_b32 s10, 0x7f800000
	v_mov_b32_e32 v7, 0x7e
	v_mov_b32_e32 v11, 0x7f
	v_cmp_lt_u32_e32 vcc, s10, v3
	v_cndmask_b32_e32 v7, v7, v11, vcc
; %bb.1676:
	s_or_b64 exec, exec, s[6:7]
	global_store_byte v[5:6], v7, off
.LBB135_1677:
	s_mov_b64 s[6:7], 0
.LBB135_1678:
	s_andn2_b64 vcc, exec, s[6:7]
	s_cbranch_vccnz .LBB135_1688
; %bb.1679:
	v_cvt_f32_ubyte0_e32 v3, v1
	s_mov_b32 s6, 0x47800000
	v_cmp_gt_u32_e32 vcc, s6, v3
                                        ; implicit-def: $vgpr7
	s_and_saveexec_b64 s[6:7], vcc
	s_xor_b64 s[6:7], exec, s[6:7]
	s_cbranch_execz .LBB135_1685
; %bb.1680:
	s_mov_b32 s10, 0x387fffff
	v_cmp_lt_u32_e32 vcc, s10, v3
                                        ; implicit-def: $vgpr7
	s_and_saveexec_b64 s[10:11], vcc
	s_xor_b64 s[10:11], exec, s[10:11]
; %bb.1681:
	v_bfe_u32 v7, v3, 21, 1
	s_mov_b32 s12, 0x80fffff
	v_add3_u32 v3, v3, v7, s12
	v_lshrrev_b32_e32 v7, 21, v3
                                        ; implicit-def: $vgpr3
; %bb.1682:
	s_andn2_saveexec_b64 s[10:11], s[10:11]
; %bb.1683:
	v_add_f32_e32 v7, 0x43000000, v3
; %bb.1684:
	s_or_b64 exec, exec, s[10:11]
                                        ; implicit-def: $vgpr3
.LBB135_1685:
	s_andn2_saveexec_b64 s[6:7], s[6:7]
; %bb.1686:
	s_mov_b32 s10, 0x7f800000
	v_mov_b32_e32 v7, 0x7c
	v_mov_b32_e32 v11, 0x7f
	v_cmp_lt_u32_e32 vcc, s10, v3
	v_cndmask_b32_e32 v7, v7, v11, vcc
; %bb.1687:
	s_or_b64 exec, exec, s[6:7]
	global_store_byte v[5:6], v7, off
.LBB135_1688:
	s_mov_b64 s[6:7], 0
	s_mov_b64 s[10:11], -1
.LBB135_1689:
	s_andn2_b64 vcc, exec, s[6:7]
	s_mov_b64 s[6:7], 0
	s_cbranch_vccnz .LBB135_1696
; %bb.1690:
	s_cmp_gt_i32 s19, 14
	s_mov_b64 s[12:13], -1
	s_cbranch_scc0 .LBB135_1694
; %bb.1691:
	s_cmp_eq_u32 s19, 15
	s_mov_b64 s[0:1], -1
	s_cbranch_scc0 .LBB135_1693
; %bb.1692:
	v_cvt_f32_ubyte0_e32 v3, v1
	v_bfe_u32 v7, v3, 16, 1
	s_movk_i32 s0, 0x7fff
	v_add3_u32 v3, v3, v7, s0
	global_store_short_d16_hi v[5:6], v3, off
	s_mov_b64 s[0:1], 0
	s_mov_b64 s[10:11], -1
.LBB135_1693:
	s_mov_b64 s[12:13], 0
.LBB135_1694:
	s_and_b64 vcc, exec, s[12:13]
	s_cbranch_vccz .LBB135_1696
; %bb.1695:
	s_cmp_lg_u32 s19, 11
	s_mov_b64 s[6:7], -1
	s_cselect_b64 s[0:1], -1, 0
.LBB135_1696:
	s_and_b64 vcc, exec, s[0:1]
	s_cbranch_vccnz .LBB135_2104
; %bb.1697:
	s_andn2_b64 vcc, exec, s[6:7]
	s_cbranch_vccnz .LBB135_1699
.LBB135_1698:
	v_cmp_ne_u16_e32 vcc, 0, v1
	v_cndmask_b32_e64 v3, 0, 1, vcc
	s_mov_b64 s[10:11], -1
	global_store_byte v[5:6], v3, off
.LBB135_1699:
	s_mov_b64 s[0:1], 0
	s_branch .LBB135_1701
.LBB135_1700:
	s_mov_b64 s[0:1], -1
	s_mov_b64 s[10:11], 0
.LBB135_1701:
	s_and_b64 vcc, exec, s[0:1]
	s_cbranch_vccz .LBB135_1740
; %bb.1702:
	s_and_b32 s6, 0xffff, s18
	s_cmp_lt_i32 s6, 5
	s_mov_b64 s[0:1], -1
	s_cbranch_scc1 .LBB135_1723
; %bb.1703:
	s_cmp_lt_i32 s6, 8
	s_cbranch_scc1 .LBB135_1713
; %bb.1704:
	s_cmp_lt_i32 s6, 9
	s_cbranch_scc1 .LBB135_1710
; %bb.1705:
	s_cmp_gt_i32 s6, 9
	s_cbranch_scc0 .LBB135_1707
; %bb.1706:
	v_and_b32_e32 v3, 0xffff, v1
	v_cvt_f64_u32_e32 v[11:12], v3
	v_mov_b32_e32 v13, 0
	v_mov_b32_e32 v14, v13
	s_mov_b64 s[0:1], 0
	global_store_dwordx4 v[5:6], v[11:14], off
.LBB135_1707:
	s_andn2_b64 vcc, exec, s[0:1]
	s_cbranch_vccnz .LBB135_1709
; %bb.1708:
	v_cvt_f32_ubyte0_e32 v11, v1
	v_mov_b32_e32 v12, 0
	global_store_dwordx2 v[5:6], v[11:12], off
.LBB135_1709:
	s_mov_b64 s[0:1], 0
.LBB135_1710:
	s_andn2_b64 vcc, exec, s[0:1]
	s_cbranch_vccnz .LBB135_1712
; %bb.1711:
	v_cvt_f16_u16_e32 v3, v1
	global_store_dword v[5:6], v3, off
.LBB135_1712:
	s_mov_b64 s[0:1], 0
.LBB135_1713:
	s_andn2_b64 vcc, exec, s[0:1]
	s_cbranch_vccnz .LBB135_1722
; %bb.1714:
	s_cmp_lt_i32 s6, 6
	s_mov_b64 s[0:1], -1
	s_cbranch_scc1 .LBB135_1720
; %bb.1715:
	s_cmp_gt_i32 s6, 6
	s_cbranch_scc0 .LBB135_1717
; %bb.1716:
	v_and_b32_e32 v3, 0xffff, v1
	v_cvt_f64_u32_e32 v[11:12], v3
	s_mov_b64 s[0:1], 0
	global_store_dwordx2 v[5:6], v[11:12], off
.LBB135_1717:
	s_andn2_b64 vcc, exec, s[0:1]
	s_cbranch_vccnz .LBB135_1719
; %bb.1718:
	v_cvt_f32_ubyte0_e32 v3, v1
	global_store_dword v[5:6], v3, off
.LBB135_1719:
	s_mov_b64 s[0:1], 0
.LBB135_1720:
	s_andn2_b64 vcc, exec, s[0:1]
	s_cbranch_vccnz .LBB135_1722
; %bb.1721:
	v_cvt_f16_u16_e32 v3, v1
	global_store_short v[5:6], v3, off
.LBB135_1722:
	s_mov_b64 s[0:1], 0
.LBB135_1723:
	s_andn2_b64 vcc, exec, s[0:1]
	s_cbranch_vccnz .LBB135_1739
; %bb.1724:
	s_cmp_lt_i32 s6, 2
	s_mov_b64 s[0:1], -1
	s_cbranch_scc1 .LBB135_1734
; %bb.1725:
	s_cmp_lt_i32 s6, 3
	s_cbranch_scc1 .LBB135_1731
; %bb.1726:
	s_cmp_gt_i32 s6, 3
	s_cbranch_scc0 .LBB135_1728
; %bb.1727:
	s_mov_b32 s0, 0
	v_and_b32_e32 v11, 0xffff, v1
	v_mov_b32_e32 v12, s0
	global_store_dwordx2 v[5:6], v[11:12], off
	s_mov_b64 s[0:1], 0
.LBB135_1728:
	s_andn2_b64 vcc, exec, s[0:1]
	s_cbranch_vccnz .LBB135_1730
; %bb.1729:
	v_and_b32_e32 v3, 0xffff, v1
	global_store_dword v[5:6], v3, off
.LBB135_1730:
	s_mov_b64 s[0:1], 0
.LBB135_1731:
	s_andn2_b64 vcc, exec, s[0:1]
	s_cbranch_vccnz .LBB135_1733
; %bb.1732:
	global_store_short v[5:6], v1, off
.LBB135_1733:
	s_mov_b64 s[0:1], 0
.LBB135_1734:
	s_andn2_b64 vcc, exec, s[0:1]
	s_cbranch_vccnz .LBB135_1739
; %bb.1735:
	s_cmp_gt_i32 s6, 0
	s_mov_b64 s[0:1], -1
	s_cbranch_scc0 .LBB135_1737
; %bb.1736:
	global_store_byte v[5:6], v1, off
	s_mov_b64 s[0:1], 0
.LBB135_1737:
	s_andn2_b64 vcc, exec, s[0:1]
	s_cbranch_vccnz .LBB135_1739
; %bb.1738:
	global_store_byte v[5:6], v1, off
.LBB135_1739:
	s_mov_b64 s[10:11], -1
.LBB135_1740:
	s_andn2_b64 vcc, exec, s[10:11]
	s_cbranch_vccnz .LBB135_2055
; %bb.1741:
	s_lshr_b32 s0, s16, 16
	s_and_b32 s16, s0, 0xff
	v_lshrrev_b16_sdwa v1, s17, v8 dst_sel:DWORD dst_unused:UNUSED_PAD src0_sel:DWORD src1_sel:BYTE_0
	v_mov_b32_e32 v5, s9
	v_add_co_u32_e32 v3, vcc, s8, v4
	v_cndmask_b32_e64 v1, v1, 0, s[4:5]
	s_cmp_lt_i32 s16, 11
	v_addc_co_u32_e32 v4, vcc, 0, v5, vcc
	s_cbranch_scc1 .LBB135_1819
; %bb.1742:
	s_and_b32 s18, 0xffff, s16
	s_mov_b64 s[12:13], -1
	s_mov_b64 s[6:7], 0
	s_cmp_gt_i32 s18, 25
	s_mov_b64 s[10:11], 0
	s_mov_b64 s[0:1], 0
	s_cbranch_scc0 .LBB135_1775
; %bb.1743:
	s_cmp_gt_i32 s18, 28
	s_cbranch_scc0 .LBB135_1758
; %bb.1744:
	s_cmp_gt_i32 s18, 43
	;; [unrolled: 3-line block ×3, first 2 shown]
	s_cbranch_scc0 .LBB135_1748
; %bb.1746:
	s_mov_b64 s[0:1], -1
	s_mov_b64 s[12:13], 0
	s_cmp_eq_u32 s18, 46
	s_cbranch_scc0 .LBB135_1748
; %bb.1747:
	v_cvt_f32_ubyte0_e32 v5, v1
	v_bfe_u32 v6, v5, 16, 1
	s_movk_i32 s0, 0x7fff
	v_add3_u32 v5, v5, v6, s0
	v_lshrrev_b32_e32 v5, 16, v5
	global_store_dword v[3:4], v5, off
	s_mov_b64 s[0:1], 0
	s_mov_b64 s[10:11], -1
.LBB135_1748:
	s_and_b64 vcc, exec, s[12:13]
	s_cbranch_vccz .LBB135_1753
; %bb.1749:
	s_cmp_eq_u32 s18, 44
	s_mov_b64 s[0:1], -1
	s_cbranch_scc0 .LBB135_1753
; %bb.1750:
	v_cvt_f32_ubyte0_e32 v6, v1
	v_lshrrev_b32_e32 v5, 23, v6
	s_movk_i32 s0, 0xff
	v_cmp_ne_u32_e32 vcc, s0, v5
	v_mov_b32_e32 v7, 0xff
	s_and_saveexec_b64 s[10:11], vcc
; %bb.1751:
	s_mov_b32 s0, 0x3fffff
	v_and_b32_e32 v7, 0x400000, v6
	v_and_or_b32 v6, v6, s0, v5
	v_cmp_ne_u32_e32 vcc, 0, v7
	v_cmp_ne_u32_e64 s[0:1], 0, v6
	s_and_b64 s[0:1], vcc, s[0:1]
	v_cndmask_b32_e64 v6, 0, 1, s[0:1]
	v_add_u32_e32 v7, v5, v6
; %bb.1752:
	s_or_b64 exec, exec, s[10:11]
	s_mov_b64 s[0:1], 0
	s_mov_b64 s[10:11], -1
	global_store_byte v[3:4], v7, off
.LBB135_1753:
	s_mov_b64 s[12:13], 0
.LBB135_1754:
	s_and_b64 vcc, exec, s[12:13]
	s_cbranch_vccz .LBB135_1757
; %bb.1755:
	s_cmp_eq_u32 s18, 29
	s_mov_b64 s[0:1], -1
	s_cbranch_scc0 .LBB135_1757
; %bb.1756:
	s_mov_b32 s0, 0
	v_and_b32_e32 v5, 0xffff, v1
	v_mov_b32_e32 v6, s0
	global_store_dwordx2 v[3:4], v[5:6], off
	s_mov_b64 s[0:1], 0
	s_mov_b64 s[10:11], -1
.LBB135_1757:
	s_mov_b64 s[12:13], 0
.LBB135_1758:
	s_and_b64 vcc, exec, s[12:13]
	s_cbranch_vccz .LBB135_1774
; %bb.1759:
	s_cmp_lt_i32 s18, 27
	s_mov_b64 s[10:11], -1
	s_cbranch_scc1 .LBB135_1765
; %bb.1760:
	s_cmp_gt_i32 s18, 27
	s_cbranch_scc0 .LBB135_1762
; %bb.1761:
	v_and_b32_e32 v5, 0xffff, v1
	s_mov_b64 s[10:11], 0
	global_store_dword v[3:4], v5, off
.LBB135_1762:
	s_andn2_b64 vcc, exec, s[10:11]
	s_cbranch_vccnz .LBB135_1764
; %bb.1763:
	global_store_short v[3:4], v1, off
.LBB135_1764:
	s_mov_b64 s[10:11], 0
.LBB135_1765:
	s_andn2_b64 vcc, exec, s[10:11]
	s_cbranch_vccnz .LBB135_1773
; %bb.1766:
	v_cvt_f32_ubyte0_e32 v6, v1
	s_mov_b32 s10, 0x43800000
	v_cmp_gt_u32_e32 vcc, s10, v6
	v_mov_b32_e32 v7, 0x80
	s_and_saveexec_b64 s[10:11], vcc
	s_cbranch_execz .LBB135_1772
; %bb.1767:
	s_mov_b32 s12, 0x3bffffff
	v_cmp_lt_u32_e32 vcc, s12, v6
	s_mov_b64 s[12:13], 0
                                        ; implicit-def: $vgpr5
	s_and_saveexec_b64 s[14:15], vcc
	s_xor_b64 s[14:15], exec, s[14:15]
	s_cbranch_execz .LBB135_2107
; %bb.1768:
	v_bfe_u32 v5, v6, 20, 1
	s_mov_b32 s19, 0x487ffff
	v_add3_u32 v5, v6, v5, s19
	s_mov_b64 s[12:13], exec
	v_lshrrev_b32_e32 v5, 20, v5
                                        ; implicit-def: $vgpr6
	s_andn2_saveexec_b64 s[14:15], s[14:15]
	s_cbranch_execnz .LBB135_2108
.LBB135_1769:
	s_or_b64 exec, exec, s[14:15]
	v_mov_b32_e32 v7, 0
	s_and_saveexec_b64 s[14:15], s[12:13]
.LBB135_1770:
	v_mov_b32_e32 v7, v5
.LBB135_1771:
	s_or_b64 exec, exec, s[14:15]
.LBB135_1772:
	s_or_b64 exec, exec, s[10:11]
	global_store_byte v[3:4], v7, off
.LBB135_1773:
	s_mov_b64 s[10:11], -1
.LBB135_1774:
	s_mov_b64 s[12:13], 0
.LBB135_1775:
	s_and_b64 vcc, exec, s[12:13]
	s_cbranch_vccz .LBB135_1815
; %bb.1776:
	s_cmp_gt_i32 s18, 22
	s_mov_b64 s[6:7], -1
	s_cbranch_scc0 .LBB135_1808
; %bb.1777:
	s_cmp_lt_i32 s18, 24
	s_cbranch_scc1 .LBB135_1797
; %bb.1778:
	s_cmp_gt_i32 s18, 24
	s_cbranch_scc0 .LBB135_1786
; %bb.1779:
	v_cvt_f32_ubyte0_e32 v6, v1
	s_mov_b32 s6, 0x47800000
	v_cmp_gt_u32_e32 vcc, s6, v6
	v_mov_b32_e32 v7, 0x80
	s_and_saveexec_b64 s[6:7], vcc
	s_cbranch_execz .LBB135_1785
; %bb.1780:
	s_mov_b32 s10, 0x37ffffff
	v_cmp_lt_u32_e32 vcc, s10, v6
	s_mov_b64 s[10:11], 0
                                        ; implicit-def: $vgpr5
	s_and_saveexec_b64 s[12:13], vcc
	s_xor_b64 s[12:13], exec, s[12:13]
	s_cbranch_execz .LBB135_2110
; %bb.1781:
	v_bfe_u32 v5, v6, 21, 1
	s_mov_b32 s14, 0x88fffff
	v_add3_u32 v5, v6, v5, s14
	s_mov_b64 s[10:11], exec
	v_lshrrev_b32_e32 v5, 21, v5
                                        ; implicit-def: $vgpr6
	s_andn2_saveexec_b64 s[12:13], s[12:13]
	s_cbranch_execnz .LBB135_2111
.LBB135_1782:
	s_or_b64 exec, exec, s[12:13]
	v_mov_b32_e32 v7, 0
	s_and_saveexec_b64 s[12:13], s[10:11]
.LBB135_1783:
	v_mov_b32_e32 v7, v5
.LBB135_1784:
	s_or_b64 exec, exec, s[12:13]
.LBB135_1785:
	s_or_b64 exec, exec, s[6:7]
	s_mov_b64 s[6:7], 0
	global_store_byte v[3:4], v7, off
.LBB135_1786:
	s_and_b64 vcc, exec, s[6:7]
	s_cbranch_vccz .LBB135_1796
; %bb.1787:
	v_cvt_f32_ubyte0_e32 v5, v1
	s_mov_b32 s6, 0x43f00000
	v_cmp_gt_u32_e32 vcc, s6, v5
                                        ; implicit-def: $vgpr6
	s_and_saveexec_b64 s[6:7], vcc
	s_xor_b64 s[6:7], exec, s[6:7]
	s_cbranch_execz .LBB135_1793
; %bb.1788:
	s_mov_b32 s10, 0x3c7fffff
	v_cmp_lt_u32_e32 vcc, s10, v5
                                        ; implicit-def: $vgpr6
	s_and_saveexec_b64 s[10:11], vcc
	s_xor_b64 s[10:11], exec, s[10:11]
; %bb.1789:
	v_bfe_u32 v6, v5, 20, 1
	s_mov_b32 s12, 0x407ffff
	v_add3_u32 v5, v5, v6, s12
	v_lshrrev_b32_e32 v6, 20, v5
	v_and_b32_e32 v5, 0xff00000, v5
	s_mov_b32 s12, 0x7f00000
	v_mov_b32_e32 v7, 0x7e
	v_cmp_ne_u32_e32 vcc, s12, v5
	v_cndmask_b32_e32 v6, v7, v6, vcc
                                        ; implicit-def: $vgpr5
; %bb.1790:
	s_andn2_saveexec_b64 s[10:11], s[10:11]
; %bb.1791:
	v_add_f32_e32 v6, 0x46800000, v5
; %bb.1792:
	s_or_b64 exec, exec, s[10:11]
                                        ; implicit-def: $vgpr5
.LBB135_1793:
	s_andn2_saveexec_b64 s[6:7], s[6:7]
; %bb.1794:
	s_mov_b32 s10, 0x7f800000
	v_mov_b32_e32 v6, 0x7e
	v_mov_b32_e32 v7, 0x7f
	v_cmp_lt_u32_e32 vcc, s10, v5
	v_cndmask_b32_e32 v6, v6, v7, vcc
; %bb.1795:
	s_or_b64 exec, exec, s[6:7]
	global_store_byte v[3:4], v6, off
.LBB135_1796:
	s_mov_b64 s[6:7], 0
.LBB135_1797:
	s_andn2_b64 vcc, exec, s[6:7]
	s_cbranch_vccnz .LBB135_1807
; %bb.1798:
	v_cvt_f32_ubyte0_e32 v5, v1
	s_mov_b32 s6, 0x47800000
	v_cmp_gt_u32_e32 vcc, s6, v5
                                        ; implicit-def: $vgpr6
	s_and_saveexec_b64 s[6:7], vcc
	s_xor_b64 s[6:7], exec, s[6:7]
	s_cbranch_execz .LBB135_1804
; %bb.1799:
	s_mov_b32 s10, 0x387fffff
	v_cmp_lt_u32_e32 vcc, s10, v5
                                        ; implicit-def: $vgpr6
	s_and_saveexec_b64 s[10:11], vcc
	s_xor_b64 s[10:11], exec, s[10:11]
; %bb.1800:
	v_bfe_u32 v6, v5, 21, 1
	s_mov_b32 s12, 0x80fffff
	v_add3_u32 v5, v5, v6, s12
	v_lshrrev_b32_e32 v6, 21, v5
                                        ; implicit-def: $vgpr5
; %bb.1801:
	s_andn2_saveexec_b64 s[10:11], s[10:11]
; %bb.1802:
	v_add_f32_e32 v6, 0x43000000, v5
; %bb.1803:
	s_or_b64 exec, exec, s[10:11]
                                        ; implicit-def: $vgpr5
.LBB135_1804:
	s_andn2_saveexec_b64 s[6:7], s[6:7]
; %bb.1805:
	s_mov_b32 s10, 0x7f800000
	v_mov_b32_e32 v6, 0x7c
	v_mov_b32_e32 v7, 0x7f
	v_cmp_lt_u32_e32 vcc, s10, v5
	v_cndmask_b32_e32 v6, v6, v7, vcc
; %bb.1806:
	s_or_b64 exec, exec, s[6:7]
	global_store_byte v[3:4], v6, off
.LBB135_1807:
	s_mov_b64 s[6:7], 0
	s_mov_b64 s[10:11], -1
.LBB135_1808:
	s_andn2_b64 vcc, exec, s[6:7]
	s_mov_b64 s[6:7], 0
	s_cbranch_vccnz .LBB135_1815
; %bb.1809:
	s_cmp_gt_i32 s18, 14
	s_mov_b64 s[12:13], -1
	s_cbranch_scc0 .LBB135_1813
; %bb.1810:
	s_cmp_eq_u32 s18, 15
	s_mov_b64 s[0:1], -1
	s_cbranch_scc0 .LBB135_1812
; %bb.1811:
	v_cvt_f32_ubyte0_e32 v5, v1
	v_bfe_u32 v6, v5, 16, 1
	s_movk_i32 s0, 0x7fff
	v_add3_u32 v5, v5, v6, s0
	global_store_short_d16_hi v[3:4], v5, off
	s_mov_b64 s[0:1], 0
	s_mov_b64 s[10:11], -1
.LBB135_1812:
	s_mov_b64 s[12:13], 0
.LBB135_1813:
	s_and_b64 vcc, exec, s[12:13]
	s_cbranch_vccz .LBB135_1815
; %bb.1814:
	s_cmp_lg_u32 s18, 11
	s_mov_b64 s[6:7], -1
	s_cselect_b64 s[0:1], -1, 0
.LBB135_1815:
	s_and_b64 vcc, exec, s[0:1]
	s_cbranch_vccnz .LBB135_2109
; %bb.1816:
	s_andn2_b64 vcc, exec, s[6:7]
	s_cbranch_vccnz .LBB135_1818
.LBB135_1817:
	v_cmp_ne_u16_e32 vcc, 0, v1
	v_cndmask_b32_e64 v5, 0, 1, vcc
	s_mov_b64 s[10:11], -1
	global_store_byte v[3:4], v5, off
.LBB135_1818:
	s_mov_b64 s[0:1], 0
	s_branch .LBB135_1820
.LBB135_1819:
	s_mov_b64 s[0:1], -1
	s_mov_b64 s[10:11], 0
.LBB135_1820:
	s_and_b64 vcc, exec, s[0:1]
	s_cbranch_vccz .LBB135_1859
; %bb.1821:
	s_and_b32 s6, 0xffff, s16
	s_cmp_lt_i32 s6, 5
	s_mov_b64 s[0:1], -1
	s_cbranch_scc1 .LBB135_1842
; %bb.1822:
	s_cmp_lt_i32 s6, 8
	s_cbranch_scc1 .LBB135_1832
; %bb.1823:
	s_cmp_lt_i32 s6, 9
	s_cbranch_scc1 .LBB135_1829
; %bb.1824:
	s_cmp_gt_i32 s6, 9
	s_cbranch_scc0 .LBB135_1826
; %bb.1825:
	v_and_b32_e32 v5, 0xffff, v1
	v_cvt_f64_u32_e32 v[5:6], v5
	v_mov_b32_e32 v7, 0
	v_mov_b32_e32 v8, v7
	s_mov_b64 s[0:1], 0
	global_store_dwordx4 v[3:4], v[5:8], off
.LBB135_1826:
	s_andn2_b64 vcc, exec, s[0:1]
	s_cbranch_vccnz .LBB135_1828
; %bb.1827:
	v_cvt_f32_ubyte0_e32 v5, v1
	v_mov_b32_e32 v6, 0
	global_store_dwordx2 v[3:4], v[5:6], off
.LBB135_1828:
	s_mov_b64 s[0:1], 0
.LBB135_1829:
	s_andn2_b64 vcc, exec, s[0:1]
	s_cbranch_vccnz .LBB135_1831
; %bb.1830:
	v_cvt_f16_u16_e32 v5, v1
	global_store_dword v[3:4], v5, off
.LBB135_1831:
	s_mov_b64 s[0:1], 0
.LBB135_1832:
	s_andn2_b64 vcc, exec, s[0:1]
	s_cbranch_vccnz .LBB135_1841
; %bb.1833:
	s_cmp_lt_i32 s6, 6
	s_mov_b64 s[0:1], -1
	s_cbranch_scc1 .LBB135_1839
; %bb.1834:
	s_cmp_gt_i32 s6, 6
	s_cbranch_scc0 .LBB135_1836
; %bb.1835:
	v_and_b32_e32 v5, 0xffff, v1
	v_cvt_f64_u32_e32 v[5:6], v5
	s_mov_b64 s[0:1], 0
	global_store_dwordx2 v[3:4], v[5:6], off
.LBB135_1836:
	s_andn2_b64 vcc, exec, s[0:1]
	s_cbranch_vccnz .LBB135_1838
; %bb.1837:
	v_cvt_f32_ubyte0_e32 v5, v1
	global_store_dword v[3:4], v5, off
.LBB135_1838:
	s_mov_b64 s[0:1], 0
.LBB135_1839:
	s_andn2_b64 vcc, exec, s[0:1]
	s_cbranch_vccnz .LBB135_1841
; %bb.1840:
	v_cvt_f16_u16_e32 v5, v1
	global_store_short v[3:4], v5, off
.LBB135_1841:
	s_mov_b64 s[0:1], 0
.LBB135_1842:
	s_andn2_b64 vcc, exec, s[0:1]
	s_cbranch_vccnz .LBB135_1858
; %bb.1843:
	s_cmp_lt_i32 s6, 2
	s_mov_b64 s[0:1], -1
	s_cbranch_scc1 .LBB135_1853
; %bb.1844:
	s_cmp_lt_i32 s6, 3
	s_cbranch_scc1 .LBB135_1850
; %bb.1845:
	s_cmp_gt_i32 s6, 3
	s_cbranch_scc0 .LBB135_1847
; %bb.1846:
	s_mov_b32 s0, 0
	v_and_b32_e32 v5, 0xffff, v1
	v_mov_b32_e32 v6, s0
	global_store_dwordx2 v[3:4], v[5:6], off
	s_mov_b64 s[0:1], 0
.LBB135_1847:
	s_andn2_b64 vcc, exec, s[0:1]
	s_cbranch_vccnz .LBB135_1849
; %bb.1848:
	v_and_b32_e32 v5, 0xffff, v1
	global_store_dword v[3:4], v5, off
.LBB135_1849:
	s_mov_b64 s[0:1], 0
.LBB135_1850:
	s_andn2_b64 vcc, exec, s[0:1]
	s_cbranch_vccnz .LBB135_1852
; %bb.1851:
	global_store_short v[3:4], v1, off
.LBB135_1852:
	s_mov_b64 s[0:1], 0
.LBB135_1853:
	s_andn2_b64 vcc, exec, s[0:1]
	s_cbranch_vccnz .LBB135_1858
; %bb.1854:
	s_cmp_gt_i32 s6, 0
	s_mov_b64 s[0:1], -1
	s_cbranch_scc0 .LBB135_1856
; %bb.1855:
	global_store_byte v[3:4], v1, off
	s_mov_b64 s[0:1], 0
.LBB135_1856:
	s_andn2_b64 vcc, exec, s[0:1]
	s_cbranch_vccnz .LBB135_1858
; %bb.1857:
	global_store_byte v[3:4], v1, off
.LBB135_1858:
	s_mov_b64 s[10:11], -1
.LBB135_1859:
	s_andn2_b64 vcc, exec, s[10:11]
	s_cbranch_vccnz .LBB135_2055
; %bb.1860:
	v_lshrrev_b16_sdwa v1, s17, v9 dst_sel:DWORD dst_unused:UNUSED_PAD src0_sel:DWORD src1_sel:BYTE_0
	v_cndmask_b32_e64 v3, v1, 0, s[4:5]
	v_mov_b32_e32 v4, s9
	v_add_co_u32_e32 v1, vcc, s8, v2
	s_cmp_lt_i32 s16, 11
	v_addc_co_u32_e32 v2, vcc, 0, v4, vcc
	s_cbranch_scc1 .LBB135_1938
; %bb.1861:
	s_and_b32 s18, 0xffff, s16
	s_mov_b64 s[12:13], -1
	s_mov_b64 s[6:7], 0
	s_cmp_gt_i32 s18, 25
	s_mov_b64 s[10:11], 0
	s_mov_b64 s[0:1], 0
	s_cbranch_scc0 .LBB135_1894
; %bb.1862:
	s_cmp_gt_i32 s18, 28
	s_cbranch_scc0 .LBB135_1877
; %bb.1863:
	s_cmp_gt_i32 s18, 43
	;; [unrolled: 3-line block ×3, first 2 shown]
	s_cbranch_scc0 .LBB135_1867
; %bb.1865:
	s_mov_b64 s[0:1], -1
	s_mov_b64 s[12:13], 0
	s_cmp_eq_u32 s18, 46
	s_cbranch_scc0 .LBB135_1867
; %bb.1866:
	v_cvt_f32_ubyte0_e32 v4, v3
	v_bfe_u32 v5, v4, 16, 1
	s_movk_i32 s0, 0x7fff
	v_add3_u32 v4, v4, v5, s0
	v_lshrrev_b32_e32 v4, 16, v4
	global_store_dword v[1:2], v4, off
	s_mov_b64 s[0:1], 0
	s_mov_b64 s[10:11], -1
.LBB135_1867:
	s_and_b64 vcc, exec, s[12:13]
	s_cbranch_vccz .LBB135_1872
; %bb.1868:
	s_cmp_eq_u32 s18, 44
	s_mov_b64 s[0:1], -1
	s_cbranch_scc0 .LBB135_1872
; %bb.1869:
	v_cvt_f32_ubyte0_e32 v5, v3
	v_lshrrev_b32_e32 v4, 23, v5
	s_movk_i32 s0, 0xff
	v_cmp_ne_u32_e32 vcc, s0, v4
	v_mov_b32_e32 v6, 0xff
	s_and_saveexec_b64 s[10:11], vcc
; %bb.1870:
	s_mov_b32 s0, 0x3fffff
	v_and_b32_e32 v6, 0x400000, v5
	v_and_or_b32 v5, v5, s0, v4
	v_cmp_ne_u32_e32 vcc, 0, v6
	v_cmp_ne_u32_e64 s[0:1], 0, v5
	s_and_b64 s[0:1], vcc, s[0:1]
	v_cndmask_b32_e64 v5, 0, 1, s[0:1]
	v_add_u32_e32 v6, v4, v5
; %bb.1871:
	s_or_b64 exec, exec, s[10:11]
	s_mov_b64 s[0:1], 0
	s_mov_b64 s[10:11], -1
	global_store_byte v[1:2], v6, off
.LBB135_1872:
	s_mov_b64 s[12:13], 0
.LBB135_1873:
	s_and_b64 vcc, exec, s[12:13]
	s_cbranch_vccz .LBB135_1876
; %bb.1874:
	s_cmp_eq_u32 s18, 29
	s_mov_b64 s[0:1], -1
	s_cbranch_scc0 .LBB135_1876
; %bb.1875:
	s_mov_b32 s0, 0
	v_and_b32_e32 v4, 0xffff, v3
	v_mov_b32_e32 v5, s0
	global_store_dwordx2 v[1:2], v[4:5], off
	s_mov_b64 s[0:1], 0
	s_mov_b64 s[10:11], -1
.LBB135_1876:
	s_mov_b64 s[12:13], 0
.LBB135_1877:
	s_and_b64 vcc, exec, s[12:13]
	s_cbranch_vccz .LBB135_1893
; %bb.1878:
	s_cmp_lt_i32 s18, 27
	s_mov_b64 s[10:11], -1
	s_cbranch_scc1 .LBB135_1884
; %bb.1879:
	s_cmp_gt_i32 s18, 27
	s_cbranch_scc0 .LBB135_1881
; %bb.1880:
	v_and_b32_e32 v4, 0xffff, v3
	s_mov_b64 s[10:11], 0
	global_store_dword v[1:2], v4, off
.LBB135_1881:
	s_andn2_b64 vcc, exec, s[10:11]
	s_cbranch_vccnz .LBB135_1883
; %bb.1882:
	global_store_short v[1:2], v3, off
.LBB135_1883:
	s_mov_b64 s[10:11], 0
.LBB135_1884:
	s_andn2_b64 vcc, exec, s[10:11]
	s_cbranch_vccnz .LBB135_1892
; %bb.1885:
	v_cvt_f32_ubyte0_e32 v5, v3
	s_mov_b32 s10, 0x43800000
	v_cmp_gt_u32_e32 vcc, s10, v5
	v_mov_b32_e32 v6, 0x80
	s_and_saveexec_b64 s[10:11], vcc
	s_cbranch_execz .LBB135_1891
; %bb.1886:
	s_mov_b32 s12, 0x3bffffff
	v_cmp_lt_u32_e32 vcc, s12, v5
	s_mov_b64 s[12:13], 0
                                        ; implicit-def: $vgpr4
	s_and_saveexec_b64 s[14:15], vcc
	s_xor_b64 s[14:15], exec, s[14:15]
	s_cbranch_execz .LBB135_2112
; %bb.1887:
	v_bfe_u32 v4, v5, 20, 1
	s_mov_b32 s19, 0x487ffff
	v_add3_u32 v4, v5, v4, s19
	s_mov_b64 s[12:13], exec
	v_lshrrev_b32_e32 v4, 20, v4
                                        ; implicit-def: $vgpr5
	s_andn2_saveexec_b64 s[14:15], s[14:15]
	s_cbranch_execnz .LBB135_2113
.LBB135_1888:
	s_or_b64 exec, exec, s[14:15]
	v_mov_b32_e32 v6, 0
	s_and_saveexec_b64 s[14:15], s[12:13]
.LBB135_1889:
	v_mov_b32_e32 v6, v4
.LBB135_1890:
	s_or_b64 exec, exec, s[14:15]
.LBB135_1891:
	s_or_b64 exec, exec, s[10:11]
	global_store_byte v[1:2], v6, off
.LBB135_1892:
	s_mov_b64 s[10:11], -1
.LBB135_1893:
	s_mov_b64 s[12:13], 0
.LBB135_1894:
	s_and_b64 vcc, exec, s[12:13]
	s_cbranch_vccz .LBB135_1934
; %bb.1895:
	s_cmp_gt_i32 s18, 22
	s_mov_b64 s[6:7], -1
	s_cbranch_scc0 .LBB135_1927
; %bb.1896:
	s_cmp_lt_i32 s18, 24
	s_cbranch_scc1 .LBB135_1916
; %bb.1897:
	s_cmp_gt_i32 s18, 24
	s_cbranch_scc0 .LBB135_1905
; %bb.1898:
	v_cvt_f32_ubyte0_e32 v5, v3
	s_mov_b32 s6, 0x47800000
	v_cmp_gt_u32_e32 vcc, s6, v5
	v_mov_b32_e32 v6, 0x80
	s_and_saveexec_b64 s[6:7], vcc
	s_cbranch_execz .LBB135_1904
; %bb.1899:
	s_mov_b32 s10, 0x37ffffff
	v_cmp_lt_u32_e32 vcc, s10, v5
	s_mov_b64 s[10:11], 0
                                        ; implicit-def: $vgpr4
	s_and_saveexec_b64 s[12:13], vcc
	s_xor_b64 s[12:13], exec, s[12:13]
	s_cbranch_execz .LBB135_2115
; %bb.1900:
	v_bfe_u32 v4, v5, 21, 1
	s_mov_b32 s14, 0x88fffff
	v_add3_u32 v4, v5, v4, s14
	s_mov_b64 s[10:11], exec
	v_lshrrev_b32_e32 v4, 21, v4
                                        ; implicit-def: $vgpr5
	s_andn2_saveexec_b64 s[12:13], s[12:13]
	s_cbranch_execnz .LBB135_2116
.LBB135_1901:
	s_or_b64 exec, exec, s[12:13]
	v_mov_b32_e32 v6, 0
	s_and_saveexec_b64 s[12:13], s[10:11]
.LBB135_1902:
	v_mov_b32_e32 v6, v4
.LBB135_1903:
	s_or_b64 exec, exec, s[12:13]
.LBB135_1904:
	s_or_b64 exec, exec, s[6:7]
	s_mov_b64 s[6:7], 0
	global_store_byte v[1:2], v6, off
.LBB135_1905:
	s_and_b64 vcc, exec, s[6:7]
	s_cbranch_vccz .LBB135_1915
; %bb.1906:
	v_cvt_f32_ubyte0_e32 v4, v3
	s_mov_b32 s6, 0x43f00000
	v_cmp_gt_u32_e32 vcc, s6, v4
                                        ; implicit-def: $vgpr5
	s_and_saveexec_b64 s[6:7], vcc
	s_xor_b64 s[6:7], exec, s[6:7]
	s_cbranch_execz .LBB135_1912
; %bb.1907:
	s_mov_b32 s10, 0x3c7fffff
	v_cmp_lt_u32_e32 vcc, s10, v4
                                        ; implicit-def: $vgpr5
	s_and_saveexec_b64 s[10:11], vcc
	s_xor_b64 s[10:11], exec, s[10:11]
; %bb.1908:
	v_bfe_u32 v5, v4, 20, 1
	s_mov_b32 s12, 0x407ffff
	v_add3_u32 v4, v4, v5, s12
	v_lshrrev_b32_e32 v5, 20, v4
	v_and_b32_e32 v4, 0xff00000, v4
	s_mov_b32 s12, 0x7f00000
	v_mov_b32_e32 v6, 0x7e
	v_cmp_ne_u32_e32 vcc, s12, v4
	v_cndmask_b32_e32 v5, v6, v5, vcc
                                        ; implicit-def: $vgpr4
; %bb.1909:
	s_andn2_saveexec_b64 s[10:11], s[10:11]
; %bb.1910:
	v_add_f32_e32 v5, 0x46800000, v4
; %bb.1911:
	s_or_b64 exec, exec, s[10:11]
                                        ; implicit-def: $vgpr4
.LBB135_1912:
	s_andn2_saveexec_b64 s[6:7], s[6:7]
; %bb.1913:
	s_mov_b32 s10, 0x7f800000
	v_mov_b32_e32 v5, 0x7e
	v_mov_b32_e32 v6, 0x7f
	v_cmp_lt_u32_e32 vcc, s10, v4
	v_cndmask_b32_e32 v5, v5, v6, vcc
; %bb.1914:
	s_or_b64 exec, exec, s[6:7]
	global_store_byte v[1:2], v5, off
.LBB135_1915:
	s_mov_b64 s[6:7], 0
.LBB135_1916:
	s_andn2_b64 vcc, exec, s[6:7]
	s_cbranch_vccnz .LBB135_1926
; %bb.1917:
	v_cvt_f32_ubyte0_e32 v4, v3
	s_mov_b32 s6, 0x47800000
	v_cmp_gt_u32_e32 vcc, s6, v4
                                        ; implicit-def: $vgpr5
	s_and_saveexec_b64 s[6:7], vcc
	s_xor_b64 s[6:7], exec, s[6:7]
	s_cbranch_execz .LBB135_1923
; %bb.1918:
	s_mov_b32 s10, 0x387fffff
	v_cmp_lt_u32_e32 vcc, s10, v4
                                        ; implicit-def: $vgpr5
	s_and_saveexec_b64 s[10:11], vcc
	s_xor_b64 s[10:11], exec, s[10:11]
; %bb.1919:
	v_bfe_u32 v5, v4, 21, 1
	s_mov_b32 s12, 0x80fffff
	v_add3_u32 v4, v4, v5, s12
	v_lshrrev_b32_e32 v5, 21, v4
                                        ; implicit-def: $vgpr4
; %bb.1920:
	s_andn2_saveexec_b64 s[10:11], s[10:11]
; %bb.1921:
	v_add_f32_e32 v5, 0x43000000, v4
; %bb.1922:
	s_or_b64 exec, exec, s[10:11]
                                        ; implicit-def: $vgpr4
.LBB135_1923:
	s_andn2_saveexec_b64 s[6:7], s[6:7]
; %bb.1924:
	s_mov_b32 s10, 0x7f800000
	v_mov_b32_e32 v5, 0x7c
	v_mov_b32_e32 v6, 0x7f
	v_cmp_lt_u32_e32 vcc, s10, v4
	v_cndmask_b32_e32 v5, v5, v6, vcc
; %bb.1925:
	s_or_b64 exec, exec, s[6:7]
	global_store_byte v[1:2], v5, off
.LBB135_1926:
	s_mov_b64 s[6:7], 0
	s_mov_b64 s[10:11], -1
.LBB135_1927:
	s_andn2_b64 vcc, exec, s[6:7]
	s_mov_b64 s[6:7], 0
	s_cbranch_vccnz .LBB135_1934
; %bb.1928:
	s_cmp_gt_i32 s18, 14
	s_mov_b64 s[12:13], -1
	s_cbranch_scc0 .LBB135_1932
; %bb.1929:
	s_cmp_eq_u32 s18, 15
	s_mov_b64 s[0:1], -1
	s_cbranch_scc0 .LBB135_1931
; %bb.1930:
	v_cvt_f32_ubyte0_e32 v4, v3
	v_bfe_u32 v5, v4, 16, 1
	s_movk_i32 s0, 0x7fff
	v_add3_u32 v4, v4, v5, s0
	global_store_short_d16_hi v[1:2], v4, off
	s_mov_b64 s[0:1], 0
	s_mov_b64 s[10:11], -1
.LBB135_1931:
	s_mov_b64 s[12:13], 0
.LBB135_1932:
	s_and_b64 vcc, exec, s[12:13]
	s_cbranch_vccz .LBB135_1934
; %bb.1933:
	s_cmp_lg_u32 s18, 11
	s_mov_b64 s[6:7], -1
	s_cselect_b64 s[0:1], -1, 0
.LBB135_1934:
	s_and_b64 vcc, exec, s[0:1]
	s_cbranch_vccnz .LBB135_2114
; %bb.1935:
	s_andn2_b64 vcc, exec, s[6:7]
	s_cbranch_vccnz .LBB135_1937
.LBB135_1936:
	v_cmp_ne_u16_e32 vcc, 0, v3
	v_cndmask_b32_e64 v4, 0, 1, vcc
	s_mov_b64 s[10:11], -1
	global_store_byte v[1:2], v4, off
.LBB135_1937:
	s_mov_b64 s[0:1], 0
	s_branch .LBB135_1939
.LBB135_1938:
	s_mov_b64 s[0:1], -1
	s_mov_b64 s[10:11], 0
.LBB135_1939:
	s_and_b64 vcc, exec, s[0:1]
	s_cbranch_vccz .LBB135_1978
; %bb.1940:
	s_and_b32 s6, 0xffff, s16
	s_cmp_lt_i32 s6, 5
	s_mov_b64 s[0:1], -1
	s_cbranch_scc1 .LBB135_1961
; %bb.1941:
	s_cmp_lt_i32 s6, 8
	s_cbranch_scc1 .LBB135_1951
; %bb.1942:
	s_cmp_lt_i32 s6, 9
	s_cbranch_scc1 .LBB135_1948
; %bb.1943:
	s_cmp_gt_i32 s6, 9
	s_cbranch_scc0 .LBB135_1945
; %bb.1944:
	v_and_b32_e32 v4, 0xffff, v3
	v_cvt_f64_u32_e32 v[4:5], v4
	v_mov_b32_e32 v6, 0
	v_mov_b32_e32 v7, v6
	s_mov_b64 s[0:1], 0
	global_store_dwordx4 v[1:2], v[4:7], off
.LBB135_1945:
	s_andn2_b64 vcc, exec, s[0:1]
	s_cbranch_vccnz .LBB135_1947
; %bb.1946:
	v_cvt_f32_ubyte0_e32 v4, v3
	v_mov_b32_e32 v5, 0
	global_store_dwordx2 v[1:2], v[4:5], off
.LBB135_1947:
	s_mov_b64 s[0:1], 0
.LBB135_1948:
	s_andn2_b64 vcc, exec, s[0:1]
	s_cbranch_vccnz .LBB135_1950
; %bb.1949:
	v_cvt_f16_u16_e32 v4, v3
	global_store_dword v[1:2], v4, off
.LBB135_1950:
	s_mov_b64 s[0:1], 0
.LBB135_1951:
	s_andn2_b64 vcc, exec, s[0:1]
	s_cbranch_vccnz .LBB135_1960
; %bb.1952:
	s_cmp_lt_i32 s6, 6
	s_mov_b64 s[0:1], -1
	s_cbranch_scc1 .LBB135_1958
; %bb.1953:
	s_cmp_gt_i32 s6, 6
	s_cbranch_scc0 .LBB135_1955
; %bb.1954:
	v_and_b32_e32 v4, 0xffff, v3
	v_cvt_f64_u32_e32 v[4:5], v4
	s_mov_b64 s[0:1], 0
	global_store_dwordx2 v[1:2], v[4:5], off
.LBB135_1955:
	s_andn2_b64 vcc, exec, s[0:1]
	s_cbranch_vccnz .LBB135_1957
; %bb.1956:
	v_cvt_f32_ubyte0_e32 v4, v3
	global_store_dword v[1:2], v4, off
.LBB135_1957:
	s_mov_b64 s[0:1], 0
.LBB135_1958:
	s_andn2_b64 vcc, exec, s[0:1]
	s_cbranch_vccnz .LBB135_1960
; %bb.1959:
	v_cvt_f16_u16_e32 v4, v3
	global_store_short v[1:2], v4, off
.LBB135_1960:
	s_mov_b64 s[0:1], 0
.LBB135_1961:
	s_andn2_b64 vcc, exec, s[0:1]
	s_cbranch_vccnz .LBB135_1977
; %bb.1962:
	s_cmp_lt_i32 s6, 2
	s_mov_b64 s[0:1], -1
	s_cbranch_scc1 .LBB135_1972
; %bb.1963:
	s_cmp_lt_i32 s6, 3
	s_cbranch_scc1 .LBB135_1969
; %bb.1964:
	s_cmp_gt_i32 s6, 3
	s_cbranch_scc0 .LBB135_1966
; %bb.1965:
	s_mov_b32 s0, 0
	v_and_b32_e32 v4, 0xffff, v3
	v_mov_b32_e32 v5, s0
	global_store_dwordx2 v[1:2], v[4:5], off
	s_mov_b64 s[0:1], 0
.LBB135_1966:
	s_andn2_b64 vcc, exec, s[0:1]
	s_cbranch_vccnz .LBB135_1968
; %bb.1967:
	v_and_b32_e32 v4, 0xffff, v3
	global_store_dword v[1:2], v4, off
.LBB135_1968:
	s_mov_b64 s[0:1], 0
.LBB135_1969:
	s_andn2_b64 vcc, exec, s[0:1]
	s_cbranch_vccnz .LBB135_1971
; %bb.1970:
	global_store_short v[1:2], v3, off
.LBB135_1971:
	s_mov_b64 s[0:1], 0
.LBB135_1972:
	s_andn2_b64 vcc, exec, s[0:1]
	s_cbranch_vccnz .LBB135_1977
; %bb.1973:
	s_cmp_gt_i32 s6, 0
	s_mov_b64 s[0:1], -1
	s_cbranch_scc0 .LBB135_1975
; %bb.1974:
	global_store_byte v[1:2], v3, off
	s_mov_b64 s[0:1], 0
.LBB135_1975:
	s_andn2_b64 vcc, exec, s[0:1]
	s_cbranch_vccnz .LBB135_1977
; %bb.1976:
	global_store_byte v[1:2], v3, off
.LBB135_1977:
	s_mov_b64 s[10:11], -1
.LBB135_1978:
	s_andn2_b64 vcc, exec, s[10:11]
	s_cbranch_vccnz .LBB135_2055
; %bb.1979:
	v_lshrrev_b16_sdwa v1, s17, v10 dst_sel:DWORD dst_unused:UNUSED_PAD src0_sel:DWORD src1_sel:BYTE_0
	v_cndmask_b32_e64 v2, v1, 0, s[4:5]
	v_mov_b32_e32 v1, s9
	v_add_co_u32_e32 v0, vcc, s8, v0
	s_cmp_lt_i32 s16, 11
	v_addc_co_u32_e32 v1, vcc, 0, v1, vcc
	s_cbranch_scc1 .LBB135_2100
; %bb.1980:
	s_and_b32 s12, 0xffff, s16
	s_mov_b64 s[6:7], -1
	s_mov_b64 s[4:5], 0
	s_cmp_gt_i32 s12, 25
	s_mov_b64 s[0:1], 0
	s_cbranch_scc0 .LBB135_2013
; %bb.1981:
	s_cmp_gt_i32 s12, 28
	s_cbranch_scc0 .LBB135_1997
; %bb.1982:
	s_cmp_gt_i32 s12, 43
	;; [unrolled: 3-line block ×3, first 2 shown]
	s_cbranch_scc0 .LBB135_1987
; %bb.1984:
	s_cmp_eq_u32 s12, 46
	s_mov_b64 s[0:1], -1
	s_cbranch_scc0 .LBB135_1986
; %bb.1985:
	v_cvt_f32_ubyte0_e32 v3, v2
	v_bfe_u32 v4, v3, 16, 1
	s_movk_i32 s0, 0x7fff
	v_add3_u32 v3, v3, v4, s0
	v_lshrrev_b32_e32 v3, 16, v3
	global_store_dword v[0:1], v3, off
	s_mov_b64 s[0:1], 0
.LBB135_1986:
	s_mov_b64 s[6:7], 0
.LBB135_1987:
	s_and_b64 vcc, exec, s[6:7]
	s_cbranch_vccz .LBB135_1992
; %bb.1988:
	s_cmp_eq_u32 s12, 44
	s_mov_b64 s[0:1], -1
	s_cbranch_scc0 .LBB135_1992
; %bb.1989:
	v_cvt_f32_ubyte0_e32 v4, v2
	v_lshrrev_b32_e32 v3, 23, v4
	s_movk_i32 s0, 0xff
	v_cmp_ne_u32_e32 vcc, s0, v3
	v_mov_b32_e32 v5, 0xff
	s_and_saveexec_b64 s[6:7], vcc
; %bb.1990:
	s_mov_b32 s0, 0x3fffff
	v_and_b32_e32 v5, 0x400000, v4
	v_and_or_b32 v4, v4, s0, v3
	v_cmp_ne_u32_e32 vcc, 0, v5
	v_cmp_ne_u32_e64 s[0:1], 0, v4
	s_and_b64 s[0:1], vcc, s[0:1]
	v_cndmask_b32_e64 v4, 0, 1, s[0:1]
	v_add_u32_e32 v5, v3, v4
; %bb.1991:
	s_or_b64 exec, exec, s[6:7]
	s_mov_b64 s[0:1], 0
	global_store_byte v[0:1], v5, off
.LBB135_1992:
	s_mov_b64 s[6:7], 0
.LBB135_1993:
	s_and_b64 vcc, exec, s[6:7]
	s_cbranch_vccz .LBB135_1996
; %bb.1994:
	s_cmp_eq_u32 s12, 29
	s_mov_b64 s[0:1], -1
	s_cbranch_scc0 .LBB135_1996
; %bb.1995:
	s_mov_b32 s0, 0
	v_and_b32_e32 v3, 0xffff, v2
	v_mov_b32_e32 v4, s0
	global_store_dwordx2 v[0:1], v[3:4], off
	s_mov_b64 s[0:1], 0
.LBB135_1996:
	s_mov_b64 s[6:7], 0
.LBB135_1997:
	s_and_b64 vcc, exec, s[6:7]
	s_cbranch_vccz .LBB135_2012
; %bb.1998:
	s_cmp_lt_i32 s12, 27
	s_mov_b64 s[6:7], -1
	s_cbranch_scc1 .LBB135_2004
; %bb.1999:
	s_cmp_gt_i32 s12, 27
	s_cbranch_scc0 .LBB135_2001
; %bb.2000:
	v_and_b32_e32 v3, 0xffff, v2
	global_store_dword v[0:1], v3, off
	s_mov_b64 s[6:7], 0
.LBB135_2001:
	s_andn2_b64 vcc, exec, s[6:7]
	s_cbranch_vccnz .LBB135_2003
; %bb.2002:
	global_store_short v[0:1], v2, off
.LBB135_2003:
	s_mov_b64 s[6:7], 0
.LBB135_2004:
	s_andn2_b64 vcc, exec, s[6:7]
	s_cbranch_vccnz .LBB135_2012
; %bb.2005:
	v_cvt_f32_ubyte0_e32 v4, v2
	s_mov_b32 s6, 0x43800000
	v_cmp_gt_u32_e32 vcc, s6, v4
	v_mov_b32_e32 v5, 0x80
	s_and_saveexec_b64 s[6:7], vcc
	s_cbranch_execz .LBB135_2011
; %bb.2006:
	s_mov_b32 s8, 0x3bffffff
	v_cmp_lt_u32_e32 vcc, s8, v4
	s_mov_b64 s[8:9], 0
                                        ; implicit-def: $vgpr3
	s_and_saveexec_b64 s[10:11], vcc
	s_xor_b64 s[10:11], exec, s[10:11]
	s_cbranch_execz .LBB135_2117
; %bb.2007:
	v_bfe_u32 v3, v4, 20, 1
	s_mov_b32 s13, 0x487ffff
	v_add3_u32 v3, v4, v3, s13
	s_mov_b64 s[8:9], exec
	v_lshrrev_b32_e32 v3, 20, v3
                                        ; implicit-def: $vgpr4
	s_andn2_saveexec_b64 s[10:11], s[10:11]
	s_cbranch_execnz .LBB135_2118
.LBB135_2008:
	s_or_b64 exec, exec, s[10:11]
	v_mov_b32_e32 v5, 0
	s_and_saveexec_b64 s[10:11], s[8:9]
.LBB135_2009:
	v_mov_b32_e32 v5, v3
.LBB135_2010:
	s_or_b64 exec, exec, s[10:11]
.LBB135_2011:
	s_or_b64 exec, exec, s[6:7]
	global_store_byte v[0:1], v5, off
.LBB135_2012:
	s_mov_b64 s[6:7], 0
.LBB135_2013:
	s_and_b64 vcc, exec, s[6:7]
	s_cbranch_vccz .LBB135_2053
; %bb.2014:
	s_cmp_gt_i32 s12, 22
	s_mov_b64 s[4:5], -1
	s_cbranch_scc0 .LBB135_2046
; %bb.2015:
	s_cmp_lt_i32 s12, 24
	s_cbranch_scc1 .LBB135_2035
; %bb.2016:
	s_cmp_gt_i32 s12, 24
	s_cbranch_scc0 .LBB135_2024
; %bb.2017:
	v_cvt_f32_ubyte0_e32 v4, v2
	s_mov_b32 s4, 0x47800000
	v_cmp_gt_u32_e32 vcc, s4, v4
	v_mov_b32_e32 v5, 0x80
	s_and_saveexec_b64 s[4:5], vcc
	s_cbranch_execz .LBB135_2023
; %bb.2018:
	s_mov_b32 s6, 0x37ffffff
	v_cmp_lt_u32_e32 vcc, s6, v4
	s_mov_b64 s[6:7], 0
                                        ; implicit-def: $vgpr3
	s_and_saveexec_b64 s[8:9], vcc
	s_xor_b64 s[8:9], exec, s[8:9]
	s_cbranch_execz .LBB135_2120
; %bb.2019:
	v_bfe_u32 v3, v4, 21, 1
	s_mov_b32 s10, 0x88fffff
	v_add3_u32 v3, v4, v3, s10
	s_mov_b64 s[6:7], exec
	v_lshrrev_b32_e32 v3, 21, v3
                                        ; implicit-def: $vgpr4
	s_andn2_saveexec_b64 s[8:9], s[8:9]
	s_cbranch_execnz .LBB135_2121
.LBB135_2020:
	s_or_b64 exec, exec, s[8:9]
	v_mov_b32_e32 v5, 0
	s_and_saveexec_b64 s[8:9], s[6:7]
.LBB135_2021:
	v_mov_b32_e32 v5, v3
.LBB135_2022:
	s_or_b64 exec, exec, s[8:9]
.LBB135_2023:
	s_or_b64 exec, exec, s[4:5]
	s_mov_b64 s[4:5], 0
	global_store_byte v[0:1], v5, off
.LBB135_2024:
	s_and_b64 vcc, exec, s[4:5]
	s_cbranch_vccz .LBB135_2034
; %bb.2025:
	v_cvt_f32_ubyte0_e32 v3, v2
	s_mov_b32 s4, 0x43f00000
	v_cmp_gt_u32_e32 vcc, s4, v3
                                        ; implicit-def: $vgpr4
	s_and_saveexec_b64 s[4:5], vcc
	s_xor_b64 s[4:5], exec, s[4:5]
	s_cbranch_execz .LBB135_2031
; %bb.2026:
	s_mov_b32 s6, 0x3c7fffff
	v_cmp_lt_u32_e32 vcc, s6, v3
                                        ; implicit-def: $vgpr4
	s_and_saveexec_b64 s[6:7], vcc
	s_xor_b64 s[6:7], exec, s[6:7]
; %bb.2027:
	v_bfe_u32 v4, v3, 20, 1
	s_mov_b32 s8, 0x407ffff
	v_add3_u32 v3, v3, v4, s8
	v_lshrrev_b32_e32 v4, 20, v3
	v_and_b32_e32 v3, 0xff00000, v3
	s_mov_b32 s8, 0x7f00000
	v_mov_b32_e32 v5, 0x7e
	v_cmp_ne_u32_e32 vcc, s8, v3
	v_cndmask_b32_e32 v4, v5, v4, vcc
                                        ; implicit-def: $vgpr3
; %bb.2028:
	s_andn2_saveexec_b64 s[6:7], s[6:7]
; %bb.2029:
	v_add_f32_e32 v4, 0x46800000, v3
; %bb.2030:
	s_or_b64 exec, exec, s[6:7]
                                        ; implicit-def: $vgpr3
.LBB135_2031:
	s_andn2_saveexec_b64 s[4:5], s[4:5]
; %bb.2032:
	s_mov_b32 s6, 0x7f800000
	v_mov_b32_e32 v4, 0x7e
	v_mov_b32_e32 v5, 0x7f
	v_cmp_lt_u32_e32 vcc, s6, v3
	v_cndmask_b32_e32 v4, v4, v5, vcc
; %bb.2033:
	s_or_b64 exec, exec, s[4:5]
	global_store_byte v[0:1], v4, off
.LBB135_2034:
	s_mov_b64 s[4:5], 0
.LBB135_2035:
	s_andn2_b64 vcc, exec, s[4:5]
	s_cbranch_vccnz .LBB135_2045
; %bb.2036:
	v_cvt_f32_ubyte0_e32 v3, v2
	s_mov_b32 s4, 0x47800000
	v_cmp_gt_u32_e32 vcc, s4, v3
                                        ; implicit-def: $vgpr4
	s_and_saveexec_b64 s[4:5], vcc
	s_xor_b64 s[4:5], exec, s[4:5]
	s_cbranch_execz .LBB135_2042
; %bb.2037:
	s_mov_b32 s6, 0x387fffff
	v_cmp_lt_u32_e32 vcc, s6, v3
                                        ; implicit-def: $vgpr4
	s_and_saveexec_b64 s[6:7], vcc
	s_xor_b64 s[6:7], exec, s[6:7]
; %bb.2038:
	v_bfe_u32 v4, v3, 21, 1
	s_mov_b32 s8, 0x80fffff
	v_add3_u32 v3, v3, v4, s8
	v_lshrrev_b32_e32 v4, 21, v3
                                        ; implicit-def: $vgpr3
; %bb.2039:
	s_andn2_saveexec_b64 s[6:7], s[6:7]
; %bb.2040:
	v_add_f32_e32 v4, 0x43000000, v3
; %bb.2041:
	s_or_b64 exec, exec, s[6:7]
                                        ; implicit-def: $vgpr3
.LBB135_2042:
	s_andn2_saveexec_b64 s[4:5], s[4:5]
; %bb.2043:
	s_mov_b32 s6, 0x7f800000
	v_mov_b32_e32 v4, 0x7c
	v_mov_b32_e32 v5, 0x7f
	v_cmp_lt_u32_e32 vcc, s6, v3
	v_cndmask_b32_e32 v4, v4, v5, vcc
; %bb.2044:
	s_or_b64 exec, exec, s[4:5]
	global_store_byte v[0:1], v4, off
.LBB135_2045:
	s_mov_b64 s[4:5], 0
.LBB135_2046:
	s_andn2_b64 vcc, exec, s[4:5]
	s_mov_b64 s[4:5], 0
	s_cbranch_vccnz .LBB135_2053
; %bb.2047:
	s_cmp_gt_i32 s12, 14
	s_mov_b64 s[6:7], -1
	s_cbranch_scc0 .LBB135_2051
; %bb.2048:
	s_cmp_eq_u32 s12, 15
	s_mov_b64 s[0:1], -1
	s_cbranch_scc0 .LBB135_2050
; %bb.2049:
	v_cvt_f32_ubyte0_e32 v3, v2
	v_bfe_u32 v4, v3, 16, 1
	s_movk_i32 s0, 0x7fff
	v_add3_u32 v3, v3, v4, s0
	global_store_short_d16_hi v[0:1], v3, off
	s_mov_b64 s[0:1], 0
.LBB135_2050:
	s_mov_b64 s[6:7], 0
.LBB135_2051:
	s_and_b64 vcc, exec, s[6:7]
	s_cbranch_vccz .LBB135_2053
; %bb.2052:
	s_cmp_lg_u32 s12, 11
	s_mov_b64 s[4:5], -1
	s_cselect_b64 s[0:1], -1, 0
.LBB135_2053:
	s_and_b64 vcc, exec, s[0:1]
	s_cbranch_vccnz .LBB135_2119
.LBB135_2054:
	s_mov_b64 s[0:1], 0
	s_branch .LBB135_2056
.LBB135_2055:
	s_mov_b64 s[0:1], 0
	s_mov_b64 s[4:5], 0
                                        ; implicit-def: $vgpr0_vgpr1
                                        ; implicit-def: $sgpr16
                                        ; implicit-def: $vgpr2
.LBB135_2056:
	s_and_b64 s[6:7], s[4:5], exec
	s_andn2_b64 s[4:5], s[28:29], exec
	s_and_b64 s[2:3], s[2:3], exec
	s_and_b64 s[0:1], s[0:1], exec
	s_or_b64 s[28:29], s[4:5], s[2:3]
.LBB135_2057:
	s_or_b64 exec, exec, s[30:31]
	s_and_saveexec_b64 s[2:3], s[28:29]
	s_cbranch_execz .LBB135_2060
; %bb.2058:
	; divergent unreachable
	s_or_b64 exec, exec, s[2:3]
	s_and_saveexec_b64 s[2:3], s[6:7]
	s_xor_b64 s[2:3], exec, s[2:3]
	s_cbranch_execnz .LBB135_2061
.LBB135_2059:
	s_or_b64 exec, exec, s[2:3]
	s_and_saveexec_b64 s[2:3], s[0:1]
	s_cbranch_execnz .LBB135_2062
	s_branch .LBB135_2099
.LBB135_2060:
	s_or_b64 exec, exec, s[2:3]
	s_and_saveexec_b64 s[2:3], s[6:7]
	s_xor_b64 s[2:3], exec, s[2:3]
	s_cbranch_execz .LBB135_2059
.LBB135_2061:
	s_waitcnt vmcnt(0)
	v_mov_b32_e32 v3, 0
	v_cmp_ne_u16_sdwa s[4:5], v2, v3 src0_sel:BYTE_0 src1_sel:DWORD
	v_cndmask_b32_e64 v3, 0, 1, s[4:5]
	global_store_byte v[0:1], v3, off
	s_or_b64 exec, exec, s[2:3]
	s_and_saveexec_b64 s[2:3], s[0:1]
	s_cbranch_execz .LBB135_2099
.LBB135_2062:
	s_sext_i32_i16 s2, s16
	s_cmp_lt_i32 s2, 5
	s_mov_b64 s[0:1], -1
	s_cbranch_scc1 .LBB135_2083
; %bb.2063:
	s_cmp_lt_i32 s2, 8
	s_cbranch_scc1 .LBB135_2073
; %bb.2064:
	s_cmp_lt_i32 s2, 9
	s_cbranch_scc1 .LBB135_2070
; %bb.2065:
	s_cmp_gt_i32 s2, 9
	s_cbranch_scc0 .LBB135_2067
; %bb.2066:
	s_mov_b32 s0, 0xffff
	s_waitcnt vmcnt(0)
	v_and_b32_sdwa v3, s0, v2 dst_sel:DWORD dst_unused:UNUSED_PAD src0_sel:DWORD src1_sel:BYTE_0
	v_cvt_f64_u32_e32 v[3:4], v3
	v_mov_b32_e32 v5, 0
	v_mov_b32_e32 v6, v5
	s_mov_b64 s[0:1], 0
	global_store_dwordx4 v[0:1], v[3:6], off
.LBB135_2067:
	s_andn2_b64 vcc, exec, s[0:1]
	s_cbranch_vccnz .LBB135_2069
; %bb.2068:
	s_waitcnt vmcnt(0)
	v_cvt_f32_ubyte0_e32 v3, v2
	v_mov_b32_e32 v4, 0
	global_store_dwordx2 v[0:1], v[3:4], off
.LBB135_2069:
	s_mov_b64 s[0:1], 0
.LBB135_2070:
	s_andn2_b64 vcc, exec, s[0:1]
	s_cbranch_vccnz .LBB135_2072
; %bb.2071:
	s_waitcnt vmcnt(0)
	v_cvt_f16_u16_sdwa v3, v2 dst_sel:DWORD dst_unused:UNUSED_PAD src0_sel:BYTE_0
	global_store_dword v[0:1], v3, off
.LBB135_2072:
	s_mov_b64 s[0:1], 0
.LBB135_2073:
	s_andn2_b64 vcc, exec, s[0:1]
	s_cbranch_vccnz .LBB135_2082
; %bb.2074:
	s_sext_i32_i16 s2, s16
	s_cmp_lt_i32 s2, 6
	s_mov_b64 s[0:1], -1
	s_cbranch_scc1 .LBB135_2080
; %bb.2075:
	s_cmp_gt_i32 s2, 6
	s_cbranch_scc0 .LBB135_2077
; %bb.2076:
	s_mov_b32 s0, 0xffff
	s_waitcnt vmcnt(0)
	v_and_b32_sdwa v3, s0, v2 dst_sel:DWORD dst_unused:UNUSED_PAD src0_sel:DWORD src1_sel:BYTE_0
	v_cvt_f64_u32_e32 v[3:4], v3
	s_mov_b64 s[0:1], 0
	global_store_dwordx2 v[0:1], v[3:4], off
.LBB135_2077:
	s_andn2_b64 vcc, exec, s[0:1]
	s_cbranch_vccnz .LBB135_2079
; %bb.2078:
	s_waitcnt vmcnt(0)
	v_cvt_f32_ubyte0_e32 v3, v2
	global_store_dword v[0:1], v3, off
.LBB135_2079:
	s_mov_b64 s[0:1], 0
.LBB135_2080:
	s_andn2_b64 vcc, exec, s[0:1]
	s_cbranch_vccnz .LBB135_2082
; %bb.2081:
	s_waitcnt vmcnt(0)
	v_cvt_f16_u16_sdwa v3, v2 dst_sel:DWORD dst_unused:UNUSED_PAD src0_sel:BYTE_0
	global_store_short v[0:1], v3, off
.LBB135_2082:
	s_mov_b64 s[0:1], 0
.LBB135_2083:
	s_andn2_b64 vcc, exec, s[0:1]
	s_cbranch_vccnz .LBB135_2099
; %bb.2084:
	s_sext_i32_i16 s2, s16
	s_cmp_lt_i32 s2, 2
	s_mov_b64 s[0:1], -1
	s_cbranch_scc1 .LBB135_2094
; %bb.2085:
	s_cmp_lt_i32 s2, 3
	s_cbranch_scc1 .LBB135_2091
; %bb.2086:
	s_cmp_gt_i32 s2, 3
	s_cbranch_scc0 .LBB135_2088
; %bb.2087:
	s_waitcnt vmcnt(0)
	v_and_b32_e32 v3, 0xff, v2
	v_mov_b32_e32 v4, 0
	global_store_dwordx2 v[0:1], v[3:4], off
	s_mov_b64 s[0:1], 0
.LBB135_2088:
	s_andn2_b64 vcc, exec, s[0:1]
	s_cbranch_vccnz .LBB135_2090
; %bb.2089:
	s_waitcnt vmcnt(0)
	v_and_b32_e32 v3, 0xff, v2
	global_store_dword v[0:1], v3, off
.LBB135_2090:
	s_mov_b64 s[0:1], 0
.LBB135_2091:
	s_andn2_b64 vcc, exec, s[0:1]
	s_cbranch_vccnz .LBB135_2093
; %bb.2092:
	s_waitcnt vmcnt(0)
	v_and_b32_e32 v3, 0xff, v2
	global_store_short v[0:1], v3, off
.LBB135_2093:
	s_mov_b64 s[0:1], 0
.LBB135_2094:
	s_andn2_b64 vcc, exec, s[0:1]
	s_cbranch_vccnz .LBB135_2099
; %bb.2095:
	s_sext_i32_i16 s0, s16
	s_cmp_gt_i32 s0, 0
	s_mov_b64 s[0:1], -1
	s_cbranch_scc0 .LBB135_2097
; %bb.2096:
	global_store_byte v[0:1], v2, off
	s_mov_b64 s[0:1], 0
.LBB135_2097:
	s_andn2_b64 vcc, exec, s[0:1]
	s_cbranch_vccnz .LBB135_2099
; %bb.2098:
	global_store_byte v[0:1], v2, off
	s_endpgm
.LBB135_2099:
	s_endpgm
.LBB135_2100:
	s_mov_b64 s[4:5], 0
	s_mov_b64 s[0:1], -1
	s_branch .LBB135_2056
.LBB135_2101:
	s_trap 2
	s_or_b64 s[2:3], s[2:3], exec
	s_cbranch_execz .LBB135_1570
	s_branch .LBB135_1571
.LBB135_2102:
	s_andn2_saveexec_b64 s[14:15], s[14:15]
	s_cbranch_execz .LBB135_1650
.LBB135_2103:
	v_add_f32_e32 v3, 0x46000000, v7
	v_and_b32_e32 v3, 0xff, v3
	v_cmp_ne_u32_e32 vcc, 0, v3
	s_andn2_b64 s[12:13], s[12:13], exec
	s_and_b64 s[20:21], vcc, exec
	s_or_b64 s[12:13], s[12:13], s[20:21]
	s_or_b64 exec, exec, s[14:15]
	v_mov_b32_e32 v11, 0
	s_and_saveexec_b64 s[14:15], s[12:13]
	s_cbranch_execnz .LBB135_1651
	s_branch .LBB135_1652
.LBB135_2104:
	s_trap 2
	s_or_b64 s[2:3], s[2:3], exec
	s_cbranch_execz .LBB135_1698
	s_branch .LBB135_1699
.LBB135_2105:
	s_andn2_saveexec_b64 s[12:13], s[12:13]
	s_cbranch_execz .LBB135_1663
.LBB135_2106:
	v_add_f32_e32 v3, 0x42800000, v7
	v_and_b32_e32 v3, 0xff, v3
	v_cmp_ne_u32_e32 vcc, 0, v3
	s_andn2_b64 s[10:11], s[10:11], exec
	s_and_b64 s[14:15], vcc, exec
	s_or_b64 s[10:11], s[10:11], s[14:15]
	s_or_b64 exec, exec, s[12:13]
	v_mov_b32_e32 v11, 0
	s_and_saveexec_b64 s[12:13], s[10:11]
	s_cbranch_execnz .LBB135_1664
	s_branch .LBB135_1665
.LBB135_2107:
	s_andn2_saveexec_b64 s[14:15], s[14:15]
	s_cbranch_execz .LBB135_1769
.LBB135_2108:
	v_add_f32_e32 v5, 0x46000000, v6
	v_and_b32_e32 v5, 0xff, v5
	v_cmp_ne_u32_e32 vcc, 0, v5
	s_andn2_b64 s[12:13], s[12:13], exec
	s_and_b64 s[20:21], vcc, exec
	s_or_b64 s[12:13], s[12:13], s[20:21]
	s_or_b64 exec, exec, s[14:15]
	v_mov_b32_e32 v7, 0
	s_and_saveexec_b64 s[14:15], s[12:13]
	s_cbranch_execnz .LBB135_1770
	s_branch .LBB135_1771
.LBB135_2109:
	s_trap 2
	s_or_b64 s[2:3], s[2:3], exec
	s_cbranch_execz .LBB135_1817
	s_branch .LBB135_1818
.LBB135_2110:
	s_andn2_saveexec_b64 s[12:13], s[12:13]
	s_cbranch_execz .LBB135_1782
.LBB135_2111:
	v_add_f32_e32 v5, 0x42800000, v6
	v_and_b32_e32 v5, 0xff, v5
	v_cmp_ne_u32_e32 vcc, 0, v5
	s_andn2_b64 s[10:11], s[10:11], exec
	s_and_b64 s[14:15], vcc, exec
	s_or_b64 s[10:11], s[10:11], s[14:15]
	s_or_b64 exec, exec, s[12:13]
	v_mov_b32_e32 v7, 0
	s_and_saveexec_b64 s[12:13], s[10:11]
	s_cbranch_execnz .LBB135_1783
	s_branch .LBB135_1784
.LBB135_2112:
	s_andn2_saveexec_b64 s[14:15], s[14:15]
	s_cbranch_execz .LBB135_1888
.LBB135_2113:
	v_add_f32_e32 v4, 0x46000000, v5
	v_and_b32_e32 v4, 0xff, v4
	v_cmp_ne_u32_e32 vcc, 0, v4
	s_andn2_b64 s[12:13], s[12:13], exec
	s_and_b64 s[20:21], vcc, exec
	s_or_b64 s[12:13], s[12:13], s[20:21]
	s_or_b64 exec, exec, s[14:15]
	v_mov_b32_e32 v6, 0
	s_and_saveexec_b64 s[14:15], s[12:13]
	s_cbranch_execnz .LBB135_1889
	s_branch .LBB135_1890
.LBB135_2114:
	s_trap 2
	s_or_b64 s[2:3], s[2:3], exec
	s_cbranch_execz .LBB135_1936
	s_branch .LBB135_1937
.LBB135_2115:
	s_andn2_saveexec_b64 s[12:13], s[12:13]
	s_cbranch_execz .LBB135_1901
.LBB135_2116:
	v_add_f32_e32 v4, 0x42800000, v5
	v_and_b32_e32 v4, 0xff, v4
	v_cmp_ne_u32_e32 vcc, 0, v4
	s_andn2_b64 s[10:11], s[10:11], exec
	s_and_b64 s[14:15], vcc, exec
	s_or_b64 s[10:11], s[10:11], s[14:15]
	s_or_b64 exec, exec, s[12:13]
	v_mov_b32_e32 v6, 0
	s_and_saveexec_b64 s[12:13], s[10:11]
	s_cbranch_execnz .LBB135_1902
	s_branch .LBB135_1903
.LBB135_2117:
	s_andn2_saveexec_b64 s[10:11], s[10:11]
	s_cbranch_execz .LBB135_2008
.LBB135_2118:
	v_add_f32_e32 v3, 0x46000000, v4
	v_and_b32_e32 v3, 0xff, v3
	v_cmp_ne_u32_e32 vcc, 0, v3
	s_andn2_b64 s[8:9], s[8:9], exec
	s_and_b64 s[14:15], vcc, exec
	s_or_b64 s[8:9], s[8:9], s[14:15]
	s_or_b64 exec, exec, s[10:11]
	v_mov_b32_e32 v5, 0
	s_and_saveexec_b64 s[10:11], s[8:9]
	s_cbranch_execnz .LBB135_2009
	s_branch .LBB135_2010
.LBB135_2119:
	s_mov_b64 s[4:5], 0
	s_or_b64 s[2:3], s[2:3], exec
	s_trap 2
	s_branch .LBB135_2054
.LBB135_2120:
	s_andn2_saveexec_b64 s[8:9], s[8:9]
	s_cbranch_execz .LBB135_2020
.LBB135_2121:
	v_add_f32_e32 v3, 0x42800000, v4
	v_and_b32_e32 v3, 0xff, v3
	v_cmp_ne_u32_e32 vcc, 0, v3
	s_andn2_b64 s[6:7], s[6:7], exec
	s_and_b64 s[10:11], vcc, exec
	s_or_b64 s[6:7], s[6:7], s[10:11]
	s_or_b64 exec, exec, s[8:9]
	v_mov_b32_e32 v5, 0
	s_and_saveexec_b64 s[8:9], s[6:7]
	s_cbranch_execnz .LBB135_2021
	s_branch .LBB135_2022
	.section	.rodata,"a",@progbits
	.p2align	6, 0x0
	.amdhsa_kernel _ZN2at6native32elementwise_kernel_manual_unrollILi128ELi4EZNS0_15gpu_kernel_implINS0_13BUnaryFunctorIhhhZZZNS0_18rshift_kernel_cudaERNS_18TensorIteratorBaseEENKUlvE_clEvENKUlvE_clEvEUlhhE_EEEEvS5_RKT_EUlibE0_EEviT1_
		.amdhsa_group_segment_fixed_size 0
		.amdhsa_private_segment_fixed_size 0
		.amdhsa_kernarg_size 360
		.amdhsa_user_sgpr_count 6
		.amdhsa_user_sgpr_private_segment_buffer 1
		.amdhsa_user_sgpr_dispatch_ptr 0
		.amdhsa_user_sgpr_queue_ptr 0
		.amdhsa_user_sgpr_kernarg_segment_ptr 1
		.amdhsa_user_sgpr_dispatch_id 0
		.amdhsa_user_sgpr_flat_scratch_init 0
		.amdhsa_user_sgpr_private_segment_size 0
		.amdhsa_uses_dynamic_stack 0
		.amdhsa_system_sgpr_private_segment_wavefront_offset 0
		.amdhsa_system_sgpr_workgroup_id_x 1
		.amdhsa_system_sgpr_workgroup_id_y 0
		.amdhsa_system_sgpr_workgroup_id_z 0
		.amdhsa_system_sgpr_workgroup_info 0
		.amdhsa_system_vgpr_workitem_id 0
		.amdhsa_next_free_vgpr 18
		.amdhsa_next_free_sgpr 81
		.amdhsa_reserve_vcc 1
		.amdhsa_reserve_flat_scratch 0
		.amdhsa_float_round_mode_32 0
		.amdhsa_float_round_mode_16_64 0
		.amdhsa_float_denorm_mode_32 3
		.amdhsa_float_denorm_mode_16_64 3
		.amdhsa_dx10_clamp 1
		.amdhsa_ieee_mode 1
		.amdhsa_fp16_overflow 0
		.amdhsa_exception_fp_ieee_invalid_op 0
		.amdhsa_exception_fp_denorm_src 0
		.amdhsa_exception_fp_ieee_div_zero 0
		.amdhsa_exception_fp_ieee_overflow 0
		.amdhsa_exception_fp_ieee_underflow 0
		.amdhsa_exception_fp_ieee_inexact 0
		.amdhsa_exception_int_div_zero 0
	.end_amdhsa_kernel
	.section	.text._ZN2at6native32elementwise_kernel_manual_unrollILi128ELi4EZNS0_15gpu_kernel_implINS0_13BUnaryFunctorIhhhZZZNS0_18rshift_kernel_cudaERNS_18TensorIteratorBaseEENKUlvE_clEvENKUlvE_clEvEUlhhE_EEEEvS5_RKT_EUlibE0_EEviT1_,"axG",@progbits,_ZN2at6native32elementwise_kernel_manual_unrollILi128ELi4EZNS0_15gpu_kernel_implINS0_13BUnaryFunctorIhhhZZZNS0_18rshift_kernel_cudaERNS_18TensorIteratorBaseEENKUlvE_clEvENKUlvE_clEvEUlhhE_EEEEvS5_RKT_EUlibE0_EEviT1_,comdat
.Lfunc_end135:
	.size	_ZN2at6native32elementwise_kernel_manual_unrollILi128ELi4EZNS0_15gpu_kernel_implINS0_13BUnaryFunctorIhhhZZZNS0_18rshift_kernel_cudaERNS_18TensorIteratorBaseEENKUlvE_clEvENKUlvE_clEvEUlhhE_EEEEvS5_RKT_EUlibE0_EEviT1_, .Lfunc_end135-_ZN2at6native32elementwise_kernel_manual_unrollILi128ELi4EZNS0_15gpu_kernel_implINS0_13BUnaryFunctorIhhhZZZNS0_18rshift_kernel_cudaERNS_18TensorIteratorBaseEENKUlvE_clEvENKUlvE_clEvEUlhhE_EEEEvS5_RKT_EUlibE0_EEviT1_
                                        ; -- End function
	.set _ZN2at6native32elementwise_kernel_manual_unrollILi128ELi4EZNS0_15gpu_kernel_implINS0_13BUnaryFunctorIhhhZZZNS0_18rshift_kernel_cudaERNS_18TensorIteratorBaseEENKUlvE_clEvENKUlvE_clEvEUlhhE_EEEEvS5_RKT_EUlibE0_EEviT1_.num_vgpr, 18
	.set _ZN2at6native32elementwise_kernel_manual_unrollILi128ELi4EZNS0_15gpu_kernel_implINS0_13BUnaryFunctorIhhhZZZNS0_18rshift_kernel_cudaERNS_18TensorIteratorBaseEENKUlvE_clEvENKUlvE_clEvEUlhhE_EEEEvS5_RKT_EUlibE0_EEviT1_.num_agpr, 0
	.set _ZN2at6native32elementwise_kernel_manual_unrollILi128ELi4EZNS0_15gpu_kernel_implINS0_13BUnaryFunctorIhhhZZZNS0_18rshift_kernel_cudaERNS_18TensorIteratorBaseEENKUlvE_clEvENKUlvE_clEvEUlhhE_EEEEvS5_RKT_EUlibE0_EEviT1_.numbered_sgpr, 81
	.set _ZN2at6native32elementwise_kernel_manual_unrollILi128ELi4EZNS0_15gpu_kernel_implINS0_13BUnaryFunctorIhhhZZZNS0_18rshift_kernel_cudaERNS_18TensorIteratorBaseEENKUlvE_clEvENKUlvE_clEvEUlhhE_EEEEvS5_RKT_EUlibE0_EEviT1_.num_named_barrier, 0
	.set _ZN2at6native32elementwise_kernel_manual_unrollILi128ELi4EZNS0_15gpu_kernel_implINS0_13BUnaryFunctorIhhhZZZNS0_18rshift_kernel_cudaERNS_18TensorIteratorBaseEENKUlvE_clEvENKUlvE_clEvEUlhhE_EEEEvS5_RKT_EUlibE0_EEviT1_.private_seg_size, 0
	.set _ZN2at6native32elementwise_kernel_manual_unrollILi128ELi4EZNS0_15gpu_kernel_implINS0_13BUnaryFunctorIhhhZZZNS0_18rshift_kernel_cudaERNS_18TensorIteratorBaseEENKUlvE_clEvENKUlvE_clEvEUlhhE_EEEEvS5_RKT_EUlibE0_EEviT1_.uses_vcc, 1
	.set _ZN2at6native32elementwise_kernel_manual_unrollILi128ELi4EZNS0_15gpu_kernel_implINS0_13BUnaryFunctorIhhhZZZNS0_18rshift_kernel_cudaERNS_18TensorIteratorBaseEENKUlvE_clEvENKUlvE_clEvEUlhhE_EEEEvS5_RKT_EUlibE0_EEviT1_.uses_flat_scratch, 0
	.set _ZN2at6native32elementwise_kernel_manual_unrollILi128ELi4EZNS0_15gpu_kernel_implINS0_13BUnaryFunctorIhhhZZZNS0_18rshift_kernel_cudaERNS_18TensorIteratorBaseEENKUlvE_clEvENKUlvE_clEvEUlhhE_EEEEvS5_RKT_EUlibE0_EEviT1_.has_dyn_sized_stack, 0
	.set _ZN2at6native32elementwise_kernel_manual_unrollILi128ELi4EZNS0_15gpu_kernel_implINS0_13BUnaryFunctorIhhhZZZNS0_18rshift_kernel_cudaERNS_18TensorIteratorBaseEENKUlvE_clEvENKUlvE_clEvEUlhhE_EEEEvS5_RKT_EUlibE0_EEviT1_.has_recursion, 0
	.set _ZN2at6native32elementwise_kernel_manual_unrollILi128ELi4EZNS0_15gpu_kernel_implINS0_13BUnaryFunctorIhhhZZZNS0_18rshift_kernel_cudaERNS_18TensorIteratorBaseEENKUlvE_clEvENKUlvE_clEvEUlhhE_EEEEvS5_RKT_EUlibE0_EEviT1_.has_indirect_call, 0
	.section	.AMDGPU.csdata,"",@progbits
; Kernel info:
; codeLenInByte = 38584
; TotalNumSgprs: 85
; NumVgprs: 18
; ScratchSize: 0
; MemoryBound: 1
; FloatMode: 240
; IeeeMode: 1
; LDSByteSize: 0 bytes/workgroup (compile time only)
; SGPRBlocks: 10
; VGPRBlocks: 4
; NumSGPRsForWavesPerEU: 85
; NumVGPRsForWavesPerEU: 18
; Occupancy: 9
; WaveLimiterHint : 1
; COMPUTE_PGM_RSRC2:SCRATCH_EN: 0
; COMPUTE_PGM_RSRC2:USER_SGPR: 6
; COMPUTE_PGM_RSRC2:TRAP_HANDLER: 0
; COMPUTE_PGM_RSRC2:TGID_X_EN: 1
; COMPUTE_PGM_RSRC2:TGID_Y_EN: 0
; COMPUTE_PGM_RSRC2:TGID_Z_EN: 0
; COMPUTE_PGM_RSRC2:TIDIG_COMP_CNT: 0
	.section	.text._ZN2at6native29vectorized_elementwise_kernelILi16ENS0_13BinaryFunctorIhhhZZZNS0_18rshift_kernel_cudaERNS_18TensorIteratorBaseEENKUlvE_clEvENKUlvE_clEvEUlhhE_EESt5arrayIPcLm3EEEEviT0_T1_,"axG",@progbits,_ZN2at6native29vectorized_elementwise_kernelILi16ENS0_13BinaryFunctorIhhhZZZNS0_18rshift_kernel_cudaERNS_18TensorIteratorBaseEENKUlvE_clEvENKUlvE_clEvEUlhhE_EESt5arrayIPcLm3EEEEviT0_T1_,comdat
	.globl	_ZN2at6native29vectorized_elementwise_kernelILi16ENS0_13BinaryFunctorIhhhZZZNS0_18rshift_kernel_cudaERNS_18TensorIteratorBaseEENKUlvE_clEvENKUlvE_clEvEUlhhE_EESt5arrayIPcLm3EEEEviT0_T1_ ; -- Begin function _ZN2at6native29vectorized_elementwise_kernelILi16ENS0_13BinaryFunctorIhhhZZZNS0_18rshift_kernel_cudaERNS_18TensorIteratorBaseEENKUlvE_clEvENKUlvE_clEvEUlhhE_EESt5arrayIPcLm3EEEEviT0_T1_
	.p2align	8
	.type	_ZN2at6native29vectorized_elementwise_kernelILi16ENS0_13BinaryFunctorIhhhZZZNS0_18rshift_kernel_cudaERNS_18TensorIteratorBaseEENKUlvE_clEvENKUlvE_clEvEUlhhE_EESt5arrayIPcLm3EEEEviT0_T1_,@function
_ZN2at6native29vectorized_elementwise_kernelILi16ENS0_13BinaryFunctorIhhhZZZNS0_18rshift_kernel_cudaERNS_18TensorIteratorBaseEENKUlvE_clEvENKUlvE_clEvEUlhhE_EESt5arrayIPcLm3EEEEviT0_T1_: ; @_ZN2at6native29vectorized_elementwise_kernelILi16ENS0_13BinaryFunctorIhhhZZZNS0_18rshift_kernel_cudaERNS_18TensorIteratorBaseEENKUlvE_clEvENKUlvE_clEvEUlhhE_EESt5arrayIPcLm3EEEEviT0_T1_
; %bb.0:
	s_load_dword s0, s[4:5], 0x0
	s_load_dwordx4 s[56:59], s[4:5], 0x8
	s_load_dwordx2 s[8:9], s[4:5], 0x18
	s_lshl_b32 s54, s6, 12
	s_waitcnt lgkmcnt(0)
	s_sub_i32 s33, s0, s54
	s_cmpk_gt_i32 s33, 0xfff
	s_mov_b64 s[0:1], -1
	s_cbranch_scc0 .LBB136_2
; %bb.1:
	s_ashr_i32 s2, s54, 31
	s_add_u32 s0, s58, s54
	s_addc_u32 s1, s59, s2
	v_lshlrev_b32_e32 v9, 4, v0
	global_load_dwordx4 v[1:4], v9, s[0:1]
	s_add_u32 s0, s8, s54
	s_addc_u32 s1, s9, s2
	global_load_dwordx4 v[5:8], v9, s[0:1]
	s_movk_i32 s0, 0xff
	v_mov_b32_e32 v10, 8
	s_add_u32 s4, s56, s54
	s_addc_u32 s5, s57, s2
	v_mov_b32_e32 v11, 0
	s_waitcnt vmcnt(1)
	v_and_b32_sdwa v12, v1, s0 dst_sel:DWORD dst_unused:UNUSED_PAD src0_sel:WORD_1 src1_sel:DWORD
	v_and_b32_sdwa v13, v2, s0 dst_sel:DWORD dst_unused:UNUSED_PAD src0_sel:WORD_1 src1_sel:DWORD
	;; [unrolled: 1-line block ×3, first 2 shown]
	s_waitcnt vmcnt(0)
	v_lshrrev_b16_sdwa v20, v5, v1 dst_sel:DWORD dst_unused:UNUSED_PAD src0_sel:BYTE_3 src1_sel:BYTE_3
	v_lshrrev_b16_sdwa v21, v5, v1 dst_sel:DWORD dst_unused:UNUSED_PAD src0_sel:BYTE_1 src1_sel:BYTE_1
	v_lshrrev_b16_sdwa v1, v5, v1 dst_sel:DWORD dst_unused:UNUSED_PAD src0_sel:DWORD src1_sel:BYTE_0
	v_cmp_lt_u16_sdwa s[2:3], v5, v10 src0_sel:BYTE_0 src1_sel:DWORD
	v_and_b32_sdwa v16, v5, s0 dst_sel:DWORD dst_unused:UNUSED_PAD src0_sel:WORD_1 src1_sel:DWORD
	v_cndmask_b32_e64 v1, 0, v1, s[2:3]
	v_cmp_lt_u16_sdwa s[2:3], v5, v10 src0_sel:BYTE_1 src1_sel:DWORD
	v_lshrrev_b16_sdwa v12, v5, v12 dst_sel:DWORD dst_unused:UNUSED_PAD src0_sel:WORD_1 src1_sel:DWORD
	v_cndmask_b32_e64 v21, 0, v21, s[2:3]
	v_cmp_gt_u16_e64 s[2:3], 8, v16
	v_cndmask_b32_e64 v12, 0, v12, s[2:3]
	v_cmp_lt_u16_sdwa s[2:3], v5, v10 src0_sel:BYTE_3 src1_sel:DWORD
	v_lshrrev_b16_sdwa v22, v6, v2 dst_sel:DWORD dst_unused:UNUSED_PAD src0_sel:BYTE_3 src1_sel:BYTE_3
	v_lshrrev_b16_sdwa v23, v6, v2 dst_sel:DWORD dst_unused:UNUSED_PAD src0_sel:BYTE_1 src1_sel:BYTE_1
	v_lshrrev_b16_sdwa v2, v6, v2 dst_sel:DWORD dst_unused:UNUSED_PAD src0_sel:DWORD src1_sel:BYTE_0
	v_cndmask_b32_e64 v5, 0, v20, s[2:3]
	v_cmp_lt_u16_sdwa s[2:3], v6, v10 src0_sel:BYTE_0 src1_sel:DWORD
	v_and_b32_sdwa v17, v6, s0 dst_sel:DWORD dst_unused:UNUSED_PAD src0_sel:WORD_1 src1_sel:DWORD
	v_cndmask_b32_e64 v2, 0, v2, s[2:3]
	v_cmp_lt_u16_sdwa s[2:3], v6, v10 src0_sel:BYTE_1 src1_sel:DWORD
	v_lshrrev_b16_sdwa v13, v6, v13 dst_sel:DWORD dst_unused:UNUSED_PAD src0_sel:WORD_1 src1_sel:DWORD
	v_cndmask_b32_e64 v16, 0, v23, s[2:3]
	v_cmp_gt_u16_e64 s[2:3], 8, v17
	v_cndmask_b32_e64 v13, 0, v13, s[2:3]
	v_cmp_lt_u16_sdwa s[2:3], v6, v10 src0_sel:BYTE_3 src1_sel:DWORD
	v_lshrrev_b16_sdwa v24, v7, v3 dst_sel:DWORD dst_unused:UNUSED_PAD src0_sel:BYTE_3 src1_sel:BYTE_3
	v_lshrrev_b16_sdwa v25, v7, v3 dst_sel:DWORD dst_unused:UNUSED_PAD src0_sel:BYTE_1 src1_sel:BYTE_1
	v_lshrrev_b16_sdwa v3, v7, v3 dst_sel:DWORD dst_unused:UNUSED_PAD src0_sel:DWORD src1_sel:BYTE_0
	v_cndmask_b32_e64 v6, 0, v22, s[2:3]
	v_cmp_lt_u16_sdwa s[2:3], v7, v10 src0_sel:BYTE_0 src1_sel:DWORD
	v_and_b32_sdwa v18, v7, s0 dst_sel:DWORD dst_unused:UNUSED_PAD src0_sel:WORD_1 src1_sel:DWORD
	v_cndmask_b32_e64 v3, 0, v3, s[2:3]
	v_cmp_lt_u16_sdwa s[2:3], v7, v10 src0_sel:BYTE_1 src1_sel:DWORD
	v_lshrrev_b16_sdwa v14, v7, v14 dst_sel:DWORD dst_unused:UNUSED_PAD src0_sel:WORD_1 src1_sel:DWORD
	v_cndmask_b32_e64 v17, 0, v25, s[2:3]
	v_cmp_gt_u16_e64 s[2:3], 8, v18
	v_cndmask_b32_e64 v14, 0, v14, s[2:3]
	v_cmp_lt_u16_sdwa s[2:3], v7, v10 src0_sel:BYTE_3 src1_sel:DWORD
	v_and_b32_sdwa v15, v4, s0 dst_sel:DWORD dst_unused:UNUSED_PAD src0_sel:WORD_1 src1_sel:DWORD
	v_and_b32_sdwa v19, v8, s0 dst_sel:DWORD dst_unused:UNUSED_PAD src0_sel:WORD_1 src1_sel:DWORD
	v_lshrrev_b16_sdwa v26, v8, v4 dst_sel:DWORD dst_unused:UNUSED_PAD src0_sel:BYTE_3 src1_sel:BYTE_3
	v_lshrrev_b16_sdwa v27, v8, v4 dst_sel:DWORD dst_unused:UNUSED_PAD src0_sel:BYTE_1 src1_sel:BYTE_1
	v_lshrrev_b16_sdwa v4, v8, v4 dst_sel:DWORD dst_unused:UNUSED_PAD src0_sel:DWORD src1_sel:BYTE_0
	v_cndmask_b32_e64 v7, 0, v24, s[2:3]
	v_cmp_lt_u16_sdwa s[2:3], v8, v10 src0_sel:BYTE_0 src1_sel:DWORD
	v_lshrrev_b16_sdwa v15, v8, v15 dst_sel:DWORD dst_unused:UNUSED_PAD src0_sel:WORD_1 src1_sel:DWORD
	v_cmp_lt_u16_sdwa vcc, v8, v10 src0_sel:BYTE_1 src1_sel:DWORD
	v_cmp_lt_u16_sdwa s[0:1], v8, v10 src0_sel:BYTE_3 src1_sel:DWORD
	v_cndmask_b32_e64 v4, 0, v4, s[2:3]
	v_cmp_gt_u16_e64 s[2:3], 8, v19
	v_cndmask_b32_e64 v8, 0, v15, s[2:3]
	v_lshlrev_b16_e32 v10, 8, v21
	v_lshlrev_b16_e32 v5, 8, v5
	;; [unrolled: 1-line block ×4, first 2 shown]
	v_cndmask_b32_sdwa v17, v11, v27, vcc dst_sel:BYTE_1 dst_unused:UNUSED_PAD src0_sel:DWORD src1_sel:DWORD
	s_mov_b64 vcc, s[0:1]
	v_lshlrev_b16_e32 v6, 8, v6
	v_lshlrev_b16_e32 v7, 8, v7
	v_or_b32_e32 v1, v1, v10
	v_or_b32_sdwa v5, v12, v5 dst_sel:WORD_1 dst_unused:UNUSED_PAD src0_sel:DWORD src1_sel:DWORD
	v_cndmask_b32_sdwa v10, v11, v26, vcc dst_sel:BYTE_1 dst_unused:UNUSED_PAD src0_sel:DWORD src1_sel:DWORD
	v_or_b32_e32 v2, v2, v15
	v_or_b32_sdwa v6, v13, v6 dst_sel:WORD_1 dst_unused:UNUSED_PAD src0_sel:DWORD src1_sel:DWORD
	v_or_b32_e32 v3, v3, v16
	v_or_b32_sdwa v7, v14, v7 dst_sel:WORD_1 dst_unused:UNUSED_PAD src0_sel:DWORD src1_sel:DWORD
	v_or_b32_e32 v4, v4, v17
	v_or_b32_sdwa v1, v1, v5 dst_sel:DWORD dst_unused:UNUSED_PAD src0_sel:WORD_0 src1_sel:DWORD
	v_or_b32_sdwa v5, v8, v10 dst_sel:WORD_1 dst_unused:UNUSED_PAD src0_sel:DWORD src1_sel:DWORD
	v_or_b32_sdwa v2, v2, v6 dst_sel:DWORD dst_unused:UNUSED_PAD src0_sel:WORD_0 src1_sel:DWORD
	v_or_b32_sdwa v3, v3, v7 dst_sel:DWORD dst_unused:UNUSED_PAD src0_sel:WORD_0 src1_sel:DWORD
	;; [unrolled: 1-line block ×3, first 2 shown]
	global_store_dwordx4 v9, v[1:4], s[4:5]
	s_mov_b64 s[0:1], 0
.LBB136_2:
	s_andn2_b64 vcc, exec, s[0:1]
	s_cbranch_vccnz .LBB136_54
; %bb.3:
	v_cmp_gt_i32_e32 vcc, s33, v0
	v_cmp_le_i32_e64 s[0:1], s33, v0
                                        ; implicit-def: $vgpr5
	s_and_saveexec_b64 s[2:3], s[0:1]
	s_xor_b64 s[0:1], exec, s[2:3]
; %bb.4:
	v_or_b32_e32 v5, 0x100, v0
; %bb.5:
	s_or_saveexec_b64 s[2:3], s[0:1]
	v_mov_b32_e32 v38, 0
	v_or_b32_e32 v6, s54, v0
	v_mov_b32_e32 v37, 0
	v_mov_b32_e32 v36, 0
	;; [unrolled: 1-line block ×31, first 2 shown]
	s_xor_b64 exec, exec, s[2:3]
	s_cbranch_execz .LBB136_37
; %bb.6:
	global_load_ubyte v19, v6, s[58:59]
	global_load_ubyte v20, v6, s[8:9]
	v_or_b32_e32 v5, 0x100, v0
	v_cmp_gt_u32_e64 s[0:1], s33, v5
	v_mov_b32_e32 v17, 0
	v_mov_b32_e32 v18, 0
	;; [unrolled: 1-line block ×30, first 2 shown]
	s_and_saveexec_b64 s[4:5], s[0:1]
	s_cbranch_execz .LBB136_36
; %bb.7:
	v_add_u32_e32 v3, s54, v0
	global_load_ubyte v18, v3, s[58:59] offset:256
	global_load_ubyte v17, v3, s[8:9] offset:256
	v_or_b32_e32 v1, 0x200, v0
	v_mov_b32_e32 v22, 0
	v_cmp_gt_u32_e64 s[0:1], s33, v1
	v_mov_b32_e32 v26, 0
	v_mov_b32_e32 v23, 0
	;; [unrolled: 1-line block ×27, first 2 shown]
	s_and_saveexec_b64 s[6:7], s[0:1]
	s_cbranch_execz .LBB136_35
; %bb.8:
	v_mov_b32_e32 v2, s59
	v_add_co_u32_e64 v1, s[0:1], s58, v3
	v_addc_co_u32_e64 v2, s[0:1], 0, v2, s[0:1]
	v_mov_b32_e32 v4, s9
	v_add_co_u32_e64 v3, s[0:1], s8, v3
	v_addc_co_u32_e64 v4, s[0:1], 0, v4, s[0:1]
	global_load_ubyte v26, v[1:2], off offset:512
	global_load_ubyte v22, v[3:4], off offset:512
	v_or_b32_e32 v7, 0x300, v0
	v_cmp_gt_u32_e64 s[0:1], s33, v7
	v_mov_b32_e32 v23, 0
	v_mov_b32_e32 v24, 0
	v_mov_b32_e32 v7, 0
	v_mov_b32_e32 v8, 0
	v_mov_b32_e32 v9, 0
	v_mov_b32_e32 v11, 0
	v_mov_b32_e32 v12, 0
	v_mov_b32_e32 v14, 0
	v_mov_b32_e32 v10, 0
	v_mov_b32_e32 v13, 0
	v_mov_b32_e32 v15, 0
	v_mov_b32_e32 v16, 0
	v_mov_b32_e32 v21, 0
	v_mov_b32_e32 v25, 0
	v_mov_b32_e32 v27, 0
	v_mov_b32_e32 v28, 0
	v_mov_b32_e32 v29, 0
	v_mov_b32_e32 v30, 0
	v_mov_b32_e32 v31, 0
	v_mov_b32_e32 v32, 0
	v_mov_b32_e32 v33, 0
	v_mov_b32_e32 v34, 0
	v_mov_b32_e32 v35, 0
	v_mov_b32_e32 v36, 0
	v_mov_b32_e32 v37, 0
	v_mov_b32_e32 v38, 0
	s_and_saveexec_b64 s[8:9], s[0:1]
	s_cbranch_execz .LBB136_34
; %bb.9:
	global_load_ubyte v24, v[1:2], off offset:768
	global_load_ubyte v23, v[3:4], off offset:768
	v_or_b32_e32 v7, 0x400, v0
	v_cmp_gt_u32_e64 s[0:1], s33, v7
	v_mov_b32_e32 v7, 0
	v_mov_b32_e32 v8, 0
	;; [unrolled: 1-line block ×24, first 2 shown]
	s_and_saveexec_b64 s[10:11], s[0:1]
	s_cbranch_execz .LBB136_33
; %bb.10:
	global_load_ubyte v8, v[1:2], off offset:1024
	global_load_ubyte v7, v[3:4], off offset:1024
	v_or_b32_e32 v9, 0x500, v0
	v_cmp_gt_u32_e64 s[0:1], s33, v9
	v_mov_b32_e32 v9, 0
	v_mov_b32_e32 v11, 0
	;; [unrolled: 1-line block ×22, first 2 shown]
	s_and_saveexec_b64 s[12:13], s[0:1]
	s_cbranch_execz .LBB136_32
; %bb.11:
	global_load_ubyte v11, v[1:2], off offset:1280
	global_load_ubyte v9, v[3:4], off offset:1280
	v_or_b32_e32 v10, 0x600, v0
	v_cmp_gt_u32_e64 s[0:1], s33, v10
	v_mov_b32_e32 v12, 0
	v_mov_b32_e32 v14, 0
	v_mov_b32_e32 v10, 0
	v_mov_b32_e32 v13, 0
	v_mov_b32_e32 v15, 0
	v_mov_b32_e32 v16, 0
	v_mov_b32_e32 v21, 0
	v_mov_b32_e32 v25, 0
	v_mov_b32_e32 v27, 0
	v_mov_b32_e32 v28, 0
	v_mov_b32_e32 v29, 0
	v_mov_b32_e32 v30, 0
	v_mov_b32_e32 v31, 0
	v_mov_b32_e32 v32, 0
	v_mov_b32_e32 v33, 0
	v_mov_b32_e32 v34, 0
	v_mov_b32_e32 v35, 0
	v_mov_b32_e32 v36, 0
	v_mov_b32_e32 v37, 0
	v_mov_b32_e32 v38, 0
	s_and_saveexec_b64 s[14:15], s[0:1]
	s_cbranch_execz .LBB136_31
; %bb.12:
	global_load_ubyte v14, v[1:2], off offset:1536
	global_load_ubyte v12, v[3:4], off offset:1536
	v_or_b32_e32 v10, 0x700, v0
	v_cmp_gt_u32_e64 s[0:1], s33, v10
	v_mov_b32_e32 v10, 0
	v_mov_b32_e32 v13, 0
	;; [unrolled: 1-line block ×18, first 2 shown]
	s_and_saveexec_b64 s[16:17], s[0:1]
	s_cbranch_execz .LBB136_30
; %bb.13:
	global_load_ubyte v13, v[1:2], off offset:1792
	global_load_ubyte v10, v[3:4], off offset:1792
	v_or_b32_e32 v15, 0x800, v0
	v_cmp_gt_u32_e64 s[0:1], s33, v15
	v_mov_b32_e32 v15, 0
	v_mov_b32_e32 v16, 0
	v_mov_b32_e32 v21, 0
	v_mov_b32_e32 v25, 0
	v_mov_b32_e32 v27, 0
	v_mov_b32_e32 v28, 0
	v_mov_b32_e32 v29, 0
	v_mov_b32_e32 v30, 0
	v_mov_b32_e32 v31, 0
	v_mov_b32_e32 v32, 0
	v_mov_b32_e32 v33, 0
	v_mov_b32_e32 v34, 0
	v_mov_b32_e32 v35, 0
	v_mov_b32_e32 v36, 0
	v_mov_b32_e32 v37, 0
	v_mov_b32_e32 v38, 0
	s_and_saveexec_b64 s[18:19], s[0:1]
	s_cbranch_execz .LBB136_29
; %bb.14:
	global_load_ubyte v16, v[1:2], off offset:2048
	global_load_ubyte v15, v[3:4], off offset:2048
	v_or_b32_e32 v21, 0x900, v0
	v_cmp_gt_u32_e64 s[0:1], s33, v21
	v_mov_b32_e32 v21, 0
	v_mov_b32_e32 v25, 0
	;; [unrolled: 1-line block ×14, first 2 shown]
	s_and_saveexec_b64 s[20:21], s[0:1]
	s_cbranch_execz .LBB136_28
; %bb.15:
	global_load_ubyte v25, v[1:2], off offset:2304
	global_load_ubyte v21, v[3:4], off offset:2304
	v_or_b32_e32 v27, 0xa00, v0
	v_cmp_gt_u32_e64 s[0:1], s33, v27
	v_mov_b32_e32 v27, 0
	v_mov_b32_e32 v28, 0
	;; [unrolled: 1-line block ×12, first 2 shown]
	s_and_saveexec_b64 s[22:23], s[0:1]
	s_cbranch_execz .LBB136_27
; %bb.16:
	global_load_ubyte v28, v[1:2], off offset:2560
	global_load_ubyte v27, v[3:4], off offset:2560
	v_or_b32_e32 v29, 0xb00, v0
	v_cmp_gt_u32_e64 s[0:1], s33, v29
	v_mov_b32_e32 v29, 0
	v_mov_b32_e32 v30, 0
	;; [unrolled: 1-line block ×10, first 2 shown]
	s_and_saveexec_b64 s[24:25], s[0:1]
	s_cbranch_execz .LBB136_26
; %bb.17:
	global_load_ubyte v30, v[1:2], off offset:2816
	global_load_ubyte v29, v[3:4], off offset:2816
	v_or_b32_e32 v31, 0xc00, v0
	v_cmp_gt_u32_e64 s[0:1], s33, v31
	v_mov_b32_e32 v31, 0
	v_mov_b32_e32 v32, 0
	v_mov_b32_e32 v33, 0
	v_mov_b32_e32 v34, 0
	v_mov_b32_e32 v35, 0
	v_mov_b32_e32 v36, 0
	v_mov_b32_e32 v37, 0
	v_mov_b32_e32 v38, 0
	s_and_saveexec_b64 s[26:27], s[0:1]
	s_cbranch_execz .LBB136_25
; %bb.18:
	global_load_ubyte v32, v[1:2], off offset:3072
	global_load_ubyte v31, v[3:4], off offset:3072
	v_or_b32_e32 v33, 0xd00, v0
	v_cmp_gt_u32_e64 s[0:1], s33, v33
	v_mov_b32_e32 v33, 0
	v_mov_b32_e32 v34, 0
	;; [unrolled: 1-line block ×6, first 2 shown]
	s_and_saveexec_b64 s[28:29], s[0:1]
	s_cbranch_execz .LBB136_24
; %bb.19:
	global_load_ubyte v34, v[1:2], off offset:3328
	global_load_ubyte v33, v[3:4], off offset:3328
	v_or_b32_e32 v35, 0xe00, v0
	v_cmp_gt_u32_e64 s[0:1], s33, v35
	v_mov_b32_e32 v35, 0
	v_mov_b32_e32 v36, 0
	;; [unrolled: 1-line block ×4, first 2 shown]
	s_and_saveexec_b64 s[30:31], s[0:1]
	s_cbranch_execz .LBB136_23
; %bb.20:
	global_load_ubyte v36, v[1:2], off offset:3584
	global_load_ubyte v35, v[3:4], off offset:3584
	v_or_b32_e32 v37, 0xf00, v0
	v_cmp_gt_u32_e64 s[0:1], s33, v37
	v_mov_b32_e32 v37, 0
	v_mov_b32_e32 v38, 0
	s_and_saveexec_b64 s[34:35], s[0:1]
	s_cbranch_execz .LBB136_22
; %bb.21:
	global_load_ubyte v38, v[1:2], off offset:3840
	global_load_ubyte v37, v[3:4], off offset:3840
.LBB136_22:
	s_or_b64 exec, exec, s[34:35]
.LBB136_23:
	s_or_b64 exec, exec, s[30:31]
.LBB136_24:
	s_or_b64 exec, exec, s[28:29]
.LBB136_25:
	s_or_b64 exec, exec, s[26:27]
.LBB136_26:
	s_or_b64 exec, exec, s[24:25]
.LBB136_27:
	s_or_b64 exec, exec, s[22:23]
.LBB136_28:
	s_or_b64 exec, exec, s[20:21]
.LBB136_29:
	s_or_b64 exec, exec, s[18:19]
.LBB136_30:
	s_or_b64 exec, exec, s[16:17]
.LBB136_31:
	s_or_b64 exec, exec, s[14:15]
.LBB136_32:
	s_or_b64 exec, exec, s[12:13]
.LBB136_33:
	s_or_b64 exec, exec, s[10:11]
.LBB136_34:
	s_or_b64 exec, exec, s[8:9]
.LBB136_35:
	s_or_b64 exec, exec, s[6:7]
.LBB136_36:
	s_or_b64 exec, exec, s[4:5]
.LBB136_37:
	s_or_b64 exec, exec, s[2:3]
	s_and_saveexec_b64 s[0:1], vcc
	s_cbranch_execz .LBB136_54
; %bb.38:
	s_waitcnt vmcnt(0)
	v_lshrrev_b16_sdwa v1, v20, v19 dst_sel:DWORD dst_unused:UNUSED_PAD src0_sel:BYTE_0 src1_sel:BYTE_0
	v_mov_b32_e32 v19, 8
	v_cmp_lt_u16_sdwa s[0:1], v20, v19 src0_sel:BYTE_0 src1_sel:DWORD
	v_cndmask_b32_e64 v1, 0, v1, s[0:1]
	v_and_b32_e32 v1, 0xffff, v1
	v_cndmask_b32_e32 v1, 0, v1, vcc
	v_lshrrev_b16_sdwa v2, v17, v18 dst_sel:DWORD dst_unused:UNUSED_PAD src0_sel:BYTE_0 src1_sel:BYTE_0
	v_cmp_lt_u16_sdwa vcc, v17, v19 src0_sel:BYTE_0 src1_sel:DWORD
	v_cndmask_b32_e32 v2, 0, v2, vcc
	v_lshlrev_b16_e32 v2, 8, v2
	v_or_b32_sdwa v2, v1, v2 dst_sel:DWORD dst_unused:UNUSED_PAD src0_sel:BYTE_0 src1_sel:DWORD
	v_lshrrev_b16_sdwa v3, v22, v26 dst_sel:DWORD dst_unused:UNUSED_PAD src0_sel:BYTE_0 src1_sel:BYTE_0
	v_cmp_lt_u16_sdwa vcc, v22, v19 src0_sel:BYTE_0 src1_sel:DWORD
	v_and_b32_e32 v2, 0xffff, v2
	v_cmp_gt_i32_e64 s[52:53], s33, v5
	v_cndmask_b32_e32 v3, 0, v3, vcc
	v_cndmask_b32_e64 v1, v1, v2, s[52:53]
	v_or_b32_e32 v2, 0x200, v0
	v_lshlrev_b32_e32 v3, 16, v3
	v_or_b32_e32 v3, v1, v3
	v_cmp_gt_i32_e64 s[18:19], s33, v2
	v_lshrrev_b16_sdwa v4, v23, v24 dst_sel:DWORD dst_unused:UNUSED_PAD src0_sel:BYTE_0 src1_sel:BYTE_0
	v_cmp_lt_u16_sdwa vcc, v23, v19 src0_sel:BYTE_0 src1_sel:DWORD
	s_movk_i32 s55, 0xff
	v_cndmask_b32_e64 v1, v1, v3, s[18:19]
	v_cndmask_b32_e32 v4, 0, v4, vcc
	v_and_b32_sdwa v2, v1, s55 dst_sel:DWORD dst_unused:UNUSED_PAD src0_sel:WORD_1 src1_sel:DWORD
	v_lshlrev_b16_e32 v4, 8, v4
	s_mov_b32 s58, 0xffff
	v_or_b32_e32 v3, 0x300, v0
	v_or_b32_sdwa v2, v2, v4 dst_sel:WORD_1 dst_unused:UNUSED_PAD src0_sel:DWORD src1_sel:DWORD
	v_and_or_b32 v2, v1, s58, v2
	v_cmp_gt_i32_e64 s[20:21], s33, v3
	v_cndmask_b32_e64 v17, v1, v2, s[20:21]
	v_or_b32_e32 v1, 0x500, v0
	v_cmp_gt_i32_e64 s[16:17], s33, v1
	v_or_b32_e32 v1, 0x600, v0
	v_cmp_gt_i32_e64 s[14:15], s33, v1
	;; [unrolled: 2-line block ×7, first 2 shown]
	v_or_b32_e32 v1, 0xe00, v0
	v_or_b32_e32 v4, 0x400, v0
	;; [unrolled: 1-line block ×4, first 2 shown]
	v_cmp_gt_i32_e64 s[2:3], s33, v1
	v_or_b32_e32 v1, 0xf00, v0
	v_cmp_lt_u16_sdwa s[48:49], v7, v19 src0_sel:BYTE_0 src1_sel:DWORD
	v_cmp_gt_i32_e32 vcc, s33, v4
	v_cmp_lt_u16_sdwa s[50:51], v9, v19 src0_sel:BYTE_0 src1_sel:DWORD
	v_cmp_lt_u16_sdwa s[46:47], v12, v19 src0_sel:BYTE_0 src1_sel:DWORD
	;; [unrolled: 1-line block ×3, first 2 shown]
	v_cmp_gt_i32_e64 s[38:39], s33, v3
	v_cmp_lt_u16_sdwa s[42:43], v15, v19 src0_sel:BYTE_0 src1_sel:DWORD
	v_cmp_lt_u16_sdwa s[40:41], v21, v19 src0_sel:BYTE_0 src1_sel:DWORD
	;; [unrolled: 1-line block ×4, first 2 shown]
	v_cmp_gt_i32_e64 s[26:27], s33, v2
	v_cmp_lt_u16_sdwa s[30:31], v31, v19 src0_sel:BYTE_0 src1_sel:DWORD
	v_cmp_lt_u16_sdwa s[28:29], v33, v19 src0_sel:BYTE_0 src1_sel:DWORD
	;; [unrolled: 1-line block ×3, first 2 shown]
	v_cmp_gt_i32_e64 s[0:1], s33, v1
	v_cmp_lt_u16_sdwa s[22:23], v37, v19 src0_sel:BYTE_0 src1_sel:DWORD
	global_store_byte v6, v17, s[56:57]
	s_and_b64 exec, exec, s[52:53]
	s_cbranch_execz .LBB136_54
; %bb.39:
	v_lshrrev_b16_sdwa v1, v7, v8 dst_sel:DWORD dst_unused:UNUSED_PAD src0_sel:BYTE_0 src1_sel:BYTE_0
	v_lshrrev_b16_sdwa v7, v9, v11 dst_sel:DWORD dst_unused:UNUSED_PAD src0_sel:BYTE_0 src1_sel:BYTE_0
	v_cndmask_b32_e64 v1, 0, v1, s[48:49]
	v_mov_b32_e32 v6, 0
	v_cndmask_b32_e64 v7, 0, v7, s[50:51]
	v_cndmask_b32_sdwa v1, v6, v1, vcc dst_sel:DWORD dst_unused:UNUSED_PAD src0_sel:DWORD src1_sel:WORD_0
	v_lshlrev_b16_e32 v7, 8, v7
	v_or_b32_sdwa v7, v1, v7 dst_sel:DWORD dst_unused:UNUSED_PAD src0_sel:BYTE_0 src1_sel:DWORD
	v_and_b32_e32 v7, 0xffff, v7
	s_movk_i32 s52, 0xff00
	v_cndmask_b32_e64 v1, v1, v7, s[16:17]
	v_lshrrev_b16_sdwa v8, v12, v14 dst_sel:DWORD dst_unused:UNUSED_PAD src0_sel:BYTE_0 src1_sel:BYTE_0
	v_and_b32_sdwa v7, v1, s52 dst_sel:DWORD dst_unused:UNUSED_PAD src0_sel:WORD_1 src1_sel:DWORD
	v_cndmask_b32_e64 v8, 0, v8, s[46:47]
	v_or_b32_sdwa v7, v8, v7 dst_sel:WORD_1 dst_unused:UNUSED_PAD src0_sel:DWORD src1_sel:DWORD
	v_and_or_b32 v7, v1, s58, v7
	v_lshrrev_b16_sdwa v8, v10, v13 dst_sel:DWORD dst_unused:UNUSED_PAD src0_sel:BYTE_0 src1_sel:BYTE_0
	v_cndmask_b32_e64 v1, v1, v7, s[14:15]
	v_cndmask_b32_e64 v8, 0, v8, s[44:45]
	v_and_b32_sdwa v7, v1, s55 dst_sel:DWORD dst_unused:UNUSED_PAD src0_sel:WORD_1 src1_sel:DWORD
	v_lshlrev_b16_e32 v8, 8, v8
	v_or_b32_sdwa v7, v7, v8 dst_sel:WORD_1 dst_unused:UNUSED_PAD src0_sel:DWORD src1_sel:DWORD
	v_and_or_b32 v7, v1, s58, v7
	v_cndmask_b32_e64 v8, v1, v7, s[12:13]
	v_lshrrev_b16_sdwa v1, v15, v16 dst_sel:DWORD dst_unused:UNUSED_PAD src0_sel:BYTE_0 src1_sel:BYTE_0
	v_cndmask_b32_e64 v1, 0, v1, s[42:43]
	v_lshrrev_b16_sdwa v7, v21, v25 dst_sel:DWORD dst_unused:UNUSED_PAD src0_sel:BYTE_0 src1_sel:BYTE_0
	v_and_b32_e32 v1, 0xffff, v1
	v_cndmask_b32_e64 v7, 0, v7, s[40:41]
	v_cndmask_b32_e64 v1, 0, v1, s[38:39]
	v_lshlrev_b16_e32 v7, 8, v7
	v_or_b32_sdwa v7, v1, v7 dst_sel:DWORD dst_unused:UNUSED_PAD src0_sel:BYTE_0 src1_sel:DWORD
	v_and_b32_e32 v7, 0xffff, v7
	v_cndmask_b32_e64 v1, v1, v7, s[10:11]
	v_lshrrev_b16_sdwa v7, v27, v28 dst_sel:DWORD dst_unused:UNUSED_PAD src0_sel:BYTE_0 src1_sel:BYTE_0
	v_cndmask_b32_e64 v7, 0, v7, s[36:37]
	v_lshlrev_b32_e32 v7, 16, v7
	v_or_b32_e32 v7, v1, v7
	v_lshrrev_b16_sdwa v9, v29, v30 dst_sel:DWORD dst_unused:UNUSED_PAD src0_sel:BYTE_0 src1_sel:BYTE_0
	v_cndmask_b32_e64 v1, v1, v7, s[8:9]
	v_cndmask_b32_e64 v9, 0, v9, s[34:35]
	v_and_b32_sdwa v7, v1, s55 dst_sel:DWORD dst_unused:UNUSED_PAD src0_sel:WORD_1 src1_sel:DWORD
	v_lshlrev_b16_e32 v9, 8, v9
	v_or_b32_sdwa v7, v7, v9 dst_sel:WORD_1 dst_unused:UNUSED_PAD src0_sel:DWORD src1_sel:DWORD
	v_and_or_b32 v7, v1, s58, v7
	v_cndmask_b32_e64 v7, v1, v7, s[6:7]
	v_lshrrev_b16_sdwa v1, v31, v32 dst_sel:DWORD dst_unused:UNUSED_PAD src0_sel:BYTE_0 src1_sel:BYTE_0
	v_cndmask_b32_e64 v1, 0, v1, s[30:31]
	v_lshrrev_b16_sdwa v9, v33, v34 dst_sel:DWORD dst_unused:UNUSED_PAD src0_sel:BYTE_0 src1_sel:BYTE_0
	v_and_b32_e32 v1, 0xffff, v1
	v_cndmask_b32_e64 v9, 0, v9, s[28:29]
	v_cndmask_b32_e64 v1, 0, v1, s[26:27]
	v_lshlrev_b16_e32 v9, 8, v9
	v_or_b32_sdwa v9, v1, v9 dst_sel:DWORD dst_unused:UNUSED_PAD src0_sel:BYTE_0 src1_sel:DWORD
	v_and_b32_e32 v9, 0xffff, v9
	v_cndmask_b32_e64 v1, v1, v9, s[4:5]
	v_lshrrev_b16_sdwa v10, v35, v36 dst_sel:DWORD dst_unused:UNUSED_PAD src0_sel:BYTE_0 src1_sel:BYTE_0
	v_and_b32_sdwa v9, v1, s52 dst_sel:DWORD dst_unused:UNUSED_PAD src0_sel:WORD_1 src1_sel:DWORD
	v_cndmask_b32_e64 v10, 0, v10, s[24:25]
	v_or_b32_sdwa v9, v10, v9 dst_sel:WORD_1 dst_unused:UNUSED_PAD src0_sel:DWORD src1_sel:DWORD
	v_and_or_b32 v9, v1, s58, v9
	v_cndmask_b32_e64 v1, v1, v9, s[2:3]
	v_lshrrev_b16_sdwa v10, v37, v38 dst_sel:DWORD dst_unused:UNUSED_PAD src0_sel:BYTE_0 src1_sel:BYTE_0
	s_mov_b64 vcc, s[22:23]
	v_and_b32_sdwa v9, v1, s55 dst_sel:DWORD dst_unused:UNUSED_PAD src0_sel:WORD_1 src1_sel:DWORD
	v_cndmask_b32_sdwa v6, v6, v10, vcc dst_sel:BYTE_1 dst_unused:UNUSED_PAD src0_sel:DWORD src1_sel:DWORD
	v_or_b32_sdwa v6, v9, v6 dst_sel:WORD_1 dst_unused:UNUSED_PAD src0_sel:DWORD src1_sel:DWORD
	v_and_or_b32 v6, v1, s58, v6
	v_cndmask_b32_e64 v6, v1, v6, s[0:1]
	v_or_b32_e32 v1, s54, v5
	v_lshrrev_b32_e32 v5, 8, v17
	global_store_byte v1, v5, s[56:57]
	s_and_b64 exec, exec, s[18:19]
	s_cbranch_execz .LBB136_54
; %bb.40:
	v_add_u32_e32 v0, s54, v0
	global_store_byte_d16_hi v0, v17, s[56:57] offset:512
	s_and_b64 exec, exec, s[20:21]
	s_cbranch_execz .LBB136_54
; %bb.41:
	v_mov_b32_e32 v1, s57
	v_add_co_u32_e32 v0, vcc, s56, v0
	v_addc_co_u32_e32 v1, vcc, 0, v1, vcc
	v_lshrrev_b32_e32 v5, 24, v17
	v_cmp_gt_u32_e32 vcc, s33, v4
	global_store_byte v[0:1], v5, off offset:768
	s_and_b64 exec, exec, vcc
	s_cbranch_execz .LBB136_54
; %bb.42:
	global_store_byte v[0:1], v8, off offset:1024
	s_and_b64 exec, exec, s[16:17]
	s_cbranch_execz .LBB136_54
; %bb.43:
	v_lshrrev_b32_e32 v4, 8, v8
	global_store_byte v[0:1], v4, off offset:1280
	s_and_b64 exec, exec, s[14:15]
	s_cbranch_execz .LBB136_54
; %bb.44:
	global_store_byte_d16_hi v[0:1], v8, off offset:1536
	s_and_b64 exec, exec, s[12:13]
	s_cbranch_execz .LBB136_54
; %bb.45:
	v_lshrrev_b32_e32 v4, 24, v8
	v_cmp_gt_u32_e32 vcc, s33, v3
	global_store_byte v[0:1], v4, off offset:1792
	s_and_b64 exec, exec, vcc
	s_cbranch_execz .LBB136_54
; %bb.46:
	global_store_byte v[0:1], v7, off offset:2048
	s_and_b64 exec, exec, s[10:11]
	s_cbranch_execz .LBB136_54
; %bb.47:
	v_lshrrev_b32_e32 v3, 8, v7
	global_store_byte v[0:1], v3, off offset:2304
	s_and_b64 exec, exec, s[8:9]
	s_cbranch_execz .LBB136_54
; %bb.48:
	global_store_byte_d16_hi v[0:1], v7, off offset:2560
	s_and_b64 exec, exec, s[6:7]
	s_cbranch_execz .LBB136_54
; %bb.49:
	;; [unrolled: 19-line block ×3, first 2 shown]
	v_lshrrev_b32_e32 v2, 24, v6
	global_store_byte v[0:1], v2, off offset:3840
.LBB136_54:
	s_endpgm
	.section	.rodata,"a",@progbits
	.p2align	6, 0x0
	.amdhsa_kernel _ZN2at6native29vectorized_elementwise_kernelILi16ENS0_13BinaryFunctorIhhhZZZNS0_18rshift_kernel_cudaERNS_18TensorIteratorBaseEENKUlvE_clEvENKUlvE_clEvEUlhhE_EESt5arrayIPcLm3EEEEviT0_T1_
		.amdhsa_group_segment_fixed_size 0
		.amdhsa_private_segment_fixed_size 0
		.amdhsa_kernarg_size 32
		.amdhsa_user_sgpr_count 6
		.amdhsa_user_sgpr_private_segment_buffer 1
		.amdhsa_user_sgpr_dispatch_ptr 0
		.amdhsa_user_sgpr_queue_ptr 0
		.amdhsa_user_sgpr_kernarg_segment_ptr 1
		.amdhsa_user_sgpr_dispatch_id 0
		.amdhsa_user_sgpr_flat_scratch_init 0
		.amdhsa_user_sgpr_private_segment_size 0
		.amdhsa_uses_dynamic_stack 0
		.amdhsa_system_sgpr_private_segment_wavefront_offset 0
		.amdhsa_system_sgpr_workgroup_id_x 1
		.amdhsa_system_sgpr_workgroup_id_y 0
		.amdhsa_system_sgpr_workgroup_id_z 0
		.amdhsa_system_sgpr_workgroup_info 0
		.amdhsa_system_vgpr_workitem_id 0
		.amdhsa_next_free_vgpr 39
		.amdhsa_next_free_sgpr 60
		.amdhsa_reserve_vcc 1
		.amdhsa_reserve_flat_scratch 0
		.amdhsa_float_round_mode_32 0
		.amdhsa_float_round_mode_16_64 0
		.amdhsa_float_denorm_mode_32 3
		.amdhsa_float_denorm_mode_16_64 3
		.amdhsa_dx10_clamp 1
		.amdhsa_ieee_mode 1
		.amdhsa_fp16_overflow 0
		.amdhsa_exception_fp_ieee_invalid_op 0
		.amdhsa_exception_fp_denorm_src 0
		.amdhsa_exception_fp_ieee_div_zero 0
		.amdhsa_exception_fp_ieee_overflow 0
		.amdhsa_exception_fp_ieee_underflow 0
		.amdhsa_exception_fp_ieee_inexact 0
		.amdhsa_exception_int_div_zero 0
	.end_amdhsa_kernel
	.section	.text._ZN2at6native29vectorized_elementwise_kernelILi16ENS0_13BinaryFunctorIhhhZZZNS0_18rshift_kernel_cudaERNS_18TensorIteratorBaseEENKUlvE_clEvENKUlvE_clEvEUlhhE_EESt5arrayIPcLm3EEEEviT0_T1_,"axG",@progbits,_ZN2at6native29vectorized_elementwise_kernelILi16ENS0_13BinaryFunctorIhhhZZZNS0_18rshift_kernel_cudaERNS_18TensorIteratorBaseEENKUlvE_clEvENKUlvE_clEvEUlhhE_EESt5arrayIPcLm3EEEEviT0_T1_,comdat
.Lfunc_end136:
	.size	_ZN2at6native29vectorized_elementwise_kernelILi16ENS0_13BinaryFunctorIhhhZZZNS0_18rshift_kernel_cudaERNS_18TensorIteratorBaseEENKUlvE_clEvENKUlvE_clEvEUlhhE_EESt5arrayIPcLm3EEEEviT0_T1_, .Lfunc_end136-_ZN2at6native29vectorized_elementwise_kernelILi16ENS0_13BinaryFunctorIhhhZZZNS0_18rshift_kernel_cudaERNS_18TensorIteratorBaseEENKUlvE_clEvENKUlvE_clEvEUlhhE_EESt5arrayIPcLm3EEEEviT0_T1_
                                        ; -- End function
	.set _ZN2at6native29vectorized_elementwise_kernelILi16ENS0_13BinaryFunctorIhhhZZZNS0_18rshift_kernel_cudaERNS_18TensorIteratorBaseEENKUlvE_clEvENKUlvE_clEvEUlhhE_EESt5arrayIPcLm3EEEEviT0_T1_.num_vgpr, 39
	.set _ZN2at6native29vectorized_elementwise_kernelILi16ENS0_13BinaryFunctorIhhhZZZNS0_18rshift_kernel_cudaERNS_18TensorIteratorBaseEENKUlvE_clEvENKUlvE_clEvEUlhhE_EESt5arrayIPcLm3EEEEviT0_T1_.num_agpr, 0
	.set _ZN2at6native29vectorized_elementwise_kernelILi16ENS0_13BinaryFunctorIhhhZZZNS0_18rshift_kernel_cudaERNS_18TensorIteratorBaseEENKUlvE_clEvENKUlvE_clEvEUlhhE_EESt5arrayIPcLm3EEEEviT0_T1_.numbered_sgpr, 60
	.set _ZN2at6native29vectorized_elementwise_kernelILi16ENS0_13BinaryFunctorIhhhZZZNS0_18rshift_kernel_cudaERNS_18TensorIteratorBaseEENKUlvE_clEvENKUlvE_clEvEUlhhE_EESt5arrayIPcLm3EEEEviT0_T1_.num_named_barrier, 0
	.set _ZN2at6native29vectorized_elementwise_kernelILi16ENS0_13BinaryFunctorIhhhZZZNS0_18rshift_kernel_cudaERNS_18TensorIteratorBaseEENKUlvE_clEvENKUlvE_clEvEUlhhE_EESt5arrayIPcLm3EEEEviT0_T1_.private_seg_size, 0
	.set _ZN2at6native29vectorized_elementwise_kernelILi16ENS0_13BinaryFunctorIhhhZZZNS0_18rshift_kernel_cudaERNS_18TensorIteratorBaseEENKUlvE_clEvENKUlvE_clEvEUlhhE_EESt5arrayIPcLm3EEEEviT0_T1_.uses_vcc, 1
	.set _ZN2at6native29vectorized_elementwise_kernelILi16ENS0_13BinaryFunctorIhhhZZZNS0_18rshift_kernel_cudaERNS_18TensorIteratorBaseEENKUlvE_clEvENKUlvE_clEvEUlhhE_EESt5arrayIPcLm3EEEEviT0_T1_.uses_flat_scratch, 0
	.set _ZN2at6native29vectorized_elementwise_kernelILi16ENS0_13BinaryFunctorIhhhZZZNS0_18rshift_kernel_cudaERNS_18TensorIteratorBaseEENKUlvE_clEvENKUlvE_clEvEUlhhE_EESt5arrayIPcLm3EEEEviT0_T1_.has_dyn_sized_stack, 0
	.set _ZN2at6native29vectorized_elementwise_kernelILi16ENS0_13BinaryFunctorIhhhZZZNS0_18rshift_kernel_cudaERNS_18TensorIteratorBaseEENKUlvE_clEvENKUlvE_clEvEUlhhE_EESt5arrayIPcLm3EEEEviT0_T1_.has_recursion, 0
	.set _ZN2at6native29vectorized_elementwise_kernelILi16ENS0_13BinaryFunctorIhhhZZZNS0_18rshift_kernel_cudaERNS_18TensorIteratorBaseEENKUlvE_clEvENKUlvE_clEvEUlhhE_EESt5arrayIPcLm3EEEEviT0_T1_.has_indirect_call, 0
	.section	.AMDGPU.csdata,"",@progbits
; Kernel info:
; codeLenInByte = 3904
; TotalNumSgprs: 64
; NumVgprs: 39
; ScratchSize: 0
; MemoryBound: 0
; FloatMode: 240
; IeeeMode: 1
; LDSByteSize: 0 bytes/workgroup (compile time only)
; SGPRBlocks: 7
; VGPRBlocks: 9
; NumSGPRsForWavesPerEU: 64
; NumVGPRsForWavesPerEU: 39
; Occupancy: 6
; WaveLimiterHint : 0
; COMPUTE_PGM_RSRC2:SCRATCH_EN: 0
; COMPUTE_PGM_RSRC2:USER_SGPR: 6
; COMPUTE_PGM_RSRC2:TRAP_HANDLER: 0
; COMPUTE_PGM_RSRC2:TGID_X_EN: 1
; COMPUTE_PGM_RSRC2:TGID_Y_EN: 0
; COMPUTE_PGM_RSRC2:TGID_Z_EN: 0
; COMPUTE_PGM_RSRC2:TIDIG_COMP_CNT: 0
	.section	.text._ZN2at6native29vectorized_elementwise_kernelILi8ENS0_13BinaryFunctorIhhhZZZNS0_18rshift_kernel_cudaERNS_18TensorIteratorBaseEENKUlvE_clEvENKUlvE_clEvEUlhhE_EESt5arrayIPcLm3EEEEviT0_T1_,"axG",@progbits,_ZN2at6native29vectorized_elementwise_kernelILi8ENS0_13BinaryFunctorIhhhZZZNS0_18rshift_kernel_cudaERNS_18TensorIteratorBaseEENKUlvE_clEvENKUlvE_clEvEUlhhE_EESt5arrayIPcLm3EEEEviT0_T1_,comdat
	.globl	_ZN2at6native29vectorized_elementwise_kernelILi8ENS0_13BinaryFunctorIhhhZZZNS0_18rshift_kernel_cudaERNS_18TensorIteratorBaseEENKUlvE_clEvENKUlvE_clEvEUlhhE_EESt5arrayIPcLm3EEEEviT0_T1_ ; -- Begin function _ZN2at6native29vectorized_elementwise_kernelILi8ENS0_13BinaryFunctorIhhhZZZNS0_18rshift_kernel_cudaERNS_18TensorIteratorBaseEENKUlvE_clEvENKUlvE_clEvEUlhhE_EESt5arrayIPcLm3EEEEviT0_T1_
	.p2align	8
	.type	_ZN2at6native29vectorized_elementwise_kernelILi8ENS0_13BinaryFunctorIhhhZZZNS0_18rshift_kernel_cudaERNS_18TensorIteratorBaseEENKUlvE_clEvENKUlvE_clEvEUlhhE_EESt5arrayIPcLm3EEEEviT0_T1_,@function
_ZN2at6native29vectorized_elementwise_kernelILi8ENS0_13BinaryFunctorIhhhZZZNS0_18rshift_kernel_cudaERNS_18TensorIteratorBaseEENKUlvE_clEvENKUlvE_clEvEUlhhE_EESt5arrayIPcLm3EEEEviT0_T1_: ; @_ZN2at6native29vectorized_elementwise_kernelILi8ENS0_13BinaryFunctorIhhhZZZNS0_18rshift_kernel_cudaERNS_18TensorIteratorBaseEENKUlvE_clEvENKUlvE_clEvEUlhhE_EESt5arrayIPcLm3EEEEviT0_T1_
; %bb.0:
	s_load_dword s0, s[4:5], 0x0
	s_load_dwordx4 s[56:59], s[4:5], 0x8
	s_load_dwordx2 s[8:9], s[4:5], 0x18
	s_lshl_b32 s54, s6, 12
	s_waitcnt lgkmcnt(0)
	s_sub_i32 s33, s0, s54
	s_cmpk_gt_i32 s33, 0xfff
	s_mov_b64 s[0:1], -1
	s_cbranch_scc0 .LBB137_2
; %bb.1:
	s_ashr_i32 s2, s54, 31
	s_add_u32 s0, s58, s54
	s_addc_u32 s1, s59, s2
	v_lshlrev_b32_e32 v9, 3, v0
	global_load_dwordx2 v[1:2], v9, s[0:1]
	global_load_dwordx2 v[3:4], v9, s[0:1] offset:2048
	s_add_u32 s0, s8, s54
	s_addc_u32 s1, s9, s2
	global_load_dwordx2 v[5:6], v9, s[0:1]
	global_load_dwordx2 v[7:8], v9, s[0:1] offset:2048
	v_mov_b32_e32 v10, 8
	s_movk_i32 s0, 0xff
	s_brev_b32 s1, 16
	s_waitcnt vmcnt(3)
	v_lshrrev_b32_e32 v11, 8, v1
	v_and_b32_sdwa v12, v1, s0 dst_sel:DWORD dst_unused:UNUSED_PAD src0_sel:WORD_1 src1_sel:DWORD
	v_lshrrev_b32_e32 v13, 8, v2
	s_waitcnt vmcnt(1)
	v_lshrrev_b32_e32 v19, 8, v5
	v_lshrrev_b16_sdwa v27, v5, v1 dst_sel:DWORD dst_unused:UNUSED_PAD src0_sel:BYTE_0 src1_sel:BYTE_0
	v_cmp_lt_u16_sdwa vcc, v5, v10 src0_sel:BYTE_0 src1_sel:DWORD
	v_and_b32_sdwa v20, v5, s0 dst_sel:DWORD dst_unused:UNUSED_PAD src0_sel:WORD_1 src1_sel:DWORD
	v_lshrrev_b16_sdwa v11, v5, v11 dst_sel:DWORD dst_unused:UNUSED_PAD src0_sel:BYTE_1 src1_sel:BYTE_0
	v_cndmask_b32_e32 v27, 0, v27, vcc
	v_cmp_lt_u16_sdwa vcc, v19, v10 src0_sel:BYTE_0 src1_sel:DWORD
	v_lshrrev_b16_sdwa v12, v5, v12 dst_sel:DWORD dst_unused:UNUSED_PAD src0_sel:BYTE_2 src1_sel:DWORD
	v_cndmask_b32_e32 v11, 0, v11, vcc
	v_cmp_gt_u16_e32 vcc, 8, v20
	v_lshrrev_b16_sdwa v1, v5, v1 dst_sel:DWORD dst_unused:UNUSED_PAD src0_sel:BYTE_3 src1_sel:BYTE_3
	v_cndmask_b32_e32 v12, 0, v12, vcc
	v_cmp_gt_u32_e32 vcc, s1, v5
	v_lshrrev_b32_e32 v21, 8, v6
	v_lshrrev_b16_sdwa v28, v6, v2 dst_sel:DWORD dst_unused:UNUSED_PAD src0_sel:BYTE_0 src1_sel:BYTE_0
	v_cndmask_b32_e32 v5, 0, v1, vcc
	v_cmp_lt_u16_sdwa vcc, v6, v10 src0_sel:BYTE_0 src1_sel:DWORD
	v_and_b32_sdwa v14, v2, s0 dst_sel:DWORD dst_unused:UNUSED_PAD src0_sel:WORD_1 src1_sel:DWORD
	v_and_b32_sdwa v22, v6, s0 dst_sel:DWORD dst_unused:UNUSED_PAD src0_sel:WORD_1 src1_sel:DWORD
	v_lshrrev_b16_sdwa v13, v6, v13 dst_sel:DWORD dst_unused:UNUSED_PAD src0_sel:BYTE_1 src1_sel:BYTE_0
	v_cndmask_b32_e32 v1, 0, v28, vcc
	v_cmp_lt_u16_sdwa vcc, v21, v10 src0_sel:BYTE_0 src1_sel:DWORD
	v_lshrrev_b16_sdwa v14, v6, v14 dst_sel:DWORD dst_unused:UNUSED_PAD src0_sel:BYTE_2 src1_sel:DWORD
	v_cndmask_b32_e32 v13, 0, v13, vcc
	v_cmp_gt_u16_e32 vcc, 8, v22
	v_lshrrev_b16_sdwa v2, v6, v2 dst_sel:DWORD dst_unused:UNUSED_PAD src0_sel:BYTE_3 src1_sel:BYTE_3
	v_cndmask_b32_e32 v14, 0, v14, vcc
	v_cmp_gt_u32_e32 vcc, s1, v6
	v_lshrrev_b32_e32 v15, 8, v3
	s_waitcnt vmcnt(0)
	v_lshrrev_b32_e32 v23, 8, v7
	v_lshrrev_b16_sdwa v29, v7, v3 dst_sel:DWORD dst_unused:UNUSED_PAD src0_sel:BYTE_0 src1_sel:BYTE_0
	v_cndmask_b32_e32 v2, 0, v2, vcc
	v_cmp_lt_u16_sdwa vcc, v7, v10 src0_sel:BYTE_0 src1_sel:DWORD
	v_and_b32_sdwa v16, v3, s0 dst_sel:DWORD dst_unused:UNUSED_PAD src0_sel:WORD_1 src1_sel:DWORD
	v_and_b32_sdwa v24, v7, s0 dst_sel:DWORD dst_unused:UNUSED_PAD src0_sel:WORD_1 src1_sel:DWORD
	v_lshrrev_b16_sdwa v15, v7, v15 dst_sel:DWORD dst_unused:UNUSED_PAD src0_sel:BYTE_1 src1_sel:BYTE_0
	v_cndmask_b32_e32 v6, 0, v29, vcc
	v_cmp_lt_u16_sdwa vcc, v23, v10 src0_sel:BYTE_0 src1_sel:DWORD
	v_lshrrev_b16_sdwa v16, v7, v16 dst_sel:DWORD dst_unused:UNUSED_PAD src0_sel:BYTE_2 src1_sel:DWORD
	v_cndmask_b32_e32 v15, 0, v15, vcc
	v_cmp_gt_u16_e32 vcc, 8, v24
	v_lshrrev_b16_sdwa v3, v7, v3 dst_sel:DWORD dst_unused:UNUSED_PAD src0_sel:BYTE_3 src1_sel:BYTE_3
	v_cndmask_b32_e32 v16, 0, v16, vcc
	v_cmp_gt_u32_e32 vcc, s1, v7
	v_lshrrev_b32_e32 v17, 8, v4
	v_lshrrev_b32_e32 v25, 8, v8
	v_lshrrev_b16_sdwa v30, v8, v4 dst_sel:DWORD dst_unused:UNUSED_PAD src0_sel:BYTE_0 src1_sel:BYTE_0
	v_cndmask_b32_e32 v3, 0, v3, vcc
	v_cmp_lt_u16_sdwa vcc, v8, v10 src0_sel:BYTE_0 src1_sel:DWORD
	v_and_b32_sdwa v18, v4, s0 dst_sel:DWORD dst_unused:UNUSED_PAD src0_sel:WORD_1 src1_sel:DWORD
	v_and_b32_sdwa v26, v8, s0 dst_sel:DWORD dst_unused:UNUSED_PAD src0_sel:WORD_1 src1_sel:DWORD
	v_lshrrev_b16_sdwa v17, v8, v17 dst_sel:DWORD dst_unused:UNUSED_PAD src0_sel:BYTE_1 src1_sel:BYTE_0
	v_cndmask_b32_e32 v7, 0, v30, vcc
	v_cmp_lt_u16_sdwa vcc, v25, v10 src0_sel:BYTE_0 src1_sel:DWORD
	v_lshrrev_b16_sdwa v18, v8, v18 dst_sel:DWORD dst_unused:UNUSED_PAD src0_sel:BYTE_2 src1_sel:DWORD
	v_cndmask_b32_e32 v10, 0, v17, vcc
	v_cmp_gt_u16_e32 vcc, 8, v26
	v_lshrrev_b16_sdwa v4, v8, v4 dst_sel:DWORD dst_unused:UNUSED_PAD src0_sel:BYTE_3 src1_sel:BYTE_3
	v_cndmask_b32_e32 v17, 0, v18, vcc
	v_cmp_gt_u32_e32 vcc, s1, v8
	v_cndmask_b32_e32 v4, 0, v4, vcc
	v_lshlrev_b16_e32 v8, 8, v10
	v_lshlrev_b16_e32 v10, 8, v15
	;; [unrolled: 1-line block ×6, first 2 shown]
	v_or_b32_e32 v6, v6, v10
	v_or_b32_sdwa v3, v16, v3 dst_sel:WORD_1 dst_unused:UNUSED_PAD src0_sel:DWORD src1_sel:DWORD
	v_or_b32_e32 v2, v7, v8
	v_or_b32_sdwa v4, v17, v4 dst_sel:WORD_1 dst_unused:UNUSED_PAD src0_sel:DWORD src1_sel:DWORD
	v_or_b32_e32 v7, v1, v13
	v_or_b32_sdwa v1, v6, v3 dst_sel:DWORD dst_unused:UNUSED_PAD src0_sel:WORD_0 src1_sel:DWORD
	v_or_b32_sdwa v3, v14, v15 dst_sel:WORD_1 dst_unused:UNUSED_PAD src0_sel:DWORD src1_sel:DWORD
	v_or_b32_sdwa v2, v2, v4 dst_sel:DWORD dst_unused:UNUSED_PAD src0_sel:WORD_0 src1_sel:DWORD
	v_or_b32_sdwa v4, v7, v3 dst_sel:DWORD dst_unused:UNUSED_PAD src0_sel:WORD_0 src1_sel:DWORD
	v_lshlrev_b16_e32 v3, 8, v11
	v_lshlrev_b16_e32 v5, 8, v5
	v_or_b32_e32 v3, v27, v3
	v_or_b32_sdwa v5, v12, v5 dst_sel:WORD_1 dst_unused:UNUSED_PAD src0_sel:DWORD src1_sel:DWORD
	s_add_u32 s0, s56, s54
	v_or_b32_sdwa v3, v3, v5 dst_sel:DWORD dst_unused:UNUSED_PAD src0_sel:WORD_0 src1_sel:DWORD
	s_addc_u32 s1, s57, s2
	global_store_dwordx2 v9, v[3:4], s[0:1]
	global_store_dwordx2 v9, v[1:2], s[0:1] offset:2048
	s_mov_b64 s[0:1], 0
.LBB137_2:
	s_andn2_b64 vcc, exec, s[0:1]
	s_cbranch_vccnz .LBB137_54
; %bb.3:
	v_cmp_gt_i32_e32 vcc, s33, v0
	v_cmp_le_i32_e64 s[0:1], s33, v0
                                        ; implicit-def: $vgpr5
	s_and_saveexec_b64 s[2:3], s[0:1]
	s_xor_b64 s[0:1], exec, s[2:3]
; %bb.4:
	v_or_b32_e32 v5, 0x100, v0
; %bb.5:
	s_or_saveexec_b64 s[2:3], s[0:1]
	v_mov_b32_e32 v38, 0
	v_or_b32_e32 v6, s54, v0
	v_mov_b32_e32 v37, 0
	v_mov_b32_e32 v36, 0
	;; [unrolled: 1-line block ×31, first 2 shown]
	s_xor_b64 exec, exec, s[2:3]
	s_cbranch_execz .LBB137_37
; %bb.6:
	global_load_ubyte v19, v6, s[58:59]
	global_load_ubyte v20, v6, s[8:9]
	v_or_b32_e32 v5, 0x100, v0
	v_cmp_gt_u32_e64 s[0:1], s33, v5
	v_mov_b32_e32 v17, 0
	v_mov_b32_e32 v18, 0
	;; [unrolled: 1-line block ×30, first 2 shown]
	s_and_saveexec_b64 s[4:5], s[0:1]
	s_cbranch_execz .LBB137_36
; %bb.7:
	v_add_u32_e32 v3, s54, v0
	global_load_ubyte v18, v3, s[58:59] offset:256
	global_load_ubyte v17, v3, s[8:9] offset:256
	v_or_b32_e32 v1, 0x200, v0
	v_mov_b32_e32 v22, 0
	v_cmp_gt_u32_e64 s[0:1], s33, v1
	v_mov_b32_e32 v26, 0
	v_mov_b32_e32 v23, 0
	;; [unrolled: 1-line block ×27, first 2 shown]
	s_and_saveexec_b64 s[6:7], s[0:1]
	s_cbranch_execz .LBB137_35
; %bb.8:
	v_mov_b32_e32 v2, s59
	v_add_co_u32_e64 v1, s[0:1], s58, v3
	v_addc_co_u32_e64 v2, s[0:1], 0, v2, s[0:1]
	v_mov_b32_e32 v4, s9
	v_add_co_u32_e64 v3, s[0:1], s8, v3
	v_addc_co_u32_e64 v4, s[0:1], 0, v4, s[0:1]
	global_load_ubyte v26, v[1:2], off offset:512
	global_load_ubyte v22, v[3:4], off offset:512
	v_or_b32_e32 v7, 0x300, v0
	v_cmp_gt_u32_e64 s[0:1], s33, v7
	v_mov_b32_e32 v23, 0
	v_mov_b32_e32 v24, 0
	;; [unrolled: 1-line block ×26, first 2 shown]
	s_and_saveexec_b64 s[8:9], s[0:1]
	s_cbranch_execz .LBB137_34
; %bb.9:
	global_load_ubyte v24, v[1:2], off offset:768
	global_load_ubyte v23, v[3:4], off offset:768
	v_or_b32_e32 v7, 0x400, v0
	v_cmp_gt_u32_e64 s[0:1], s33, v7
	v_mov_b32_e32 v7, 0
	v_mov_b32_e32 v8, 0
	;; [unrolled: 1-line block ×24, first 2 shown]
	s_and_saveexec_b64 s[10:11], s[0:1]
	s_cbranch_execz .LBB137_33
; %bb.10:
	global_load_ubyte v8, v[1:2], off offset:1024
	global_load_ubyte v7, v[3:4], off offset:1024
	v_or_b32_e32 v9, 0x500, v0
	v_cmp_gt_u32_e64 s[0:1], s33, v9
	v_mov_b32_e32 v9, 0
	v_mov_b32_e32 v11, 0
	;; [unrolled: 1-line block ×22, first 2 shown]
	s_and_saveexec_b64 s[12:13], s[0:1]
	s_cbranch_execz .LBB137_32
; %bb.11:
	global_load_ubyte v11, v[1:2], off offset:1280
	global_load_ubyte v9, v[3:4], off offset:1280
	v_or_b32_e32 v10, 0x600, v0
	v_cmp_gt_u32_e64 s[0:1], s33, v10
	v_mov_b32_e32 v12, 0
	v_mov_b32_e32 v14, 0
	;; [unrolled: 1-line block ×20, first 2 shown]
	s_and_saveexec_b64 s[14:15], s[0:1]
	s_cbranch_execz .LBB137_31
; %bb.12:
	global_load_ubyte v14, v[1:2], off offset:1536
	global_load_ubyte v12, v[3:4], off offset:1536
	v_or_b32_e32 v10, 0x700, v0
	v_cmp_gt_u32_e64 s[0:1], s33, v10
	v_mov_b32_e32 v10, 0
	v_mov_b32_e32 v13, 0
	;; [unrolled: 1-line block ×18, first 2 shown]
	s_and_saveexec_b64 s[16:17], s[0:1]
	s_cbranch_execz .LBB137_30
; %bb.13:
	global_load_ubyte v13, v[1:2], off offset:1792
	global_load_ubyte v10, v[3:4], off offset:1792
	v_or_b32_e32 v15, 0x800, v0
	v_cmp_gt_u32_e64 s[0:1], s33, v15
	v_mov_b32_e32 v15, 0
	v_mov_b32_e32 v16, 0
	;; [unrolled: 1-line block ×16, first 2 shown]
	s_and_saveexec_b64 s[18:19], s[0:1]
	s_cbranch_execz .LBB137_29
; %bb.14:
	global_load_ubyte v16, v[1:2], off offset:2048
	global_load_ubyte v15, v[3:4], off offset:2048
	v_or_b32_e32 v21, 0x900, v0
	v_cmp_gt_u32_e64 s[0:1], s33, v21
	v_mov_b32_e32 v21, 0
	v_mov_b32_e32 v25, 0
	;; [unrolled: 1-line block ×14, first 2 shown]
	s_and_saveexec_b64 s[20:21], s[0:1]
	s_cbranch_execz .LBB137_28
; %bb.15:
	global_load_ubyte v25, v[1:2], off offset:2304
	global_load_ubyte v21, v[3:4], off offset:2304
	v_or_b32_e32 v27, 0xa00, v0
	v_cmp_gt_u32_e64 s[0:1], s33, v27
	v_mov_b32_e32 v27, 0
	v_mov_b32_e32 v28, 0
	;; [unrolled: 1-line block ×12, first 2 shown]
	s_and_saveexec_b64 s[22:23], s[0:1]
	s_cbranch_execz .LBB137_27
; %bb.16:
	global_load_ubyte v28, v[1:2], off offset:2560
	global_load_ubyte v27, v[3:4], off offset:2560
	v_or_b32_e32 v29, 0xb00, v0
	v_cmp_gt_u32_e64 s[0:1], s33, v29
	v_mov_b32_e32 v29, 0
	v_mov_b32_e32 v30, 0
	;; [unrolled: 1-line block ×10, first 2 shown]
	s_and_saveexec_b64 s[24:25], s[0:1]
	s_cbranch_execz .LBB137_26
; %bb.17:
	global_load_ubyte v30, v[1:2], off offset:2816
	global_load_ubyte v29, v[3:4], off offset:2816
	v_or_b32_e32 v31, 0xc00, v0
	v_cmp_gt_u32_e64 s[0:1], s33, v31
	v_mov_b32_e32 v31, 0
	v_mov_b32_e32 v32, 0
	;; [unrolled: 1-line block ×8, first 2 shown]
	s_and_saveexec_b64 s[26:27], s[0:1]
	s_cbranch_execz .LBB137_25
; %bb.18:
	global_load_ubyte v32, v[1:2], off offset:3072
	global_load_ubyte v31, v[3:4], off offset:3072
	v_or_b32_e32 v33, 0xd00, v0
	v_cmp_gt_u32_e64 s[0:1], s33, v33
	v_mov_b32_e32 v33, 0
	v_mov_b32_e32 v34, 0
	;; [unrolled: 1-line block ×6, first 2 shown]
	s_and_saveexec_b64 s[28:29], s[0:1]
	s_cbranch_execz .LBB137_24
; %bb.19:
	global_load_ubyte v34, v[1:2], off offset:3328
	global_load_ubyte v33, v[3:4], off offset:3328
	v_or_b32_e32 v35, 0xe00, v0
	v_cmp_gt_u32_e64 s[0:1], s33, v35
	v_mov_b32_e32 v35, 0
	v_mov_b32_e32 v36, 0
	;; [unrolled: 1-line block ×4, first 2 shown]
	s_and_saveexec_b64 s[30:31], s[0:1]
	s_cbranch_execz .LBB137_23
; %bb.20:
	global_load_ubyte v36, v[1:2], off offset:3584
	global_load_ubyte v35, v[3:4], off offset:3584
	v_or_b32_e32 v37, 0xf00, v0
	v_cmp_gt_u32_e64 s[0:1], s33, v37
	v_mov_b32_e32 v37, 0
	v_mov_b32_e32 v38, 0
	s_and_saveexec_b64 s[34:35], s[0:1]
	s_cbranch_execz .LBB137_22
; %bb.21:
	global_load_ubyte v38, v[1:2], off offset:3840
	global_load_ubyte v37, v[3:4], off offset:3840
.LBB137_22:
	s_or_b64 exec, exec, s[34:35]
.LBB137_23:
	s_or_b64 exec, exec, s[30:31]
.LBB137_24:
	s_or_b64 exec, exec, s[28:29]
.LBB137_25:
	s_or_b64 exec, exec, s[26:27]
.LBB137_26:
	s_or_b64 exec, exec, s[24:25]
.LBB137_27:
	s_or_b64 exec, exec, s[22:23]
.LBB137_28:
	s_or_b64 exec, exec, s[20:21]
.LBB137_29:
	s_or_b64 exec, exec, s[18:19]
.LBB137_30:
	s_or_b64 exec, exec, s[16:17]
.LBB137_31:
	s_or_b64 exec, exec, s[14:15]
.LBB137_32:
	s_or_b64 exec, exec, s[12:13]
.LBB137_33:
	s_or_b64 exec, exec, s[10:11]
.LBB137_34:
	s_or_b64 exec, exec, s[8:9]
.LBB137_35:
	s_or_b64 exec, exec, s[6:7]
.LBB137_36:
	s_or_b64 exec, exec, s[4:5]
.LBB137_37:
	s_or_b64 exec, exec, s[2:3]
	s_and_saveexec_b64 s[0:1], vcc
	s_cbranch_execz .LBB137_54
; %bb.38:
	s_waitcnt vmcnt(0)
	v_lshrrev_b16_sdwa v1, v20, v19 dst_sel:DWORD dst_unused:UNUSED_PAD src0_sel:BYTE_0 src1_sel:BYTE_0
	v_mov_b32_e32 v19, 8
	v_cmp_lt_u16_sdwa s[0:1], v20, v19 src0_sel:BYTE_0 src1_sel:DWORD
	v_cndmask_b32_e64 v1, 0, v1, s[0:1]
	v_and_b32_e32 v1, 0xffff, v1
	v_cndmask_b32_e32 v1, 0, v1, vcc
	v_lshrrev_b16_sdwa v2, v17, v18 dst_sel:DWORD dst_unused:UNUSED_PAD src0_sel:BYTE_0 src1_sel:BYTE_0
	v_cmp_lt_u16_sdwa vcc, v17, v19 src0_sel:BYTE_0 src1_sel:DWORD
	v_cndmask_b32_e32 v2, 0, v2, vcc
	v_lshlrev_b16_e32 v2, 8, v2
	v_or_b32_sdwa v2, v1, v2 dst_sel:DWORD dst_unused:UNUSED_PAD src0_sel:BYTE_0 src1_sel:DWORD
	v_lshrrev_b16_sdwa v3, v22, v26 dst_sel:DWORD dst_unused:UNUSED_PAD src0_sel:BYTE_0 src1_sel:BYTE_0
	v_cmp_lt_u16_sdwa vcc, v22, v19 src0_sel:BYTE_0 src1_sel:DWORD
	v_and_b32_e32 v2, 0xffff, v2
	v_cmp_gt_i32_e64 s[52:53], s33, v5
	v_cndmask_b32_e32 v3, 0, v3, vcc
	v_cndmask_b32_e64 v1, v1, v2, s[52:53]
	v_or_b32_e32 v2, 0x200, v0
	v_lshlrev_b32_e32 v3, 16, v3
	v_or_b32_e32 v3, v1, v3
	v_cmp_gt_i32_e64 s[18:19], s33, v2
	v_lshrrev_b16_sdwa v4, v23, v24 dst_sel:DWORD dst_unused:UNUSED_PAD src0_sel:BYTE_0 src1_sel:BYTE_0
	v_cmp_lt_u16_sdwa vcc, v23, v19 src0_sel:BYTE_0 src1_sel:DWORD
	s_movk_i32 s55, 0xff
	v_cndmask_b32_e64 v1, v1, v3, s[18:19]
	v_cndmask_b32_e32 v4, 0, v4, vcc
	v_and_b32_sdwa v2, v1, s55 dst_sel:DWORD dst_unused:UNUSED_PAD src0_sel:WORD_1 src1_sel:DWORD
	v_lshlrev_b16_e32 v4, 8, v4
	s_mov_b32 s58, 0xffff
	v_or_b32_e32 v3, 0x300, v0
	v_or_b32_sdwa v2, v2, v4 dst_sel:WORD_1 dst_unused:UNUSED_PAD src0_sel:DWORD src1_sel:DWORD
	v_and_or_b32 v2, v1, s58, v2
	v_cmp_gt_i32_e64 s[20:21], s33, v3
	v_cndmask_b32_e64 v17, v1, v2, s[20:21]
	v_or_b32_e32 v1, 0x500, v0
	v_cmp_gt_i32_e64 s[16:17], s33, v1
	v_or_b32_e32 v1, 0x600, v0
	v_cmp_gt_i32_e64 s[14:15], s33, v1
	;; [unrolled: 2-line block ×7, first 2 shown]
	v_or_b32_e32 v1, 0xe00, v0
	v_or_b32_e32 v4, 0x400, v0
	;; [unrolled: 1-line block ×4, first 2 shown]
	v_cmp_gt_i32_e64 s[2:3], s33, v1
	v_or_b32_e32 v1, 0xf00, v0
	v_cmp_lt_u16_sdwa s[48:49], v7, v19 src0_sel:BYTE_0 src1_sel:DWORD
	v_cmp_gt_i32_e32 vcc, s33, v4
	v_cmp_lt_u16_sdwa s[50:51], v9, v19 src0_sel:BYTE_0 src1_sel:DWORD
	v_cmp_lt_u16_sdwa s[46:47], v12, v19 src0_sel:BYTE_0 src1_sel:DWORD
	;; [unrolled: 1-line block ×3, first 2 shown]
	v_cmp_gt_i32_e64 s[38:39], s33, v3
	v_cmp_lt_u16_sdwa s[42:43], v15, v19 src0_sel:BYTE_0 src1_sel:DWORD
	v_cmp_lt_u16_sdwa s[40:41], v21, v19 src0_sel:BYTE_0 src1_sel:DWORD
	;; [unrolled: 1-line block ×4, first 2 shown]
	v_cmp_gt_i32_e64 s[26:27], s33, v2
	v_cmp_lt_u16_sdwa s[30:31], v31, v19 src0_sel:BYTE_0 src1_sel:DWORD
	v_cmp_lt_u16_sdwa s[28:29], v33, v19 src0_sel:BYTE_0 src1_sel:DWORD
	;; [unrolled: 1-line block ×3, first 2 shown]
	v_cmp_gt_i32_e64 s[0:1], s33, v1
	v_cmp_lt_u16_sdwa s[22:23], v37, v19 src0_sel:BYTE_0 src1_sel:DWORD
	global_store_byte v6, v17, s[56:57]
	s_and_b64 exec, exec, s[52:53]
	s_cbranch_execz .LBB137_54
; %bb.39:
	v_lshrrev_b16_sdwa v1, v7, v8 dst_sel:DWORD dst_unused:UNUSED_PAD src0_sel:BYTE_0 src1_sel:BYTE_0
	v_lshrrev_b16_sdwa v7, v9, v11 dst_sel:DWORD dst_unused:UNUSED_PAD src0_sel:BYTE_0 src1_sel:BYTE_0
	v_cndmask_b32_e64 v1, 0, v1, s[48:49]
	v_mov_b32_e32 v6, 0
	v_cndmask_b32_e64 v7, 0, v7, s[50:51]
	v_cndmask_b32_sdwa v1, v6, v1, vcc dst_sel:DWORD dst_unused:UNUSED_PAD src0_sel:DWORD src1_sel:WORD_0
	v_lshlrev_b16_e32 v7, 8, v7
	v_or_b32_sdwa v7, v1, v7 dst_sel:DWORD dst_unused:UNUSED_PAD src0_sel:BYTE_0 src1_sel:DWORD
	v_and_b32_e32 v7, 0xffff, v7
	s_movk_i32 s52, 0xff00
	v_cndmask_b32_e64 v1, v1, v7, s[16:17]
	v_lshrrev_b16_sdwa v8, v12, v14 dst_sel:DWORD dst_unused:UNUSED_PAD src0_sel:BYTE_0 src1_sel:BYTE_0
	v_and_b32_sdwa v7, v1, s52 dst_sel:DWORD dst_unused:UNUSED_PAD src0_sel:WORD_1 src1_sel:DWORD
	v_cndmask_b32_e64 v8, 0, v8, s[46:47]
	v_or_b32_sdwa v7, v8, v7 dst_sel:WORD_1 dst_unused:UNUSED_PAD src0_sel:DWORD src1_sel:DWORD
	v_and_or_b32 v7, v1, s58, v7
	v_lshrrev_b16_sdwa v8, v10, v13 dst_sel:DWORD dst_unused:UNUSED_PAD src0_sel:BYTE_0 src1_sel:BYTE_0
	v_cndmask_b32_e64 v1, v1, v7, s[14:15]
	v_cndmask_b32_e64 v8, 0, v8, s[44:45]
	v_and_b32_sdwa v7, v1, s55 dst_sel:DWORD dst_unused:UNUSED_PAD src0_sel:WORD_1 src1_sel:DWORD
	v_lshlrev_b16_e32 v8, 8, v8
	v_or_b32_sdwa v7, v7, v8 dst_sel:WORD_1 dst_unused:UNUSED_PAD src0_sel:DWORD src1_sel:DWORD
	v_and_or_b32 v7, v1, s58, v7
	v_cndmask_b32_e64 v8, v1, v7, s[12:13]
	v_lshrrev_b16_sdwa v1, v15, v16 dst_sel:DWORD dst_unused:UNUSED_PAD src0_sel:BYTE_0 src1_sel:BYTE_0
	v_cndmask_b32_e64 v1, 0, v1, s[42:43]
	v_lshrrev_b16_sdwa v7, v21, v25 dst_sel:DWORD dst_unused:UNUSED_PAD src0_sel:BYTE_0 src1_sel:BYTE_0
	v_and_b32_e32 v1, 0xffff, v1
	v_cndmask_b32_e64 v7, 0, v7, s[40:41]
	v_cndmask_b32_e64 v1, 0, v1, s[38:39]
	v_lshlrev_b16_e32 v7, 8, v7
	v_or_b32_sdwa v7, v1, v7 dst_sel:DWORD dst_unused:UNUSED_PAD src0_sel:BYTE_0 src1_sel:DWORD
	v_and_b32_e32 v7, 0xffff, v7
	v_cndmask_b32_e64 v1, v1, v7, s[10:11]
	v_lshrrev_b16_sdwa v7, v27, v28 dst_sel:DWORD dst_unused:UNUSED_PAD src0_sel:BYTE_0 src1_sel:BYTE_0
	v_cndmask_b32_e64 v7, 0, v7, s[36:37]
	v_lshlrev_b32_e32 v7, 16, v7
	v_or_b32_e32 v7, v1, v7
	v_lshrrev_b16_sdwa v9, v29, v30 dst_sel:DWORD dst_unused:UNUSED_PAD src0_sel:BYTE_0 src1_sel:BYTE_0
	v_cndmask_b32_e64 v1, v1, v7, s[8:9]
	v_cndmask_b32_e64 v9, 0, v9, s[34:35]
	v_and_b32_sdwa v7, v1, s55 dst_sel:DWORD dst_unused:UNUSED_PAD src0_sel:WORD_1 src1_sel:DWORD
	v_lshlrev_b16_e32 v9, 8, v9
	v_or_b32_sdwa v7, v7, v9 dst_sel:WORD_1 dst_unused:UNUSED_PAD src0_sel:DWORD src1_sel:DWORD
	v_and_or_b32 v7, v1, s58, v7
	v_cndmask_b32_e64 v7, v1, v7, s[6:7]
	v_lshrrev_b16_sdwa v1, v31, v32 dst_sel:DWORD dst_unused:UNUSED_PAD src0_sel:BYTE_0 src1_sel:BYTE_0
	v_cndmask_b32_e64 v1, 0, v1, s[30:31]
	v_lshrrev_b16_sdwa v9, v33, v34 dst_sel:DWORD dst_unused:UNUSED_PAD src0_sel:BYTE_0 src1_sel:BYTE_0
	v_and_b32_e32 v1, 0xffff, v1
	v_cndmask_b32_e64 v9, 0, v9, s[28:29]
	v_cndmask_b32_e64 v1, 0, v1, s[26:27]
	v_lshlrev_b16_e32 v9, 8, v9
	v_or_b32_sdwa v9, v1, v9 dst_sel:DWORD dst_unused:UNUSED_PAD src0_sel:BYTE_0 src1_sel:DWORD
	v_and_b32_e32 v9, 0xffff, v9
	v_cndmask_b32_e64 v1, v1, v9, s[4:5]
	v_lshrrev_b16_sdwa v10, v35, v36 dst_sel:DWORD dst_unused:UNUSED_PAD src0_sel:BYTE_0 src1_sel:BYTE_0
	v_and_b32_sdwa v9, v1, s52 dst_sel:DWORD dst_unused:UNUSED_PAD src0_sel:WORD_1 src1_sel:DWORD
	v_cndmask_b32_e64 v10, 0, v10, s[24:25]
	v_or_b32_sdwa v9, v10, v9 dst_sel:WORD_1 dst_unused:UNUSED_PAD src0_sel:DWORD src1_sel:DWORD
	v_and_or_b32 v9, v1, s58, v9
	v_cndmask_b32_e64 v1, v1, v9, s[2:3]
	v_lshrrev_b16_sdwa v10, v37, v38 dst_sel:DWORD dst_unused:UNUSED_PAD src0_sel:BYTE_0 src1_sel:BYTE_0
	s_mov_b64 vcc, s[22:23]
	v_and_b32_sdwa v9, v1, s55 dst_sel:DWORD dst_unused:UNUSED_PAD src0_sel:WORD_1 src1_sel:DWORD
	v_cndmask_b32_sdwa v6, v6, v10, vcc dst_sel:BYTE_1 dst_unused:UNUSED_PAD src0_sel:DWORD src1_sel:DWORD
	v_or_b32_sdwa v6, v9, v6 dst_sel:WORD_1 dst_unused:UNUSED_PAD src0_sel:DWORD src1_sel:DWORD
	v_and_or_b32 v6, v1, s58, v6
	v_cndmask_b32_e64 v6, v1, v6, s[0:1]
	v_or_b32_e32 v1, s54, v5
	v_lshrrev_b32_e32 v5, 8, v17
	global_store_byte v1, v5, s[56:57]
	s_and_b64 exec, exec, s[18:19]
	s_cbranch_execz .LBB137_54
; %bb.40:
	v_add_u32_e32 v0, s54, v0
	global_store_byte_d16_hi v0, v17, s[56:57] offset:512
	s_and_b64 exec, exec, s[20:21]
	s_cbranch_execz .LBB137_54
; %bb.41:
	v_mov_b32_e32 v1, s57
	v_add_co_u32_e32 v0, vcc, s56, v0
	v_addc_co_u32_e32 v1, vcc, 0, v1, vcc
	v_lshrrev_b32_e32 v5, 24, v17
	v_cmp_gt_u32_e32 vcc, s33, v4
	global_store_byte v[0:1], v5, off offset:768
	s_and_b64 exec, exec, vcc
	s_cbranch_execz .LBB137_54
; %bb.42:
	global_store_byte v[0:1], v8, off offset:1024
	s_and_b64 exec, exec, s[16:17]
	s_cbranch_execz .LBB137_54
; %bb.43:
	v_lshrrev_b32_e32 v4, 8, v8
	global_store_byte v[0:1], v4, off offset:1280
	s_and_b64 exec, exec, s[14:15]
	s_cbranch_execz .LBB137_54
; %bb.44:
	global_store_byte_d16_hi v[0:1], v8, off offset:1536
	s_and_b64 exec, exec, s[12:13]
	s_cbranch_execz .LBB137_54
; %bb.45:
	v_lshrrev_b32_e32 v4, 24, v8
	v_cmp_gt_u32_e32 vcc, s33, v3
	global_store_byte v[0:1], v4, off offset:1792
	s_and_b64 exec, exec, vcc
	s_cbranch_execz .LBB137_54
; %bb.46:
	global_store_byte v[0:1], v7, off offset:2048
	s_and_b64 exec, exec, s[10:11]
	s_cbranch_execz .LBB137_54
; %bb.47:
	v_lshrrev_b32_e32 v3, 8, v7
	global_store_byte v[0:1], v3, off offset:2304
	s_and_b64 exec, exec, s[8:9]
	s_cbranch_execz .LBB137_54
; %bb.48:
	global_store_byte_d16_hi v[0:1], v7, off offset:2560
	s_and_b64 exec, exec, s[6:7]
	s_cbranch_execz .LBB137_54
; %bb.49:
	;; [unrolled: 19-line block ×3, first 2 shown]
	v_lshrrev_b32_e32 v2, 24, v6
	global_store_byte v[0:1], v2, off offset:3840
.LBB137_54:
	s_endpgm
	.section	.rodata,"a",@progbits
	.p2align	6, 0x0
	.amdhsa_kernel _ZN2at6native29vectorized_elementwise_kernelILi8ENS0_13BinaryFunctorIhhhZZZNS0_18rshift_kernel_cudaERNS_18TensorIteratorBaseEENKUlvE_clEvENKUlvE_clEvEUlhhE_EESt5arrayIPcLm3EEEEviT0_T1_
		.amdhsa_group_segment_fixed_size 0
		.amdhsa_private_segment_fixed_size 0
		.amdhsa_kernarg_size 32
		.amdhsa_user_sgpr_count 6
		.amdhsa_user_sgpr_private_segment_buffer 1
		.amdhsa_user_sgpr_dispatch_ptr 0
		.amdhsa_user_sgpr_queue_ptr 0
		.amdhsa_user_sgpr_kernarg_segment_ptr 1
		.amdhsa_user_sgpr_dispatch_id 0
		.amdhsa_user_sgpr_flat_scratch_init 0
		.amdhsa_user_sgpr_private_segment_size 0
		.amdhsa_uses_dynamic_stack 0
		.amdhsa_system_sgpr_private_segment_wavefront_offset 0
		.amdhsa_system_sgpr_workgroup_id_x 1
		.amdhsa_system_sgpr_workgroup_id_y 0
		.amdhsa_system_sgpr_workgroup_id_z 0
		.amdhsa_system_sgpr_workgroup_info 0
		.amdhsa_system_vgpr_workitem_id 0
		.amdhsa_next_free_vgpr 39
		.amdhsa_next_free_sgpr 60
		.amdhsa_reserve_vcc 1
		.amdhsa_reserve_flat_scratch 0
		.amdhsa_float_round_mode_32 0
		.amdhsa_float_round_mode_16_64 0
		.amdhsa_float_denorm_mode_32 3
		.amdhsa_float_denorm_mode_16_64 3
		.amdhsa_dx10_clamp 1
		.amdhsa_ieee_mode 1
		.amdhsa_fp16_overflow 0
		.amdhsa_exception_fp_ieee_invalid_op 0
		.amdhsa_exception_fp_denorm_src 0
		.amdhsa_exception_fp_ieee_div_zero 0
		.amdhsa_exception_fp_ieee_overflow 0
		.amdhsa_exception_fp_ieee_underflow 0
		.amdhsa_exception_fp_ieee_inexact 0
		.amdhsa_exception_int_div_zero 0
	.end_amdhsa_kernel
	.section	.text._ZN2at6native29vectorized_elementwise_kernelILi8ENS0_13BinaryFunctorIhhhZZZNS0_18rshift_kernel_cudaERNS_18TensorIteratorBaseEENKUlvE_clEvENKUlvE_clEvEUlhhE_EESt5arrayIPcLm3EEEEviT0_T1_,"axG",@progbits,_ZN2at6native29vectorized_elementwise_kernelILi8ENS0_13BinaryFunctorIhhhZZZNS0_18rshift_kernel_cudaERNS_18TensorIteratorBaseEENKUlvE_clEvENKUlvE_clEvEUlhhE_EESt5arrayIPcLm3EEEEviT0_T1_,comdat
.Lfunc_end137:
	.size	_ZN2at6native29vectorized_elementwise_kernelILi8ENS0_13BinaryFunctorIhhhZZZNS0_18rshift_kernel_cudaERNS_18TensorIteratorBaseEENKUlvE_clEvENKUlvE_clEvEUlhhE_EESt5arrayIPcLm3EEEEviT0_T1_, .Lfunc_end137-_ZN2at6native29vectorized_elementwise_kernelILi8ENS0_13BinaryFunctorIhhhZZZNS0_18rshift_kernel_cudaERNS_18TensorIteratorBaseEENKUlvE_clEvENKUlvE_clEvEUlhhE_EESt5arrayIPcLm3EEEEviT0_T1_
                                        ; -- End function
	.set _ZN2at6native29vectorized_elementwise_kernelILi8ENS0_13BinaryFunctorIhhhZZZNS0_18rshift_kernel_cudaERNS_18TensorIteratorBaseEENKUlvE_clEvENKUlvE_clEvEUlhhE_EESt5arrayIPcLm3EEEEviT0_T1_.num_vgpr, 39
	.set _ZN2at6native29vectorized_elementwise_kernelILi8ENS0_13BinaryFunctorIhhhZZZNS0_18rshift_kernel_cudaERNS_18TensorIteratorBaseEENKUlvE_clEvENKUlvE_clEvEUlhhE_EESt5arrayIPcLm3EEEEviT0_T1_.num_agpr, 0
	.set _ZN2at6native29vectorized_elementwise_kernelILi8ENS0_13BinaryFunctorIhhhZZZNS0_18rshift_kernel_cudaERNS_18TensorIteratorBaseEENKUlvE_clEvENKUlvE_clEvEUlhhE_EESt5arrayIPcLm3EEEEviT0_T1_.numbered_sgpr, 60
	.set _ZN2at6native29vectorized_elementwise_kernelILi8ENS0_13BinaryFunctorIhhhZZZNS0_18rshift_kernel_cudaERNS_18TensorIteratorBaseEENKUlvE_clEvENKUlvE_clEvEUlhhE_EESt5arrayIPcLm3EEEEviT0_T1_.num_named_barrier, 0
	.set _ZN2at6native29vectorized_elementwise_kernelILi8ENS0_13BinaryFunctorIhhhZZZNS0_18rshift_kernel_cudaERNS_18TensorIteratorBaseEENKUlvE_clEvENKUlvE_clEvEUlhhE_EESt5arrayIPcLm3EEEEviT0_T1_.private_seg_size, 0
	.set _ZN2at6native29vectorized_elementwise_kernelILi8ENS0_13BinaryFunctorIhhhZZZNS0_18rshift_kernel_cudaERNS_18TensorIteratorBaseEENKUlvE_clEvENKUlvE_clEvEUlhhE_EESt5arrayIPcLm3EEEEviT0_T1_.uses_vcc, 1
	.set _ZN2at6native29vectorized_elementwise_kernelILi8ENS0_13BinaryFunctorIhhhZZZNS0_18rshift_kernel_cudaERNS_18TensorIteratorBaseEENKUlvE_clEvENKUlvE_clEvEUlhhE_EESt5arrayIPcLm3EEEEviT0_T1_.uses_flat_scratch, 0
	.set _ZN2at6native29vectorized_elementwise_kernelILi8ENS0_13BinaryFunctorIhhhZZZNS0_18rshift_kernel_cudaERNS_18TensorIteratorBaseEENKUlvE_clEvENKUlvE_clEvEUlhhE_EESt5arrayIPcLm3EEEEviT0_T1_.has_dyn_sized_stack, 0
	.set _ZN2at6native29vectorized_elementwise_kernelILi8ENS0_13BinaryFunctorIhhhZZZNS0_18rshift_kernel_cudaERNS_18TensorIteratorBaseEENKUlvE_clEvENKUlvE_clEvEUlhhE_EESt5arrayIPcLm3EEEEviT0_T1_.has_recursion, 0
	.set _ZN2at6native29vectorized_elementwise_kernelILi8ENS0_13BinaryFunctorIhhhZZZNS0_18rshift_kernel_cudaERNS_18TensorIteratorBaseEENKUlvE_clEvENKUlvE_clEvEUlhhE_EESt5arrayIPcLm3EEEEviT0_T1_.has_indirect_call, 0
	.section	.AMDGPU.csdata,"",@progbits
; Kernel info:
; codeLenInByte = 3872
; TotalNumSgprs: 64
; NumVgprs: 39
; ScratchSize: 0
; MemoryBound: 0
; FloatMode: 240
; IeeeMode: 1
; LDSByteSize: 0 bytes/workgroup (compile time only)
; SGPRBlocks: 7
; VGPRBlocks: 9
; NumSGPRsForWavesPerEU: 64
; NumVGPRsForWavesPerEU: 39
; Occupancy: 6
; WaveLimiterHint : 1
; COMPUTE_PGM_RSRC2:SCRATCH_EN: 0
; COMPUTE_PGM_RSRC2:USER_SGPR: 6
; COMPUTE_PGM_RSRC2:TRAP_HANDLER: 0
; COMPUTE_PGM_RSRC2:TGID_X_EN: 1
; COMPUTE_PGM_RSRC2:TGID_Y_EN: 0
; COMPUTE_PGM_RSRC2:TGID_Z_EN: 0
; COMPUTE_PGM_RSRC2:TIDIG_COMP_CNT: 0
	.section	.text._ZN2at6native29vectorized_elementwise_kernelILi4ENS0_13BinaryFunctorIhhhZZZNS0_18rshift_kernel_cudaERNS_18TensorIteratorBaseEENKUlvE_clEvENKUlvE_clEvEUlhhE_EESt5arrayIPcLm3EEEEviT0_T1_,"axG",@progbits,_ZN2at6native29vectorized_elementwise_kernelILi4ENS0_13BinaryFunctorIhhhZZZNS0_18rshift_kernel_cudaERNS_18TensorIteratorBaseEENKUlvE_clEvENKUlvE_clEvEUlhhE_EESt5arrayIPcLm3EEEEviT0_T1_,comdat
	.globl	_ZN2at6native29vectorized_elementwise_kernelILi4ENS0_13BinaryFunctorIhhhZZZNS0_18rshift_kernel_cudaERNS_18TensorIteratorBaseEENKUlvE_clEvENKUlvE_clEvEUlhhE_EESt5arrayIPcLm3EEEEviT0_T1_ ; -- Begin function _ZN2at6native29vectorized_elementwise_kernelILi4ENS0_13BinaryFunctorIhhhZZZNS0_18rshift_kernel_cudaERNS_18TensorIteratorBaseEENKUlvE_clEvENKUlvE_clEvEUlhhE_EESt5arrayIPcLm3EEEEviT0_T1_
	.p2align	8
	.type	_ZN2at6native29vectorized_elementwise_kernelILi4ENS0_13BinaryFunctorIhhhZZZNS0_18rshift_kernel_cudaERNS_18TensorIteratorBaseEENKUlvE_clEvENKUlvE_clEvEUlhhE_EESt5arrayIPcLm3EEEEviT0_T1_,@function
_ZN2at6native29vectorized_elementwise_kernelILi4ENS0_13BinaryFunctorIhhhZZZNS0_18rshift_kernel_cudaERNS_18TensorIteratorBaseEENKUlvE_clEvENKUlvE_clEvEUlhhE_EESt5arrayIPcLm3EEEEviT0_T1_: ; @_ZN2at6native29vectorized_elementwise_kernelILi4ENS0_13BinaryFunctorIhhhZZZNS0_18rshift_kernel_cudaERNS_18TensorIteratorBaseEENKUlvE_clEvENKUlvE_clEvEUlhhE_EESt5arrayIPcLm3EEEEviT0_T1_
; %bb.0:
	s_load_dword s0, s[4:5], 0x0
	s_load_dwordx4 s[56:59], s[4:5], 0x8
	s_load_dwordx2 s[8:9], s[4:5], 0x18
	s_lshl_b32 s54, s6, 12
	s_waitcnt lgkmcnt(0)
	s_sub_i32 s33, s0, s54
	s_cmpk_gt_i32 s33, 0xfff
	s_mov_b64 s[0:1], -1
	s_cbranch_scc0 .LBB138_2
; %bb.1:
	s_ashr_i32 s2, s54, 31
	s_add_u32 s0, s58, s54
	s_addc_u32 s1, s59, s2
	v_lshlrev_b32_e32 v1, 2, v0
	global_load_dword v2, v1, s[0:1]
	global_load_dword v3, v1, s[0:1] offset:1024
	global_load_dword v4, v1, s[0:1] offset:2048
	;; [unrolled: 1-line block ×3, first 2 shown]
	s_add_u32 s0, s8, s54
	s_addc_u32 s1, s9, s2
	global_load_dword v6, v1, s[0:1]
	global_load_dword v7, v1, s[0:1] offset:1024
	global_load_dword v8, v1, s[0:1] offset:2048
	;; [unrolled: 1-line block ×3, first 2 shown]
	v_mov_b32_e32 v10, 8
	s_movk_i32 s0, 0xff
	s_brev_b32 s1, 16
	s_waitcnt vmcnt(7)
	v_lshrrev_b32_e32 v11, 8, v2
	v_and_b32_sdwa v12, v2, s0 dst_sel:DWORD dst_unused:UNUSED_PAD src0_sel:WORD_1 src1_sel:DWORD
	s_waitcnt vmcnt(6)
	v_lshrrev_b32_e32 v13, 8, v3
	s_waitcnt vmcnt(3)
	v_lshrrev_b32_e32 v19, 8, v6
	v_lshrrev_b16_sdwa v27, v6, v2 dst_sel:DWORD dst_unused:UNUSED_PAD src0_sel:BYTE_0 src1_sel:BYTE_0
	v_cmp_lt_u16_sdwa vcc, v6, v10 src0_sel:BYTE_0 src1_sel:DWORD
	v_and_b32_sdwa v20, v6, s0 dst_sel:DWORD dst_unused:UNUSED_PAD src0_sel:WORD_1 src1_sel:DWORD
	v_lshrrev_b16_sdwa v11, v6, v11 dst_sel:DWORD dst_unused:UNUSED_PAD src0_sel:BYTE_1 src1_sel:BYTE_0
	v_cndmask_b32_e32 v27, 0, v27, vcc
	v_cmp_lt_u16_sdwa vcc, v19, v10 src0_sel:BYTE_0 src1_sel:DWORD
	v_lshrrev_b16_sdwa v12, v6, v12 dst_sel:DWORD dst_unused:UNUSED_PAD src0_sel:BYTE_2 src1_sel:DWORD
	v_cndmask_b32_e32 v11, 0, v11, vcc
	v_cmp_gt_u16_e32 vcc, 8, v20
	v_lshrrev_b16_sdwa v2, v6, v2 dst_sel:DWORD dst_unused:UNUSED_PAD src0_sel:BYTE_3 src1_sel:BYTE_3
	v_cndmask_b32_e32 v12, 0, v12, vcc
	v_cmp_gt_u32_e32 vcc, s1, v6
	s_waitcnt vmcnt(2)
	v_lshrrev_b32_e32 v21, 8, v7
	v_lshrrev_b16_sdwa v28, v7, v3 dst_sel:DWORD dst_unused:UNUSED_PAD src0_sel:BYTE_0 src1_sel:BYTE_0
	v_cndmask_b32_e32 v2, 0, v2, vcc
	v_cmp_lt_u16_sdwa vcc, v7, v10 src0_sel:BYTE_0 src1_sel:DWORD
	v_and_b32_sdwa v14, v3, s0 dst_sel:DWORD dst_unused:UNUSED_PAD src0_sel:WORD_1 src1_sel:DWORD
	v_and_b32_sdwa v22, v7, s0 dst_sel:DWORD dst_unused:UNUSED_PAD src0_sel:WORD_1 src1_sel:DWORD
	v_lshrrev_b16_sdwa v13, v7, v13 dst_sel:DWORD dst_unused:UNUSED_PAD src0_sel:BYTE_1 src1_sel:BYTE_0
	v_cndmask_b32_e32 v6, 0, v28, vcc
	v_cmp_lt_u16_sdwa vcc, v21, v10 src0_sel:BYTE_0 src1_sel:DWORD
	v_lshrrev_b16_sdwa v14, v7, v14 dst_sel:DWORD dst_unused:UNUSED_PAD src0_sel:BYTE_2 src1_sel:DWORD
	v_cndmask_b32_e32 v13, 0, v13, vcc
	v_cmp_gt_u16_e32 vcc, 8, v22
	v_lshrrev_b16_sdwa v3, v7, v3 dst_sel:DWORD dst_unused:UNUSED_PAD src0_sel:BYTE_3 src1_sel:BYTE_3
	v_cndmask_b32_e32 v14, 0, v14, vcc
	v_cmp_gt_u32_e32 vcc, s1, v7
	v_lshrrev_b32_e32 v15, 8, v4
	s_waitcnt vmcnt(1)
	v_lshrrev_b32_e32 v23, 8, v8
	v_lshrrev_b16_sdwa v29, v8, v4 dst_sel:DWORD dst_unused:UNUSED_PAD src0_sel:BYTE_0 src1_sel:BYTE_0
	v_cndmask_b32_e32 v3, 0, v3, vcc
	v_cmp_lt_u16_sdwa vcc, v8, v10 src0_sel:BYTE_0 src1_sel:DWORD
	v_and_b32_sdwa v16, v4, s0 dst_sel:DWORD dst_unused:UNUSED_PAD src0_sel:WORD_1 src1_sel:DWORD
	v_and_b32_sdwa v24, v8, s0 dst_sel:DWORD dst_unused:UNUSED_PAD src0_sel:WORD_1 src1_sel:DWORD
	v_lshrrev_b16_sdwa v15, v8, v15 dst_sel:DWORD dst_unused:UNUSED_PAD src0_sel:BYTE_1 src1_sel:BYTE_0
	v_cndmask_b32_e32 v7, 0, v29, vcc
	v_cmp_lt_u16_sdwa vcc, v23, v10 src0_sel:BYTE_0 src1_sel:DWORD
	v_lshrrev_b16_sdwa v16, v8, v16 dst_sel:DWORD dst_unused:UNUSED_PAD src0_sel:BYTE_2 src1_sel:DWORD
	v_cndmask_b32_e32 v15, 0, v15, vcc
	v_cmp_gt_u16_e32 vcc, 8, v24
	v_lshrrev_b16_sdwa v4, v8, v4 dst_sel:DWORD dst_unused:UNUSED_PAD src0_sel:BYTE_3 src1_sel:BYTE_3
	v_cndmask_b32_e32 v16, 0, v16, vcc
	v_cmp_gt_u32_e32 vcc, s1, v8
	v_lshrrev_b32_e32 v17, 8, v5
	s_waitcnt vmcnt(0)
	v_lshrrev_b32_e32 v25, 8, v9
	v_lshrrev_b16_sdwa v30, v9, v5 dst_sel:DWORD dst_unused:UNUSED_PAD src0_sel:BYTE_0 src1_sel:BYTE_0
	v_cndmask_b32_e32 v4, 0, v4, vcc
	v_cmp_lt_u16_sdwa vcc, v9, v10 src0_sel:BYTE_0 src1_sel:DWORD
	v_and_b32_sdwa v18, v5, s0 dst_sel:DWORD dst_unused:UNUSED_PAD src0_sel:WORD_1 src1_sel:DWORD
	v_and_b32_sdwa v26, v9, s0 dst_sel:DWORD dst_unused:UNUSED_PAD src0_sel:WORD_1 src1_sel:DWORD
	v_lshrrev_b16_sdwa v17, v9, v17 dst_sel:DWORD dst_unused:UNUSED_PAD src0_sel:BYTE_1 src1_sel:BYTE_0
	v_cndmask_b32_e32 v8, 0, v30, vcc
	v_cmp_lt_u16_sdwa vcc, v25, v10 src0_sel:BYTE_0 src1_sel:DWORD
	v_lshrrev_b16_sdwa v18, v9, v18 dst_sel:DWORD dst_unused:UNUSED_PAD src0_sel:BYTE_2 src1_sel:DWORD
	v_cndmask_b32_e32 v10, 0, v17, vcc
	v_cmp_gt_u16_e32 vcc, 8, v26
	v_lshrrev_b16_sdwa v5, v9, v5 dst_sel:DWORD dst_unused:UNUSED_PAD src0_sel:BYTE_3 src1_sel:BYTE_3
	v_cndmask_b32_e32 v17, 0, v18, vcc
	v_cmp_gt_u32_e32 vcc, s1, v9
	v_lshlrev_b16_e32 v9, 8, v10
	v_lshlrev_b16_e32 v10, 8, v15
	;; [unrolled: 1-line block ×3, first 2 shown]
	v_or_b32_e32 v7, v7, v10
	v_or_b32_sdwa v4, v16, v4 dst_sel:WORD_1 dst_unused:UNUSED_PAD src0_sel:DWORD src1_sel:DWORD
	v_or_b32_sdwa v4, v7, v4 dst_sel:DWORD dst_unused:UNUSED_PAD src0_sel:WORD_0 src1_sel:DWORD
	v_lshlrev_b16_e32 v7, 8, v13
	v_lshlrev_b16_e32 v3, 8, v3
	v_or_b32_e32 v6, v6, v7
	v_or_b32_sdwa v3, v14, v3 dst_sel:WORD_1 dst_unused:UNUSED_PAD src0_sel:DWORD src1_sel:DWORD
	v_cndmask_b32_e32 v5, 0, v5, vcc
	v_or_b32_sdwa v3, v6, v3 dst_sel:DWORD dst_unused:UNUSED_PAD src0_sel:WORD_0 src1_sel:DWORD
	v_lshlrev_b16_e32 v6, 8, v11
	v_lshlrev_b16_e32 v2, 8, v2
	v_lshlrev_b16_e32 v5, 8, v5
	v_or_b32_e32 v6, v27, v6
	v_or_b32_sdwa v2, v12, v2 dst_sel:WORD_1 dst_unused:UNUSED_PAD src0_sel:DWORD src1_sel:DWORD
	s_add_u32 s0, s56, s54
	v_or_b32_e32 v8, v8, v9
	v_or_b32_sdwa v5, v17, v5 dst_sel:WORD_1 dst_unused:UNUSED_PAD src0_sel:DWORD src1_sel:DWORD
	v_or_b32_sdwa v2, v6, v2 dst_sel:DWORD dst_unused:UNUSED_PAD src0_sel:WORD_0 src1_sel:DWORD
	s_addc_u32 s1, s57, s2
	v_or_b32_sdwa v5, v8, v5 dst_sel:DWORD dst_unused:UNUSED_PAD src0_sel:WORD_0 src1_sel:DWORD
	global_store_dword v1, v2, s[0:1]
	global_store_dword v1, v3, s[0:1] offset:1024
	global_store_dword v1, v4, s[0:1] offset:2048
	;; [unrolled: 1-line block ×3, first 2 shown]
	s_mov_b64 s[0:1], 0
.LBB138_2:
	s_andn2_b64 vcc, exec, s[0:1]
	s_cbranch_vccnz .LBB138_54
; %bb.3:
	v_cmp_gt_i32_e32 vcc, s33, v0
	v_cmp_le_i32_e64 s[0:1], s33, v0
                                        ; implicit-def: $vgpr5
	s_and_saveexec_b64 s[2:3], s[0:1]
	s_xor_b64 s[0:1], exec, s[2:3]
; %bb.4:
	v_or_b32_e32 v5, 0x100, v0
; %bb.5:
	s_or_saveexec_b64 s[2:3], s[0:1]
	v_mov_b32_e32 v38, 0
	v_or_b32_e32 v6, s54, v0
	v_mov_b32_e32 v37, 0
	v_mov_b32_e32 v36, 0
	;; [unrolled: 1-line block ×31, first 2 shown]
	s_xor_b64 exec, exec, s[2:3]
	s_cbranch_execz .LBB138_37
; %bb.6:
	global_load_ubyte v19, v6, s[58:59]
	global_load_ubyte v20, v6, s[8:9]
	v_or_b32_e32 v5, 0x100, v0
	v_cmp_gt_u32_e64 s[0:1], s33, v5
	v_mov_b32_e32 v17, 0
	v_mov_b32_e32 v18, 0
	;; [unrolled: 1-line block ×30, first 2 shown]
	s_and_saveexec_b64 s[4:5], s[0:1]
	s_cbranch_execz .LBB138_36
; %bb.7:
	v_add_u32_e32 v3, s54, v0
	global_load_ubyte v18, v3, s[58:59] offset:256
	global_load_ubyte v17, v3, s[8:9] offset:256
	v_or_b32_e32 v1, 0x200, v0
	v_mov_b32_e32 v22, 0
	v_cmp_gt_u32_e64 s[0:1], s33, v1
	v_mov_b32_e32 v26, 0
	v_mov_b32_e32 v23, 0
	;; [unrolled: 1-line block ×27, first 2 shown]
	s_and_saveexec_b64 s[6:7], s[0:1]
	s_cbranch_execz .LBB138_35
; %bb.8:
	v_mov_b32_e32 v2, s59
	v_add_co_u32_e64 v1, s[0:1], s58, v3
	v_addc_co_u32_e64 v2, s[0:1], 0, v2, s[0:1]
	v_mov_b32_e32 v4, s9
	v_add_co_u32_e64 v3, s[0:1], s8, v3
	v_addc_co_u32_e64 v4, s[0:1], 0, v4, s[0:1]
	global_load_ubyte v26, v[1:2], off offset:512
	global_load_ubyte v22, v[3:4], off offset:512
	v_or_b32_e32 v7, 0x300, v0
	v_cmp_gt_u32_e64 s[0:1], s33, v7
	v_mov_b32_e32 v23, 0
	v_mov_b32_e32 v24, 0
	;; [unrolled: 1-line block ×26, first 2 shown]
	s_and_saveexec_b64 s[8:9], s[0:1]
	s_cbranch_execz .LBB138_34
; %bb.9:
	global_load_ubyte v24, v[1:2], off offset:768
	global_load_ubyte v23, v[3:4], off offset:768
	v_or_b32_e32 v7, 0x400, v0
	v_cmp_gt_u32_e64 s[0:1], s33, v7
	v_mov_b32_e32 v7, 0
	v_mov_b32_e32 v8, 0
	;; [unrolled: 1-line block ×24, first 2 shown]
	s_and_saveexec_b64 s[10:11], s[0:1]
	s_cbranch_execz .LBB138_33
; %bb.10:
	global_load_ubyte v8, v[1:2], off offset:1024
	global_load_ubyte v7, v[3:4], off offset:1024
	v_or_b32_e32 v9, 0x500, v0
	v_cmp_gt_u32_e64 s[0:1], s33, v9
	v_mov_b32_e32 v9, 0
	v_mov_b32_e32 v11, 0
	;; [unrolled: 1-line block ×22, first 2 shown]
	s_and_saveexec_b64 s[12:13], s[0:1]
	s_cbranch_execz .LBB138_32
; %bb.11:
	global_load_ubyte v11, v[1:2], off offset:1280
	global_load_ubyte v9, v[3:4], off offset:1280
	v_or_b32_e32 v10, 0x600, v0
	v_cmp_gt_u32_e64 s[0:1], s33, v10
	v_mov_b32_e32 v12, 0
	v_mov_b32_e32 v14, 0
	;; [unrolled: 1-line block ×20, first 2 shown]
	s_and_saveexec_b64 s[14:15], s[0:1]
	s_cbranch_execz .LBB138_31
; %bb.12:
	global_load_ubyte v14, v[1:2], off offset:1536
	global_load_ubyte v12, v[3:4], off offset:1536
	v_or_b32_e32 v10, 0x700, v0
	v_cmp_gt_u32_e64 s[0:1], s33, v10
	v_mov_b32_e32 v10, 0
	v_mov_b32_e32 v13, 0
	v_mov_b32_e32 v15, 0
	v_mov_b32_e32 v16, 0
	v_mov_b32_e32 v21, 0
	v_mov_b32_e32 v25, 0
	v_mov_b32_e32 v27, 0
	v_mov_b32_e32 v28, 0
	v_mov_b32_e32 v29, 0
	v_mov_b32_e32 v30, 0
	v_mov_b32_e32 v31, 0
	v_mov_b32_e32 v32, 0
	v_mov_b32_e32 v33, 0
	v_mov_b32_e32 v34, 0
	v_mov_b32_e32 v35, 0
	v_mov_b32_e32 v36, 0
	v_mov_b32_e32 v37, 0
	v_mov_b32_e32 v38, 0
	s_and_saveexec_b64 s[16:17], s[0:1]
	s_cbranch_execz .LBB138_30
; %bb.13:
	global_load_ubyte v13, v[1:2], off offset:1792
	global_load_ubyte v10, v[3:4], off offset:1792
	v_or_b32_e32 v15, 0x800, v0
	v_cmp_gt_u32_e64 s[0:1], s33, v15
	v_mov_b32_e32 v15, 0
	v_mov_b32_e32 v16, 0
	;; [unrolled: 1-line block ×16, first 2 shown]
	s_and_saveexec_b64 s[18:19], s[0:1]
	s_cbranch_execz .LBB138_29
; %bb.14:
	global_load_ubyte v16, v[1:2], off offset:2048
	global_load_ubyte v15, v[3:4], off offset:2048
	v_or_b32_e32 v21, 0x900, v0
	v_cmp_gt_u32_e64 s[0:1], s33, v21
	v_mov_b32_e32 v21, 0
	v_mov_b32_e32 v25, 0
	;; [unrolled: 1-line block ×14, first 2 shown]
	s_and_saveexec_b64 s[20:21], s[0:1]
	s_cbranch_execz .LBB138_28
; %bb.15:
	global_load_ubyte v25, v[1:2], off offset:2304
	global_load_ubyte v21, v[3:4], off offset:2304
	v_or_b32_e32 v27, 0xa00, v0
	v_cmp_gt_u32_e64 s[0:1], s33, v27
	v_mov_b32_e32 v27, 0
	v_mov_b32_e32 v28, 0
	v_mov_b32_e32 v29, 0
	v_mov_b32_e32 v30, 0
	v_mov_b32_e32 v31, 0
	v_mov_b32_e32 v32, 0
	v_mov_b32_e32 v33, 0
	v_mov_b32_e32 v34, 0
	v_mov_b32_e32 v35, 0
	v_mov_b32_e32 v36, 0
	v_mov_b32_e32 v37, 0
	v_mov_b32_e32 v38, 0
	s_and_saveexec_b64 s[22:23], s[0:1]
	s_cbranch_execz .LBB138_27
; %bb.16:
	global_load_ubyte v28, v[1:2], off offset:2560
	global_load_ubyte v27, v[3:4], off offset:2560
	v_or_b32_e32 v29, 0xb00, v0
	v_cmp_gt_u32_e64 s[0:1], s33, v29
	v_mov_b32_e32 v29, 0
	v_mov_b32_e32 v30, 0
	;; [unrolled: 1-line block ×10, first 2 shown]
	s_and_saveexec_b64 s[24:25], s[0:1]
	s_cbranch_execz .LBB138_26
; %bb.17:
	global_load_ubyte v30, v[1:2], off offset:2816
	global_load_ubyte v29, v[3:4], off offset:2816
	v_or_b32_e32 v31, 0xc00, v0
	v_cmp_gt_u32_e64 s[0:1], s33, v31
	v_mov_b32_e32 v31, 0
	v_mov_b32_e32 v32, 0
	;; [unrolled: 1-line block ×8, first 2 shown]
	s_and_saveexec_b64 s[26:27], s[0:1]
	s_cbranch_execz .LBB138_25
; %bb.18:
	global_load_ubyte v32, v[1:2], off offset:3072
	global_load_ubyte v31, v[3:4], off offset:3072
	v_or_b32_e32 v33, 0xd00, v0
	v_cmp_gt_u32_e64 s[0:1], s33, v33
	v_mov_b32_e32 v33, 0
	v_mov_b32_e32 v34, 0
	v_mov_b32_e32 v35, 0
	v_mov_b32_e32 v36, 0
	v_mov_b32_e32 v37, 0
	v_mov_b32_e32 v38, 0
	s_and_saveexec_b64 s[28:29], s[0:1]
	s_cbranch_execz .LBB138_24
; %bb.19:
	global_load_ubyte v34, v[1:2], off offset:3328
	global_load_ubyte v33, v[3:4], off offset:3328
	v_or_b32_e32 v35, 0xe00, v0
	v_cmp_gt_u32_e64 s[0:1], s33, v35
	v_mov_b32_e32 v35, 0
	v_mov_b32_e32 v36, 0
	;; [unrolled: 1-line block ×4, first 2 shown]
	s_and_saveexec_b64 s[30:31], s[0:1]
	s_cbranch_execz .LBB138_23
; %bb.20:
	global_load_ubyte v36, v[1:2], off offset:3584
	global_load_ubyte v35, v[3:4], off offset:3584
	v_or_b32_e32 v37, 0xf00, v0
	v_cmp_gt_u32_e64 s[0:1], s33, v37
	v_mov_b32_e32 v37, 0
	v_mov_b32_e32 v38, 0
	s_and_saveexec_b64 s[34:35], s[0:1]
	s_cbranch_execz .LBB138_22
; %bb.21:
	global_load_ubyte v38, v[1:2], off offset:3840
	global_load_ubyte v37, v[3:4], off offset:3840
.LBB138_22:
	s_or_b64 exec, exec, s[34:35]
.LBB138_23:
	s_or_b64 exec, exec, s[30:31]
.LBB138_24:
	s_or_b64 exec, exec, s[28:29]
.LBB138_25:
	s_or_b64 exec, exec, s[26:27]
.LBB138_26:
	s_or_b64 exec, exec, s[24:25]
.LBB138_27:
	s_or_b64 exec, exec, s[22:23]
.LBB138_28:
	s_or_b64 exec, exec, s[20:21]
.LBB138_29:
	s_or_b64 exec, exec, s[18:19]
.LBB138_30:
	s_or_b64 exec, exec, s[16:17]
.LBB138_31:
	s_or_b64 exec, exec, s[14:15]
.LBB138_32:
	s_or_b64 exec, exec, s[12:13]
.LBB138_33:
	s_or_b64 exec, exec, s[10:11]
.LBB138_34:
	s_or_b64 exec, exec, s[8:9]
.LBB138_35:
	s_or_b64 exec, exec, s[6:7]
.LBB138_36:
	s_or_b64 exec, exec, s[4:5]
.LBB138_37:
	s_or_b64 exec, exec, s[2:3]
	s_and_saveexec_b64 s[0:1], vcc
	s_cbranch_execz .LBB138_54
; %bb.38:
	s_waitcnt vmcnt(0)
	v_lshrrev_b16_sdwa v1, v20, v19 dst_sel:DWORD dst_unused:UNUSED_PAD src0_sel:BYTE_0 src1_sel:BYTE_0
	v_mov_b32_e32 v19, 8
	v_cmp_lt_u16_sdwa s[0:1], v20, v19 src0_sel:BYTE_0 src1_sel:DWORD
	v_cndmask_b32_e64 v1, 0, v1, s[0:1]
	v_and_b32_e32 v1, 0xffff, v1
	v_cndmask_b32_e32 v1, 0, v1, vcc
	v_lshrrev_b16_sdwa v2, v17, v18 dst_sel:DWORD dst_unused:UNUSED_PAD src0_sel:BYTE_0 src1_sel:BYTE_0
	v_cmp_lt_u16_sdwa vcc, v17, v19 src0_sel:BYTE_0 src1_sel:DWORD
	v_cndmask_b32_e32 v2, 0, v2, vcc
	v_lshlrev_b16_e32 v2, 8, v2
	v_or_b32_sdwa v2, v1, v2 dst_sel:DWORD dst_unused:UNUSED_PAD src0_sel:BYTE_0 src1_sel:DWORD
	v_lshrrev_b16_sdwa v3, v22, v26 dst_sel:DWORD dst_unused:UNUSED_PAD src0_sel:BYTE_0 src1_sel:BYTE_0
	v_cmp_lt_u16_sdwa vcc, v22, v19 src0_sel:BYTE_0 src1_sel:DWORD
	v_and_b32_e32 v2, 0xffff, v2
	v_cmp_gt_i32_e64 s[52:53], s33, v5
	v_cndmask_b32_e32 v3, 0, v3, vcc
	v_cndmask_b32_e64 v1, v1, v2, s[52:53]
	v_or_b32_e32 v2, 0x200, v0
	v_lshlrev_b32_e32 v3, 16, v3
	v_or_b32_e32 v3, v1, v3
	v_cmp_gt_i32_e64 s[18:19], s33, v2
	v_lshrrev_b16_sdwa v4, v23, v24 dst_sel:DWORD dst_unused:UNUSED_PAD src0_sel:BYTE_0 src1_sel:BYTE_0
	v_cmp_lt_u16_sdwa vcc, v23, v19 src0_sel:BYTE_0 src1_sel:DWORD
	s_movk_i32 s55, 0xff
	v_cndmask_b32_e64 v1, v1, v3, s[18:19]
	v_cndmask_b32_e32 v4, 0, v4, vcc
	v_and_b32_sdwa v2, v1, s55 dst_sel:DWORD dst_unused:UNUSED_PAD src0_sel:WORD_1 src1_sel:DWORD
	v_lshlrev_b16_e32 v4, 8, v4
	s_mov_b32 s58, 0xffff
	v_or_b32_e32 v3, 0x300, v0
	v_or_b32_sdwa v2, v2, v4 dst_sel:WORD_1 dst_unused:UNUSED_PAD src0_sel:DWORD src1_sel:DWORD
	v_and_or_b32 v2, v1, s58, v2
	v_cmp_gt_i32_e64 s[20:21], s33, v3
	v_cndmask_b32_e64 v17, v1, v2, s[20:21]
	v_or_b32_e32 v1, 0x500, v0
	v_cmp_gt_i32_e64 s[16:17], s33, v1
	v_or_b32_e32 v1, 0x600, v0
	v_cmp_gt_i32_e64 s[14:15], s33, v1
	;; [unrolled: 2-line block ×7, first 2 shown]
	v_or_b32_e32 v1, 0xe00, v0
	v_or_b32_e32 v4, 0x400, v0
	;; [unrolled: 1-line block ×4, first 2 shown]
	v_cmp_gt_i32_e64 s[2:3], s33, v1
	v_or_b32_e32 v1, 0xf00, v0
	v_cmp_lt_u16_sdwa s[48:49], v7, v19 src0_sel:BYTE_0 src1_sel:DWORD
	v_cmp_gt_i32_e32 vcc, s33, v4
	v_cmp_lt_u16_sdwa s[50:51], v9, v19 src0_sel:BYTE_0 src1_sel:DWORD
	v_cmp_lt_u16_sdwa s[46:47], v12, v19 src0_sel:BYTE_0 src1_sel:DWORD
	;; [unrolled: 1-line block ×3, first 2 shown]
	v_cmp_gt_i32_e64 s[38:39], s33, v3
	v_cmp_lt_u16_sdwa s[42:43], v15, v19 src0_sel:BYTE_0 src1_sel:DWORD
	v_cmp_lt_u16_sdwa s[40:41], v21, v19 src0_sel:BYTE_0 src1_sel:DWORD
	;; [unrolled: 1-line block ×4, first 2 shown]
	v_cmp_gt_i32_e64 s[26:27], s33, v2
	v_cmp_lt_u16_sdwa s[30:31], v31, v19 src0_sel:BYTE_0 src1_sel:DWORD
	v_cmp_lt_u16_sdwa s[28:29], v33, v19 src0_sel:BYTE_0 src1_sel:DWORD
	v_cmp_lt_u16_sdwa s[24:25], v35, v19 src0_sel:BYTE_0 src1_sel:DWORD
	v_cmp_gt_i32_e64 s[0:1], s33, v1
	v_cmp_lt_u16_sdwa s[22:23], v37, v19 src0_sel:BYTE_0 src1_sel:DWORD
	global_store_byte v6, v17, s[56:57]
	s_and_b64 exec, exec, s[52:53]
	s_cbranch_execz .LBB138_54
; %bb.39:
	v_lshrrev_b16_sdwa v1, v7, v8 dst_sel:DWORD dst_unused:UNUSED_PAD src0_sel:BYTE_0 src1_sel:BYTE_0
	v_lshrrev_b16_sdwa v7, v9, v11 dst_sel:DWORD dst_unused:UNUSED_PAD src0_sel:BYTE_0 src1_sel:BYTE_0
	v_cndmask_b32_e64 v1, 0, v1, s[48:49]
	v_mov_b32_e32 v6, 0
	v_cndmask_b32_e64 v7, 0, v7, s[50:51]
	v_cndmask_b32_sdwa v1, v6, v1, vcc dst_sel:DWORD dst_unused:UNUSED_PAD src0_sel:DWORD src1_sel:WORD_0
	v_lshlrev_b16_e32 v7, 8, v7
	v_or_b32_sdwa v7, v1, v7 dst_sel:DWORD dst_unused:UNUSED_PAD src0_sel:BYTE_0 src1_sel:DWORD
	v_and_b32_e32 v7, 0xffff, v7
	s_movk_i32 s52, 0xff00
	v_cndmask_b32_e64 v1, v1, v7, s[16:17]
	v_lshrrev_b16_sdwa v8, v12, v14 dst_sel:DWORD dst_unused:UNUSED_PAD src0_sel:BYTE_0 src1_sel:BYTE_0
	v_and_b32_sdwa v7, v1, s52 dst_sel:DWORD dst_unused:UNUSED_PAD src0_sel:WORD_1 src1_sel:DWORD
	v_cndmask_b32_e64 v8, 0, v8, s[46:47]
	v_or_b32_sdwa v7, v8, v7 dst_sel:WORD_1 dst_unused:UNUSED_PAD src0_sel:DWORD src1_sel:DWORD
	v_and_or_b32 v7, v1, s58, v7
	v_lshrrev_b16_sdwa v8, v10, v13 dst_sel:DWORD dst_unused:UNUSED_PAD src0_sel:BYTE_0 src1_sel:BYTE_0
	v_cndmask_b32_e64 v1, v1, v7, s[14:15]
	v_cndmask_b32_e64 v8, 0, v8, s[44:45]
	v_and_b32_sdwa v7, v1, s55 dst_sel:DWORD dst_unused:UNUSED_PAD src0_sel:WORD_1 src1_sel:DWORD
	v_lshlrev_b16_e32 v8, 8, v8
	v_or_b32_sdwa v7, v7, v8 dst_sel:WORD_1 dst_unused:UNUSED_PAD src0_sel:DWORD src1_sel:DWORD
	v_and_or_b32 v7, v1, s58, v7
	v_cndmask_b32_e64 v8, v1, v7, s[12:13]
	v_lshrrev_b16_sdwa v1, v15, v16 dst_sel:DWORD dst_unused:UNUSED_PAD src0_sel:BYTE_0 src1_sel:BYTE_0
	v_cndmask_b32_e64 v1, 0, v1, s[42:43]
	v_lshrrev_b16_sdwa v7, v21, v25 dst_sel:DWORD dst_unused:UNUSED_PAD src0_sel:BYTE_0 src1_sel:BYTE_0
	v_and_b32_e32 v1, 0xffff, v1
	v_cndmask_b32_e64 v7, 0, v7, s[40:41]
	v_cndmask_b32_e64 v1, 0, v1, s[38:39]
	v_lshlrev_b16_e32 v7, 8, v7
	v_or_b32_sdwa v7, v1, v7 dst_sel:DWORD dst_unused:UNUSED_PAD src0_sel:BYTE_0 src1_sel:DWORD
	v_and_b32_e32 v7, 0xffff, v7
	v_cndmask_b32_e64 v1, v1, v7, s[10:11]
	v_lshrrev_b16_sdwa v7, v27, v28 dst_sel:DWORD dst_unused:UNUSED_PAD src0_sel:BYTE_0 src1_sel:BYTE_0
	v_cndmask_b32_e64 v7, 0, v7, s[36:37]
	v_lshlrev_b32_e32 v7, 16, v7
	v_or_b32_e32 v7, v1, v7
	v_lshrrev_b16_sdwa v9, v29, v30 dst_sel:DWORD dst_unused:UNUSED_PAD src0_sel:BYTE_0 src1_sel:BYTE_0
	v_cndmask_b32_e64 v1, v1, v7, s[8:9]
	v_cndmask_b32_e64 v9, 0, v9, s[34:35]
	v_and_b32_sdwa v7, v1, s55 dst_sel:DWORD dst_unused:UNUSED_PAD src0_sel:WORD_1 src1_sel:DWORD
	v_lshlrev_b16_e32 v9, 8, v9
	v_or_b32_sdwa v7, v7, v9 dst_sel:WORD_1 dst_unused:UNUSED_PAD src0_sel:DWORD src1_sel:DWORD
	v_and_or_b32 v7, v1, s58, v7
	v_cndmask_b32_e64 v7, v1, v7, s[6:7]
	v_lshrrev_b16_sdwa v1, v31, v32 dst_sel:DWORD dst_unused:UNUSED_PAD src0_sel:BYTE_0 src1_sel:BYTE_0
	v_cndmask_b32_e64 v1, 0, v1, s[30:31]
	v_lshrrev_b16_sdwa v9, v33, v34 dst_sel:DWORD dst_unused:UNUSED_PAD src0_sel:BYTE_0 src1_sel:BYTE_0
	v_and_b32_e32 v1, 0xffff, v1
	v_cndmask_b32_e64 v9, 0, v9, s[28:29]
	v_cndmask_b32_e64 v1, 0, v1, s[26:27]
	v_lshlrev_b16_e32 v9, 8, v9
	v_or_b32_sdwa v9, v1, v9 dst_sel:DWORD dst_unused:UNUSED_PAD src0_sel:BYTE_0 src1_sel:DWORD
	v_and_b32_e32 v9, 0xffff, v9
	v_cndmask_b32_e64 v1, v1, v9, s[4:5]
	v_lshrrev_b16_sdwa v10, v35, v36 dst_sel:DWORD dst_unused:UNUSED_PAD src0_sel:BYTE_0 src1_sel:BYTE_0
	v_and_b32_sdwa v9, v1, s52 dst_sel:DWORD dst_unused:UNUSED_PAD src0_sel:WORD_1 src1_sel:DWORD
	v_cndmask_b32_e64 v10, 0, v10, s[24:25]
	v_or_b32_sdwa v9, v10, v9 dst_sel:WORD_1 dst_unused:UNUSED_PAD src0_sel:DWORD src1_sel:DWORD
	v_and_or_b32 v9, v1, s58, v9
	v_cndmask_b32_e64 v1, v1, v9, s[2:3]
	v_lshrrev_b16_sdwa v10, v37, v38 dst_sel:DWORD dst_unused:UNUSED_PAD src0_sel:BYTE_0 src1_sel:BYTE_0
	s_mov_b64 vcc, s[22:23]
	v_and_b32_sdwa v9, v1, s55 dst_sel:DWORD dst_unused:UNUSED_PAD src0_sel:WORD_1 src1_sel:DWORD
	v_cndmask_b32_sdwa v6, v6, v10, vcc dst_sel:BYTE_1 dst_unused:UNUSED_PAD src0_sel:DWORD src1_sel:DWORD
	v_or_b32_sdwa v6, v9, v6 dst_sel:WORD_1 dst_unused:UNUSED_PAD src0_sel:DWORD src1_sel:DWORD
	v_and_or_b32 v6, v1, s58, v6
	v_cndmask_b32_e64 v6, v1, v6, s[0:1]
	v_or_b32_e32 v1, s54, v5
	v_lshrrev_b32_e32 v5, 8, v17
	global_store_byte v1, v5, s[56:57]
	s_and_b64 exec, exec, s[18:19]
	s_cbranch_execz .LBB138_54
; %bb.40:
	v_add_u32_e32 v0, s54, v0
	global_store_byte_d16_hi v0, v17, s[56:57] offset:512
	s_and_b64 exec, exec, s[20:21]
	s_cbranch_execz .LBB138_54
; %bb.41:
	v_mov_b32_e32 v1, s57
	v_add_co_u32_e32 v0, vcc, s56, v0
	v_addc_co_u32_e32 v1, vcc, 0, v1, vcc
	v_lshrrev_b32_e32 v5, 24, v17
	v_cmp_gt_u32_e32 vcc, s33, v4
	global_store_byte v[0:1], v5, off offset:768
	s_and_b64 exec, exec, vcc
	s_cbranch_execz .LBB138_54
; %bb.42:
	global_store_byte v[0:1], v8, off offset:1024
	s_and_b64 exec, exec, s[16:17]
	s_cbranch_execz .LBB138_54
; %bb.43:
	v_lshrrev_b32_e32 v4, 8, v8
	global_store_byte v[0:1], v4, off offset:1280
	s_and_b64 exec, exec, s[14:15]
	s_cbranch_execz .LBB138_54
; %bb.44:
	global_store_byte_d16_hi v[0:1], v8, off offset:1536
	s_and_b64 exec, exec, s[12:13]
	s_cbranch_execz .LBB138_54
; %bb.45:
	v_lshrrev_b32_e32 v4, 24, v8
	v_cmp_gt_u32_e32 vcc, s33, v3
	global_store_byte v[0:1], v4, off offset:1792
	s_and_b64 exec, exec, vcc
	s_cbranch_execz .LBB138_54
; %bb.46:
	global_store_byte v[0:1], v7, off offset:2048
	s_and_b64 exec, exec, s[10:11]
	s_cbranch_execz .LBB138_54
; %bb.47:
	v_lshrrev_b32_e32 v3, 8, v7
	global_store_byte v[0:1], v3, off offset:2304
	s_and_b64 exec, exec, s[8:9]
	s_cbranch_execz .LBB138_54
; %bb.48:
	global_store_byte_d16_hi v[0:1], v7, off offset:2560
	s_and_b64 exec, exec, s[6:7]
	s_cbranch_execz .LBB138_54
; %bb.49:
	;; [unrolled: 19-line block ×3, first 2 shown]
	v_lshrrev_b32_e32 v2, 24, v6
	global_store_byte v[0:1], v2, off offset:3840
.LBB138_54:
	s_endpgm
	.section	.rodata,"a",@progbits
	.p2align	6, 0x0
	.amdhsa_kernel _ZN2at6native29vectorized_elementwise_kernelILi4ENS0_13BinaryFunctorIhhhZZZNS0_18rshift_kernel_cudaERNS_18TensorIteratorBaseEENKUlvE_clEvENKUlvE_clEvEUlhhE_EESt5arrayIPcLm3EEEEviT0_T1_
		.amdhsa_group_segment_fixed_size 0
		.amdhsa_private_segment_fixed_size 0
		.amdhsa_kernarg_size 32
		.amdhsa_user_sgpr_count 6
		.amdhsa_user_sgpr_private_segment_buffer 1
		.amdhsa_user_sgpr_dispatch_ptr 0
		.amdhsa_user_sgpr_queue_ptr 0
		.amdhsa_user_sgpr_kernarg_segment_ptr 1
		.amdhsa_user_sgpr_dispatch_id 0
		.amdhsa_user_sgpr_flat_scratch_init 0
		.amdhsa_user_sgpr_private_segment_size 0
		.amdhsa_uses_dynamic_stack 0
		.amdhsa_system_sgpr_private_segment_wavefront_offset 0
		.amdhsa_system_sgpr_workgroup_id_x 1
		.amdhsa_system_sgpr_workgroup_id_y 0
		.amdhsa_system_sgpr_workgroup_id_z 0
		.amdhsa_system_sgpr_workgroup_info 0
		.amdhsa_system_vgpr_workitem_id 0
		.amdhsa_next_free_vgpr 39
		.amdhsa_next_free_sgpr 60
		.amdhsa_reserve_vcc 1
		.amdhsa_reserve_flat_scratch 0
		.amdhsa_float_round_mode_32 0
		.amdhsa_float_round_mode_16_64 0
		.amdhsa_float_denorm_mode_32 3
		.amdhsa_float_denorm_mode_16_64 3
		.amdhsa_dx10_clamp 1
		.amdhsa_ieee_mode 1
		.amdhsa_fp16_overflow 0
		.amdhsa_exception_fp_ieee_invalid_op 0
		.amdhsa_exception_fp_denorm_src 0
		.amdhsa_exception_fp_ieee_div_zero 0
		.amdhsa_exception_fp_ieee_overflow 0
		.amdhsa_exception_fp_ieee_underflow 0
		.amdhsa_exception_fp_ieee_inexact 0
		.amdhsa_exception_int_div_zero 0
	.end_amdhsa_kernel
	.section	.text._ZN2at6native29vectorized_elementwise_kernelILi4ENS0_13BinaryFunctorIhhhZZZNS0_18rshift_kernel_cudaERNS_18TensorIteratorBaseEENKUlvE_clEvENKUlvE_clEvEUlhhE_EESt5arrayIPcLm3EEEEviT0_T1_,"axG",@progbits,_ZN2at6native29vectorized_elementwise_kernelILi4ENS0_13BinaryFunctorIhhhZZZNS0_18rshift_kernel_cudaERNS_18TensorIteratorBaseEENKUlvE_clEvENKUlvE_clEvEUlhhE_EESt5arrayIPcLm3EEEEviT0_T1_,comdat
.Lfunc_end138:
	.size	_ZN2at6native29vectorized_elementwise_kernelILi4ENS0_13BinaryFunctorIhhhZZZNS0_18rshift_kernel_cudaERNS_18TensorIteratorBaseEENKUlvE_clEvENKUlvE_clEvEUlhhE_EESt5arrayIPcLm3EEEEviT0_T1_, .Lfunc_end138-_ZN2at6native29vectorized_elementwise_kernelILi4ENS0_13BinaryFunctorIhhhZZZNS0_18rshift_kernel_cudaERNS_18TensorIteratorBaseEENKUlvE_clEvENKUlvE_clEvEUlhhE_EESt5arrayIPcLm3EEEEviT0_T1_
                                        ; -- End function
	.set _ZN2at6native29vectorized_elementwise_kernelILi4ENS0_13BinaryFunctorIhhhZZZNS0_18rshift_kernel_cudaERNS_18TensorIteratorBaseEENKUlvE_clEvENKUlvE_clEvEUlhhE_EESt5arrayIPcLm3EEEEviT0_T1_.num_vgpr, 39
	.set _ZN2at6native29vectorized_elementwise_kernelILi4ENS0_13BinaryFunctorIhhhZZZNS0_18rshift_kernel_cudaERNS_18TensorIteratorBaseEENKUlvE_clEvENKUlvE_clEvEUlhhE_EESt5arrayIPcLm3EEEEviT0_T1_.num_agpr, 0
	.set _ZN2at6native29vectorized_elementwise_kernelILi4ENS0_13BinaryFunctorIhhhZZZNS0_18rshift_kernel_cudaERNS_18TensorIteratorBaseEENKUlvE_clEvENKUlvE_clEvEUlhhE_EESt5arrayIPcLm3EEEEviT0_T1_.numbered_sgpr, 60
	.set _ZN2at6native29vectorized_elementwise_kernelILi4ENS0_13BinaryFunctorIhhhZZZNS0_18rshift_kernel_cudaERNS_18TensorIteratorBaseEENKUlvE_clEvENKUlvE_clEvEUlhhE_EESt5arrayIPcLm3EEEEviT0_T1_.num_named_barrier, 0
	.set _ZN2at6native29vectorized_elementwise_kernelILi4ENS0_13BinaryFunctorIhhhZZZNS0_18rshift_kernel_cudaERNS_18TensorIteratorBaseEENKUlvE_clEvENKUlvE_clEvEUlhhE_EESt5arrayIPcLm3EEEEviT0_T1_.private_seg_size, 0
	.set _ZN2at6native29vectorized_elementwise_kernelILi4ENS0_13BinaryFunctorIhhhZZZNS0_18rshift_kernel_cudaERNS_18TensorIteratorBaseEENKUlvE_clEvENKUlvE_clEvEUlhhE_EESt5arrayIPcLm3EEEEviT0_T1_.uses_vcc, 1
	.set _ZN2at6native29vectorized_elementwise_kernelILi4ENS0_13BinaryFunctorIhhhZZZNS0_18rshift_kernel_cudaERNS_18TensorIteratorBaseEENKUlvE_clEvENKUlvE_clEvEUlhhE_EESt5arrayIPcLm3EEEEviT0_T1_.uses_flat_scratch, 0
	.set _ZN2at6native29vectorized_elementwise_kernelILi4ENS0_13BinaryFunctorIhhhZZZNS0_18rshift_kernel_cudaERNS_18TensorIteratorBaseEENKUlvE_clEvENKUlvE_clEvEUlhhE_EESt5arrayIPcLm3EEEEviT0_T1_.has_dyn_sized_stack, 0
	.set _ZN2at6native29vectorized_elementwise_kernelILi4ENS0_13BinaryFunctorIhhhZZZNS0_18rshift_kernel_cudaERNS_18TensorIteratorBaseEENKUlvE_clEvENKUlvE_clEvEUlhhE_EESt5arrayIPcLm3EEEEviT0_T1_.has_recursion, 0
	.set _ZN2at6native29vectorized_elementwise_kernelILi4ENS0_13BinaryFunctorIhhhZZZNS0_18rshift_kernel_cudaERNS_18TensorIteratorBaseEENKUlvE_clEvENKUlvE_clEvEUlhhE_EESt5arrayIPcLm3EEEEviT0_T1_.has_indirect_call, 0
	.section	.AMDGPU.csdata,"",@progbits
; Kernel info:
; codeLenInByte = 3932
; TotalNumSgprs: 64
; NumVgprs: 39
; ScratchSize: 0
; MemoryBound: 0
; FloatMode: 240
; IeeeMode: 1
; LDSByteSize: 0 bytes/workgroup (compile time only)
; SGPRBlocks: 7
; VGPRBlocks: 9
; NumSGPRsForWavesPerEU: 64
; NumVGPRsForWavesPerEU: 39
; Occupancy: 6
; WaveLimiterHint : 1
; COMPUTE_PGM_RSRC2:SCRATCH_EN: 0
; COMPUTE_PGM_RSRC2:USER_SGPR: 6
; COMPUTE_PGM_RSRC2:TRAP_HANDLER: 0
; COMPUTE_PGM_RSRC2:TGID_X_EN: 1
; COMPUTE_PGM_RSRC2:TGID_Y_EN: 0
; COMPUTE_PGM_RSRC2:TGID_Z_EN: 0
; COMPUTE_PGM_RSRC2:TIDIG_COMP_CNT: 0
	.section	.text._ZN2at6native29vectorized_elementwise_kernelILi2ENS0_13BinaryFunctorIhhhZZZNS0_18rshift_kernel_cudaERNS_18TensorIteratorBaseEENKUlvE_clEvENKUlvE_clEvEUlhhE_EESt5arrayIPcLm3EEEEviT0_T1_,"axG",@progbits,_ZN2at6native29vectorized_elementwise_kernelILi2ENS0_13BinaryFunctorIhhhZZZNS0_18rshift_kernel_cudaERNS_18TensorIteratorBaseEENKUlvE_clEvENKUlvE_clEvEUlhhE_EESt5arrayIPcLm3EEEEviT0_T1_,comdat
	.globl	_ZN2at6native29vectorized_elementwise_kernelILi2ENS0_13BinaryFunctorIhhhZZZNS0_18rshift_kernel_cudaERNS_18TensorIteratorBaseEENKUlvE_clEvENKUlvE_clEvEUlhhE_EESt5arrayIPcLm3EEEEviT0_T1_ ; -- Begin function _ZN2at6native29vectorized_elementwise_kernelILi2ENS0_13BinaryFunctorIhhhZZZNS0_18rshift_kernel_cudaERNS_18TensorIteratorBaseEENKUlvE_clEvENKUlvE_clEvEUlhhE_EESt5arrayIPcLm3EEEEviT0_T1_
	.p2align	8
	.type	_ZN2at6native29vectorized_elementwise_kernelILi2ENS0_13BinaryFunctorIhhhZZZNS0_18rshift_kernel_cudaERNS_18TensorIteratorBaseEENKUlvE_clEvENKUlvE_clEvEUlhhE_EESt5arrayIPcLm3EEEEviT0_T1_,@function
_ZN2at6native29vectorized_elementwise_kernelILi2ENS0_13BinaryFunctorIhhhZZZNS0_18rshift_kernel_cudaERNS_18TensorIteratorBaseEENKUlvE_clEvENKUlvE_clEvEUlhhE_EESt5arrayIPcLm3EEEEviT0_T1_: ; @_ZN2at6native29vectorized_elementwise_kernelILi2ENS0_13BinaryFunctorIhhhZZZNS0_18rshift_kernel_cudaERNS_18TensorIteratorBaseEENKUlvE_clEvENKUlvE_clEvEUlhhE_EESt5arrayIPcLm3EEEEviT0_T1_
; %bb.0:
	s_load_dword s0, s[4:5], 0x0
	s_load_dwordx4 s[56:59], s[4:5], 0x8
	s_load_dwordx2 s[8:9], s[4:5], 0x18
	s_lshl_b32 s54, s6, 12
	s_waitcnt lgkmcnt(0)
	s_sub_i32 s33, s0, s54
	s_cmpk_gt_i32 s33, 0xfff
	s_mov_b64 s[0:1], -1
	s_cbranch_scc0 .LBB139_2
; %bb.1:
	s_ashr_i32 s4, s54, 31
	s_add_u32 s0, s58, s54
	s_addc_u32 s1, s59, s4
	s_add_u32 s2, s8, s54
	v_lshlrev_b32_e32 v1, 1, v0
	s_addc_u32 s3, s9, s4
	global_load_ushort v2, v1, s[2:3]
	global_load_ushort v3, v1, s[0:1]
	global_load_ushort v4, v1, s[0:1] offset:512
	global_load_ushort v5, v1, s[2:3] offset:512
	;; [unrolled: 1-line block ×13, first 2 shown]
                                        ; kill: killed $sgpr0 killed $sgpr1
	global_load_ushort v17, v1, s[2:3] offset:3584
	v_mov_b32_e32 v18, 8
	s_add_u32 s0, s56, s54
	s_addc_u32 s1, s57, s4
	s_waitcnt vmcnt(15)
	v_cmp_lt_u16_sdwa vcc, v2, v18 src0_sel:BYTE_0 src1_sel:DWORD
	s_waitcnt vmcnt(14)
	v_lshrrev_b16_sdwa v19, v2, v3 dst_sel:DWORD dst_unused:UNUSED_PAD src0_sel:BYTE_0 src1_sel:BYTE_0
	v_lshrrev_b16_sdwa v3, v2, v3 dst_sel:DWORD dst_unused:UNUSED_PAD src0_sel:BYTE_1 src1_sel:BYTE_1
	v_cndmask_b32_e32 v19, 0, v19, vcc
	v_cmp_lt_u16_sdwa vcc, v2, v18 src0_sel:BYTE_1 src1_sel:DWORD
	s_waitcnt vmcnt(12)
	v_lshrrev_b16_sdwa v20, v5, v4 dst_sel:DWORD dst_unused:UNUSED_PAD src0_sel:BYTE_0 src1_sel:BYTE_0
	v_cndmask_b32_e32 v2, 0, v3, vcc
	v_cmp_lt_u16_sdwa vcc, v5, v18 src0_sel:BYTE_0 src1_sel:DWORD
	v_lshrrev_b16_sdwa v4, v5, v4 dst_sel:DWORD dst_unused:UNUSED_PAD src0_sel:BYTE_1 src1_sel:BYTE_1
	v_cndmask_b32_e32 v3, 0, v20, vcc
	v_cmp_lt_u16_sdwa vcc, v5, v18 src0_sel:BYTE_1 src1_sel:DWORD
	s_waitcnt vmcnt(10)
	v_lshrrev_b16_sdwa v21, v6, v7 dst_sel:DWORD dst_unused:UNUSED_PAD src0_sel:BYTE_0 src1_sel:BYTE_0
	v_cndmask_b32_e32 v4, 0, v4, vcc
	v_cmp_lt_u16_sdwa vcc, v6, v18 src0_sel:BYTE_0 src1_sel:DWORD
	;; [unrolled: 7-line block ×7, first 2 shown]
	v_lshrrev_b16_sdwa v16, v17, v16 dst_sel:DWORD dst_unused:UNUSED_PAD src0_sel:BYTE_1 src1_sel:BYTE_1
	v_cndmask_b32_e32 v15, 0, v26, vcc
	v_cmp_lt_u16_sdwa vcc, v17, v18 src0_sel:BYTE_1 src1_sel:DWORD
	v_cndmask_b32_e32 v16, 0, v16, vcc
	v_lshlrev_b16_e32 v2, 8, v2
	v_lshlrev_b16_e32 v16, 8, v16
	;; [unrolled: 1-line block ×8, first 2 shown]
	v_or_b32_e32 v2, v19, v2
	v_or_b32_e32 v15, v15, v16
	;; [unrolled: 1-line block ×8, first 2 shown]
	global_store_short v1, v2, s[0:1]
	global_store_short v1, v3, s[0:1] offset:512
	global_store_short v1, v5, s[0:1] offset:1024
	global_store_short v1, v7, s[0:1] offset:1536
	global_store_short v1, v9, s[0:1] offset:2048
	global_store_short v1, v11, s[0:1] offset:2560
	global_store_short v1, v13, s[0:1] offset:3072
	global_store_short v1, v15, s[0:1] offset:3584
	s_mov_b64 s[0:1], 0
.LBB139_2:
	s_andn2_b64 vcc, exec, s[0:1]
	s_cbranch_vccnz .LBB139_54
; %bb.3:
	v_cmp_gt_i32_e32 vcc, s33, v0
	v_cmp_le_i32_e64 s[0:1], s33, v0
                                        ; implicit-def: $vgpr5
	s_and_saveexec_b64 s[2:3], s[0:1]
	s_xor_b64 s[0:1], exec, s[2:3]
; %bb.4:
	v_or_b32_e32 v5, 0x100, v0
; %bb.5:
	s_or_saveexec_b64 s[2:3], s[0:1]
	v_mov_b32_e32 v38, 0
	v_or_b32_e32 v6, s54, v0
	v_mov_b32_e32 v37, 0
	v_mov_b32_e32 v36, 0
	;; [unrolled: 1-line block ×31, first 2 shown]
	s_xor_b64 exec, exec, s[2:3]
	s_cbranch_execz .LBB139_37
; %bb.6:
	global_load_ubyte v19, v6, s[58:59]
	global_load_ubyte v20, v6, s[8:9]
	v_or_b32_e32 v5, 0x100, v0
	v_cmp_gt_u32_e64 s[0:1], s33, v5
	v_mov_b32_e32 v17, 0
	v_mov_b32_e32 v18, 0
	;; [unrolled: 1-line block ×30, first 2 shown]
	s_and_saveexec_b64 s[4:5], s[0:1]
	s_cbranch_execz .LBB139_36
; %bb.7:
	v_add_u32_e32 v3, s54, v0
	global_load_ubyte v18, v3, s[58:59] offset:256
	global_load_ubyte v17, v3, s[8:9] offset:256
	v_or_b32_e32 v1, 0x200, v0
	v_mov_b32_e32 v22, 0
	v_cmp_gt_u32_e64 s[0:1], s33, v1
	v_mov_b32_e32 v26, 0
	v_mov_b32_e32 v23, 0
	;; [unrolled: 1-line block ×27, first 2 shown]
	s_and_saveexec_b64 s[6:7], s[0:1]
	s_cbranch_execz .LBB139_35
; %bb.8:
	v_mov_b32_e32 v2, s59
	v_add_co_u32_e64 v1, s[0:1], s58, v3
	v_addc_co_u32_e64 v2, s[0:1], 0, v2, s[0:1]
	v_mov_b32_e32 v4, s9
	v_add_co_u32_e64 v3, s[0:1], s8, v3
	v_addc_co_u32_e64 v4, s[0:1], 0, v4, s[0:1]
	global_load_ubyte v26, v[1:2], off offset:512
	global_load_ubyte v22, v[3:4], off offset:512
	v_or_b32_e32 v7, 0x300, v0
	v_cmp_gt_u32_e64 s[0:1], s33, v7
	v_mov_b32_e32 v23, 0
	v_mov_b32_e32 v24, 0
	;; [unrolled: 1-line block ×26, first 2 shown]
	s_and_saveexec_b64 s[8:9], s[0:1]
	s_cbranch_execz .LBB139_34
; %bb.9:
	global_load_ubyte v24, v[1:2], off offset:768
	global_load_ubyte v23, v[3:4], off offset:768
	v_or_b32_e32 v7, 0x400, v0
	v_cmp_gt_u32_e64 s[0:1], s33, v7
	v_mov_b32_e32 v7, 0
	v_mov_b32_e32 v8, 0
	;; [unrolled: 1-line block ×24, first 2 shown]
	s_and_saveexec_b64 s[10:11], s[0:1]
	s_cbranch_execz .LBB139_33
; %bb.10:
	global_load_ubyte v8, v[1:2], off offset:1024
	global_load_ubyte v7, v[3:4], off offset:1024
	v_or_b32_e32 v9, 0x500, v0
	v_cmp_gt_u32_e64 s[0:1], s33, v9
	v_mov_b32_e32 v9, 0
	v_mov_b32_e32 v11, 0
	;; [unrolled: 1-line block ×22, first 2 shown]
	s_and_saveexec_b64 s[12:13], s[0:1]
	s_cbranch_execz .LBB139_32
; %bb.11:
	global_load_ubyte v11, v[1:2], off offset:1280
	global_load_ubyte v9, v[3:4], off offset:1280
	v_or_b32_e32 v10, 0x600, v0
	v_cmp_gt_u32_e64 s[0:1], s33, v10
	v_mov_b32_e32 v12, 0
	v_mov_b32_e32 v14, 0
	;; [unrolled: 1-line block ×20, first 2 shown]
	s_and_saveexec_b64 s[14:15], s[0:1]
	s_cbranch_execz .LBB139_31
; %bb.12:
	global_load_ubyte v14, v[1:2], off offset:1536
	global_load_ubyte v12, v[3:4], off offset:1536
	v_or_b32_e32 v10, 0x700, v0
	v_cmp_gt_u32_e64 s[0:1], s33, v10
	v_mov_b32_e32 v10, 0
	v_mov_b32_e32 v13, 0
	;; [unrolled: 1-line block ×18, first 2 shown]
	s_and_saveexec_b64 s[16:17], s[0:1]
	s_cbranch_execz .LBB139_30
; %bb.13:
	global_load_ubyte v13, v[1:2], off offset:1792
	global_load_ubyte v10, v[3:4], off offset:1792
	v_or_b32_e32 v15, 0x800, v0
	v_cmp_gt_u32_e64 s[0:1], s33, v15
	v_mov_b32_e32 v15, 0
	v_mov_b32_e32 v16, 0
	;; [unrolled: 1-line block ×16, first 2 shown]
	s_and_saveexec_b64 s[18:19], s[0:1]
	s_cbranch_execz .LBB139_29
; %bb.14:
	global_load_ubyte v16, v[1:2], off offset:2048
	global_load_ubyte v15, v[3:4], off offset:2048
	v_or_b32_e32 v21, 0x900, v0
	v_cmp_gt_u32_e64 s[0:1], s33, v21
	v_mov_b32_e32 v21, 0
	v_mov_b32_e32 v25, 0
	;; [unrolled: 1-line block ×14, first 2 shown]
	s_and_saveexec_b64 s[20:21], s[0:1]
	s_cbranch_execz .LBB139_28
; %bb.15:
	global_load_ubyte v25, v[1:2], off offset:2304
	global_load_ubyte v21, v[3:4], off offset:2304
	v_or_b32_e32 v27, 0xa00, v0
	v_cmp_gt_u32_e64 s[0:1], s33, v27
	v_mov_b32_e32 v27, 0
	v_mov_b32_e32 v28, 0
	v_mov_b32_e32 v29, 0
	v_mov_b32_e32 v30, 0
	v_mov_b32_e32 v31, 0
	v_mov_b32_e32 v32, 0
	v_mov_b32_e32 v33, 0
	v_mov_b32_e32 v34, 0
	v_mov_b32_e32 v35, 0
	v_mov_b32_e32 v36, 0
	v_mov_b32_e32 v37, 0
	v_mov_b32_e32 v38, 0
	s_and_saveexec_b64 s[22:23], s[0:1]
	s_cbranch_execz .LBB139_27
; %bb.16:
	global_load_ubyte v28, v[1:2], off offset:2560
	global_load_ubyte v27, v[3:4], off offset:2560
	v_or_b32_e32 v29, 0xb00, v0
	v_cmp_gt_u32_e64 s[0:1], s33, v29
	v_mov_b32_e32 v29, 0
	v_mov_b32_e32 v30, 0
	;; [unrolled: 1-line block ×10, first 2 shown]
	s_and_saveexec_b64 s[24:25], s[0:1]
	s_cbranch_execz .LBB139_26
; %bb.17:
	global_load_ubyte v30, v[1:2], off offset:2816
	global_load_ubyte v29, v[3:4], off offset:2816
	v_or_b32_e32 v31, 0xc00, v0
	v_cmp_gt_u32_e64 s[0:1], s33, v31
	v_mov_b32_e32 v31, 0
	v_mov_b32_e32 v32, 0
	;; [unrolled: 1-line block ×8, first 2 shown]
	s_and_saveexec_b64 s[26:27], s[0:1]
	s_cbranch_execz .LBB139_25
; %bb.18:
	global_load_ubyte v32, v[1:2], off offset:3072
	global_load_ubyte v31, v[3:4], off offset:3072
	v_or_b32_e32 v33, 0xd00, v0
	v_cmp_gt_u32_e64 s[0:1], s33, v33
	v_mov_b32_e32 v33, 0
	v_mov_b32_e32 v34, 0
	v_mov_b32_e32 v35, 0
	v_mov_b32_e32 v36, 0
	v_mov_b32_e32 v37, 0
	v_mov_b32_e32 v38, 0
	s_and_saveexec_b64 s[28:29], s[0:1]
	s_cbranch_execz .LBB139_24
; %bb.19:
	global_load_ubyte v34, v[1:2], off offset:3328
	global_load_ubyte v33, v[3:4], off offset:3328
	v_or_b32_e32 v35, 0xe00, v0
	v_cmp_gt_u32_e64 s[0:1], s33, v35
	v_mov_b32_e32 v35, 0
	v_mov_b32_e32 v36, 0
	;; [unrolled: 1-line block ×4, first 2 shown]
	s_and_saveexec_b64 s[30:31], s[0:1]
	s_cbranch_execz .LBB139_23
; %bb.20:
	global_load_ubyte v36, v[1:2], off offset:3584
	global_load_ubyte v35, v[3:4], off offset:3584
	v_or_b32_e32 v37, 0xf00, v0
	v_cmp_gt_u32_e64 s[0:1], s33, v37
	v_mov_b32_e32 v37, 0
	v_mov_b32_e32 v38, 0
	s_and_saveexec_b64 s[34:35], s[0:1]
	s_cbranch_execz .LBB139_22
; %bb.21:
	global_load_ubyte v38, v[1:2], off offset:3840
	global_load_ubyte v37, v[3:4], off offset:3840
.LBB139_22:
	s_or_b64 exec, exec, s[34:35]
.LBB139_23:
	s_or_b64 exec, exec, s[30:31]
.LBB139_24:
	s_or_b64 exec, exec, s[28:29]
.LBB139_25:
	s_or_b64 exec, exec, s[26:27]
.LBB139_26:
	s_or_b64 exec, exec, s[24:25]
.LBB139_27:
	s_or_b64 exec, exec, s[22:23]
.LBB139_28:
	s_or_b64 exec, exec, s[20:21]
.LBB139_29:
	s_or_b64 exec, exec, s[18:19]
.LBB139_30:
	s_or_b64 exec, exec, s[16:17]
.LBB139_31:
	s_or_b64 exec, exec, s[14:15]
.LBB139_32:
	s_or_b64 exec, exec, s[12:13]
.LBB139_33:
	s_or_b64 exec, exec, s[10:11]
.LBB139_34:
	s_or_b64 exec, exec, s[8:9]
.LBB139_35:
	s_or_b64 exec, exec, s[6:7]
.LBB139_36:
	s_or_b64 exec, exec, s[4:5]
.LBB139_37:
	s_or_b64 exec, exec, s[2:3]
	s_and_saveexec_b64 s[0:1], vcc
	s_cbranch_execz .LBB139_54
; %bb.38:
	s_waitcnt vmcnt(0)
	v_lshrrev_b16_sdwa v1, v20, v19 dst_sel:DWORD dst_unused:UNUSED_PAD src0_sel:BYTE_0 src1_sel:BYTE_0
	v_mov_b32_e32 v19, 8
	v_cmp_lt_u16_sdwa s[0:1], v20, v19 src0_sel:BYTE_0 src1_sel:DWORD
	v_cndmask_b32_e64 v1, 0, v1, s[0:1]
	v_and_b32_e32 v1, 0xffff, v1
	v_cndmask_b32_e32 v1, 0, v1, vcc
	v_lshrrev_b16_sdwa v2, v17, v18 dst_sel:DWORD dst_unused:UNUSED_PAD src0_sel:BYTE_0 src1_sel:BYTE_0
	v_cmp_lt_u16_sdwa vcc, v17, v19 src0_sel:BYTE_0 src1_sel:DWORD
	v_cndmask_b32_e32 v2, 0, v2, vcc
	v_lshlrev_b16_e32 v2, 8, v2
	v_or_b32_sdwa v2, v1, v2 dst_sel:DWORD dst_unused:UNUSED_PAD src0_sel:BYTE_0 src1_sel:DWORD
	v_lshrrev_b16_sdwa v3, v22, v26 dst_sel:DWORD dst_unused:UNUSED_PAD src0_sel:BYTE_0 src1_sel:BYTE_0
	v_cmp_lt_u16_sdwa vcc, v22, v19 src0_sel:BYTE_0 src1_sel:DWORD
	v_and_b32_e32 v2, 0xffff, v2
	v_cmp_gt_i32_e64 s[52:53], s33, v5
	v_cndmask_b32_e32 v3, 0, v3, vcc
	v_cndmask_b32_e64 v1, v1, v2, s[52:53]
	v_or_b32_e32 v2, 0x200, v0
	v_lshlrev_b32_e32 v3, 16, v3
	v_or_b32_e32 v3, v1, v3
	v_cmp_gt_i32_e64 s[18:19], s33, v2
	v_lshrrev_b16_sdwa v4, v23, v24 dst_sel:DWORD dst_unused:UNUSED_PAD src0_sel:BYTE_0 src1_sel:BYTE_0
	v_cmp_lt_u16_sdwa vcc, v23, v19 src0_sel:BYTE_0 src1_sel:DWORD
	s_movk_i32 s55, 0xff
	v_cndmask_b32_e64 v1, v1, v3, s[18:19]
	v_cndmask_b32_e32 v4, 0, v4, vcc
	v_and_b32_sdwa v2, v1, s55 dst_sel:DWORD dst_unused:UNUSED_PAD src0_sel:WORD_1 src1_sel:DWORD
	v_lshlrev_b16_e32 v4, 8, v4
	s_mov_b32 s58, 0xffff
	v_or_b32_e32 v3, 0x300, v0
	v_or_b32_sdwa v2, v2, v4 dst_sel:WORD_1 dst_unused:UNUSED_PAD src0_sel:DWORD src1_sel:DWORD
	v_and_or_b32 v2, v1, s58, v2
	v_cmp_gt_i32_e64 s[20:21], s33, v3
	v_cndmask_b32_e64 v17, v1, v2, s[20:21]
	v_or_b32_e32 v1, 0x500, v0
	v_cmp_gt_i32_e64 s[16:17], s33, v1
	v_or_b32_e32 v1, 0x600, v0
	v_cmp_gt_i32_e64 s[14:15], s33, v1
	v_or_b32_e32 v1, 0x700, v0
	v_cmp_gt_i32_e64 s[12:13], s33, v1
	v_or_b32_e32 v1, 0x900, v0
	v_cmp_gt_i32_e64 s[10:11], s33, v1
	v_or_b32_e32 v1, 0xa00, v0
	v_cmp_gt_i32_e64 s[8:9], s33, v1
	v_or_b32_e32 v1, 0xb00, v0
	v_cmp_gt_i32_e64 s[6:7], s33, v1
	v_or_b32_e32 v1, 0xd00, v0
	v_cmp_gt_i32_e64 s[4:5], s33, v1
	v_or_b32_e32 v1, 0xe00, v0
	v_or_b32_e32 v4, 0x400, v0
	;; [unrolled: 1-line block ×4, first 2 shown]
	v_cmp_gt_i32_e64 s[2:3], s33, v1
	v_or_b32_e32 v1, 0xf00, v0
	v_cmp_lt_u16_sdwa s[48:49], v7, v19 src0_sel:BYTE_0 src1_sel:DWORD
	v_cmp_gt_i32_e32 vcc, s33, v4
	v_cmp_lt_u16_sdwa s[50:51], v9, v19 src0_sel:BYTE_0 src1_sel:DWORD
	v_cmp_lt_u16_sdwa s[46:47], v12, v19 src0_sel:BYTE_0 src1_sel:DWORD
	v_cmp_lt_u16_sdwa s[44:45], v10, v19 src0_sel:BYTE_0 src1_sel:DWORD
	v_cmp_gt_i32_e64 s[38:39], s33, v3
	v_cmp_lt_u16_sdwa s[42:43], v15, v19 src0_sel:BYTE_0 src1_sel:DWORD
	v_cmp_lt_u16_sdwa s[40:41], v21, v19 src0_sel:BYTE_0 src1_sel:DWORD
	;; [unrolled: 1-line block ×4, first 2 shown]
	v_cmp_gt_i32_e64 s[26:27], s33, v2
	v_cmp_lt_u16_sdwa s[30:31], v31, v19 src0_sel:BYTE_0 src1_sel:DWORD
	v_cmp_lt_u16_sdwa s[28:29], v33, v19 src0_sel:BYTE_0 src1_sel:DWORD
	;; [unrolled: 1-line block ×3, first 2 shown]
	v_cmp_gt_i32_e64 s[0:1], s33, v1
	v_cmp_lt_u16_sdwa s[22:23], v37, v19 src0_sel:BYTE_0 src1_sel:DWORD
	global_store_byte v6, v17, s[56:57]
	s_and_b64 exec, exec, s[52:53]
	s_cbranch_execz .LBB139_54
; %bb.39:
	v_lshrrev_b16_sdwa v1, v7, v8 dst_sel:DWORD dst_unused:UNUSED_PAD src0_sel:BYTE_0 src1_sel:BYTE_0
	v_lshrrev_b16_sdwa v7, v9, v11 dst_sel:DWORD dst_unused:UNUSED_PAD src0_sel:BYTE_0 src1_sel:BYTE_0
	v_cndmask_b32_e64 v1, 0, v1, s[48:49]
	v_mov_b32_e32 v6, 0
	v_cndmask_b32_e64 v7, 0, v7, s[50:51]
	v_cndmask_b32_sdwa v1, v6, v1, vcc dst_sel:DWORD dst_unused:UNUSED_PAD src0_sel:DWORD src1_sel:WORD_0
	v_lshlrev_b16_e32 v7, 8, v7
	v_or_b32_sdwa v7, v1, v7 dst_sel:DWORD dst_unused:UNUSED_PAD src0_sel:BYTE_0 src1_sel:DWORD
	v_and_b32_e32 v7, 0xffff, v7
	s_movk_i32 s52, 0xff00
	v_cndmask_b32_e64 v1, v1, v7, s[16:17]
	v_lshrrev_b16_sdwa v8, v12, v14 dst_sel:DWORD dst_unused:UNUSED_PAD src0_sel:BYTE_0 src1_sel:BYTE_0
	v_and_b32_sdwa v7, v1, s52 dst_sel:DWORD dst_unused:UNUSED_PAD src0_sel:WORD_1 src1_sel:DWORD
	v_cndmask_b32_e64 v8, 0, v8, s[46:47]
	v_or_b32_sdwa v7, v8, v7 dst_sel:WORD_1 dst_unused:UNUSED_PAD src0_sel:DWORD src1_sel:DWORD
	v_and_or_b32 v7, v1, s58, v7
	v_lshrrev_b16_sdwa v8, v10, v13 dst_sel:DWORD dst_unused:UNUSED_PAD src0_sel:BYTE_0 src1_sel:BYTE_0
	v_cndmask_b32_e64 v1, v1, v7, s[14:15]
	v_cndmask_b32_e64 v8, 0, v8, s[44:45]
	v_and_b32_sdwa v7, v1, s55 dst_sel:DWORD dst_unused:UNUSED_PAD src0_sel:WORD_1 src1_sel:DWORD
	v_lshlrev_b16_e32 v8, 8, v8
	v_or_b32_sdwa v7, v7, v8 dst_sel:WORD_1 dst_unused:UNUSED_PAD src0_sel:DWORD src1_sel:DWORD
	v_and_or_b32 v7, v1, s58, v7
	v_cndmask_b32_e64 v8, v1, v7, s[12:13]
	v_lshrrev_b16_sdwa v1, v15, v16 dst_sel:DWORD dst_unused:UNUSED_PAD src0_sel:BYTE_0 src1_sel:BYTE_0
	v_cndmask_b32_e64 v1, 0, v1, s[42:43]
	v_lshrrev_b16_sdwa v7, v21, v25 dst_sel:DWORD dst_unused:UNUSED_PAD src0_sel:BYTE_0 src1_sel:BYTE_0
	v_and_b32_e32 v1, 0xffff, v1
	v_cndmask_b32_e64 v7, 0, v7, s[40:41]
	v_cndmask_b32_e64 v1, 0, v1, s[38:39]
	v_lshlrev_b16_e32 v7, 8, v7
	v_or_b32_sdwa v7, v1, v7 dst_sel:DWORD dst_unused:UNUSED_PAD src0_sel:BYTE_0 src1_sel:DWORD
	v_and_b32_e32 v7, 0xffff, v7
	v_cndmask_b32_e64 v1, v1, v7, s[10:11]
	v_lshrrev_b16_sdwa v7, v27, v28 dst_sel:DWORD dst_unused:UNUSED_PAD src0_sel:BYTE_0 src1_sel:BYTE_0
	v_cndmask_b32_e64 v7, 0, v7, s[36:37]
	v_lshlrev_b32_e32 v7, 16, v7
	v_or_b32_e32 v7, v1, v7
	v_lshrrev_b16_sdwa v9, v29, v30 dst_sel:DWORD dst_unused:UNUSED_PAD src0_sel:BYTE_0 src1_sel:BYTE_0
	v_cndmask_b32_e64 v1, v1, v7, s[8:9]
	v_cndmask_b32_e64 v9, 0, v9, s[34:35]
	v_and_b32_sdwa v7, v1, s55 dst_sel:DWORD dst_unused:UNUSED_PAD src0_sel:WORD_1 src1_sel:DWORD
	v_lshlrev_b16_e32 v9, 8, v9
	v_or_b32_sdwa v7, v7, v9 dst_sel:WORD_1 dst_unused:UNUSED_PAD src0_sel:DWORD src1_sel:DWORD
	v_and_or_b32 v7, v1, s58, v7
	v_cndmask_b32_e64 v7, v1, v7, s[6:7]
	v_lshrrev_b16_sdwa v1, v31, v32 dst_sel:DWORD dst_unused:UNUSED_PAD src0_sel:BYTE_0 src1_sel:BYTE_0
	v_cndmask_b32_e64 v1, 0, v1, s[30:31]
	v_lshrrev_b16_sdwa v9, v33, v34 dst_sel:DWORD dst_unused:UNUSED_PAD src0_sel:BYTE_0 src1_sel:BYTE_0
	v_and_b32_e32 v1, 0xffff, v1
	v_cndmask_b32_e64 v9, 0, v9, s[28:29]
	v_cndmask_b32_e64 v1, 0, v1, s[26:27]
	v_lshlrev_b16_e32 v9, 8, v9
	v_or_b32_sdwa v9, v1, v9 dst_sel:DWORD dst_unused:UNUSED_PAD src0_sel:BYTE_0 src1_sel:DWORD
	v_and_b32_e32 v9, 0xffff, v9
	v_cndmask_b32_e64 v1, v1, v9, s[4:5]
	v_lshrrev_b16_sdwa v10, v35, v36 dst_sel:DWORD dst_unused:UNUSED_PAD src0_sel:BYTE_0 src1_sel:BYTE_0
	v_and_b32_sdwa v9, v1, s52 dst_sel:DWORD dst_unused:UNUSED_PAD src0_sel:WORD_1 src1_sel:DWORD
	v_cndmask_b32_e64 v10, 0, v10, s[24:25]
	v_or_b32_sdwa v9, v10, v9 dst_sel:WORD_1 dst_unused:UNUSED_PAD src0_sel:DWORD src1_sel:DWORD
	v_and_or_b32 v9, v1, s58, v9
	v_cndmask_b32_e64 v1, v1, v9, s[2:3]
	v_lshrrev_b16_sdwa v10, v37, v38 dst_sel:DWORD dst_unused:UNUSED_PAD src0_sel:BYTE_0 src1_sel:BYTE_0
	s_mov_b64 vcc, s[22:23]
	v_and_b32_sdwa v9, v1, s55 dst_sel:DWORD dst_unused:UNUSED_PAD src0_sel:WORD_1 src1_sel:DWORD
	v_cndmask_b32_sdwa v6, v6, v10, vcc dst_sel:BYTE_1 dst_unused:UNUSED_PAD src0_sel:DWORD src1_sel:DWORD
	v_or_b32_sdwa v6, v9, v6 dst_sel:WORD_1 dst_unused:UNUSED_PAD src0_sel:DWORD src1_sel:DWORD
	v_and_or_b32 v6, v1, s58, v6
	v_cndmask_b32_e64 v6, v1, v6, s[0:1]
	v_or_b32_e32 v1, s54, v5
	v_lshrrev_b32_e32 v5, 8, v17
	global_store_byte v1, v5, s[56:57]
	s_and_b64 exec, exec, s[18:19]
	s_cbranch_execz .LBB139_54
; %bb.40:
	v_add_u32_e32 v0, s54, v0
	global_store_byte_d16_hi v0, v17, s[56:57] offset:512
	s_and_b64 exec, exec, s[20:21]
	s_cbranch_execz .LBB139_54
; %bb.41:
	v_mov_b32_e32 v1, s57
	v_add_co_u32_e32 v0, vcc, s56, v0
	v_addc_co_u32_e32 v1, vcc, 0, v1, vcc
	v_lshrrev_b32_e32 v5, 24, v17
	v_cmp_gt_u32_e32 vcc, s33, v4
	global_store_byte v[0:1], v5, off offset:768
	s_and_b64 exec, exec, vcc
	s_cbranch_execz .LBB139_54
; %bb.42:
	global_store_byte v[0:1], v8, off offset:1024
	s_and_b64 exec, exec, s[16:17]
	s_cbranch_execz .LBB139_54
; %bb.43:
	v_lshrrev_b32_e32 v4, 8, v8
	global_store_byte v[0:1], v4, off offset:1280
	s_and_b64 exec, exec, s[14:15]
	s_cbranch_execz .LBB139_54
; %bb.44:
	global_store_byte_d16_hi v[0:1], v8, off offset:1536
	s_and_b64 exec, exec, s[12:13]
	s_cbranch_execz .LBB139_54
; %bb.45:
	v_lshrrev_b32_e32 v4, 24, v8
	v_cmp_gt_u32_e32 vcc, s33, v3
	global_store_byte v[0:1], v4, off offset:1792
	s_and_b64 exec, exec, vcc
	s_cbranch_execz .LBB139_54
; %bb.46:
	global_store_byte v[0:1], v7, off offset:2048
	s_and_b64 exec, exec, s[10:11]
	s_cbranch_execz .LBB139_54
; %bb.47:
	v_lshrrev_b32_e32 v3, 8, v7
	global_store_byte v[0:1], v3, off offset:2304
	s_and_b64 exec, exec, s[8:9]
	s_cbranch_execz .LBB139_54
; %bb.48:
	global_store_byte_d16_hi v[0:1], v7, off offset:2560
	s_and_b64 exec, exec, s[6:7]
	s_cbranch_execz .LBB139_54
; %bb.49:
	;; [unrolled: 19-line block ×3, first 2 shown]
	v_lshrrev_b32_e32 v2, 24, v6
	global_store_byte v[0:1], v2, off offset:3840
.LBB139_54:
	s_endpgm
	.section	.rodata,"a",@progbits
	.p2align	6, 0x0
	.amdhsa_kernel _ZN2at6native29vectorized_elementwise_kernelILi2ENS0_13BinaryFunctorIhhhZZZNS0_18rshift_kernel_cudaERNS_18TensorIteratorBaseEENKUlvE_clEvENKUlvE_clEvEUlhhE_EESt5arrayIPcLm3EEEEviT0_T1_
		.amdhsa_group_segment_fixed_size 0
		.amdhsa_private_segment_fixed_size 0
		.amdhsa_kernarg_size 32
		.amdhsa_user_sgpr_count 6
		.amdhsa_user_sgpr_private_segment_buffer 1
		.amdhsa_user_sgpr_dispatch_ptr 0
		.amdhsa_user_sgpr_queue_ptr 0
		.amdhsa_user_sgpr_kernarg_segment_ptr 1
		.amdhsa_user_sgpr_dispatch_id 0
		.amdhsa_user_sgpr_flat_scratch_init 0
		.amdhsa_user_sgpr_private_segment_size 0
		.amdhsa_uses_dynamic_stack 0
		.amdhsa_system_sgpr_private_segment_wavefront_offset 0
		.amdhsa_system_sgpr_workgroup_id_x 1
		.amdhsa_system_sgpr_workgroup_id_y 0
		.amdhsa_system_sgpr_workgroup_id_z 0
		.amdhsa_system_sgpr_workgroup_info 0
		.amdhsa_system_vgpr_workitem_id 0
		.amdhsa_next_free_vgpr 39
		.amdhsa_next_free_sgpr 60
		.amdhsa_reserve_vcc 1
		.amdhsa_reserve_flat_scratch 0
		.amdhsa_float_round_mode_32 0
		.amdhsa_float_round_mode_16_64 0
		.amdhsa_float_denorm_mode_32 3
		.amdhsa_float_denorm_mode_16_64 3
		.amdhsa_dx10_clamp 1
		.amdhsa_ieee_mode 1
		.amdhsa_fp16_overflow 0
		.amdhsa_exception_fp_ieee_invalid_op 0
		.amdhsa_exception_fp_denorm_src 0
		.amdhsa_exception_fp_ieee_div_zero 0
		.amdhsa_exception_fp_ieee_overflow 0
		.amdhsa_exception_fp_ieee_underflow 0
		.amdhsa_exception_fp_ieee_inexact 0
		.amdhsa_exception_int_div_zero 0
	.end_amdhsa_kernel
	.section	.text._ZN2at6native29vectorized_elementwise_kernelILi2ENS0_13BinaryFunctorIhhhZZZNS0_18rshift_kernel_cudaERNS_18TensorIteratorBaseEENKUlvE_clEvENKUlvE_clEvEUlhhE_EESt5arrayIPcLm3EEEEviT0_T1_,"axG",@progbits,_ZN2at6native29vectorized_elementwise_kernelILi2ENS0_13BinaryFunctorIhhhZZZNS0_18rshift_kernel_cudaERNS_18TensorIteratorBaseEENKUlvE_clEvENKUlvE_clEvEUlhhE_EESt5arrayIPcLm3EEEEviT0_T1_,comdat
.Lfunc_end139:
	.size	_ZN2at6native29vectorized_elementwise_kernelILi2ENS0_13BinaryFunctorIhhhZZZNS0_18rshift_kernel_cudaERNS_18TensorIteratorBaseEENKUlvE_clEvENKUlvE_clEvEUlhhE_EESt5arrayIPcLm3EEEEviT0_T1_, .Lfunc_end139-_ZN2at6native29vectorized_elementwise_kernelILi2ENS0_13BinaryFunctorIhhhZZZNS0_18rshift_kernel_cudaERNS_18TensorIteratorBaseEENKUlvE_clEvENKUlvE_clEvEUlhhE_EESt5arrayIPcLm3EEEEviT0_T1_
                                        ; -- End function
	.set _ZN2at6native29vectorized_elementwise_kernelILi2ENS0_13BinaryFunctorIhhhZZZNS0_18rshift_kernel_cudaERNS_18TensorIteratorBaseEENKUlvE_clEvENKUlvE_clEvEUlhhE_EESt5arrayIPcLm3EEEEviT0_T1_.num_vgpr, 39
	.set _ZN2at6native29vectorized_elementwise_kernelILi2ENS0_13BinaryFunctorIhhhZZZNS0_18rshift_kernel_cudaERNS_18TensorIteratorBaseEENKUlvE_clEvENKUlvE_clEvEUlhhE_EESt5arrayIPcLm3EEEEviT0_T1_.num_agpr, 0
	.set _ZN2at6native29vectorized_elementwise_kernelILi2ENS0_13BinaryFunctorIhhhZZZNS0_18rshift_kernel_cudaERNS_18TensorIteratorBaseEENKUlvE_clEvENKUlvE_clEvEUlhhE_EESt5arrayIPcLm3EEEEviT0_T1_.numbered_sgpr, 60
	.set _ZN2at6native29vectorized_elementwise_kernelILi2ENS0_13BinaryFunctorIhhhZZZNS0_18rshift_kernel_cudaERNS_18TensorIteratorBaseEENKUlvE_clEvENKUlvE_clEvEUlhhE_EESt5arrayIPcLm3EEEEviT0_T1_.num_named_barrier, 0
	.set _ZN2at6native29vectorized_elementwise_kernelILi2ENS0_13BinaryFunctorIhhhZZZNS0_18rshift_kernel_cudaERNS_18TensorIteratorBaseEENKUlvE_clEvENKUlvE_clEvEUlhhE_EESt5arrayIPcLm3EEEEviT0_T1_.private_seg_size, 0
	.set _ZN2at6native29vectorized_elementwise_kernelILi2ENS0_13BinaryFunctorIhhhZZZNS0_18rshift_kernel_cudaERNS_18TensorIteratorBaseEENKUlvE_clEvENKUlvE_clEvEUlhhE_EESt5arrayIPcLm3EEEEviT0_T1_.uses_vcc, 1
	.set _ZN2at6native29vectorized_elementwise_kernelILi2ENS0_13BinaryFunctorIhhhZZZNS0_18rshift_kernel_cudaERNS_18TensorIteratorBaseEENKUlvE_clEvENKUlvE_clEvEUlhhE_EESt5arrayIPcLm3EEEEviT0_T1_.uses_flat_scratch, 0
	.set _ZN2at6native29vectorized_elementwise_kernelILi2ENS0_13BinaryFunctorIhhhZZZNS0_18rshift_kernel_cudaERNS_18TensorIteratorBaseEENKUlvE_clEvENKUlvE_clEvEUlhhE_EESt5arrayIPcLm3EEEEviT0_T1_.has_dyn_sized_stack, 0
	.set _ZN2at6native29vectorized_elementwise_kernelILi2ENS0_13BinaryFunctorIhhhZZZNS0_18rshift_kernel_cudaERNS_18TensorIteratorBaseEENKUlvE_clEvENKUlvE_clEvEUlhhE_EESt5arrayIPcLm3EEEEviT0_T1_.has_recursion, 0
	.set _ZN2at6native29vectorized_elementwise_kernelILi2ENS0_13BinaryFunctorIhhhZZZNS0_18rshift_kernel_cudaERNS_18TensorIteratorBaseEENKUlvE_clEvENKUlvE_clEvEUlhhE_EESt5arrayIPcLm3EEEEviT0_T1_.has_indirect_call, 0
	.section	.AMDGPU.csdata,"",@progbits
; Kernel info:
; codeLenInByte = 3920
; TotalNumSgprs: 64
; NumVgprs: 39
; ScratchSize: 0
; MemoryBound: 0
; FloatMode: 240
; IeeeMode: 1
; LDSByteSize: 0 bytes/workgroup (compile time only)
; SGPRBlocks: 7
; VGPRBlocks: 9
; NumSGPRsForWavesPerEU: 64
; NumVGPRsForWavesPerEU: 39
; Occupancy: 6
; WaveLimiterHint : 1
; COMPUTE_PGM_RSRC2:SCRATCH_EN: 0
; COMPUTE_PGM_RSRC2:USER_SGPR: 6
; COMPUTE_PGM_RSRC2:TRAP_HANDLER: 0
; COMPUTE_PGM_RSRC2:TGID_X_EN: 1
; COMPUTE_PGM_RSRC2:TGID_Y_EN: 0
; COMPUTE_PGM_RSRC2:TGID_Z_EN: 0
; COMPUTE_PGM_RSRC2:TIDIG_COMP_CNT: 0
	.section	.text._ZN2at6native27unrolled_elementwise_kernelINS0_13BinaryFunctorIhhhZZZNS0_18rshift_kernel_cudaERNS_18TensorIteratorBaseEENKUlvE_clEvENKUlvE_clEvEUlhhE_EESt5arrayIPcLm3EELi4E23TrivialOffsetCalculatorILi2EjESC_ILi1EjENS0_6memory15LoadWithoutCastENSF_16StoreWithoutCastEEEviT_T0_T2_T3_T4_T5_,"axG",@progbits,_ZN2at6native27unrolled_elementwise_kernelINS0_13BinaryFunctorIhhhZZZNS0_18rshift_kernel_cudaERNS_18TensorIteratorBaseEENKUlvE_clEvENKUlvE_clEvEUlhhE_EESt5arrayIPcLm3EELi4E23TrivialOffsetCalculatorILi2EjESC_ILi1EjENS0_6memory15LoadWithoutCastENSF_16StoreWithoutCastEEEviT_T0_T2_T3_T4_T5_,comdat
	.globl	_ZN2at6native27unrolled_elementwise_kernelINS0_13BinaryFunctorIhhhZZZNS0_18rshift_kernel_cudaERNS_18TensorIteratorBaseEENKUlvE_clEvENKUlvE_clEvEUlhhE_EESt5arrayIPcLm3EELi4E23TrivialOffsetCalculatorILi2EjESC_ILi1EjENS0_6memory15LoadWithoutCastENSF_16StoreWithoutCastEEEviT_T0_T2_T3_T4_T5_ ; -- Begin function _ZN2at6native27unrolled_elementwise_kernelINS0_13BinaryFunctorIhhhZZZNS0_18rshift_kernel_cudaERNS_18TensorIteratorBaseEENKUlvE_clEvENKUlvE_clEvEUlhhE_EESt5arrayIPcLm3EELi4E23TrivialOffsetCalculatorILi2EjESC_ILi1EjENS0_6memory15LoadWithoutCastENSF_16StoreWithoutCastEEEviT_T0_T2_T3_T4_T5_
	.p2align	8
	.type	_ZN2at6native27unrolled_elementwise_kernelINS0_13BinaryFunctorIhhhZZZNS0_18rshift_kernel_cudaERNS_18TensorIteratorBaseEENKUlvE_clEvENKUlvE_clEvEUlhhE_EESt5arrayIPcLm3EELi4E23TrivialOffsetCalculatorILi2EjESC_ILi1EjENS0_6memory15LoadWithoutCastENSF_16StoreWithoutCastEEEviT_T0_T2_T3_T4_T5_,@function
_ZN2at6native27unrolled_elementwise_kernelINS0_13BinaryFunctorIhhhZZZNS0_18rshift_kernel_cudaERNS_18TensorIteratorBaseEENKUlvE_clEvENKUlvE_clEvEUlhhE_EESt5arrayIPcLm3EELi4E23TrivialOffsetCalculatorILi2EjESC_ILi1EjENS0_6memory15LoadWithoutCastENSF_16StoreWithoutCastEEEviT_T0_T2_T3_T4_T5_: ; @_ZN2at6native27unrolled_elementwise_kernelINS0_13BinaryFunctorIhhhZZZNS0_18rshift_kernel_cudaERNS_18TensorIteratorBaseEENKUlvE_clEvENKUlvE_clEvEUlhhE_EESt5arrayIPcLm3EELi4E23TrivialOffsetCalculatorILi2EjESC_ILi1EjENS0_6memory15LoadWithoutCastENSF_16StoreWithoutCastEEEviT_T0_T2_T3_T4_T5_
; %bb.0:
	s_load_dword s0, s[4:5], 0x0
	s_load_dwordx4 s[8:11], s[4:5], 0x8
	s_load_dwordx2 s[12:13], s[4:5], 0x18
	s_lshl_b32 s16, s6, 10
                                        ; implicit-def: $vgpr1
	s_waitcnt lgkmcnt(0)
	s_sub_i32 s17, s0, s16
	v_cmp_gt_i32_e32 vcc, s17, v0
	v_cmp_le_i32_e64 s[0:1], s17, v0
	s_and_saveexec_b64 s[2:3], s[0:1]
	s_xor_b64 s[0:1], exec, s[2:3]
; %bb.1:
	v_or_b32_e32 v1, 0x100, v0
; %bb.2:
	s_or_saveexec_b64 s[2:3], s[0:1]
	v_mov_b32_e32 v5, 0
	v_or_b32_e32 v2, s16, v0
	v_mov_b32_e32 v4, 0
	v_mov_b32_e32 v7, 0
	v_mov_b32_e32 v3, 0
	v_mov_b32_e32 v8, 0
	v_mov_b32_e32 v6, 0
	v_mov_b32_e32 v9, 0
	v_mov_b32_e32 v10, 0
	s_xor_b64 exec, exec, s[2:3]
	s_cbranch_execz .LBB140_10
; %bb.3:
	global_load_ubyte v9, v2, s[10:11]
	global_load_ubyte v10, v2, s[12:13]
	v_or_b32_e32 v1, 0x100, v0
	v_cmp_gt_u32_e64 s[0:1], s17, v1
	v_mov_b32_e32 v6, 0
	v_mov_b32_e32 v8, 0
	v_mov_b32_e32 v3, 0
	v_mov_b32_e32 v7, 0
	v_mov_b32_e32 v4, 0
	v_mov_b32_e32 v5, 0
	s_and_saveexec_b64 s[4:5], s[0:1]
	s_cbranch_execz .LBB140_9
; %bb.4:
	v_add_u32_e32 v3, s16, v1
	global_load_ubyte v8, v3, s[10:11]
	global_load_ubyte v6, v3, s[12:13]
	v_or_b32_e32 v11, 0x200, v0
	v_cmp_gt_u32_e64 s[0:1], s17, v11
	v_mov_b32_e32 v3, 0
	v_mov_b32_e32 v7, 0
	;; [unrolled: 1-line block ×4, first 2 shown]
	s_and_saveexec_b64 s[6:7], s[0:1]
	s_cbranch_execz .LBB140_8
; %bb.5:
	v_add_u32_e32 v4, s16, v11
	global_load_ubyte v7, v4, s[10:11]
	global_load_ubyte v3, v4, s[12:13]
	v_or_b32_e32 v11, 0x300, v0
	v_cmp_gt_u32_e64 s[0:1], s17, v11
	v_mov_b32_e32 v4, 0
	v_mov_b32_e32 v5, 0
	s_and_saveexec_b64 s[14:15], s[0:1]
	s_cbranch_execz .LBB140_7
; %bb.6:
	v_add_u32_e32 v11, s16, v11
	global_load_ubyte v5, v11, s[10:11]
	global_load_ubyte v4, v11, s[12:13]
.LBB140_7:
	s_or_b64 exec, exec, s[14:15]
.LBB140_8:
	s_or_b64 exec, exec, s[6:7]
.LBB140_9:
	s_or_b64 exec, exec, s[4:5]
.LBB140_10:
	s_or_b64 exec, exec, s[2:3]
	s_and_saveexec_b64 s[0:1], vcc
	s_cbranch_execz .LBB140_15
; %bb.11:
	v_mov_b32_e32 v11, 8
	s_waitcnt vmcnt(0)
	v_lshrrev_b16_sdwa v9, v10, v9 dst_sel:DWORD dst_unused:UNUSED_PAD src0_sel:BYTE_0 src1_sel:BYTE_0
	v_cmp_lt_u16_sdwa s[0:1], v10, v11 src0_sel:BYTE_0 src1_sel:DWORD
	v_cndmask_b32_e64 v9, 0, v9, s[0:1]
	v_mov_b32_e32 v10, 0
	v_cndmask_b32_sdwa v9, v10, v9, vcc dst_sel:DWORD dst_unused:UNUSED_PAD src0_sel:DWORD src1_sel:WORD_0
	v_lshrrev_b16_sdwa v8, v6, v8 dst_sel:DWORD dst_unused:UNUSED_PAD src0_sel:BYTE_0 src1_sel:BYTE_0
	v_cmp_lt_u16_sdwa vcc, v6, v11 src0_sel:BYTE_0 src1_sel:DWORD
	v_cndmask_b32_e32 v6, 0, v8, vcc
	v_lshlrev_b16_e32 v6, 8, v6
	v_or_b32_e32 v6, v9, v6
	v_lshrrev_b16_sdwa v7, v3, v7 dst_sel:DWORD dst_unused:UNUSED_PAD src0_sel:BYTE_0 src1_sel:BYTE_0
	v_cmp_lt_u16_sdwa vcc, v3, v11 src0_sel:BYTE_0 src1_sel:DWORD
	v_and_b32_e32 v6, 0xffff, v6
	v_cmp_gt_i32_e64 s[2:3], s17, v1
	v_cndmask_b32_e32 v3, 0, v7, vcc
	v_cndmask_b32_e64 v8, v9, v6, s[2:3]
	v_or_b32_e32 v6, 0x200, v0
	v_lshlrev_b32_e32 v3, 16, v3
	v_or_b32_e32 v3, v8, v3
	v_cmp_gt_i32_e64 s[0:1], s17, v6
	s_movk_i32 s4, 0xff
	v_cndmask_b32_e64 v3, v8, v3, s[0:1]
	v_lshrrev_b16_sdwa v5, v4, v5 dst_sel:DWORD dst_unused:UNUSED_PAD src0_sel:BYTE_0 src1_sel:BYTE_0
	v_cmp_lt_u16_sdwa vcc, v4, v11 src0_sel:BYTE_0 src1_sel:DWORD
	v_and_b32_sdwa v7, v3, s4 dst_sel:DWORD dst_unused:UNUSED_PAD src0_sel:WORD_1 src1_sel:DWORD
	v_cndmask_b32_sdwa v4, v10, v5, vcc dst_sel:BYTE_1 dst_unused:UNUSED_PAD src0_sel:DWORD src1_sel:DWORD
	s_mov_b32 s5, 0xffff
	v_or_b32_e32 v0, 0x300, v0
	v_or_b32_sdwa v4, v7, v4 dst_sel:WORD_1 dst_unused:UNUSED_PAD src0_sel:DWORD src1_sel:DWORD
	v_and_or_b32 v4, v3, s5, v4
	v_cmp_gt_i32_e32 vcc, s17, v0
	v_cndmask_b32_e32 v3, v3, v4, vcc
	global_store_byte v2, v3, s[8:9]
	s_and_b64 exec, exec, s[2:3]
	s_cbranch_execz .LBB140_15
; %bb.12:
	v_add_u32_e32 v1, s16, v1
	v_lshrrev_b32_e32 v2, 8, v3
	global_store_byte v1, v2, s[8:9]
	s_and_b64 exec, exec, s[0:1]
	s_cbranch_execz .LBB140_15
; %bb.13:
	v_add_u32_e32 v1, s16, v6
	global_store_byte_d16_hi v1, v3, s[8:9]
	s_and_b64 exec, exec, vcc
	s_cbranch_execz .LBB140_15
; %bb.14:
	v_lshrrev_b32_e32 v1, 24, v3
	v_add_u32_e32 v0, s16, v0
	global_store_byte v0, v1, s[8:9]
.LBB140_15:
	s_endpgm
	.section	.rodata,"a",@progbits
	.p2align	6, 0x0
	.amdhsa_kernel _ZN2at6native27unrolled_elementwise_kernelINS0_13BinaryFunctorIhhhZZZNS0_18rshift_kernel_cudaERNS_18TensorIteratorBaseEENKUlvE_clEvENKUlvE_clEvEUlhhE_EESt5arrayIPcLm3EELi4E23TrivialOffsetCalculatorILi2EjESC_ILi1EjENS0_6memory15LoadWithoutCastENSF_16StoreWithoutCastEEEviT_T0_T2_T3_T4_T5_
		.amdhsa_group_segment_fixed_size 0
		.amdhsa_private_segment_fixed_size 0
		.amdhsa_kernarg_size 36
		.amdhsa_user_sgpr_count 6
		.amdhsa_user_sgpr_private_segment_buffer 1
		.amdhsa_user_sgpr_dispatch_ptr 0
		.amdhsa_user_sgpr_queue_ptr 0
		.amdhsa_user_sgpr_kernarg_segment_ptr 1
		.amdhsa_user_sgpr_dispatch_id 0
		.amdhsa_user_sgpr_flat_scratch_init 0
		.amdhsa_user_sgpr_private_segment_size 0
		.amdhsa_uses_dynamic_stack 0
		.amdhsa_system_sgpr_private_segment_wavefront_offset 0
		.amdhsa_system_sgpr_workgroup_id_x 1
		.amdhsa_system_sgpr_workgroup_id_y 0
		.amdhsa_system_sgpr_workgroup_id_z 0
		.amdhsa_system_sgpr_workgroup_info 0
		.amdhsa_system_vgpr_workitem_id 0
		.amdhsa_next_free_vgpr 12
		.amdhsa_next_free_sgpr 18
		.amdhsa_reserve_vcc 1
		.amdhsa_reserve_flat_scratch 0
		.amdhsa_float_round_mode_32 0
		.amdhsa_float_round_mode_16_64 0
		.amdhsa_float_denorm_mode_32 3
		.amdhsa_float_denorm_mode_16_64 3
		.amdhsa_dx10_clamp 1
		.amdhsa_ieee_mode 1
		.amdhsa_fp16_overflow 0
		.amdhsa_exception_fp_ieee_invalid_op 0
		.amdhsa_exception_fp_denorm_src 0
		.amdhsa_exception_fp_ieee_div_zero 0
		.amdhsa_exception_fp_ieee_overflow 0
		.amdhsa_exception_fp_ieee_underflow 0
		.amdhsa_exception_fp_ieee_inexact 0
		.amdhsa_exception_int_div_zero 0
	.end_amdhsa_kernel
	.section	.text._ZN2at6native27unrolled_elementwise_kernelINS0_13BinaryFunctorIhhhZZZNS0_18rshift_kernel_cudaERNS_18TensorIteratorBaseEENKUlvE_clEvENKUlvE_clEvEUlhhE_EESt5arrayIPcLm3EELi4E23TrivialOffsetCalculatorILi2EjESC_ILi1EjENS0_6memory15LoadWithoutCastENSF_16StoreWithoutCastEEEviT_T0_T2_T3_T4_T5_,"axG",@progbits,_ZN2at6native27unrolled_elementwise_kernelINS0_13BinaryFunctorIhhhZZZNS0_18rshift_kernel_cudaERNS_18TensorIteratorBaseEENKUlvE_clEvENKUlvE_clEvEUlhhE_EESt5arrayIPcLm3EELi4E23TrivialOffsetCalculatorILi2EjESC_ILi1EjENS0_6memory15LoadWithoutCastENSF_16StoreWithoutCastEEEviT_T0_T2_T3_T4_T5_,comdat
.Lfunc_end140:
	.size	_ZN2at6native27unrolled_elementwise_kernelINS0_13BinaryFunctorIhhhZZZNS0_18rshift_kernel_cudaERNS_18TensorIteratorBaseEENKUlvE_clEvENKUlvE_clEvEUlhhE_EESt5arrayIPcLm3EELi4E23TrivialOffsetCalculatorILi2EjESC_ILi1EjENS0_6memory15LoadWithoutCastENSF_16StoreWithoutCastEEEviT_T0_T2_T3_T4_T5_, .Lfunc_end140-_ZN2at6native27unrolled_elementwise_kernelINS0_13BinaryFunctorIhhhZZZNS0_18rshift_kernel_cudaERNS_18TensorIteratorBaseEENKUlvE_clEvENKUlvE_clEvEUlhhE_EESt5arrayIPcLm3EELi4E23TrivialOffsetCalculatorILi2EjESC_ILi1EjENS0_6memory15LoadWithoutCastENSF_16StoreWithoutCastEEEviT_T0_T2_T3_T4_T5_
                                        ; -- End function
	.set _ZN2at6native27unrolled_elementwise_kernelINS0_13BinaryFunctorIhhhZZZNS0_18rshift_kernel_cudaERNS_18TensorIteratorBaseEENKUlvE_clEvENKUlvE_clEvEUlhhE_EESt5arrayIPcLm3EELi4E23TrivialOffsetCalculatorILi2EjESC_ILi1EjENS0_6memory15LoadWithoutCastENSF_16StoreWithoutCastEEEviT_T0_T2_T3_T4_T5_.num_vgpr, 12
	.set _ZN2at6native27unrolled_elementwise_kernelINS0_13BinaryFunctorIhhhZZZNS0_18rshift_kernel_cudaERNS_18TensorIteratorBaseEENKUlvE_clEvENKUlvE_clEvEUlhhE_EESt5arrayIPcLm3EELi4E23TrivialOffsetCalculatorILi2EjESC_ILi1EjENS0_6memory15LoadWithoutCastENSF_16StoreWithoutCastEEEviT_T0_T2_T3_T4_T5_.num_agpr, 0
	.set _ZN2at6native27unrolled_elementwise_kernelINS0_13BinaryFunctorIhhhZZZNS0_18rshift_kernel_cudaERNS_18TensorIteratorBaseEENKUlvE_clEvENKUlvE_clEvEUlhhE_EESt5arrayIPcLm3EELi4E23TrivialOffsetCalculatorILi2EjESC_ILi1EjENS0_6memory15LoadWithoutCastENSF_16StoreWithoutCastEEEviT_T0_T2_T3_T4_T5_.numbered_sgpr, 18
	.set _ZN2at6native27unrolled_elementwise_kernelINS0_13BinaryFunctorIhhhZZZNS0_18rshift_kernel_cudaERNS_18TensorIteratorBaseEENKUlvE_clEvENKUlvE_clEvEUlhhE_EESt5arrayIPcLm3EELi4E23TrivialOffsetCalculatorILi2EjESC_ILi1EjENS0_6memory15LoadWithoutCastENSF_16StoreWithoutCastEEEviT_T0_T2_T3_T4_T5_.num_named_barrier, 0
	.set _ZN2at6native27unrolled_elementwise_kernelINS0_13BinaryFunctorIhhhZZZNS0_18rshift_kernel_cudaERNS_18TensorIteratorBaseEENKUlvE_clEvENKUlvE_clEvEUlhhE_EESt5arrayIPcLm3EELi4E23TrivialOffsetCalculatorILi2EjESC_ILi1EjENS0_6memory15LoadWithoutCastENSF_16StoreWithoutCastEEEviT_T0_T2_T3_T4_T5_.private_seg_size, 0
	.set _ZN2at6native27unrolled_elementwise_kernelINS0_13BinaryFunctorIhhhZZZNS0_18rshift_kernel_cudaERNS_18TensorIteratorBaseEENKUlvE_clEvENKUlvE_clEvEUlhhE_EESt5arrayIPcLm3EELi4E23TrivialOffsetCalculatorILi2EjESC_ILi1EjENS0_6memory15LoadWithoutCastENSF_16StoreWithoutCastEEEviT_T0_T2_T3_T4_T5_.uses_vcc, 1
	.set _ZN2at6native27unrolled_elementwise_kernelINS0_13BinaryFunctorIhhhZZZNS0_18rshift_kernel_cudaERNS_18TensorIteratorBaseEENKUlvE_clEvENKUlvE_clEvEUlhhE_EESt5arrayIPcLm3EELi4E23TrivialOffsetCalculatorILi2EjESC_ILi1EjENS0_6memory15LoadWithoutCastENSF_16StoreWithoutCastEEEviT_T0_T2_T3_T4_T5_.uses_flat_scratch, 0
	.set _ZN2at6native27unrolled_elementwise_kernelINS0_13BinaryFunctorIhhhZZZNS0_18rshift_kernel_cudaERNS_18TensorIteratorBaseEENKUlvE_clEvENKUlvE_clEvEUlhhE_EESt5arrayIPcLm3EELi4E23TrivialOffsetCalculatorILi2EjESC_ILi1EjENS0_6memory15LoadWithoutCastENSF_16StoreWithoutCastEEEviT_T0_T2_T3_T4_T5_.has_dyn_sized_stack, 0
	.set _ZN2at6native27unrolled_elementwise_kernelINS0_13BinaryFunctorIhhhZZZNS0_18rshift_kernel_cudaERNS_18TensorIteratorBaseEENKUlvE_clEvENKUlvE_clEvEUlhhE_EESt5arrayIPcLm3EELi4E23TrivialOffsetCalculatorILi2EjESC_ILi1EjENS0_6memory15LoadWithoutCastENSF_16StoreWithoutCastEEEviT_T0_T2_T3_T4_T5_.has_recursion, 0
	.set _ZN2at6native27unrolled_elementwise_kernelINS0_13BinaryFunctorIhhhZZZNS0_18rshift_kernel_cudaERNS_18TensorIteratorBaseEENKUlvE_clEvENKUlvE_clEvEUlhhE_EESt5arrayIPcLm3EELi4E23TrivialOffsetCalculatorILi2EjESC_ILi1EjENS0_6memory15LoadWithoutCastENSF_16StoreWithoutCastEEEviT_T0_T2_T3_T4_T5_.has_indirect_call, 0
	.section	.AMDGPU.csdata,"",@progbits
; Kernel info:
; codeLenInByte = 636
; TotalNumSgprs: 22
; NumVgprs: 12
; ScratchSize: 0
; MemoryBound: 0
; FloatMode: 240
; IeeeMode: 1
; LDSByteSize: 0 bytes/workgroup (compile time only)
; SGPRBlocks: 2
; VGPRBlocks: 2
; NumSGPRsForWavesPerEU: 22
; NumVGPRsForWavesPerEU: 12
; Occupancy: 10
; WaveLimiterHint : 0
; COMPUTE_PGM_RSRC2:SCRATCH_EN: 0
; COMPUTE_PGM_RSRC2:USER_SGPR: 6
; COMPUTE_PGM_RSRC2:TRAP_HANDLER: 0
; COMPUTE_PGM_RSRC2:TGID_X_EN: 1
; COMPUTE_PGM_RSRC2:TGID_Y_EN: 0
; COMPUTE_PGM_RSRC2:TGID_Z_EN: 0
; COMPUTE_PGM_RSRC2:TIDIG_COMP_CNT: 0
	.section	.text._ZN2at6native32elementwise_kernel_manual_unrollILi128ELi8EZNS0_22gpu_kernel_impl_nocastINS0_13BinaryFunctorIhhhZZZNS0_18rshift_kernel_cudaERNS_18TensorIteratorBaseEENKUlvE_clEvENKUlvE_clEvEUlhhE_EEEEvS5_RKT_EUlibE_EEviT1_,"axG",@progbits,_ZN2at6native32elementwise_kernel_manual_unrollILi128ELi8EZNS0_22gpu_kernel_impl_nocastINS0_13BinaryFunctorIhhhZZZNS0_18rshift_kernel_cudaERNS_18TensorIteratorBaseEENKUlvE_clEvENKUlvE_clEvEUlhhE_EEEEvS5_RKT_EUlibE_EEviT1_,comdat
	.globl	_ZN2at6native32elementwise_kernel_manual_unrollILi128ELi8EZNS0_22gpu_kernel_impl_nocastINS0_13BinaryFunctorIhhhZZZNS0_18rshift_kernel_cudaERNS_18TensorIteratorBaseEENKUlvE_clEvENKUlvE_clEvEUlhhE_EEEEvS5_RKT_EUlibE_EEviT1_ ; -- Begin function _ZN2at6native32elementwise_kernel_manual_unrollILi128ELi8EZNS0_22gpu_kernel_impl_nocastINS0_13BinaryFunctorIhhhZZZNS0_18rshift_kernel_cudaERNS_18TensorIteratorBaseEENKUlvE_clEvENKUlvE_clEvEUlhhE_EEEEvS5_RKT_EUlibE_EEviT1_
	.p2align	8
	.type	_ZN2at6native32elementwise_kernel_manual_unrollILi128ELi8EZNS0_22gpu_kernel_impl_nocastINS0_13BinaryFunctorIhhhZZZNS0_18rshift_kernel_cudaERNS_18TensorIteratorBaseEENKUlvE_clEvENKUlvE_clEvEUlhhE_EEEEvS5_RKT_EUlibE_EEviT1_,@function
_ZN2at6native32elementwise_kernel_manual_unrollILi128ELi8EZNS0_22gpu_kernel_impl_nocastINS0_13BinaryFunctorIhhhZZZNS0_18rshift_kernel_cudaERNS_18TensorIteratorBaseEENKUlvE_clEvENKUlvE_clEvEUlhhE_EEEEvS5_RKT_EUlibE_EEviT1_: ; @_ZN2at6native32elementwise_kernel_manual_unrollILi128ELi8EZNS0_22gpu_kernel_impl_nocastINS0_13BinaryFunctorIhhhZZZNS0_18rshift_kernel_cudaERNS_18TensorIteratorBaseEENKUlvE_clEvENKUlvE_clEvEUlhhE_EEEEvS5_RKT_EUlibE_EEviT1_
; %bb.0:
	s_load_dword s36, s[4:5], 0x0
	s_load_dword s33, s[4:5], 0x8
	s_add_u32 s12, s4, 8
	s_addc_u32 s13, s5, 0
	v_lshl_or_b32 v31, s6, 10, v0
	v_or_b32_e32 v41, 0x380, v31
	s_waitcnt lgkmcnt(0)
	s_add_i32 s34, s33, -1
	s_cmp_gt_u32 s34, 1
	v_cmp_le_i32_e32 vcc, s36, v41
	s_cselect_b64 s[14:15], -1, 0
	s_and_saveexec_b64 s[0:1], vcc
	s_xor_b64 s[16:17], exec, s[0:1]
	s_cbranch_execz .LBB141_106
; %bb.1:
	s_load_dwordx4 s[8:11], s[12:13], 0x4
	s_load_dwordx2 s[22:23], s[12:13], 0x14
	s_load_dwordx4 s[4:7], s[12:13], 0xc4
	s_load_dwordx2 s[20:21], s[12:13], 0xd4
	s_load_dwordx2 s[18:19], s[12:13], 0x198
	s_load_dwordx4 s[0:3], s[12:13], 0x188
	s_cmp_lg_u32 s33, 0
	s_cselect_b64 s[26:27], -1, 0
	s_min_u32 s35, s34, 15
	s_cmp_gt_u32 s33, 1
	s_cselect_b64 s[24:25], -1, 0
	v_cmp_gt_i32_e32 vcc, s36, v31
	s_and_saveexec_b64 s[28:29], vcc
	s_cbranch_execnz .LBB141_9
; %bb.2:
	s_or_b64 exec, exec, s[28:29]
	v_cmp_gt_i32_e32 vcc, s36, v31
	s_and_saveexec_b64 s[28:29], vcc
	s_cbranch_execnz .LBB141_21
.LBB141_3:
	s_or_b64 exec, exec, s[28:29]
	v_cmp_gt_i32_e32 vcc, s36, v31
	s_and_saveexec_b64 s[28:29], vcc
	s_cbranch_execnz .LBB141_33
.LBB141_4:
	s_or_b64 exec, exec, s[28:29]
	v_cmp_gt_i32_e32 vcc, s36, v31
	s_and_saveexec_b64 s[28:29], vcc
	s_cbranch_execnz .LBB141_45
.LBB141_5:
	s_or_b64 exec, exec, s[28:29]
	v_cmp_gt_i32_e32 vcc, s36, v31
	s_and_saveexec_b64 s[28:29], vcc
	s_cbranch_execnz .LBB141_57
.LBB141_6:
	s_or_b64 exec, exec, s[28:29]
	v_cmp_gt_i32_e32 vcc, s36, v31
	s_and_saveexec_b64 s[28:29], vcc
	s_cbranch_execnz .LBB141_69
.LBB141_7:
	s_or_b64 exec, exec, s[28:29]
	v_cmp_gt_i32_e32 vcc, s36, v31
	s_and_saveexec_b64 s[28:29], vcc
	s_cbranch_execnz .LBB141_81
.LBB141_8:
	s_or_b64 exec, exec, s[28:29]
	v_cmp_gt_i32_e32 vcc, s36, v31
	s_and_saveexec_b64 s[28:29], vcc
	s_cbranch_execnz .LBB141_93
	s_branch .LBB141_105
.LBB141_9:
	s_andn2_b64 vcc, exec, s[14:15]
	s_cbranch_vccnz .LBB141_15
; %bb.10:
	s_andn2_b64 vcc, exec, s[26:27]
	s_cbranch_vccnz .LBB141_16
; %bb.11:
	s_add_i32 s30, s35, 1
	s_and_b32 s37, s30, 30
	s_add_u32 s30, s12, 0xffffffe8
	s_addc_u32 s31, s13, -1
	v_mov_b32_e32 v2, 0
	v_mov_b32_e32 v4, 0
	;; [unrolled: 1-line block ×4, first 2 shown]
.LBB141_12:                             ; =>This Inner Loop Header: Depth=1
	s_load_dwordx4 s[40:43], s[30:31], 0x1c
	s_load_dwordx2 s[38:39], s[30:31], 0x2c
	s_load_dwordx2 s[48:49], s[30:31], 0xec
	s_load_dwordx4 s[44:47], s[30:31], 0xdc
	s_add_u32 s30, s30, 24
	s_waitcnt lgkmcnt(0)
	v_mul_hi_u32 v3, s41, v1
	s_addc_u32 s31, s31, 0
	s_add_i32 s37, s37, -2
	s_cmp_lg_u32 s37, 0
	v_add_u32_e32 v3, v1, v3
	v_lshrrev_b32_e32 v3, s42, v3
	v_mul_lo_u32 v5, v3, s40
	v_mul_hi_u32 v6, s38, v3
	v_sub_u32_e32 v5, v1, v5
	v_add_u32_e32 v1, v3, v6
	v_lshrrev_b32_e32 v1, s39, v1
	v_mul_lo_u32 v8, v1, s43
	v_mul_lo_u32 v6, v5, s44
	;; [unrolled: 1-line block ×4, first 2 shown]
	v_sub_u32_e32 v3, v3, v8
	v_mul_lo_u32 v8, v3, s47
	v_mul_lo_u32 v9, v3, s48
	;; [unrolled: 1-line block ×3, first 2 shown]
	v_add3_u32 v0, v6, v0, v8
	v_add3_u32 v4, v7, v4, v9
	;; [unrolled: 1-line block ×3, first 2 shown]
	s_cbranch_scc1 .LBB141_12
; %bb.13:
	s_bitcmp1_b32 s35, 0
	s_cselect_b64 s[38:39], -1, 0
	s_and_b64 vcc, exec, s[38:39]
	s_cbranch_vccnz .LBB141_17
; %bb.14:
	s_load_dwordx2 s[38:39], s[30:31], 0x1c
	s_load_dword s37, s[30:31], 0x24
	s_load_dwordx2 s[40:41], s[30:31], 0xdc
	s_waitcnt lgkmcnt(0)
	v_mul_hi_u32 v3, s39, v1
	v_add_u32_e32 v3, v1, v3
	v_lshrrev_b32_e32 v3, s37, v3
	v_mul_lo_u32 v3, v3, s38
	s_load_dword s37, s[30:31], 0xe4
	v_sub_u32_e32 v3, v1, v3
	v_mad_u64_u32 v[0:1], s[30:31], v3, s40, v[0:1]
	v_mad_u64_u32 v[4:5], s[30:31], v3, s41, v[4:5]
	s_waitcnt lgkmcnt(0)
	v_mad_u64_u32 v[2:3], s[30:31], v3, s37, v[2:3]
	s_cbranch_execz .LBB141_18
	s_branch .LBB141_20
.LBB141_15:
                                        ; implicit-def: $vgpr0
                                        ; implicit-def: $vgpr4
                                        ; implicit-def: $vgpr2
	s_branch .LBB141_18
.LBB141_16:
	v_mov_b32_e32 v0, 0
	v_mov_b32_e32 v4, 0
	v_mov_b32_e32 v2, 0
.LBB141_17:
	s_cbranch_execnz .LBB141_20
.LBB141_18:
	s_waitcnt lgkmcnt(0)
	v_mul_hi_u32 v0, s9, v31
	s_andn2_b64 vcc, exec, s[24:25]
	v_add_u32_e32 v0, v31, v0
	v_lshrrev_b32_e32 v1, s10, v0
	v_mul_lo_u32 v0, v1, s8
	v_sub_u32_e32 v2, v31, v0
	v_mul_lo_u32 v0, v2, s4
	v_mul_lo_u32 v4, v2, s5
	;; [unrolled: 1-line block ×3, first 2 shown]
	s_cbranch_vccnz .LBB141_20
; %bb.19:
	v_mul_hi_u32 v3, s22, v1
	v_add_u32_e32 v3, v1, v3
	v_lshrrev_b32_e32 v3, s23, v3
	v_mul_lo_u32 v3, v3, s11
	v_sub_u32_e32 v3, v1, v3
	v_mad_u64_u32 v[0:1], s[30:31], v3, s7, v[0:1]
	v_mad_u64_u32 v[4:5], s[30:31], v3, s20, v[4:5]
	;; [unrolled: 1-line block ×3, first 2 shown]
.LBB141_20:
	s_waitcnt lgkmcnt(0)
	global_load_ubyte v1, v4, s[2:3]
	global_load_ubyte v3, v2, s[18:19]
	v_add_u32_e32 v31, 0x80, v31
	s_waitcnt vmcnt(0)
	v_lshrrev_b16_e32 v1, v3, v1
	v_cmp_gt_u32_e32 vcc, 8, v3
	v_cndmask_b32_e32 v1, 0, v1, vcc
	global_store_byte v0, v1, s[0:1]
	s_or_b64 exec, exec, s[28:29]
	v_cmp_gt_i32_e32 vcc, s36, v31
	s_and_saveexec_b64 s[28:29], vcc
	s_cbranch_execz .LBB141_3
.LBB141_21:
	s_andn2_b64 vcc, exec, s[14:15]
	s_cbranch_vccnz .LBB141_27
; %bb.22:
	s_andn2_b64 vcc, exec, s[26:27]
	s_cbranch_vccnz .LBB141_28
; %bb.23:
	s_add_i32 s30, s35, 1
	s_and_b32 s37, s30, 30
	s_add_u32 s30, s12, 0xffffffe8
	s_addc_u32 s31, s13, -1
	v_mov_b32_e32 v2, 0
	v_mov_b32_e32 v4, 0
	;; [unrolled: 1-line block ×4, first 2 shown]
.LBB141_24:                             ; =>This Inner Loop Header: Depth=1
	s_load_dwordx4 s[40:43], s[30:31], 0x1c
	s_load_dwordx2 s[38:39], s[30:31], 0x2c
	s_load_dwordx2 s[48:49], s[30:31], 0xec
	s_load_dwordx4 s[44:47], s[30:31], 0xdc
	s_add_u32 s30, s30, 24
	s_waitcnt lgkmcnt(0)
	v_mul_hi_u32 v3, s41, v1
	s_addc_u32 s31, s31, 0
	s_add_i32 s37, s37, -2
	s_cmp_eq_u32 s37, 0
	v_add_u32_e32 v3, v1, v3
	v_lshrrev_b32_e32 v3, s42, v3
	v_mul_lo_u32 v5, v3, s40
	v_mul_hi_u32 v6, s38, v3
	v_sub_u32_e32 v5, v1, v5
	v_add_u32_e32 v1, v3, v6
	v_lshrrev_b32_e32 v1, s39, v1
	v_mul_lo_u32 v8, v1, s43
	v_mul_lo_u32 v6, v5, s44
	;; [unrolled: 1-line block ×4, first 2 shown]
	v_sub_u32_e32 v3, v3, v8
	v_mul_lo_u32 v8, v3, s47
	v_mul_lo_u32 v9, v3, s48
	;; [unrolled: 1-line block ×3, first 2 shown]
	v_add3_u32 v0, v6, v0, v8
	v_add3_u32 v4, v7, v4, v9
	;; [unrolled: 1-line block ×3, first 2 shown]
	s_cbranch_scc0 .LBB141_24
; %bb.25:
	s_bitcmp1_b32 s35, 0
	s_cselect_b64 s[38:39], -1, 0
	s_and_b64 vcc, exec, s[38:39]
	s_cbranch_vccnz .LBB141_29
; %bb.26:
	s_load_dwordx2 s[38:39], s[30:31], 0x1c
	s_load_dword s37, s[30:31], 0x24
	s_load_dwordx2 s[40:41], s[30:31], 0xdc
	s_waitcnt lgkmcnt(0)
	v_mul_hi_u32 v3, s39, v1
	v_add_u32_e32 v3, v1, v3
	v_lshrrev_b32_e32 v3, s37, v3
	v_mul_lo_u32 v3, v3, s38
	s_load_dword s37, s[30:31], 0xe4
	v_sub_u32_e32 v3, v1, v3
	v_mad_u64_u32 v[0:1], s[30:31], v3, s40, v[0:1]
	v_mad_u64_u32 v[4:5], s[30:31], v3, s41, v[4:5]
	s_waitcnt lgkmcnt(0)
	v_mad_u64_u32 v[2:3], s[30:31], v3, s37, v[2:3]
	s_branch .LBB141_29
.LBB141_27:
                                        ; implicit-def: $vgpr0
                                        ; implicit-def: $vgpr4
                                        ; implicit-def: $vgpr2
	s_branch .LBB141_30
.LBB141_28:
	v_mov_b32_e32 v0, 0
	v_mov_b32_e32 v4, 0
	;; [unrolled: 1-line block ×3, first 2 shown]
.LBB141_29:
	s_cbranch_execnz .LBB141_32
.LBB141_30:
	s_waitcnt lgkmcnt(0)
	v_mul_hi_u32 v0, s9, v31
	s_andn2_b64 vcc, exec, s[24:25]
	v_add_u32_e32 v0, v31, v0
	v_lshrrev_b32_e32 v1, s10, v0
	v_mul_lo_u32 v0, v1, s8
	v_sub_u32_e32 v2, v31, v0
	v_mul_lo_u32 v0, v2, s4
	v_mul_lo_u32 v4, v2, s5
	;; [unrolled: 1-line block ×3, first 2 shown]
	s_cbranch_vccnz .LBB141_32
; %bb.31:
	v_mul_hi_u32 v3, s22, v1
	v_add_u32_e32 v3, v1, v3
	v_lshrrev_b32_e32 v3, s23, v3
	v_mul_lo_u32 v3, v3, s11
	v_sub_u32_e32 v3, v1, v3
	v_mad_u64_u32 v[0:1], s[30:31], v3, s7, v[0:1]
	v_mad_u64_u32 v[4:5], s[30:31], v3, s20, v[4:5]
	;; [unrolled: 1-line block ×3, first 2 shown]
.LBB141_32:
	s_waitcnt lgkmcnt(0)
	global_load_ubyte v1, v4, s[2:3]
	global_load_ubyte v3, v2, s[18:19]
	v_add_u32_e32 v31, 0x80, v31
	s_waitcnt vmcnt(0)
	v_lshrrev_b16_e32 v1, v3, v1
	v_cmp_gt_u32_e32 vcc, 8, v3
	v_cndmask_b32_e32 v1, 0, v1, vcc
	global_store_byte v0, v1, s[0:1]
	s_or_b64 exec, exec, s[28:29]
	v_cmp_gt_i32_e32 vcc, s36, v31
	s_and_saveexec_b64 s[28:29], vcc
	s_cbranch_execz .LBB141_4
.LBB141_33:
	s_andn2_b64 vcc, exec, s[14:15]
	s_cbranch_vccnz .LBB141_39
; %bb.34:
	s_andn2_b64 vcc, exec, s[26:27]
	s_cbranch_vccnz .LBB141_40
; %bb.35:
	s_add_i32 s30, s35, 1
	s_and_b32 s37, s30, 30
	s_add_u32 s30, s12, 0xffffffe8
	s_addc_u32 s31, s13, -1
	v_mov_b32_e32 v2, 0
	v_mov_b32_e32 v4, 0
	;; [unrolled: 1-line block ×4, first 2 shown]
.LBB141_36:                             ; =>This Inner Loop Header: Depth=1
	s_load_dwordx4 s[40:43], s[30:31], 0x1c
	s_load_dwordx2 s[38:39], s[30:31], 0x2c
	s_load_dwordx2 s[48:49], s[30:31], 0xec
	s_load_dwordx4 s[44:47], s[30:31], 0xdc
	s_add_u32 s30, s30, 24
	s_waitcnt lgkmcnt(0)
	v_mul_hi_u32 v3, s41, v1
	s_addc_u32 s31, s31, 0
	s_add_i32 s37, s37, -2
	s_cmp_eq_u32 s37, 0
	v_add_u32_e32 v3, v1, v3
	v_lshrrev_b32_e32 v3, s42, v3
	v_mul_lo_u32 v5, v3, s40
	v_mul_hi_u32 v6, s38, v3
	v_sub_u32_e32 v5, v1, v5
	v_add_u32_e32 v1, v3, v6
	v_lshrrev_b32_e32 v1, s39, v1
	v_mul_lo_u32 v8, v1, s43
	v_mul_lo_u32 v6, v5, s44
	v_mul_lo_u32 v7, v5, s45
	v_mul_lo_u32 v5, v5, s46
	v_sub_u32_e32 v3, v3, v8
	v_mul_lo_u32 v8, v3, s47
	v_mul_lo_u32 v9, v3, s48
	;; [unrolled: 1-line block ×3, first 2 shown]
	v_add3_u32 v0, v6, v0, v8
	v_add3_u32 v4, v7, v4, v9
	;; [unrolled: 1-line block ×3, first 2 shown]
	s_cbranch_scc0 .LBB141_36
; %bb.37:
	s_bitcmp1_b32 s35, 0
	s_cselect_b64 s[38:39], -1, 0
	s_and_b64 vcc, exec, s[38:39]
	s_cbranch_vccnz .LBB141_41
; %bb.38:
	s_load_dwordx2 s[38:39], s[30:31], 0x1c
	s_load_dword s37, s[30:31], 0x24
	s_load_dwordx2 s[40:41], s[30:31], 0xdc
	s_waitcnt lgkmcnt(0)
	v_mul_hi_u32 v3, s39, v1
	v_add_u32_e32 v3, v1, v3
	v_lshrrev_b32_e32 v3, s37, v3
	v_mul_lo_u32 v3, v3, s38
	s_load_dword s37, s[30:31], 0xe4
	v_sub_u32_e32 v3, v1, v3
	v_mad_u64_u32 v[0:1], s[30:31], v3, s40, v[0:1]
	v_mad_u64_u32 v[4:5], s[30:31], v3, s41, v[4:5]
	s_waitcnt lgkmcnt(0)
	v_mad_u64_u32 v[2:3], s[30:31], v3, s37, v[2:3]
	s_branch .LBB141_41
.LBB141_39:
                                        ; implicit-def: $vgpr0
                                        ; implicit-def: $vgpr4
                                        ; implicit-def: $vgpr2
	s_branch .LBB141_42
.LBB141_40:
	v_mov_b32_e32 v0, 0
	v_mov_b32_e32 v4, 0
	;; [unrolled: 1-line block ×3, first 2 shown]
.LBB141_41:
	s_cbranch_execnz .LBB141_44
.LBB141_42:
	s_waitcnt lgkmcnt(0)
	v_mul_hi_u32 v0, s9, v31
	s_andn2_b64 vcc, exec, s[24:25]
	v_add_u32_e32 v0, v31, v0
	v_lshrrev_b32_e32 v1, s10, v0
	v_mul_lo_u32 v0, v1, s8
	v_sub_u32_e32 v2, v31, v0
	v_mul_lo_u32 v0, v2, s4
	v_mul_lo_u32 v4, v2, s5
	;; [unrolled: 1-line block ×3, first 2 shown]
	s_cbranch_vccnz .LBB141_44
; %bb.43:
	v_mul_hi_u32 v3, s22, v1
	v_add_u32_e32 v3, v1, v3
	v_lshrrev_b32_e32 v3, s23, v3
	v_mul_lo_u32 v3, v3, s11
	v_sub_u32_e32 v3, v1, v3
	v_mad_u64_u32 v[0:1], s[30:31], v3, s7, v[0:1]
	v_mad_u64_u32 v[4:5], s[30:31], v3, s20, v[4:5]
	v_mad_u64_u32 v[2:3], s[30:31], v3, s21, v[2:3]
.LBB141_44:
	s_waitcnt lgkmcnt(0)
	global_load_ubyte v1, v4, s[2:3]
	global_load_ubyte v3, v2, s[18:19]
	v_add_u32_e32 v31, 0x80, v31
	s_waitcnt vmcnt(0)
	v_lshrrev_b16_e32 v1, v3, v1
	v_cmp_gt_u32_e32 vcc, 8, v3
	v_cndmask_b32_e32 v1, 0, v1, vcc
	global_store_byte v0, v1, s[0:1]
	s_or_b64 exec, exec, s[28:29]
	v_cmp_gt_i32_e32 vcc, s36, v31
	s_and_saveexec_b64 s[28:29], vcc
	s_cbranch_execz .LBB141_5
.LBB141_45:
	s_andn2_b64 vcc, exec, s[14:15]
	s_cbranch_vccnz .LBB141_51
; %bb.46:
	s_andn2_b64 vcc, exec, s[26:27]
	s_cbranch_vccnz .LBB141_52
; %bb.47:
	s_add_i32 s30, s35, 1
	s_and_b32 s37, s30, 30
	s_add_u32 s30, s12, 0xffffffe8
	s_addc_u32 s31, s13, -1
	v_mov_b32_e32 v2, 0
	v_mov_b32_e32 v4, 0
	v_mov_b32_e32 v0, 0
	v_mov_b32_e32 v1, v31
.LBB141_48:                             ; =>This Inner Loop Header: Depth=1
	s_load_dwordx4 s[40:43], s[30:31], 0x1c
	s_load_dwordx2 s[38:39], s[30:31], 0x2c
	s_load_dwordx2 s[48:49], s[30:31], 0xec
	s_load_dwordx4 s[44:47], s[30:31], 0xdc
	s_add_u32 s30, s30, 24
	s_waitcnt lgkmcnt(0)
	v_mul_hi_u32 v3, s41, v1
	s_addc_u32 s31, s31, 0
	s_add_i32 s37, s37, -2
	s_cmp_eq_u32 s37, 0
	v_add_u32_e32 v3, v1, v3
	v_lshrrev_b32_e32 v3, s42, v3
	v_mul_lo_u32 v5, v3, s40
	v_mul_hi_u32 v6, s38, v3
	v_sub_u32_e32 v5, v1, v5
	v_add_u32_e32 v1, v3, v6
	v_lshrrev_b32_e32 v1, s39, v1
	v_mul_lo_u32 v8, v1, s43
	v_mul_lo_u32 v6, v5, s44
	;; [unrolled: 1-line block ×4, first 2 shown]
	v_sub_u32_e32 v3, v3, v8
	v_mul_lo_u32 v8, v3, s47
	v_mul_lo_u32 v9, v3, s48
	;; [unrolled: 1-line block ×3, first 2 shown]
	v_add3_u32 v0, v6, v0, v8
	v_add3_u32 v4, v7, v4, v9
	;; [unrolled: 1-line block ×3, first 2 shown]
	s_cbranch_scc0 .LBB141_48
; %bb.49:
	s_bitcmp1_b32 s35, 0
	s_cselect_b64 s[38:39], -1, 0
	s_and_b64 vcc, exec, s[38:39]
	s_cbranch_vccnz .LBB141_53
; %bb.50:
	s_load_dwordx2 s[38:39], s[30:31], 0x1c
	s_load_dword s37, s[30:31], 0x24
	s_load_dwordx2 s[40:41], s[30:31], 0xdc
	s_waitcnt lgkmcnt(0)
	v_mul_hi_u32 v3, s39, v1
	v_add_u32_e32 v3, v1, v3
	v_lshrrev_b32_e32 v3, s37, v3
	v_mul_lo_u32 v3, v3, s38
	s_load_dword s37, s[30:31], 0xe4
	v_sub_u32_e32 v3, v1, v3
	v_mad_u64_u32 v[0:1], s[30:31], v3, s40, v[0:1]
	v_mad_u64_u32 v[4:5], s[30:31], v3, s41, v[4:5]
	s_waitcnt lgkmcnt(0)
	v_mad_u64_u32 v[2:3], s[30:31], v3, s37, v[2:3]
	s_branch .LBB141_53
.LBB141_51:
                                        ; implicit-def: $vgpr0
                                        ; implicit-def: $vgpr4
                                        ; implicit-def: $vgpr2
	s_branch .LBB141_54
.LBB141_52:
	v_mov_b32_e32 v0, 0
	v_mov_b32_e32 v4, 0
	;; [unrolled: 1-line block ×3, first 2 shown]
.LBB141_53:
	s_cbranch_execnz .LBB141_56
.LBB141_54:
	s_waitcnt lgkmcnt(0)
	v_mul_hi_u32 v0, s9, v31
	s_andn2_b64 vcc, exec, s[24:25]
	v_add_u32_e32 v0, v31, v0
	v_lshrrev_b32_e32 v1, s10, v0
	v_mul_lo_u32 v0, v1, s8
	v_sub_u32_e32 v2, v31, v0
	v_mul_lo_u32 v0, v2, s4
	v_mul_lo_u32 v4, v2, s5
	;; [unrolled: 1-line block ×3, first 2 shown]
	s_cbranch_vccnz .LBB141_56
; %bb.55:
	v_mul_hi_u32 v3, s22, v1
	v_add_u32_e32 v3, v1, v3
	v_lshrrev_b32_e32 v3, s23, v3
	v_mul_lo_u32 v3, v3, s11
	v_sub_u32_e32 v3, v1, v3
	v_mad_u64_u32 v[0:1], s[30:31], v3, s7, v[0:1]
	v_mad_u64_u32 v[4:5], s[30:31], v3, s20, v[4:5]
	;; [unrolled: 1-line block ×3, first 2 shown]
.LBB141_56:
	s_waitcnt lgkmcnt(0)
	global_load_ubyte v1, v4, s[2:3]
	global_load_ubyte v3, v2, s[18:19]
	v_add_u32_e32 v31, 0x80, v31
	s_waitcnt vmcnt(0)
	v_lshrrev_b16_e32 v1, v3, v1
	v_cmp_gt_u32_e32 vcc, 8, v3
	v_cndmask_b32_e32 v1, 0, v1, vcc
	global_store_byte v0, v1, s[0:1]
	s_or_b64 exec, exec, s[28:29]
	v_cmp_gt_i32_e32 vcc, s36, v31
	s_and_saveexec_b64 s[28:29], vcc
	s_cbranch_execz .LBB141_6
.LBB141_57:
	s_andn2_b64 vcc, exec, s[14:15]
	s_cbranch_vccnz .LBB141_63
; %bb.58:
	s_andn2_b64 vcc, exec, s[26:27]
	s_cbranch_vccnz .LBB141_64
; %bb.59:
	s_add_i32 s30, s35, 1
	s_and_b32 s37, s30, 30
	s_add_u32 s30, s12, 0xffffffe8
	s_addc_u32 s31, s13, -1
	v_mov_b32_e32 v2, 0
	v_mov_b32_e32 v4, 0
	;; [unrolled: 1-line block ×4, first 2 shown]
.LBB141_60:                             ; =>This Inner Loop Header: Depth=1
	s_load_dwordx4 s[40:43], s[30:31], 0x1c
	s_load_dwordx2 s[38:39], s[30:31], 0x2c
	s_load_dwordx2 s[48:49], s[30:31], 0xec
	s_load_dwordx4 s[44:47], s[30:31], 0xdc
	s_add_u32 s30, s30, 24
	s_waitcnt lgkmcnt(0)
	v_mul_hi_u32 v3, s41, v1
	s_addc_u32 s31, s31, 0
	s_add_i32 s37, s37, -2
	s_cmp_eq_u32 s37, 0
	v_add_u32_e32 v3, v1, v3
	v_lshrrev_b32_e32 v3, s42, v3
	v_mul_lo_u32 v5, v3, s40
	v_mul_hi_u32 v6, s38, v3
	v_sub_u32_e32 v5, v1, v5
	v_add_u32_e32 v1, v3, v6
	v_lshrrev_b32_e32 v1, s39, v1
	v_mul_lo_u32 v8, v1, s43
	v_mul_lo_u32 v6, v5, s44
	;; [unrolled: 1-line block ×4, first 2 shown]
	v_sub_u32_e32 v3, v3, v8
	v_mul_lo_u32 v8, v3, s47
	v_mul_lo_u32 v9, v3, s48
	;; [unrolled: 1-line block ×3, first 2 shown]
	v_add3_u32 v0, v6, v0, v8
	v_add3_u32 v4, v7, v4, v9
	;; [unrolled: 1-line block ×3, first 2 shown]
	s_cbranch_scc0 .LBB141_60
; %bb.61:
	s_bitcmp1_b32 s35, 0
	s_cselect_b64 s[38:39], -1, 0
	s_and_b64 vcc, exec, s[38:39]
	s_cbranch_vccnz .LBB141_65
; %bb.62:
	s_load_dwordx2 s[38:39], s[30:31], 0x1c
	s_load_dword s37, s[30:31], 0x24
	s_load_dwordx2 s[40:41], s[30:31], 0xdc
	s_waitcnt lgkmcnt(0)
	v_mul_hi_u32 v3, s39, v1
	v_add_u32_e32 v3, v1, v3
	v_lshrrev_b32_e32 v3, s37, v3
	v_mul_lo_u32 v3, v3, s38
	s_load_dword s37, s[30:31], 0xe4
	v_sub_u32_e32 v3, v1, v3
	v_mad_u64_u32 v[0:1], s[30:31], v3, s40, v[0:1]
	v_mad_u64_u32 v[4:5], s[30:31], v3, s41, v[4:5]
	s_waitcnt lgkmcnt(0)
	v_mad_u64_u32 v[2:3], s[30:31], v3, s37, v[2:3]
	s_branch .LBB141_65
.LBB141_63:
                                        ; implicit-def: $vgpr0
                                        ; implicit-def: $vgpr4
                                        ; implicit-def: $vgpr2
	s_branch .LBB141_66
.LBB141_64:
	v_mov_b32_e32 v0, 0
	v_mov_b32_e32 v4, 0
	;; [unrolled: 1-line block ×3, first 2 shown]
.LBB141_65:
	s_cbranch_execnz .LBB141_68
.LBB141_66:
	s_waitcnt lgkmcnt(0)
	v_mul_hi_u32 v0, s9, v31
	s_andn2_b64 vcc, exec, s[24:25]
	v_add_u32_e32 v0, v31, v0
	v_lshrrev_b32_e32 v1, s10, v0
	v_mul_lo_u32 v0, v1, s8
	v_sub_u32_e32 v2, v31, v0
	v_mul_lo_u32 v0, v2, s4
	v_mul_lo_u32 v4, v2, s5
	;; [unrolled: 1-line block ×3, first 2 shown]
	s_cbranch_vccnz .LBB141_68
; %bb.67:
	v_mul_hi_u32 v3, s22, v1
	v_add_u32_e32 v3, v1, v3
	v_lshrrev_b32_e32 v3, s23, v3
	v_mul_lo_u32 v3, v3, s11
	v_sub_u32_e32 v3, v1, v3
	v_mad_u64_u32 v[0:1], s[30:31], v3, s7, v[0:1]
	v_mad_u64_u32 v[4:5], s[30:31], v3, s20, v[4:5]
	;; [unrolled: 1-line block ×3, first 2 shown]
.LBB141_68:
	s_waitcnt lgkmcnt(0)
	global_load_ubyte v1, v4, s[2:3]
	global_load_ubyte v3, v2, s[18:19]
	v_add_u32_e32 v31, 0x80, v31
	s_waitcnt vmcnt(0)
	v_lshrrev_b16_e32 v1, v3, v1
	v_cmp_gt_u32_e32 vcc, 8, v3
	v_cndmask_b32_e32 v1, 0, v1, vcc
	global_store_byte v0, v1, s[0:1]
	s_or_b64 exec, exec, s[28:29]
	v_cmp_gt_i32_e32 vcc, s36, v31
	s_and_saveexec_b64 s[28:29], vcc
	s_cbranch_execz .LBB141_7
.LBB141_69:
	s_andn2_b64 vcc, exec, s[14:15]
	s_cbranch_vccnz .LBB141_75
; %bb.70:
	s_andn2_b64 vcc, exec, s[26:27]
	s_cbranch_vccnz .LBB141_76
; %bb.71:
	s_add_i32 s30, s35, 1
	s_and_b32 s37, s30, 30
	s_add_u32 s30, s12, 0xffffffe8
	s_addc_u32 s31, s13, -1
	v_mov_b32_e32 v2, 0
	v_mov_b32_e32 v4, 0
	v_mov_b32_e32 v0, 0
	v_mov_b32_e32 v1, v31
.LBB141_72:                             ; =>This Inner Loop Header: Depth=1
	s_load_dwordx4 s[40:43], s[30:31], 0x1c
	s_load_dwordx2 s[38:39], s[30:31], 0x2c
	s_load_dwordx2 s[48:49], s[30:31], 0xec
	s_load_dwordx4 s[44:47], s[30:31], 0xdc
	s_add_u32 s30, s30, 24
	s_waitcnt lgkmcnt(0)
	v_mul_hi_u32 v3, s41, v1
	s_addc_u32 s31, s31, 0
	s_add_i32 s37, s37, -2
	s_cmp_eq_u32 s37, 0
	v_add_u32_e32 v3, v1, v3
	v_lshrrev_b32_e32 v3, s42, v3
	v_mul_lo_u32 v5, v3, s40
	v_mul_hi_u32 v6, s38, v3
	v_sub_u32_e32 v5, v1, v5
	v_add_u32_e32 v1, v3, v6
	v_lshrrev_b32_e32 v1, s39, v1
	v_mul_lo_u32 v8, v1, s43
	v_mul_lo_u32 v6, v5, s44
	;; [unrolled: 1-line block ×4, first 2 shown]
	v_sub_u32_e32 v3, v3, v8
	v_mul_lo_u32 v8, v3, s47
	v_mul_lo_u32 v9, v3, s48
	;; [unrolled: 1-line block ×3, first 2 shown]
	v_add3_u32 v0, v6, v0, v8
	v_add3_u32 v4, v7, v4, v9
	;; [unrolled: 1-line block ×3, first 2 shown]
	s_cbranch_scc0 .LBB141_72
; %bb.73:
	s_bitcmp1_b32 s35, 0
	s_cselect_b64 s[38:39], -1, 0
	s_and_b64 vcc, exec, s[38:39]
	s_cbranch_vccnz .LBB141_77
; %bb.74:
	s_load_dwordx2 s[38:39], s[30:31], 0x1c
	s_load_dword s37, s[30:31], 0x24
	s_load_dwordx2 s[40:41], s[30:31], 0xdc
	s_waitcnt lgkmcnt(0)
	v_mul_hi_u32 v3, s39, v1
	v_add_u32_e32 v3, v1, v3
	v_lshrrev_b32_e32 v3, s37, v3
	v_mul_lo_u32 v3, v3, s38
	s_load_dword s37, s[30:31], 0xe4
	v_sub_u32_e32 v3, v1, v3
	v_mad_u64_u32 v[0:1], s[30:31], v3, s40, v[0:1]
	v_mad_u64_u32 v[4:5], s[30:31], v3, s41, v[4:5]
	s_waitcnt lgkmcnt(0)
	v_mad_u64_u32 v[2:3], s[30:31], v3, s37, v[2:3]
	s_branch .LBB141_77
.LBB141_75:
                                        ; implicit-def: $vgpr0
                                        ; implicit-def: $vgpr4
                                        ; implicit-def: $vgpr2
	s_branch .LBB141_78
.LBB141_76:
	v_mov_b32_e32 v0, 0
	v_mov_b32_e32 v4, 0
	;; [unrolled: 1-line block ×3, first 2 shown]
.LBB141_77:
	s_cbranch_execnz .LBB141_80
.LBB141_78:
	s_waitcnt lgkmcnt(0)
	v_mul_hi_u32 v0, s9, v31
	s_andn2_b64 vcc, exec, s[24:25]
	v_add_u32_e32 v0, v31, v0
	v_lshrrev_b32_e32 v1, s10, v0
	v_mul_lo_u32 v0, v1, s8
	v_sub_u32_e32 v2, v31, v0
	v_mul_lo_u32 v0, v2, s4
	v_mul_lo_u32 v4, v2, s5
	;; [unrolled: 1-line block ×3, first 2 shown]
	s_cbranch_vccnz .LBB141_80
; %bb.79:
	v_mul_hi_u32 v3, s22, v1
	v_add_u32_e32 v3, v1, v3
	v_lshrrev_b32_e32 v3, s23, v3
	v_mul_lo_u32 v3, v3, s11
	v_sub_u32_e32 v3, v1, v3
	v_mad_u64_u32 v[0:1], s[30:31], v3, s7, v[0:1]
	v_mad_u64_u32 v[4:5], s[30:31], v3, s20, v[4:5]
	;; [unrolled: 1-line block ×3, first 2 shown]
.LBB141_80:
	s_waitcnt lgkmcnt(0)
	global_load_ubyte v1, v4, s[2:3]
	global_load_ubyte v3, v2, s[18:19]
	v_add_u32_e32 v31, 0x80, v31
	s_waitcnt vmcnt(0)
	v_lshrrev_b16_e32 v1, v3, v1
	v_cmp_gt_u32_e32 vcc, 8, v3
	v_cndmask_b32_e32 v1, 0, v1, vcc
	global_store_byte v0, v1, s[0:1]
	s_or_b64 exec, exec, s[28:29]
	v_cmp_gt_i32_e32 vcc, s36, v31
	s_and_saveexec_b64 s[28:29], vcc
	s_cbranch_execz .LBB141_8
.LBB141_81:
	s_andn2_b64 vcc, exec, s[14:15]
	s_cbranch_vccnz .LBB141_87
; %bb.82:
	s_andn2_b64 vcc, exec, s[26:27]
	s_cbranch_vccnz .LBB141_88
; %bb.83:
	s_add_i32 s30, s35, 1
	s_and_b32 s37, s30, 30
	s_add_u32 s30, s12, 0xffffffe8
	s_addc_u32 s31, s13, -1
	v_mov_b32_e32 v2, 0
	v_mov_b32_e32 v4, 0
	;; [unrolled: 1-line block ×4, first 2 shown]
.LBB141_84:                             ; =>This Inner Loop Header: Depth=1
	s_load_dwordx4 s[40:43], s[30:31], 0x1c
	s_load_dwordx2 s[38:39], s[30:31], 0x2c
	s_load_dwordx2 s[48:49], s[30:31], 0xec
	s_load_dwordx4 s[44:47], s[30:31], 0xdc
	s_add_u32 s30, s30, 24
	s_waitcnt lgkmcnt(0)
	v_mul_hi_u32 v3, s41, v1
	s_addc_u32 s31, s31, 0
	s_add_i32 s37, s37, -2
	s_cmp_eq_u32 s37, 0
	v_add_u32_e32 v3, v1, v3
	v_lshrrev_b32_e32 v3, s42, v3
	v_mul_lo_u32 v5, v3, s40
	v_mul_hi_u32 v6, s38, v3
	v_sub_u32_e32 v5, v1, v5
	v_add_u32_e32 v1, v3, v6
	v_lshrrev_b32_e32 v1, s39, v1
	v_mul_lo_u32 v8, v1, s43
	v_mul_lo_u32 v6, v5, s44
	;; [unrolled: 1-line block ×4, first 2 shown]
	v_sub_u32_e32 v3, v3, v8
	v_mul_lo_u32 v8, v3, s47
	v_mul_lo_u32 v9, v3, s48
	;; [unrolled: 1-line block ×3, first 2 shown]
	v_add3_u32 v0, v6, v0, v8
	v_add3_u32 v4, v7, v4, v9
	;; [unrolled: 1-line block ×3, first 2 shown]
	s_cbranch_scc0 .LBB141_84
; %bb.85:
	s_bitcmp1_b32 s35, 0
	s_cselect_b64 s[38:39], -1, 0
	s_and_b64 vcc, exec, s[38:39]
	s_cbranch_vccnz .LBB141_89
; %bb.86:
	s_load_dwordx2 s[38:39], s[30:31], 0x1c
	s_load_dword s37, s[30:31], 0x24
	s_load_dwordx2 s[40:41], s[30:31], 0xdc
	s_waitcnt lgkmcnt(0)
	v_mul_hi_u32 v3, s39, v1
	v_add_u32_e32 v3, v1, v3
	v_lshrrev_b32_e32 v3, s37, v3
	v_mul_lo_u32 v3, v3, s38
	s_load_dword s37, s[30:31], 0xe4
	v_sub_u32_e32 v3, v1, v3
	v_mad_u64_u32 v[0:1], s[30:31], v3, s40, v[0:1]
	v_mad_u64_u32 v[4:5], s[30:31], v3, s41, v[4:5]
	s_waitcnt lgkmcnt(0)
	v_mad_u64_u32 v[2:3], s[30:31], v3, s37, v[2:3]
	s_branch .LBB141_89
.LBB141_87:
                                        ; implicit-def: $vgpr0
                                        ; implicit-def: $vgpr4
                                        ; implicit-def: $vgpr2
	s_branch .LBB141_90
.LBB141_88:
	v_mov_b32_e32 v0, 0
	v_mov_b32_e32 v4, 0
	;; [unrolled: 1-line block ×3, first 2 shown]
.LBB141_89:
	s_cbranch_execnz .LBB141_92
.LBB141_90:
	s_waitcnt lgkmcnt(0)
	v_mul_hi_u32 v0, s9, v31
	s_andn2_b64 vcc, exec, s[24:25]
	v_add_u32_e32 v0, v31, v0
	v_lshrrev_b32_e32 v1, s10, v0
	v_mul_lo_u32 v0, v1, s8
	v_sub_u32_e32 v2, v31, v0
	v_mul_lo_u32 v0, v2, s4
	v_mul_lo_u32 v4, v2, s5
	;; [unrolled: 1-line block ×3, first 2 shown]
	s_cbranch_vccnz .LBB141_92
; %bb.91:
	v_mul_hi_u32 v3, s22, v1
	v_add_u32_e32 v3, v1, v3
	v_lshrrev_b32_e32 v3, s23, v3
	v_mul_lo_u32 v3, v3, s11
	v_sub_u32_e32 v3, v1, v3
	v_mad_u64_u32 v[0:1], s[30:31], v3, s7, v[0:1]
	v_mad_u64_u32 v[4:5], s[30:31], v3, s20, v[4:5]
	;; [unrolled: 1-line block ×3, first 2 shown]
.LBB141_92:
	s_waitcnt lgkmcnt(0)
	global_load_ubyte v1, v4, s[2:3]
	global_load_ubyte v3, v2, s[18:19]
	v_add_u32_e32 v31, 0x80, v31
	s_waitcnt vmcnt(0)
	v_lshrrev_b16_e32 v1, v3, v1
	v_cmp_gt_u32_e32 vcc, 8, v3
	v_cndmask_b32_e32 v1, 0, v1, vcc
	global_store_byte v0, v1, s[0:1]
	s_or_b64 exec, exec, s[28:29]
	v_cmp_gt_i32_e32 vcc, s36, v31
	s_and_saveexec_b64 s[28:29], vcc
	s_cbranch_execz .LBB141_105
.LBB141_93:
	s_andn2_b64 vcc, exec, s[14:15]
	s_cbranch_vccnz .LBB141_99
; %bb.94:
	s_andn2_b64 vcc, exec, s[26:27]
	s_cbranch_vccnz .LBB141_100
; %bb.95:
	s_add_i32 s26, s35, 1
	s_and_b32 s30, s26, 30
	s_add_u32 s26, s12, 0xffffffe8
	s_addc_u32 s27, s13, -1
	v_mov_b32_e32 v2, 0
	v_mov_b32_e32 v4, 0
	;; [unrolled: 1-line block ×4, first 2 shown]
.LBB141_96:                             ; =>This Inner Loop Header: Depth=1
	s_load_dwordx4 s[36:39], s[26:27], 0x1c
	s_load_dwordx2 s[44:45], s[26:27], 0x2c
	s_load_dwordx2 s[46:47], s[26:27], 0xec
	s_load_dwordx4 s[40:43], s[26:27], 0xdc
	s_add_u32 s26, s26, 24
	s_waitcnt lgkmcnt(0)
	v_mul_hi_u32 v3, s37, v1
	s_addc_u32 s27, s27, 0
	s_add_i32 s30, s30, -2
	s_cmp_eq_u32 s30, 0
	v_add_u32_e32 v3, v1, v3
	v_lshrrev_b32_e32 v3, s38, v3
	v_mul_lo_u32 v5, v3, s36
	v_mul_hi_u32 v6, s44, v3
	v_sub_u32_e32 v5, v1, v5
	v_add_u32_e32 v1, v3, v6
	v_lshrrev_b32_e32 v1, s45, v1
	v_mul_lo_u32 v8, v1, s39
	v_mul_lo_u32 v6, v5, s40
	v_mul_lo_u32 v7, v5, s41
	v_mul_lo_u32 v5, v5, s42
	v_sub_u32_e32 v3, v3, v8
	v_mul_lo_u32 v8, v3, s43
	v_mul_lo_u32 v9, v3, s46
	;; [unrolled: 1-line block ×3, first 2 shown]
	v_add3_u32 v0, v6, v0, v8
	v_add3_u32 v4, v7, v4, v9
	;; [unrolled: 1-line block ×3, first 2 shown]
	s_cbranch_scc0 .LBB141_96
; %bb.97:
	s_bitcmp1_b32 s35, 0
	s_cselect_b64 s[30:31], -1, 0
	s_and_b64 vcc, exec, s[30:31]
	s_cbranch_vccnz .LBB141_101
; %bb.98:
	s_load_dwordx2 s[30:31], s[26:27], 0x1c
	s_load_dword s35, s[26:27], 0x24
	s_load_dwordx2 s[36:37], s[26:27], 0xdc
	s_waitcnt lgkmcnt(0)
	v_mul_hi_u32 v3, s31, v1
	v_add_u32_e32 v3, v1, v3
	v_lshrrev_b32_e32 v3, s35, v3
	v_mul_lo_u32 v3, v3, s30
	s_load_dword s30, s[26:27], 0xe4
	v_sub_u32_e32 v3, v1, v3
	v_mad_u64_u32 v[0:1], s[26:27], v3, s36, v[0:1]
	v_mad_u64_u32 v[4:5], s[26:27], v3, s37, v[4:5]
	s_waitcnt lgkmcnt(0)
	v_mad_u64_u32 v[2:3], s[26:27], v3, s30, v[2:3]
	s_branch .LBB141_101
.LBB141_99:
                                        ; implicit-def: $vgpr0
                                        ; implicit-def: $vgpr4
                                        ; implicit-def: $vgpr2
	s_branch .LBB141_102
.LBB141_100:
	v_mov_b32_e32 v0, 0
	v_mov_b32_e32 v4, 0
	;; [unrolled: 1-line block ×3, first 2 shown]
.LBB141_101:
	s_cbranch_execnz .LBB141_104
.LBB141_102:
	s_waitcnt lgkmcnt(0)
	v_mul_hi_u32 v0, s9, v31
	s_andn2_b64 vcc, exec, s[24:25]
	v_add_u32_e32 v0, v31, v0
	v_lshrrev_b32_e32 v1, s10, v0
	v_mul_lo_u32 v0, v1, s8
	v_sub_u32_e32 v2, v31, v0
	v_mul_lo_u32 v0, v2, s4
	v_mul_lo_u32 v4, v2, s5
	;; [unrolled: 1-line block ×3, first 2 shown]
	s_cbranch_vccnz .LBB141_104
; %bb.103:
	v_mul_hi_u32 v3, s22, v1
	v_add_u32_e32 v3, v1, v3
	v_lshrrev_b32_e32 v3, s23, v3
	v_mul_lo_u32 v3, v3, s11
	v_sub_u32_e32 v3, v1, v3
	v_mad_u64_u32 v[0:1], s[4:5], v3, s7, v[0:1]
	v_mad_u64_u32 v[4:5], s[4:5], v3, s20, v[4:5]
	;; [unrolled: 1-line block ×3, first 2 shown]
.LBB141_104:
	s_waitcnt lgkmcnt(0)
	global_load_ubyte v1, v4, s[2:3]
	global_load_ubyte v3, v2, s[18:19]
	s_waitcnt vmcnt(0)
	v_lshrrev_b16_e32 v1, v3, v1
	v_cmp_gt_u32_e32 vcc, 8, v3
	v_cndmask_b32_e32 v1, 0, v1, vcc
	global_store_byte v0, v1, s[0:1]
.LBB141_105:
	s_or_b64 exec, exec, s[28:29]
                                        ; implicit-def: $vgpr41
                                        ; implicit-def: $vgpr31
.LBB141_106:
	s_waitcnt lgkmcnt(0)
	s_andn2_saveexec_b64 s[0:1], s[16:17]
	s_cbranch_execz .LBB141_113
; %bb.107:
	v_cndmask_b32_e64 v0, 0, 1, s[14:15]
	v_cmp_ne_u32_e64 s[0:1], 1, v0
	s_andn2_b64 vcc, exec, s[14:15]
	s_cbranch_vccnz .LBB141_114
; %bb.108:
	s_cmp_lg_u32 s33, 0
	s_cbranch_scc0 .LBB141_115
; %bb.109:
	s_min_u32 s4, s34, 15
	s_add_i32 s2, s4, 1
	s_and_b32 s5, s2, 30
	s_add_u32 s2, s12, 0xffffffe8
	s_addc_u32 s3, s13, -1
	v_mov_b32_e32 v4, 0
	v_mov_b32_e32 v2, 0
	;; [unrolled: 1-line block ×4, first 2 shown]
.LBB141_110:                            ; =>This Inner Loop Header: Depth=1
	s_load_dwordx4 s[8:11], s[2:3], 0x1c
	s_load_dwordx2 s[6:7], s[2:3], 0x2c
	s_load_dwordx2 s[14:15], s[2:3], 0xec
	s_load_dwordx4 s[16:19], s[2:3], 0xdc
	s_add_u32 s2, s2, 24
	s_waitcnt lgkmcnt(0)
	v_mul_hi_u32 v3, s9, v1
	s_addc_u32 s3, s3, 0
	s_add_i32 s5, s5, -2
	s_cmp_lg_u32 s5, 0
	v_add_u32_e32 v3, v1, v3
	v_lshrrev_b32_e32 v3, s10, v3
	v_mul_lo_u32 v5, v3, s8
	v_mul_hi_u32 v6, s6, v3
	v_sub_u32_e32 v5, v1, v5
	v_add_u32_e32 v1, v3, v6
	v_lshrrev_b32_e32 v1, s7, v1
	v_mul_lo_u32 v8, v1, s11
	v_mul_lo_u32 v6, v5, s16
	;; [unrolled: 1-line block ×4, first 2 shown]
	v_sub_u32_e32 v3, v3, v8
	v_mul_lo_u32 v8, v3, s19
	v_mul_lo_u32 v9, v3, s14
	;; [unrolled: 1-line block ×3, first 2 shown]
	v_add3_u32 v0, v6, v0, v8
	v_add3_u32 v2, v7, v2, v9
	;; [unrolled: 1-line block ×3, first 2 shown]
	s_cbranch_scc1 .LBB141_110
; %bb.111:
	s_bitcmp1_b32 s4, 0
	s_cselect_b64 s[4:5], -1, 0
	s_and_b64 vcc, exec, s[4:5]
	s_cbranch_vccnz .LBB141_116
; %bb.112:
	s_load_dwordx2 s[4:5], s[2:3], 0x1c
	s_load_dword s8, s[2:3], 0x24
	s_load_dwordx2 s[6:7], s[2:3], 0xdc
	s_waitcnt lgkmcnt(0)
	v_mul_hi_u32 v3, s5, v1
	v_add_u32_e32 v3, v1, v3
	v_lshrrev_b32_e32 v3, s8, v3
	v_mul_lo_u32 v3, v3, s4
	s_load_dword s4, s[2:3], 0xe4
	v_sub_u32_e32 v5, v1, v3
	v_mad_u64_u32 v[0:1], s[2:3], v5, s6, v[0:1]
	v_mad_u64_u32 v[2:3], s[2:3], v5, s7, v[2:3]
	s_waitcnt lgkmcnt(0)
	v_mad_u64_u32 v[4:5], s[2:3], v5, s4, v[4:5]
	s_cbranch_execz .LBB141_117
	s_branch .LBB141_119
.LBB141_113:
	s_endpgm
.LBB141_114:
                                        ; implicit-def: $vgpr0
                                        ; implicit-def: $vgpr2
                                        ; implicit-def: $vgpr4
	s_branch .LBB141_117
.LBB141_115:
	v_mov_b32_e32 v0, 0
	v_mov_b32_e32 v2, 0
	;; [unrolled: 1-line block ×3, first 2 shown]
.LBB141_116:
	s_cbranch_execnz .LBB141_119
.LBB141_117:
	s_load_dwordx4 s[4:7], s[12:13], 0x4
	s_load_dwordx4 s[8:11], s[12:13], 0xc4
	s_cmp_lt_u32 s33, 2
	s_waitcnt lgkmcnt(0)
	v_mul_hi_u32 v0, s5, v31
	v_add_u32_e32 v0, v31, v0
	v_lshrrev_b32_e32 v1, s6, v0
	v_mul_lo_u32 v0, v1, s4
	v_sub_u32_e32 v3, v31, v0
	v_mul_lo_u32 v0, v3, s8
	v_mul_lo_u32 v2, v3, s9
	;; [unrolled: 1-line block ×3, first 2 shown]
	s_cbranch_scc1 .LBB141_119
; %bb.118:
	s_load_dwordx4 s[4:7], s[12:13], 0x10
	s_load_dwordx4 s[8:11], s[12:13], 0xd0
	s_waitcnt lgkmcnt(0)
	v_mul_hi_u32 v3, s5, v1
	v_add_u32_e32 v3, v1, v3
	v_lshrrev_b32_e32 v3, s6, v3
	v_mul_lo_u32 v3, v3, s4
	v_sub_u32_e32 v5, v1, v3
	v_mad_u64_u32 v[0:1], s[2:3], v5, s8, v[0:1]
	v_mad_u64_u32 v[2:3], s[2:3], v5, s9, v[2:3]
	;; [unrolled: 1-line block ×3, first 2 shown]
.LBB141_119:
	s_and_b64 vcc, exec, s[0:1]
	v_add_u32_e32 v1, 0x80, v31
	s_cbranch_vccnz .LBB141_125
; %bb.120:
	s_cmp_lg_u32 s33, 0
	s_cbranch_scc0 .LBB141_126
; %bb.121:
	s_min_u32 s4, s34, 15
	s_add_i32 s2, s4, 1
	s_and_b32 s5, s2, 30
	s_add_u32 s2, s12, 0xffffffe8
	s_addc_u32 s3, s13, -1
	v_mov_b32_e32 v9, 0
	v_mov_b32_e32 v7, 0
	;; [unrolled: 1-line block ×4, first 2 shown]
.LBB141_122:                            ; =>This Inner Loop Header: Depth=1
	s_load_dwordx4 s[8:11], s[2:3], 0x1c
	s_load_dwordx2 s[6:7], s[2:3], 0x2c
	s_load_dwordx2 s[14:15], s[2:3], 0xec
	s_load_dwordx4 s[16:19], s[2:3], 0xdc
	s_add_u32 s2, s2, 24
	s_waitcnt lgkmcnt(0)
	v_mul_hi_u32 v6, s9, v3
	s_addc_u32 s3, s3, 0
	s_add_i32 s5, s5, -2
	s_cmp_lg_u32 s5, 0
	v_add_u32_e32 v6, v3, v6
	v_lshrrev_b32_e32 v6, s10, v6
	v_mul_lo_u32 v8, v6, s8
	v_mul_hi_u32 v10, s6, v6
	v_sub_u32_e32 v8, v3, v8
	v_add_u32_e32 v3, v6, v10
	v_lshrrev_b32_e32 v3, s7, v3
	v_mul_lo_u32 v12, v3, s11
	v_mul_lo_u32 v10, v8, s16
	;; [unrolled: 1-line block ×4, first 2 shown]
	v_sub_u32_e32 v6, v6, v12
	v_mul_lo_u32 v12, v6, s19
	v_mul_lo_u32 v13, v6, s14
	;; [unrolled: 1-line block ×3, first 2 shown]
	v_add3_u32 v5, v10, v5, v12
	v_add3_u32 v7, v11, v7, v13
	;; [unrolled: 1-line block ×3, first 2 shown]
	s_cbranch_scc1 .LBB141_122
; %bb.123:
	s_bitcmp1_b32 s4, 0
	s_cselect_b64 s[4:5], -1, 0
	s_and_b64 vcc, exec, s[4:5]
	s_cbranch_vccnz .LBB141_127
; %bb.124:
	s_load_dwordx2 s[4:5], s[2:3], 0x1c
	s_load_dword s8, s[2:3], 0x24
	s_load_dwordx2 s[6:7], s[2:3], 0xdc
	s_waitcnt lgkmcnt(0)
	v_mul_hi_u32 v6, s5, v3
	v_add_u32_e32 v6, v3, v6
	v_lshrrev_b32_e32 v6, s8, v6
	v_mul_lo_u32 v6, v6, s4
	s_load_dword s4, s[2:3], 0xe4
	v_sub_u32_e32 v3, v3, v6
	v_mad_u64_u32 v[5:6], s[2:3], v3, s6, v[5:6]
	v_mad_u64_u32 v[7:8], s[2:3], v3, s7, v[7:8]
	s_waitcnt lgkmcnt(0)
	v_mad_u64_u32 v[9:10], s[2:3], v3, s4, v[9:10]
	s_cbranch_execz .LBB141_128
	s_branch .LBB141_130
.LBB141_125:
                                        ; implicit-def: $vgpr5
                                        ; implicit-def: $vgpr7
                                        ; implicit-def: $vgpr9
	s_branch .LBB141_128
.LBB141_126:
	v_mov_b32_e32 v5, 0
	v_mov_b32_e32 v7, 0
	;; [unrolled: 1-line block ×3, first 2 shown]
.LBB141_127:
	s_cbranch_execnz .LBB141_130
.LBB141_128:
	s_load_dwordx4 s[4:7], s[12:13], 0x4
	s_load_dwordx4 s[8:11], s[12:13], 0xc4
	s_cmp_lt_u32 s33, 2
	s_waitcnt lgkmcnt(0)
	v_mul_hi_u32 v3, s5, v1
	v_add_u32_e32 v3, v1, v3
	v_lshrrev_b32_e32 v3, s6, v3
	v_mul_lo_u32 v5, v3, s4
	v_sub_u32_e32 v1, v1, v5
	v_mul_lo_u32 v5, v1, s8
	v_mul_lo_u32 v7, v1, s9
	;; [unrolled: 1-line block ×3, first 2 shown]
	s_cbranch_scc1 .LBB141_130
; %bb.129:
	s_load_dwordx4 s[4:7], s[12:13], 0x10
	s_load_dwordx4 s[8:11], s[12:13], 0xd0
	s_waitcnt lgkmcnt(0)
	v_mul_hi_u32 v1, s5, v3
	v_add_u32_e32 v1, v3, v1
	v_lshrrev_b32_e32 v1, s6, v1
	v_mul_lo_u32 v1, v1, s4
	v_sub_u32_e32 v1, v3, v1
	v_mad_u64_u32 v[5:6], s[2:3], v1, s8, v[5:6]
	v_mad_u64_u32 v[7:8], s[2:3], v1, s9, v[7:8]
	;; [unrolled: 1-line block ×3, first 2 shown]
.LBB141_130:
	s_and_b64 vcc, exec, s[0:1]
	v_add_u32_e32 v1, 0x100, v31
	s_cbranch_vccnz .LBB141_136
; %bb.131:
	s_cmp_lg_u32 s33, 0
	s_cbranch_scc0 .LBB141_137
; %bb.132:
	s_min_u32 s4, s34, 15
	s_add_i32 s2, s4, 1
	s_and_b32 s5, s2, 30
	s_add_u32 s2, s12, 0xffffffe8
	s_addc_u32 s3, s13, -1
	v_mov_b32_e32 v12, 0
	v_mov_b32_e32 v14, 0
	;; [unrolled: 1-line block ×4, first 2 shown]
.LBB141_133:                            ; =>This Inner Loop Header: Depth=1
	s_load_dwordx4 s[8:11], s[2:3], 0x1c
	s_load_dwordx2 s[6:7], s[2:3], 0x2c
	s_load_dwordx2 s[14:15], s[2:3], 0xec
	s_load_dwordx4 s[16:19], s[2:3], 0xdc
	s_add_u32 s2, s2, 24
	s_waitcnt lgkmcnt(0)
	v_mul_hi_u32 v6, s9, v3
	s_addc_u32 s3, s3, 0
	s_add_i32 s5, s5, -2
	s_cmp_lg_u32 s5, 0
	v_add_u32_e32 v6, v3, v6
	v_lshrrev_b32_e32 v6, s10, v6
	v_mul_lo_u32 v8, v6, s8
	v_mul_hi_u32 v11, s6, v6
	v_sub_u32_e32 v8, v3, v8
	v_add_u32_e32 v3, v6, v11
	v_lshrrev_b32_e32 v3, s7, v3
	v_mul_lo_u32 v15, v3, s11
	v_mul_lo_u32 v11, v8, s16
	;; [unrolled: 1-line block ×4, first 2 shown]
	v_sub_u32_e32 v6, v6, v15
	v_mul_lo_u32 v15, v6, s19
	v_mul_lo_u32 v16, v6, s14
	;; [unrolled: 1-line block ×3, first 2 shown]
	v_add3_u32 v10, v11, v10, v15
	v_add3_u32 v14, v13, v14, v16
	;; [unrolled: 1-line block ×3, first 2 shown]
	s_cbranch_scc1 .LBB141_133
; %bb.134:
	s_bitcmp1_b32 s4, 0
	s_cselect_b64 s[4:5], -1, 0
	s_and_b64 vcc, exec, s[4:5]
	s_cbranch_vccnz .LBB141_138
; %bb.135:
	s_load_dwordx2 s[4:5], s[2:3], 0x1c
	s_load_dword s8, s[2:3], 0x24
	s_load_dwordx2 s[6:7], s[2:3], 0xdc
	s_waitcnt lgkmcnt(0)
	v_mul_hi_u32 v6, s5, v3
	v_add_u32_e32 v6, v3, v6
	v_lshrrev_b32_e32 v6, s8, v6
	v_mul_lo_u32 v6, v6, s4
	s_load_dword s4, s[2:3], 0xe4
	v_sub_u32_e32 v3, v3, v6
	v_mad_u64_u32 v[10:11], s[2:3], v3, s6, v[10:11]
	v_mad_u64_u32 v[14:15], s[2:3], v3, s7, v[14:15]
	s_waitcnt lgkmcnt(0)
	v_mad_u64_u32 v[12:13], s[2:3], v3, s4, v[12:13]
	s_cbranch_execz .LBB141_139
	s_branch .LBB141_141
.LBB141_136:
                                        ; implicit-def: $vgpr10
                                        ; implicit-def: $vgpr14
                                        ; implicit-def: $vgpr12
	s_branch .LBB141_139
.LBB141_137:
	v_mov_b32_e32 v10, 0
	v_mov_b32_e32 v14, 0
	;; [unrolled: 1-line block ×3, first 2 shown]
.LBB141_138:
	s_cbranch_execnz .LBB141_141
.LBB141_139:
	s_load_dwordx4 s[4:7], s[12:13], 0x4
	s_load_dwordx4 s[8:11], s[12:13], 0xc4
	s_cmp_lt_u32 s33, 2
	s_waitcnt lgkmcnt(0)
	v_mul_hi_u32 v3, s5, v1
	v_add_u32_e32 v3, v1, v3
	v_lshrrev_b32_e32 v3, s6, v3
	v_mul_lo_u32 v6, v3, s4
	v_sub_u32_e32 v1, v1, v6
	v_mul_lo_u32 v10, v1, s8
	v_mul_lo_u32 v14, v1, s9
	;; [unrolled: 1-line block ×3, first 2 shown]
	s_cbranch_scc1 .LBB141_141
; %bb.140:
	s_load_dwordx4 s[4:7], s[12:13], 0x10
	s_load_dwordx4 s[8:11], s[12:13], 0xd0
	s_waitcnt lgkmcnt(0)
	v_mul_hi_u32 v1, s5, v3
	v_add_u32_e32 v1, v3, v1
	v_lshrrev_b32_e32 v1, s6, v1
	v_mul_lo_u32 v1, v1, s4
	v_sub_u32_e32 v1, v3, v1
	v_mad_u64_u32 v[10:11], s[2:3], v1, s8, v[10:11]
	v_mad_u64_u32 v[14:15], s[2:3], v1, s9, v[14:15]
	;; [unrolled: 1-line block ×3, first 2 shown]
.LBB141_141:
	s_and_b64 vcc, exec, s[0:1]
	v_add_u32_e32 v1, 0x180, v31
	s_cbranch_vccnz .LBB141_147
; %bb.142:
	s_cmp_lg_u32 s33, 0
	s_cbranch_scc0 .LBB141_148
; %bb.143:
	s_min_u32 s4, s34, 15
	s_add_i32 s2, s4, 1
	s_and_b32 s5, s2, 30
	s_add_u32 s2, s12, 0xffffffe8
	s_addc_u32 s3, s13, -1
	v_mov_b32_e32 v17, 0
	v_mov_b32_e32 v19, 0
	;; [unrolled: 1-line block ×4, first 2 shown]
.LBB141_144:                            ; =>This Inner Loop Header: Depth=1
	s_load_dwordx4 s[8:11], s[2:3], 0x1c
	s_load_dwordx2 s[6:7], s[2:3], 0x2c
	s_load_dwordx2 s[14:15], s[2:3], 0xec
	s_load_dwordx4 s[16:19], s[2:3], 0xdc
	s_add_u32 s2, s2, 24
	s_waitcnt lgkmcnt(0)
	v_mul_hi_u32 v6, s9, v3
	s_addc_u32 s3, s3, 0
	s_add_i32 s5, s5, -2
	s_cmp_lg_u32 s5, 0
	v_add_u32_e32 v6, v3, v6
	v_lshrrev_b32_e32 v6, s10, v6
	v_mul_lo_u32 v8, v6, s8
	v_mul_hi_u32 v11, s6, v6
	v_sub_u32_e32 v8, v3, v8
	v_add_u32_e32 v3, v6, v11
	v_lshrrev_b32_e32 v3, s7, v3
	v_mul_lo_u32 v16, v3, s11
	v_mul_lo_u32 v11, v8, s16
	;; [unrolled: 1-line block ×4, first 2 shown]
	v_sub_u32_e32 v6, v6, v16
	v_mul_lo_u32 v16, v6, s19
	v_mul_lo_u32 v18, v6, s14
	;; [unrolled: 1-line block ×3, first 2 shown]
	v_add3_u32 v15, v11, v15, v16
	v_add3_u32 v19, v13, v19, v18
	;; [unrolled: 1-line block ×3, first 2 shown]
	s_cbranch_scc1 .LBB141_144
; %bb.145:
	s_bitcmp1_b32 s4, 0
	s_cselect_b64 s[4:5], -1, 0
	s_and_b64 vcc, exec, s[4:5]
	s_cbranch_vccnz .LBB141_149
; %bb.146:
	s_load_dwordx2 s[4:5], s[2:3], 0x1c
	s_load_dword s8, s[2:3], 0x24
	s_load_dwordx2 s[6:7], s[2:3], 0xdc
	s_waitcnt lgkmcnt(0)
	v_mul_hi_u32 v6, s5, v3
	v_add_u32_e32 v6, v3, v6
	v_lshrrev_b32_e32 v6, s8, v6
	v_mul_lo_u32 v6, v6, s4
	s_load_dword s4, s[2:3], 0xe4
	v_sub_u32_e32 v3, v3, v6
	v_mad_u64_u32 v[15:16], s[2:3], v3, s6, v[15:16]
	v_mad_u64_u32 v[19:20], s[2:3], v3, s7, v[19:20]
	s_waitcnt lgkmcnt(0)
	v_mad_u64_u32 v[17:18], s[2:3], v3, s4, v[17:18]
	s_cbranch_execz .LBB141_150
	s_branch .LBB141_152
.LBB141_147:
                                        ; implicit-def: $vgpr15
                                        ; implicit-def: $vgpr19
                                        ; implicit-def: $vgpr17
	s_branch .LBB141_150
.LBB141_148:
	v_mov_b32_e32 v15, 0
	v_mov_b32_e32 v19, 0
	;; [unrolled: 1-line block ×3, first 2 shown]
.LBB141_149:
	s_cbranch_execnz .LBB141_152
.LBB141_150:
	s_load_dwordx4 s[4:7], s[12:13], 0x4
	s_load_dwordx4 s[8:11], s[12:13], 0xc4
	s_cmp_lt_u32 s33, 2
	s_waitcnt lgkmcnt(0)
	v_mul_hi_u32 v3, s5, v1
	v_add_u32_e32 v3, v1, v3
	v_lshrrev_b32_e32 v3, s6, v3
	v_mul_lo_u32 v6, v3, s4
	v_sub_u32_e32 v1, v1, v6
	v_mul_lo_u32 v15, v1, s8
	v_mul_lo_u32 v19, v1, s9
	;; [unrolled: 1-line block ×3, first 2 shown]
	s_cbranch_scc1 .LBB141_152
; %bb.151:
	s_load_dwordx4 s[4:7], s[12:13], 0x10
	s_load_dwordx4 s[8:11], s[12:13], 0xd0
	s_waitcnt lgkmcnt(0)
	v_mul_hi_u32 v1, s5, v3
	v_add_u32_e32 v1, v3, v1
	v_lshrrev_b32_e32 v1, s6, v1
	v_mul_lo_u32 v1, v1, s4
	v_sub_u32_e32 v1, v3, v1
	v_mad_u64_u32 v[15:16], s[2:3], v1, s8, v[15:16]
	v_mad_u64_u32 v[19:20], s[2:3], v1, s9, v[19:20]
	;; [unrolled: 1-line block ×3, first 2 shown]
.LBB141_152:
	s_and_b64 vcc, exec, s[0:1]
	v_add_u32_e32 v1, 0x200, v31
	s_cbranch_vccnz .LBB141_158
; %bb.153:
	s_cmp_lg_u32 s33, 0
	s_cbranch_scc0 .LBB141_159
; %bb.154:
	s_min_u32 s4, s34, 15
	s_add_i32 s2, s4, 1
	s_and_b32 s5, s2, 30
	s_add_u32 s2, s12, 0xffffffe8
	s_addc_u32 s3, s13, -1
	v_mov_b32_e32 v22, 0
	v_mov_b32_e32 v24, 0
	;; [unrolled: 1-line block ×4, first 2 shown]
.LBB141_155:                            ; =>This Inner Loop Header: Depth=1
	s_load_dwordx4 s[8:11], s[2:3], 0x1c
	s_load_dwordx2 s[6:7], s[2:3], 0x2c
	s_load_dwordx2 s[14:15], s[2:3], 0xec
	s_load_dwordx4 s[16:19], s[2:3], 0xdc
	s_add_u32 s2, s2, 24
	s_waitcnt lgkmcnt(0)
	v_mul_hi_u32 v6, s9, v3
	s_addc_u32 s3, s3, 0
	s_add_i32 s5, s5, -2
	s_cmp_lg_u32 s5, 0
	v_add_u32_e32 v6, v3, v6
	v_lshrrev_b32_e32 v6, s10, v6
	v_mul_lo_u32 v8, v6, s8
	v_mul_hi_u32 v11, s6, v6
	v_sub_u32_e32 v8, v3, v8
	v_add_u32_e32 v3, v6, v11
	v_lshrrev_b32_e32 v3, s7, v3
	v_mul_lo_u32 v16, v3, s11
	v_mul_lo_u32 v11, v8, s16
	;; [unrolled: 1-line block ×4, first 2 shown]
	v_sub_u32_e32 v6, v6, v16
	v_mul_lo_u32 v16, v6, s19
	v_mul_lo_u32 v18, v6, s14
	;; [unrolled: 1-line block ×3, first 2 shown]
	v_add3_u32 v20, v11, v20, v16
	v_add3_u32 v24, v13, v24, v18
	;; [unrolled: 1-line block ×3, first 2 shown]
	s_cbranch_scc1 .LBB141_155
; %bb.156:
	s_bitcmp1_b32 s4, 0
	s_cselect_b64 s[4:5], -1, 0
	s_and_b64 vcc, exec, s[4:5]
	s_cbranch_vccnz .LBB141_160
; %bb.157:
	s_load_dwordx2 s[4:5], s[2:3], 0x1c
	s_load_dword s8, s[2:3], 0x24
	s_load_dwordx2 s[6:7], s[2:3], 0xdc
	s_waitcnt lgkmcnt(0)
	v_mul_hi_u32 v6, s5, v3
	v_add_u32_e32 v6, v3, v6
	v_lshrrev_b32_e32 v6, s8, v6
	v_mul_lo_u32 v6, v6, s4
	s_load_dword s4, s[2:3], 0xe4
	v_sub_u32_e32 v3, v3, v6
	v_mad_u64_u32 v[20:21], s[2:3], v3, s6, v[20:21]
	v_mad_u64_u32 v[24:25], s[2:3], v3, s7, v[24:25]
	s_waitcnt lgkmcnt(0)
	v_mad_u64_u32 v[22:23], s[2:3], v3, s4, v[22:23]
	s_cbranch_execz .LBB141_161
	s_branch .LBB141_163
.LBB141_158:
                                        ; implicit-def: $vgpr20
                                        ; implicit-def: $vgpr24
                                        ; implicit-def: $vgpr22
	s_branch .LBB141_161
.LBB141_159:
	v_mov_b32_e32 v20, 0
	v_mov_b32_e32 v24, 0
	v_mov_b32_e32 v22, 0
.LBB141_160:
	s_cbranch_execnz .LBB141_163
.LBB141_161:
	s_load_dwordx4 s[4:7], s[12:13], 0x4
	s_load_dwordx4 s[8:11], s[12:13], 0xc4
	s_cmp_lt_u32 s33, 2
	s_waitcnt lgkmcnt(0)
	v_mul_hi_u32 v3, s5, v1
	v_add_u32_e32 v3, v1, v3
	v_lshrrev_b32_e32 v3, s6, v3
	v_mul_lo_u32 v6, v3, s4
	v_sub_u32_e32 v1, v1, v6
	v_mul_lo_u32 v20, v1, s8
	v_mul_lo_u32 v24, v1, s9
	;; [unrolled: 1-line block ×3, first 2 shown]
	s_cbranch_scc1 .LBB141_163
; %bb.162:
	s_load_dwordx4 s[4:7], s[12:13], 0x10
	s_load_dwordx4 s[8:11], s[12:13], 0xd0
	s_waitcnt lgkmcnt(0)
	v_mul_hi_u32 v1, s5, v3
	v_add_u32_e32 v1, v3, v1
	v_lshrrev_b32_e32 v1, s6, v1
	v_mul_lo_u32 v1, v1, s4
	v_sub_u32_e32 v1, v3, v1
	v_mad_u64_u32 v[20:21], s[2:3], v1, s8, v[20:21]
	v_mad_u64_u32 v[24:25], s[2:3], v1, s9, v[24:25]
	;; [unrolled: 1-line block ×3, first 2 shown]
.LBB141_163:
	s_and_b64 vcc, exec, s[0:1]
	v_add_u32_e32 v1, 0x280, v31
	s_cbranch_vccnz .LBB141_169
; %bb.164:
	s_cmp_lg_u32 s33, 0
	s_cbranch_scc0 .LBB141_170
; %bb.165:
	s_min_u32 s4, s34, 15
	s_add_i32 s2, s4, 1
	s_and_b32 s5, s2, 30
	s_add_u32 s2, s12, 0xffffffe8
	s_addc_u32 s3, s13, -1
	v_mov_b32_e32 v27, 0
	v_mov_b32_e32 v29, 0
	;; [unrolled: 1-line block ×4, first 2 shown]
.LBB141_166:                            ; =>This Inner Loop Header: Depth=1
	s_load_dwordx4 s[8:11], s[2:3], 0x1c
	s_load_dwordx2 s[6:7], s[2:3], 0x2c
	s_load_dwordx2 s[14:15], s[2:3], 0xec
	s_load_dwordx4 s[16:19], s[2:3], 0xdc
	s_add_u32 s2, s2, 24
	s_waitcnt lgkmcnt(0)
	v_mul_hi_u32 v6, s9, v3
	s_addc_u32 s3, s3, 0
	s_add_i32 s5, s5, -2
	s_cmp_lg_u32 s5, 0
	v_add_u32_e32 v6, v3, v6
	v_lshrrev_b32_e32 v6, s10, v6
	v_mul_lo_u32 v8, v6, s8
	v_mul_hi_u32 v11, s6, v6
	v_sub_u32_e32 v8, v3, v8
	v_add_u32_e32 v3, v6, v11
	v_lshrrev_b32_e32 v3, s7, v3
	v_mul_lo_u32 v16, v3, s11
	v_mul_lo_u32 v11, v8, s16
	;; [unrolled: 1-line block ×4, first 2 shown]
	v_sub_u32_e32 v6, v6, v16
	v_mul_lo_u32 v16, v6, s19
	v_mul_lo_u32 v18, v6, s14
	;; [unrolled: 1-line block ×3, first 2 shown]
	v_add3_u32 v25, v11, v25, v16
	v_add3_u32 v29, v13, v29, v18
	;; [unrolled: 1-line block ×3, first 2 shown]
	s_cbranch_scc1 .LBB141_166
; %bb.167:
	s_bitcmp1_b32 s4, 0
	s_cselect_b64 s[4:5], -1, 0
	s_and_b64 vcc, exec, s[4:5]
	s_cbranch_vccnz .LBB141_171
; %bb.168:
	s_load_dwordx2 s[4:5], s[2:3], 0x1c
	s_load_dword s8, s[2:3], 0x24
	s_load_dwordx2 s[6:7], s[2:3], 0xdc
	s_waitcnt lgkmcnt(0)
	v_mul_hi_u32 v6, s5, v3
	v_add_u32_e32 v6, v3, v6
	v_lshrrev_b32_e32 v6, s8, v6
	v_mul_lo_u32 v6, v6, s4
	s_load_dword s4, s[2:3], 0xe4
	v_sub_u32_e32 v3, v3, v6
	v_mad_u64_u32 v[25:26], s[2:3], v3, s6, v[25:26]
	v_mad_u64_u32 v[29:30], s[2:3], v3, s7, v[29:30]
	s_waitcnt lgkmcnt(0)
	v_mad_u64_u32 v[27:28], s[2:3], v3, s4, v[27:28]
	s_cbranch_execz .LBB141_172
	s_branch .LBB141_174
.LBB141_169:
                                        ; implicit-def: $vgpr25
                                        ; implicit-def: $vgpr29
                                        ; implicit-def: $vgpr27
	s_branch .LBB141_172
.LBB141_170:
	v_mov_b32_e32 v25, 0
	v_mov_b32_e32 v29, 0
	;; [unrolled: 1-line block ×3, first 2 shown]
.LBB141_171:
	s_cbranch_execnz .LBB141_174
.LBB141_172:
	s_load_dwordx4 s[4:7], s[12:13], 0x4
	s_load_dwordx4 s[8:11], s[12:13], 0xc4
	s_cmp_lt_u32 s33, 2
	s_waitcnt lgkmcnt(0)
	v_mul_hi_u32 v3, s5, v1
	v_add_u32_e32 v3, v1, v3
	v_lshrrev_b32_e32 v3, s6, v3
	v_mul_lo_u32 v6, v3, s4
	v_sub_u32_e32 v1, v1, v6
	v_mul_lo_u32 v25, v1, s8
	v_mul_lo_u32 v29, v1, s9
	;; [unrolled: 1-line block ×3, first 2 shown]
	s_cbranch_scc1 .LBB141_174
; %bb.173:
	s_load_dwordx4 s[4:7], s[12:13], 0x10
	s_load_dwordx4 s[8:11], s[12:13], 0xd0
	s_waitcnt lgkmcnt(0)
	v_mul_hi_u32 v1, s5, v3
	v_add_u32_e32 v1, v3, v1
	v_lshrrev_b32_e32 v1, s6, v1
	v_mul_lo_u32 v1, v1, s4
	v_sub_u32_e32 v1, v3, v1
	v_mad_u64_u32 v[25:26], s[2:3], v1, s8, v[25:26]
	v_mad_u64_u32 v[29:30], s[2:3], v1, s9, v[29:30]
	;; [unrolled: 1-line block ×3, first 2 shown]
.LBB141_174:
	s_and_b64 vcc, exec, s[0:1]
	v_add_u32_e32 v1, 0x300, v31
	s_cbranch_vccnz .LBB141_180
; %bb.175:
	s_cmp_lg_u32 s33, 0
	s_cbranch_scc0 .LBB141_181
; %bb.176:
	s_min_u32 s4, s34, 15
	s_add_i32 s2, s4, 1
	s_and_b32 s5, s2, 30
	s_add_u32 s2, s12, 0xffffffe8
	s_addc_u32 s3, s13, -1
	v_mov_b32_e32 v32, 0
	v_mov_b32_e32 v34, 0
	;; [unrolled: 1-line block ×4, first 2 shown]
.LBB141_177:                            ; =>This Inner Loop Header: Depth=1
	s_load_dwordx4 s[8:11], s[2:3], 0x1c
	s_load_dwordx2 s[6:7], s[2:3], 0x2c
	s_load_dwordx2 s[14:15], s[2:3], 0xec
	s_load_dwordx4 s[16:19], s[2:3], 0xdc
	s_add_u32 s2, s2, 24
	s_waitcnt lgkmcnt(0)
	v_mul_hi_u32 v6, s9, v3
	s_addc_u32 s3, s3, 0
	s_add_i32 s5, s5, -2
	s_cmp_lg_u32 s5, 0
	v_add_u32_e32 v6, v3, v6
	v_lshrrev_b32_e32 v6, s10, v6
	v_mul_lo_u32 v8, v6, s8
	v_mul_hi_u32 v11, s6, v6
	v_sub_u32_e32 v8, v3, v8
	v_add_u32_e32 v3, v6, v11
	v_lshrrev_b32_e32 v3, s7, v3
	v_mul_lo_u32 v16, v3, s11
	v_mul_lo_u32 v11, v8, s16
	;; [unrolled: 1-line block ×4, first 2 shown]
	v_sub_u32_e32 v6, v6, v16
	v_mul_lo_u32 v16, v6, s19
	v_mul_lo_u32 v18, v6, s14
	;; [unrolled: 1-line block ×3, first 2 shown]
	v_add3_u32 v30, v11, v30, v16
	v_add3_u32 v34, v13, v34, v18
	;; [unrolled: 1-line block ×3, first 2 shown]
	s_cbranch_scc1 .LBB141_177
; %bb.178:
	s_bitcmp1_b32 s4, 0
	s_cselect_b64 s[4:5], -1, 0
	s_and_b64 vcc, exec, s[4:5]
	s_cbranch_vccnz .LBB141_182
; %bb.179:
	s_load_dwordx2 s[4:5], s[2:3], 0x1c
	s_load_dword s8, s[2:3], 0x24
	s_load_dwordx2 s[6:7], s[2:3], 0xdc
	s_waitcnt lgkmcnt(0)
	v_mul_hi_u32 v6, s5, v3
	v_add_u32_e32 v6, v3, v6
	v_lshrrev_b32_e32 v6, s8, v6
	v_mul_lo_u32 v6, v6, s4
	s_load_dword s4, s[2:3], 0xe4
	v_sub_u32_e32 v3, v3, v6
	v_mad_u64_u32 v[30:31], s[2:3], v3, s6, v[30:31]
	v_mad_u64_u32 v[34:35], s[2:3], v3, s7, v[34:35]
	s_waitcnt lgkmcnt(0)
	v_mad_u64_u32 v[32:33], s[2:3], v3, s4, v[32:33]
	s_cbranch_execz .LBB141_183
	s_branch .LBB141_185
.LBB141_180:
                                        ; implicit-def: $vgpr30
                                        ; implicit-def: $vgpr34
                                        ; implicit-def: $vgpr32
	s_branch .LBB141_183
.LBB141_181:
	v_mov_b32_e32 v30, 0
	v_mov_b32_e32 v34, 0
	;; [unrolled: 1-line block ×3, first 2 shown]
.LBB141_182:
	s_cbranch_execnz .LBB141_185
.LBB141_183:
	s_load_dwordx4 s[4:7], s[12:13], 0x4
	s_load_dwordx4 s[8:11], s[12:13], 0xc4
	s_cmp_lt_u32 s33, 2
	s_waitcnt lgkmcnt(0)
	v_mul_hi_u32 v3, s5, v1
	v_add_u32_e32 v3, v1, v3
	v_lshrrev_b32_e32 v3, s6, v3
	v_mul_lo_u32 v6, v3, s4
	v_sub_u32_e32 v1, v1, v6
	v_mul_lo_u32 v30, v1, s8
	v_mul_lo_u32 v34, v1, s9
	;; [unrolled: 1-line block ×3, first 2 shown]
	s_cbranch_scc1 .LBB141_185
; %bb.184:
	s_load_dwordx4 s[4:7], s[12:13], 0x10
	s_load_dwordx4 s[8:11], s[12:13], 0xd0
	s_waitcnt lgkmcnt(0)
	v_mul_hi_u32 v1, s5, v3
	v_add_u32_e32 v1, v3, v1
	v_lshrrev_b32_e32 v1, s6, v1
	v_mul_lo_u32 v1, v1, s4
	v_sub_u32_e32 v1, v3, v1
	v_mad_u64_u32 v[30:31], s[2:3], v1, s8, v[30:31]
	v_mad_u64_u32 v[34:35], s[2:3], v1, s9, v[34:35]
	;; [unrolled: 1-line block ×3, first 2 shown]
.LBB141_185:
	s_and_b64 vcc, exec, s[0:1]
	s_cbranch_vccnz .LBB141_191
; %bb.186:
	s_cmp_lg_u32 s33, 0
	s_cbranch_scc0 .LBB141_192
; %bb.187:
	s_min_u32 s2, s34, 15
	s_add_i32 s0, s2, 1
	s_and_b32 s3, s0, 30
	s_add_u32 s0, s12, 0xffffffe8
	s_addc_u32 s1, s13, -1
	v_mov_b32_e32 v37, 0
	v_mov_b32_e32 v39, 0
	;; [unrolled: 1-line block ×4, first 2 shown]
.LBB141_188:                            ; =>This Inner Loop Header: Depth=1
	s_load_dwordx4 s[4:7], s[0:1], 0x1c
	s_load_dwordx2 s[14:15], s[0:1], 0x2c
	s_load_dwordx2 s[16:17], s[0:1], 0xec
	s_load_dwordx4 s[8:11], s[0:1], 0xdc
	s_add_u32 s0, s0, 24
	s_waitcnt lgkmcnt(0)
	v_mul_hi_u32 v3, s5, v1
	s_addc_u32 s1, s1, 0
	s_add_i32 s3, s3, -2
	s_cmp_lg_u32 s3, 0
	v_add_u32_e32 v3, v1, v3
	v_lshrrev_b32_e32 v3, s6, v3
	v_mul_lo_u32 v6, v3, s4
	v_mul_hi_u32 v8, s14, v3
	v_sub_u32_e32 v6, v1, v6
	v_add_u32_e32 v1, v3, v8
	v_lshrrev_b32_e32 v1, s15, v1
	v_mul_lo_u32 v13, v1, s7
	v_mul_lo_u32 v8, v6, s8
	;; [unrolled: 1-line block ×4, first 2 shown]
	v_sub_u32_e32 v3, v3, v13
	v_mul_lo_u32 v13, v3, s11
	v_mul_lo_u32 v16, v3, s16
	v_mul_lo_u32 v3, v3, s17
	v_add3_u32 v35, v8, v35, v13
	v_add3_u32 v39, v11, v39, v16
	;; [unrolled: 1-line block ×3, first 2 shown]
	s_cbranch_scc1 .LBB141_188
; %bb.189:
	s_bitcmp1_b32 s2, 0
	s_cselect_b64 s[2:3], -1, 0
	s_and_b64 vcc, exec, s[2:3]
	s_cbranch_vccnz .LBB141_193
; %bb.190:
	s_load_dwordx2 s[2:3], s[0:1], 0x1c
	s_load_dword s6, s[0:1], 0x24
	s_load_dwordx2 s[4:5], s[0:1], 0xdc
	s_waitcnt lgkmcnt(0)
	v_mul_hi_u32 v3, s3, v1
	v_add_u32_e32 v3, v1, v3
	v_lshrrev_b32_e32 v3, s6, v3
	v_mul_lo_u32 v3, v3, s2
	s_load_dword s2, s[0:1], 0xe4
	v_sub_u32_e32 v1, v1, v3
	v_mad_u64_u32 v[35:36], s[0:1], v1, s4, v[35:36]
	v_mad_u64_u32 v[39:40], s[0:1], v1, s5, v[39:40]
	s_waitcnt lgkmcnt(0)
	v_mad_u64_u32 v[37:38], s[0:1], v1, s2, v[37:38]
	s_cbranch_execz .LBB141_194
	s_branch .LBB141_196
.LBB141_191:
                                        ; implicit-def: $vgpr35
                                        ; implicit-def: $vgpr39
                                        ; implicit-def: $vgpr37
	s_branch .LBB141_194
.LBB141_192:
	v_mov_b32_e32 v35, 0
	v_mov_b32_e32 v39, 0
	;; [unrolled: 1-line block ×3, first 2 shown]
.LBB141_193:
	s_cbranch_execnz .LBB141_196
.LBB141_194:
	s_load_dwordx4 s[0:3], s[12:13], 0x4
	s_load_dwordx4 s[4:7], s[12:13], 0xc4
	s_cmp_lt_u32 s33, 2
	s_waitcnt lgkmcnt(0)
	v_mul_hi_u32 v1, s1, v41
	v_add_u32_e32 v1, v41, v1
	v_lshrrev_b32_e32 v1, s2, v1
	v_mul_lo_u32 v3, v1, s0
	v_sub_u32_e32 v3, v41, v3
	v_mul_lo_u32 v35, v3, s4
	v_mul_lo_u32 v39, v3, s5
	;; [unrolled: 1-line block ×3, first 2 shown]
	s_cbranch_scc1 .LBB141_196
; %bb.195:
	s_load_dwordx4 s[0:3], s[12:13], 0x10
	s_load_dwordx4 s[4:7], s[12:13], 0xd0
	s_waitcnt lgkmcnt(0)
	v_mul_hi_u32 v3, s1, v1
	v_add_u32_e32 v3, v1, v3
	v_lshrrev_b32_e32 v3, s2, v3
	v_mul_lo_u32 v3, v3, s0
	v_sub_u32_e32 v1, v1, v3
	v_mad_u64_u32 v[35:36], s[0:1], v1, s4, v[35:36]
	v_mad_u64_u32 v[39:40], s[0:1], v1, s5, v[39:40]
	v_mad_u64_u32 v[37:38], s[0:1], v1, s6, v[37:38]
.LBB141_196:
	s_load_dwordx4 s[0:3], s[12:13], 0x188
	s_load_dwordx2 s[4:5], s[12:13], 0x198
	s_waitcnt lgkmcnt(0)
	global_load_ubyte v1, v2, s[2:3]
	global_load_ubyte v3, v4, s[4:5]
	;; [unrolled: 1-line block ×8, first 2 shown]
                                        ; kill: killed $vgpr4
                                        ; kill: killed $vgpr14
                                        ; kill: killed $vgpr9
                                        ; kill: killed $vgpr19
                                        ; kill: killed $vgpr12
                                        ; kill: killed $vgpr17
                                        ; kill: killed $vgpr2
                                        ; kill: killed $vgpr7
	global_load_ubyte v2, v24, s[2:3]
	global_load_ubyte v4, v22, s[4:5]
	;; [unrolled: 1-line block ×8, first 2 shown]
	s_waitcnt vmcnt(14)
	v_lshrrev_b16_e32 v1, v3, v1
	v_cmp_gt_u32_e32 vcc, 8, v3
	s_waitcnt vmcnt(12)
	v_lshrrev_b16_e32 v6, v8, v6
	v_cndmask_b32_e32 v1, 0, v1, vcc
	v_cmp_gt_u32_e32 vcc, 8, v8
	s_waitcnt vmcnt(10)
	v_lshrrev_b16_e32 v11, v13, v11
	v_cndmask_b32_e32 v3, 0, v6, vcc
	;; [unrolled: 4-line block ×3, first 2 shown]
	v_cmp_gt_u32_e32 vcc, 8, v18
	v_cndmask_b32_e32 v8, 0, v16, vcc
	s_waitcnt vmcnt(6)
	v_lshrrev_b16_e32 v2, v4, v2
	v_cmp_gt_u32_e32 vcc, 8, v4
	s_waitcnt vmcnt(4)
	v_lshrrev_b16_e32 v7, v9, v7
	v_cndmask_b32_e32 v2, 0, v2, vcc
	v_cmp_gt_u32_e32 vcc, 8, v9
	s_waitcnt vmcnt(2)
	v_lshrrev_b16_e32 v12, v14, v12
	v_cndmask_b32_e32 v4, 0, v7, vcc
	;; [unrolled: 4-line block ×3, first 2 shown]
	v_cmp_gt_u32_e32 vcc, 8, v19
	v_cndmask_b32_e32 v9, 0, v17, vcc
	global_store_byte v0, v1, s[0:1]
	global_store_byte v5, v3, s[0:1]
	;; [unrolled: 1-line block ×8, first 2 shown]
	s_endpgm
	.section	.rodata,"a",@progbits
	.p2align	6, 0x0
	.amdhsa_kernel _ZN2at6native32elementwise_kernel_manual_unrollILi128ELi8EZNS0_22gpu_kernel_impl_nocastINS0_13BinaryFunctorIhhhZZZNS0_18rshift_kernel_cudaERNS_18TensorIteratorBaseEENKUlvE_clEvENKUlvE_clEvEUlhhE_EEEEvS5_RKT_EUlibE_EEviT1_
		.amdhsa_group_segment_fixed_size 0
		.amdhsa_private_segment_fixed_size 0
		.amdhsa_kernarg_size 432
		.amdhsa_user_sgpr_count 6
		.amdhsa_user_sgpr_private_segment_buffer 1
		.amdhsa_user_sgpr_dispatch_ptr 0
		.amdhsa_user_sgpr_queue_ptr 0
		.amdhsa_user_sgpr_kernarg_segment_ptr 1
		.amdhsa_user_sgpr_dispatch_id 0
		.amdhsa_user_sgpr_flat_scratch_init 0
		.amdhsa_user_sgpr_private_segment_size 0
		.amdhsa_uses_dynamic_stack 0
		.amdhsa_system_sgpr_private_segment_wavefront_offset 0
		.amdhsa_system_sgpr_workgroup_id_x 1
		.amdhsa_system_sgpr_workgroup_id_y 0
		.amdhsa_system_sgpr_workgroup_id_z 0
		.amdhsa_system_sgpr_workgroup_info 0
		.amdhsa_system_vgpr_workitem_id 0
		.amdhsa_next_free_vgpr 42
		.amdhsa_next_free_sgpr 50
		.amdhsa_reserve_vcc 1
		.amdhsa_reserve_flat_scratch 0
		.amdhsa_float_round_mode_32 0
		.amdhsa_float_round_mode_16_64 0
		.amdhsa_float_denorm_mode_32 3
		.amdhsa_float_denorm_mode_16_64 3
		.amdhsa_dx10_clamp 1
		.amdhsa_ieee_mode 1
		.amdhsa_fp16_overflow 0
		.amdhsa_exception_fp_ieee_invalid_op 0
		.amdhsa_exception_fp_denorm_src 0
		.amdhsa_exception_fp_ieee_div_zero 0
		.amdhsa_exception_fp_ieee_overflow 0
		.amdhsa_exception_fp_ieee_underflow 0
		.amdhsa_exception_fp_ieee_inexact 0
		.amdhsa_exception_int_div_zero 0
	.end_amdhsa_kernel
	.section	.text._ZN2at6native32elementwise_kernel_manual_unrollILi128ELi8EZNS0_22gpu_kernel_impl_nocastINS0_13BinaryFunctorIhhhZZZNS0_18rshift_kernel_cudaERNS_18TensorIteratorBaseEENKUlvE_clEvENKUlvE_clEvEUlhhE_EEEEvS5_RKT_EUlibE_EEviT1_,"axG",@progbits,_ZN2at6native32elementwise_kernel_manual_unrollILi128ELi8EZNS0_22gpu_kernel_impl_nocastINS0_13BinaryFunctorIhhhZZZNS0_18rshift_kernel_cudaERNS_18TensorIteratorBaseEENKUlvE_clEvENKUlvE_clEvEUlhhE_EEEEvS5_RKT_EUlibE_EEviT1_,comdat
.Lfunc_end141:
	.size	_ZN2at6native32elementwise_kernel_manual_unrollILi128ELi8EZNS0_22gpu_kernel_impl_nocastINS0_13BinaryFunctorIhhhZZZNS0_18rshift_kernel_cudaERNS_18TensorIteratorBaseEENKUlvE_clEvENKUlvE_clEvEUlhhE_EEEEvS5_RKT_EUlibE_EEviT1_, .Lfunc_end141-_ZN2at6native32elementwise_kernel_manual_unrollILi128ELi8EZNS0_22gpu_kernel_impl_nocastINS0_13BinaryFunctorIhhhZZZNS0_18rshift_kernel_cudaERNS_18TensorIteratorBaseEENKUlvE_clEvENKUlvE_clEvEUlhhE_EEEEvS5_RKT_EUlibE_EEviT1_
                                        ; -- End function
	.set _ZN2at6native32elementwise_kernel_manual_unrollILi128ELi8EZNS0_22gpu_kernel_impl_nocastINS0_13BinaryFunctorIhhhZZZNS0_18rshift_kernel_cudaERNS_18TensorIteratorBaseEENKUlvE_clEvENKUlvE_clEvEUlhhE_EEEEvS5_RKT_EUlibE_EEviT1_.num_vgpr, 42
	.set _ZN2at6native32elementwise_kernel_manual_unrollILi128ELi8EZNS0_22gpu_kernel_impl_nocastINS0_13BinaryFunctorIhhhZZZNS0_18rshift_kernel_cudaERNS_18TensorIteratorBaseEENKUlvE_clEvENKUlvE_clEvEUlhhE_EEEEvS5_RKT_EUlibE_EEviT1_.num_agpr, 0
	.set _ZN2at6native32elementwise_kernel_manual_unrollILi128ELi8EZNS0_22gpu_kernel_impl_nocastINS0_13BinaryFunctorIhhhZZZNS0_18rshift_kernel_cudaERNS_18TensorIteratorBaseEENKUlvE_clEvENKUlvE_clEvEUlhhE_EEEEvS5_RKT_EUlibE_EEviT1_.numbered_sgpr, 50
	.set _ZN2at6native32elementwise_kernel_manual_unrollILi128ELi8EZNS0_22gpu_kernel_impl_nocastINS0_13BinaryFunctorIhhhZZZNS0_18rshift_kernel_cudaERNS_18TensorIteratorBaseEENKUlvE_clEvENKUlvE_clEvEUlhhE_EEEEvS5_RKT_EUlibE_EEviT1_.num_named_barrier, 0
	.set _ZN2at6native32elementwise_kernel_manual_unrollILi128ELi8EZNS0_22gpu_kernel_impl_nocastINS0_13BinaryFunctorIhhhZZZNS0_18rshift_kernel_cudaERNS_18TensorIteratorBaseEENKUlvE_clEvENKUlvE_clEvEUlhhE_EEEEvS5_RKT_EUlibE_EEviT1_.private_seg_size, 0
	.set _ZN2at6native32elementwise_kernel_manual_unrollILi128ELi8EZNS0_22gpu_kernel_impl_nocastINS0_13BinaryFunctorIhhhZZZNS0_18rshift_kernel_cudaERNS_18TensorIteratorBaseEENKUlvE_clEvENKUlvE_clEvEUlhhE_EEEEvS5_RKT_EUlibE_EEviT1_.uses_vcc, 1
	.set _ZN2at6native32elementwise_kernel_manual_unrollILi128ELi8EZNS0_22gpu_kernel_impl_nocastINS0_13BinaryFunctorIhhhZZZNS0_18rshift_kernel_cudaERNS_18TensorIteratorBaseEENKUlvE_clEvENKUlvE_clEvEUlhhE_EEEEvS5_RKT_EUlibE_EEviT1_.uses_flat_scratch, 0
	.set _ZN2at6native32elementwise_kernel_manual_unrollILi128ELi8EZNS0_22gpu_kernel_impl_nocastINS0_13BinaryFunctorIhhhZZZNS0_18rshift_kernel_cudaERNS_18TensorIteratorBaseEENKUlvE_clEvENKUlvE_clEvEUlhhE_EEEEvS5_RKT_EUlibE_EEviT1_.has_dyn_sized_stack, 0
	.set _ZN2at6native32elementwise_kernel_manual_unrollILi128ELi8EZNS0_22gpu_kernel_impl_nocastINS0_13BinaryFunctorIhhhZZZNS0_18rshift_kernel_cudaERNS_18TensorIteratorBaseEENKUlvE_clEvENKUlvE_clEvEUlhhE_EEEEvS5_RKT_EUlibE_EEviT1_.has_recursion, 0
	.set _ZN2at6native32elementwise_kernel_manual_unrollILi128ELi8EZNS0_22gpu_kernel_impl_nocastINS0_13BinaryFunctorIhhhZZZNS0_18rshift_kernel_cudaERNS_18TensorIteratorBaseEENKUlvE_clEvENKUlvE_clEvEUlhhE_EEEEvS5_RKT_EUlibE_EEviT1_.has_indirect_call, 0
	.section	.AMDGPU.csdata,"",@progbits
; Kernel info:
; codeLenInByte = 9316
; TotalNumSgprs: 54
; NumVgprs: 42
; ScratchSize: 0
; MemoryBound: 0
; FloatMode: 240
; IeeeMode: 1
; LDSByteSize: 0 bytes/workgroup (compile time only)
; SGPRBlocks: 6
; VGPRBlocks: 10
; NumSGPRsForWavesPerEU: 54
; NumVGPRsForWavesPerEU: 42
; Occupancy: 5
; WaveLimiterHint : 1
; COMPUTE_PGM_RSRC2:SCRATCH_EN: 0
; COMPUTE_PGM_RSRC2:USER_SGPR: 6
; COMPUTE_PGM_RSRC2:TRAP_HANDLER: 0
; COMPUTE_PGM_RSRC2:TGID_X_EN: 1
; COMPUTE_PGM_RSRC2:TGID_Y_EN: 0
; COMPUTE_PGM_RSRC2:TGID_Z_EN: 0
; COMPUTE_PGM_RSRC2:TIDIG_COMP_CNT: 0
	.section	.text._ZN2at6native32elementwise_kernel_manual_unrollILi128ELi4EZNS0_15gpu_kernel_implINS0_13BinaryFunctorIhhhZZZNS0_18rshift_kernel_cudaERNS_18TensorIteratorBaseEENKUlvE_clEvENKUlvE_clEvEUlhhE_EEEEvS5_RKT_EUlibE_EEviT1_,"axG",@progbits,_ZN2at6native32elementwise_kernel_manual_unrollILi128ELi4EZNS0_15gpu_kernel_implINS0_13BinaryFunctorIhhhZZZNS0_18rshift_kernel_cudaERNS_18TensorIteratorBaseEENKUlvE_clEvENKUlvE_clEvEUlhhE_EEEEvS5_RKT_EUlibE_EEviT1_,comdat
	.globl	_ZN2at6native32elementwise_kernel_manual_unrollILi128ELi4EZNS0_15gpu_kernel_implINS0_13BinaryFunctorIhhhZZZNS0_18rshift_kernel_cudaERNS_18TensorIteratorBaseEENKUlvE_clEvENKUlvE_clEvEUlhhE_EEEEvS5_RKT_EUlibE_EEviT1_ ; -- Begin function _ZN2at6native32elementwise_kernel_manual_unrollILi128ELi4EZNS0_15gpu_kernel_implINS0_13BinaryFunctorIhhhZZZNS0_18rshift_kernel_cudaERNS_18TensorIteratorBaseEENKUlvE_clEvENKUlvE_clEvEUlhhE_EEEEvS5_RKT_EUlibE_EEviT1_
	.p2align	8
	.type	_ZN2at6native32elementwise_kernel_manual_unrollILi128ELi4EZNS0_15gpu_kernel_implINS0_13BinaryFunctorIhhhZZZNS0_18rshift_kernel_cudaERNS_18TensorIteratorBaseEENKUlvE_clEvENKUlvE_clEvEUlhhE_EEEEvS5_RKT_EUlibE_EEviT1_,@function
_ZN2at6native32elementwise_kernel_manual_unrollILi128ELi4EZNS0_15gpu_kernel_implINS0_13BinaryFunctorIhhhZZZNS0_18rshift_kernel_cudaERNS_18TensorIteratorBaseEENKUlvE_clEvENKUlvE_clEvEUlhhE_EEEEvS5_RKT_EUlibE_EEviT1_: ; @_ZN2at6native32elementwise_kernel_manual_unrollILi128ELi4EZNS0_15gpu_kernel_implINS0_13BinaryFunctorIhhhZZZNS0_18rshift_kernel_cudaERNS_18TensorIteratorBaseEENKUlvE_clEvENKUlvE_clEvEUlhhE_EEEEvS5_RKT_EUlibE_EEviT1_
; %bb.0:
	v_mov_b32_e32 v1, 0
	global_load_ushort v2, v1, s[4:5] offset:45
	global_load_sbyte v3, v1, s[4:5] offset:47
	s_load_dword s48, s[4:5], 0x0
	s_load_dwordx4 s[8:11], s[4:5], 0x8
	s_load_dwordx2 s[2:3], s[4:5], 0x18
	s_load_dwordx4 s[12:15], s[4:5], 0x20
	v_lshl_or_b32 v11, s6, 9, v0
	v_or_b32_e32 v0, 0x180, v11
	s_mov_b64 s[16:17], 0
	s_waitcnt lgkmcnt(0)
	v_cmp_le_i32_e32 vcc, s48, v0
	s_mov_b64 s[6:7], 0
	s_waitcnt vmcnt(1)
	v_readfirstlane_b32 s33, v2
	s_waitcnt vmcnt(0)
	v_readfirstlane_b32 s15, v3
	s_lshr_b32 s54, s33, 8
	s_and_saveexec_b64 s[0:1], vcc
	s_xor_b64 s[4:5], exec, s[0:1]
	s_cbranch_execz .LBB142_1512
; %bb.1:
	v_cmp_gt_i32_e32 vcc, s48, v11
	s_mov_b64 s[0:1], -1
	s_mov_b64 s[26:27], 0
	s_mov_b64 s[20:21], 0
	;; [unrolled: 1-line block ×3, first 2 shown]
	s_and_saveexec_b64 s[22:23], vcc
	s_cbranch_execz .LBB142_375
; %bb.2:
	v_mul_lo_u32 v0, v11, s13
	v_mov_b32_e32 v1, s11
	s_and_b32 s18, s54, 0xff
	s_cmp_lt_i32 s18, 11
	v_ashrrev_i32_e32 v3, 31, v0
	v_add_co_u32_e32 v2, vcc, s10, v0
	v_addc_co_u32_e32 v3, vcc, v1, v3, vcc
	s_cbranch_scc1 .LBB142_9
; %bb.3:
	s_and_b32 s19, 0xffff, s18
	s_cmp_gt_i32 s19, 25
	s_cbranch_scc0 .LBB142_18
; %bb.4:
	s_cmp_gt_i32 s19, 28
	s_cbranch_scc0 .LBB142_28
; %bb.5:
	;; [unrolled: 3-line block ×4, first 2 shown]
	s_cmp_eq_u32 s19, 46
	s_cbranch_scc0 .LBB142_37
; %bb.8:
	global_load_dword v0, v[2:3], off
	s_mov_b32 s0, 0x2f800000
	s_mov_b32 s1, 0xcf800000
	s_waitcnt vmcnt(0)
	v_lshlrev_b32_e32 v0, 16, v0
	v_trunc_f32_e32 v0, v0
	v_mul_f32_e64 v1, |v0|, s0
	v_floor_f32_e32 v1, v1
	v_fma_f32 v1, v1, s1, |v0|
	v_cvt_u32_f32_e32 v1, v1
	v_ashrrev_i32_e32 v0, 31, v0
	s_mov_b64 s[0:1], -1
	v_xor_b32_e32 v1, v1, v0
	v_sub_u32_e32 v0, v1, v0
	s_branch .LBB142_39
.LBB142_9:
                                        ; implicit-def: $vgpr0
	s_mov_b64 s[0:1], 0
	s_cbranch_execnz .LBB142_101
.LBB142_10:
	s_andn2_b64 vcc, exec, s[0:1]
	s_cbranch_vccnz .LBB142_148
.LBB142_11:
	s_waitcnt vmcnt(0)
	v_mul_lo_u32 v1, v11, s14
	v_mov_b32_e32 v2, s3
	s_and_b32 s24, s15, 0xff
	s_cmp_lt_i32 s24, 11
	v_ashrrev_i32_e32 v3, 31, v1
	v_add_co_u32_e32 v1, vcc, s2, v1
	v_addc_co_u32_e32 v2, vcc, v2, v3, vcc
	s_cbranch_scc1 .LBB142_19
; %bb.12:
	s_and_b32 s25, 0xffff, s24
	s_cmp_gt_i32 s25, 25
	s_cbranch_scc0 .LBB142_29
; %bb.13:
	s_cmp_gt_i32 s25, 28
	s_cbranch_scc0 .LBB142_32
; %bb.14:
	s_cmp_gt_i32 s25, 43
	s_cbranch_scc0 .LBB142_35
; %bb.15:
	s_cmp_gt_i32 s25, 45
	s_cbranch_scc0 .LBB142_42
; %bb.16:
	s_cmp_eq_u32 s25, 46
	s_mov_b64 s[6:7], 0
	s_cbranch_scc0 .LBB142_149
; %bb.17:
	global_load_dword v3, v[1:2], off
	s_mov_b32 s0, 0x2f800000
	s_mov_b32 s1, 0xcf800000
	s_mov_b64 s[18:19], 0
	s_waitcnt vmcnt(0)
	v_lshlrev_b32_e32 v3, 16, v3
	v_trunc_f32_e32 v3, v3
	v_mul_f32_e64 v4, |v3|, s0
	v_floor_f32_e32 v4, v4
	v_fma_f32 v4, v4, s1, |v3|
	v_cvt_u32_f32_e32 v4, v4
	v_ashrrev_i32_e32 v3, 31, v3
	s_mov_b64 s[0:1], -1
	v_xor_b32_e32 v4, v4, v3
	v_sub_u32_e32 v3, v4, v3
	s_branch .LBB142_151
.LBB142_18:
	s_mov_b64 s[0:1], 0
                                        ; implicit-def: $vgpr0
	s_cbranch_execnz .LBB142_68
	s_branch .LBB142_100
.LBB142_19:
	s_mov_b64 s[18:19], 0
                                        ; implicit-def: $vgpr3
	s_mov_b64 s[0:1], 0
	s_cbranch_execnz .LBB142_324
.LBB142_20:
	s_andn2_b64 vcc, exec, s[0:1]
	s_cbranch_vccnz .LBB142_372
.LBB142_21:
	v_mul_lo_u32 v1, v11, s12
	v_mov_b32_e32 v2, 8
	s_waitcnt vmcnt(0)
	v_lshrrev_b16_sdwa v0, v3, v0 dst_sel:DWORD dst_unused:UNUSED_PAD src0_sel:BYTE_0 src1_sel:BYTE_0
	v_cmp_lt_u16_sdwa vcc, v3, v2 src0_sel:BYTE_0 src1_sel:DWORD
	v_cndmask_b32_e32 v2, 0, v0, vcc
	v_ashrrev_i32_e32 v3, 31, v1
	v_mov_b32_e32 v4, s9
	s_and_b32 s30, s33, 0xff
	v_add_co_u32_e32 v0, vcc, s8, v1
	s_cmp_lt_i32 s30, 11
	v_addc_co_u32_e32 v1, vcc, v4, v3, vcc
	s_cbranch_scc1 .LBB142_30
; %bb.22:
	s_and_b32 s31, 0xffff, s30
	s_cmp_gt_i32 s31, 25
	s_cbranch_scc0 .LBB142_33
; %bb.23:
	s_cmp_gt_i32 s31, 28
	s_cbranch_scc0 .LBB142_36
; %bb.24:
	;; [unrolled: 3-line block ×4, first 2 shown]
	s_mov_b64 s[24:25], 0
	s_mov_b64 s[0:1], -1
	s_cmp_eq_u32 s31, 46
	s_mov_b64 s[6:7], 0
	s_cbranch_scc0 .LBB142_155
; %bb.27:
	v_cvt_f32_ubyte0_e32 v3, v2
	v_bfe_u32 v4, v3, 16, 1
	s_movk_i32 s0, 0x7fff
	v_add3_u32 v3, v3, v4, s0
	v_lshrrev_b32_e32 v3, 16, v3
	global_store_dword v[0:1], v3, off
	s_mov_b64 s[6:7], -1
	s_mov_b64 s[0:1], 0
	s_branch .LBB142_155
.LBB142_28:
	s_mov_b64 s[6:7], -1
	s_mov_b64 s[0:1], 0
                                        ; implicit-def: $vgpr0
	s_branch .LBB142_51
.LBB142_29:
	s_mov_b64 s[6:7], -1
	s_mov_b64 s[18:19], 0
	s_mov_b64 s[0:1], 0
                                        ; implicit-def: $vgpr3
	s_branch .LBB142_290
.LBB142_30:
	s_mov_b64 s[24:25], -1
	s_mov_b64 s[0:1], 0
	s_mov_b64 s[6:7], 0
	s_branch .LBB142_224
.LBB142_31:
	s_mov_b64 s[6:7], -1
	s_mov_b64 s[0:1], 0
                                        ; implicit-def: $vgpr0
	s_branch .LBB142_46
.LBB142_32:
	s_mov_b64 s[6:7], -1
	s_mov_b64 s[18:19], 0
	s_mov_b64 s[0:1], 0
                                        ; implicit-def: $vgpr3
	s_branch .LBB142_273
.LBB142_33:
	s_mov_b64 s[24:25], -1
	s_mov_b64 s[0:1], 0
	s_mov_b64 s[6:7], 0
	s_branch .LBB142_182
.LBB142_34:
	s_mov_b64 s[6:7], -1
	s_branch .LBB142_38
.LBB142_35:
	s_mov_b64 s[6:7], -1
	s_mov_b64 s[18:19], 0
	s_mov_b64 s[0:1], 0
                                        ; implicit-def: $vgpr3
	s_branch .LBB142_268
.LBB142_36:
	s_mov_b64 s[24:25], -1
	s_mov_b64 s[0:1], 0
	s_mov_b64 s[6:7], 0
	s_branch .LBB142_165
.LBB142_37:
	s_mov_b64 s[20:21], -1
.LBB142_38:
	s_mov_b64 s[0:1], 0
                                        ; implicit-def: $vgpr0
.LBB142_39:
	s_and_b64 vcc, exec, s[6:7]
	s_cbranch_vccz .LBB142_45
; %bb.40:
	s_cmp_eq_u32 s19, 44
	s_cbranch_scc0 .LBB142_44
; %bb.41:
	global_load_ubyte v0, v[2:3], off
	s_mov_b32 s0, 0x2f800000
	s_mov_b32 s1, 0xcf800000
	s_mov_b64 s[20:21], 0
	s_waitcnt vmcnt(0)
	v_lshlrev_b32_e32 v1, 23, v0
	v_trunc_f32_e32 v1, v1
	v_mul_f32_e64 v4, |v1|, s0
	v_floor_f32_e32 v4, v4
	v_fma_f32 v4, v4, s1, |v1|
	v_cvt_u32_f32_e32 v4, v4
	v_ashrrev_i32_e32 v1, 31, v1
	v_cmp_ne_u32_e32 vcc, 0, v0
	s_mov_b64 s[0:1], -1
	v_xor_b32_e32 v4, v4, v1
	v_sub_u32_e32 v1, v4, v1
	v_cndmask_b32_e32 v0, 0, v1, vcc
	s_branch .LBB142_45
.LBB142_42:
	s_mov_b64 s[6:7], -1
	s_mov_b64 s[18:19], 0
	s_branch .LBB142_150
.LBB142_43:
	s_mov_b64 s[24:25], -1
	s_mov_b64 s[0:1], 0
	s_mov_b64 s[6:7], 0
	s_branch .LBB142_161
.LBB142_44:
	s_mov_b64 s[20:21], -1
                                        ; implicit-def: $vgpr0
.LBB142_45:
	s_mov_b64 s[6:7], 0
.LBB142_46:
	s_and_b64 vcc, exec, s[6:7]
	s_cbranch_vccz .LBB142_50
; %bb.47:
	s_cmp_eq_u32 s19, 29
	s_cbranch_scc0 .LBB142_49
; %bb.48:
	global_load_dwordx2 v[0:1], v[2:3], off
	s_mov_b64 s[0:1], -1
	s_mov_b64 s[20:21], 0
	s_branch .LBB142_50
.LBB142_49:
	s_mov_b64 s[20:21], -1
                                        ; implicit-def: $vgpr0
.LBB142_50:
	s_mov_b64 s[6:7], 0
.LBB142_51:
	s_and_b64 vcc, exec, s[6:7]
	s_cbranch_vccz .LBB142_67
; %bb.52:
	s_cmp_lt_i32 s19, 27
	s_cbranch_scc1 .LBB142_55
; %bb.53:
	s_cmp_gt_i32 s19, 27
	s_cbranch_scc0 .LBB142_56
; %bb.54:
	global_load_dword v0, v[2:3], off
	s_mov_b64 s[0:1], 0
	s_branch .LBB142_57
.LBB142_55:
	s_mov_b64 s[0:1], -1
                                        ; implicit-def: $vgpr0
	s_branch .LBB142_60
.LBB142_56:
	s_mov_b64 s[0:1], -1
                                        ; implicit-def: $vgpr0
.LBB142_57:
	s_andn2_b64 vcc, exec, s[0:1]
	s_cbranch_vccnz .LBB142_59
; %bb.58:
	global_load_ushort v0, v[2:3], off
.LBB142_59:
	s_mov_b64 s[0:1], 0
.LBB142_60:
	s_andn2_b64 vcc, exec, s[0:1]
	s_cbranch_vccnz .LBB142_66
; %bb.61:
	global_load_ubyte v1, v[2:3], off
	s_movk_i32 s0, 0x7f
	s_mov_b64 s[6:7], 0
	s_waitcnt vmcnt(0)
	v_cmp_lt_i16_e32 vcc, s0, v1
	s_and_saveexec_b64 s[0:1], vcc
	s_xor_b64 s[0:1], exec, s[0:1]
	s_cbranch_execz .LBB142_77
; %bb.62:
	s_movk_i32 s6, 0x80
	v_cmp_ne_u16_e32 vcc, s6, v1
	s_and_b64 s[6:7], vcc, exec
	s_andn2_saveexec_b64 s[0:1], s[0:1]
	s_cbranch_execnz .LBB142_78
.LBB142_63:
	s_or_b64 exec, exec, s[0:1]
	v_mov_b32_e32 v0, 0
	s_and_saveexec_b64 s[0:1], s[6:7]
	s_cbranch_execz .LBB142_65
.LBB142_64:
	v_lshlrev_b32_e32 v0, 24, v1
	v_and_b32_e32 v1, 0xffff, v1
	v_and_b32_e32 v4, 7, v1
	v_ffbh_u32_e32 v6, v4
	v_min_u32_e32 v6, 32, v6
	v_subrev_u32_e32 v7, 28, v6
	v_bfe_u32 v5, v1, 3, 4
	v_lshlrev_b32_e32 v1, v7, v1
	v_sub_u32_e32 v6, 29, v6
	v_and_b32_e32 v1, 7, v1
	v_cmp_eq_u32_e32 vcc, 0, v5
	v_cndmask_b32_e32 v5, v5, v6, vcc
	v_cndmask_b32_e32 v1, v4, v1, vcc
	v_mov_b32_e32 v4, 0x3b800000
	v_lshlrev_b32_e32 v1, 20, v1
	v_and_b32_e32 v0, 0x80000000, v0
	v_lshl_add_u32 v4, v5, 23, v4
	v_or3_b32 v0, v0, v4, v1
	v_trunc_f32_e32 v0, v0
	s_mov_b32 s6, 0x2f800000
	v_mul_f32_e64 v1, |v0|, s6
	v_floor_f32_e32 v1, v1
	s_mov_b32 s6, 0xcf800000
	v_fma_f32 v1, v1, s6, |v0|
	v_cvt_u32_f32_e32 v1, v1
	v_ashrrev_i32_e32 v0, 31, v0
	v_xor_b32_e32 v1, v1, v0
	v_sub_u32_e32 v0, v1, v0
.LBB142_65:
	s_or_b64 exec, exec, s[0:1]
.LBB142_66:
	s_mov_b64 s[0:1], -1
.LBB142_67:
	s_branch .LBB142_100
.LBB142_68:
	s_cmp_gt_i32 s19, 22
	s_cbranch_scc0 .LBB142_76
; %bb.69:
	s_cmp_lt_i32 s19, 24
	s_cbranch_scc1 .LBB142_79
; %bb.70:
	s_cmp_gt_i32 s19, 24
	s_cbranch_scc0 .LBB142_80
; %bb.71:
	global_load_ubyte v1, v[2:3], off
	s_movk_i32 s0, 0x7f
	s_mov_b64 s[6:7], 0
	s_waitcnt vmcnt(0)
	v_cmp_lt_i16_e32 vcc, s0, v1
	s_and_saveexec_b64 s[0:1], vcc
	s_xor_b64 s[0:1], exec, s[0:1]
	s_cbranch_execz .LBB142_92
; %bb.72:
	s_movk_i32 s6, 0x80
	v_cmp_ne_u16_e32 vcc, s6, v1
	s_and_b64 s[6:7], vcc, exec
	s_andn2_saveexec_b64 s[0:1], s[0:1]
	s_cbranch_execnz .LBB142_93
.LBB142_73:
	s_or_b64 exec, exec, s[0:1]
	v_mov_b32_e32 v0, 0
	s_and_saveexec_b64 s[0:1], s[6:7]
	s_cbranch_execz .LBB142_75
.LBB142_74:
	v_lshlrev_b32_e32 v0, 24, v1
	v_and_b32_e32 v1, 0xffff, v1
	v_and_b32_e32 v4, 3, v1
	v_ffbh_u32_e32 v6, v4
	v_min_u32_e32 v6, 32, v6
	v_subrev_u32_e32 v7, 29, v6
	v_bfe_u32 v5, v1, 2, 5
	v_lshlrev_b32_e32 v1, v7, v1
	v_sub_u32_e32 v6, 30, v6
	v_and_b32_e32 v1, 3, v1
	v_cmp_eq_u32_e32 vcc, 0, v5
	v_cndmask_b32_e32 v5, v5, v6, vcc
	v_cndmask_b32_e32 v1, v4, v1, vcc
	v_mov_b32_e32 v4, 0x37800000
	v_lshlrev_b32_e32 v1, 21, v1
	v_and_b32_e32 v0, 0x80000000, v0
	v_lshl_add_u32 v4, v5, 23, v4
	v_or3_b32 v0, v0, v4, v1
	v_trunc_f32_e32 v0, v0
	s_mov_b32 s6, 0x2f800000
	v_mul_f32_e64 v1, |v0|, s6
	v_floor_f32_e32 v1, v1
	s_mov_b32 s6, 0xcf800000
	v_fma_f32 v1, v1, s6, |v0|
	v_cvt_u32_f32_e32 v1, v1
	v_ashrrev_i32_e32 v0, 31, v0
	v_xor_b32_e32 v1, v1, v0
	v_sub_u32_e32 v0, v1, v0
.LBB142_75:
	s_or_b64 exec, exec, s[0:1]
	s_mov_b64 s[0:1], 0
	s_branch .LBB142_81
.LBB142_76:
	s_mov_b64 s[6:7], -1
                                        ; implicit-def: $vgpr0
	s_branch .LBB142_87
.LBB142_77:
	s_andn2_saveexec_b64 s[0:1], s[0:1]
	s_cbranch_execz .LBB142_63
.LBB142_78:
	v_cmp_ne_u16_e32 vcc, 0, v1
	s_andn2_b64 s[6:7], s[6:7], exec
	s_and_b64 s[24:25], vcc, exec
	s_or_b64 s[6:7], s[6:7], s[24:25]
	s_or_b64 exec, exec, s[0:1]
	v_mov_b32_e32 v0, 0
	s_and_saveexec_b64 s[0:1], s[6:7]
	s_cbranch_execnz .LBB142_64
	s_branch .LBB142_65
.LBB142_79:
	s_mov_b64 s[0:1], -1
                                        ; implicit-def: $vgpr0
	s_branch .LBB142_84
.LBB142_80:
	s_mov_b64 s[0:1], -1
                                        ; implicit-def: $vgpr0
.LBB142_81:
	s_and_b64 vcc, exec, s[0:1]
	s_cbranch_vccz .LBB142_83
; %bb.82:
	global_load_ubyte v0, v[2:3], off
	s_mov_b32 s0, 0x7f800000
	s_brev_b32 s1, 1
	s_mov_b32 s6, 0x2f800000
	s_waitcnt vmcnt(0)
	v_lshlrev_b32_e32 v0, 24, v0
	v_and_b32_e32 v1, 0x7f000000, v0
	v_ffbh_u32_e32 v4, v1
	v_min_u32_e32 v4, 32, v4
	v_sub_u32_e64 v4, v4, 4 clamp
	v_lshlrev_b32_e32 v6, v4, v1
	v_lshlrev_b32_e32 v4, 23, v4
	v_lshrrev_b32_e32 v6, 4, v6
	v_add_u32_e32 v5, 0x1000000, v1
	v_sub_u32_e32 v4, v6, v4
	v_ashrrev_i32_e32 v5, 8, v5
	v_add_u32_e32 v4, 0x3c000000, v4
	v_and_or_b32 v4, v5, s0, v4
	v_cmp_ne_u32_e32 vcc, 0, v1
	v_cndmask_b32_e32 v1, 0, v4, vcc
	v_and_or_b32 v0, v0, s1, v1
	v_trunc_f32_e32 v0, v0
	v_mul_f32_e64 v1, |v0|, s6
	v_floor_f32_e32 v1, v1
	s_mov_b32 s0, 0xcf800000
	v_fma_f32 v1, v1, s0, |v0|
	v_cvt_u32_f32_e32 v1, v1
	v_ashrrev_i32_e32 v0, 31, v0
	v_xor_b32_e32 v1, v1, v0
	v_sub_u32_e32 v0, v1, v0
.LBB142_83:
	s_mov_b64 s[0:1], 0
.LBB142_84:
	s_andn2_b64 vcc, exec, s[0:1]
	s_cbranch_vccnz .LBB142_86
; %bb.85:
	global_load_ubyte v0, v[2:3], off
	s_movk_i32 s0, 0x7f00
	s_brev_b32 s1, 16
	s_brev_b32 s6, 1
	s_mov_b32 s7, 0x2f800000
	s_waitcnt vmcnt(0)
	v_lshlrev_b16_e32 v1, 8, v0
	v_lshlrev_b32_e32 v0, 25, v0
	v_lshrrev_b32_e32 v4, 4, v0
	v_and_or_b32 v5, v1, s0, 0.5
	v_or_b32_e32 v4, 0x70000000, v4
	v_add_f32_e32 v5, -0.5, v5
	v_mul_f32_e32 v4, 0x7800000, v4
	v_cmp_gt_u32_e32 vcc, s1, v0
	v_bfe_i32 v1, v1, 0, 16
	v_cndmask_b32_e32 v0, v4, v5, vcc
	v_and_or_b32 v0, v1, s6, v0
	v_trunc_f32_e32 v0, v0
	v_mul_f32_e64 v1, |v0|, s7
	v_floor_f32_e32 v1, v1
	s_mov_b32 s0, 0xcf800000
	v_fma_f32 v1, v1, s0, |v0|
	v_cvt_u32_f32_e32 v1, v1
	v_ashrrev_i32_e32 v0, 31, v0
	v_xor_b32_e32 v1, v1, v0
	v_sub_u32_e32 v0, v1, v0
.LBB142_86:
	s_mov_b64 s[6:7], 0
	s_mov_b64 s[0:1], -1
.LBB142_87:
	s_andn2_b64 vcc, exec, s[6:7]
	s_cbranch_vccnz .LBB142_100
; %bb.88:
	s_cmp_gt_i32 s19, 14
	s_cbranch_scc0 .LBB142_91
; %bb.89:
	s_cmp_eq_u32 s19, 15
	s_cbranch_scc0 .LBB142_94
; %bb.90:
	global_load_ushort v0, v[2:3], off
	s_mov_b32 s0, 0x2f800000
	s_mov_b32 s1, 0xcf800000
	s_mov_b64 s[20:21], 0
	s_waitcnt vmcnt(0)
	v_lshlrev_b32_e32 v0, 16, v0
	v_trunc_f32_e32 v0, v0
	v_mul_f32_e64 v1, |v0|, s0
	v_floor_f32_e32 v1, v1
	v_fma_f32 v1, v1, s1, |v0|
	v_cvt_u32_f32_e32 v1, v1
	v_ashrrev_i32_e32 v0, 31, v0
	s_mov_b64 s[0:1], -1
	v_xor_b32_e32 v1, v1, v0
	v_sub_u32_e32 v0, v1, v0
	s_branch .LBB142_95
.LBB142_91:
	s_mov_b64 s[6:7], -1
                                        ; implicit-def: $vgpr0
	s_branch .LBB142_96
.LBB142_92:
	s_andn2_saveexec_b64 s[0:1], s[0:1]
	s_cbranch_execz .LBB142_73
.LBB142_93:
	v_cmp_ne_u16_e32 vcc, 0, v1
	s_andn2_b64 s[6:7], s[6:7], exec
	s_and_b64 s[24:25], vcc, exec
	s_or_b64 s[6:7], s[6:7], s[24:25]
	s_or_b64 exec, exec, s[0:1]
	v_mov_b32_e32 v0, 0
	s_and_saveexec_b64 s[0:1], s[6:7]
	s_cbranch_execnz .LBB142_74
	s_branch .LBB142_75
.LBB142_94:
	s_mov_b64 s[20:21], -1
                                        ; implicit-def: $vgpr0
.LBB142_95:
	s_mov_b64 s[6:7], 0
.LBB142_96:
	s_and_b64 vcc, exec, s[6:7]
	s_cbranch_vccz .LBB142_100
; %bb.97:
	s_cmp_eq_u32 s19, 11
	s_cbranch_scc0 .LBB142_99
; %bb.98:
	global_load_ubyte v0, v[2:3], off
	s_mov_b64 s[0:1], -1
	s_mov_b64 s[20:21], 0
	s_waitcnt vmcnt(0)
	v_cmp_ne_u16_e32 vcc, 0, v0
	v_cndmask_b32_e64 v0, 0, 1, vcc
	s_branch .LBB142_100
.LBB142_99:
	s_mov_b64 s[20:21], -1
                                        ; implicit-def: $vgpr0
.LBB142_100:
	s_branch .LBB142_10
.LBB142_101:
	s_and_b32 s6, 0xffff, s18
	s_cmp_lt_i32 s6, 5
	s_cbranch_scc1 .LBB142_106
; %bb.102:
	s_cmp_lt_i32 s6, 8
	s_cbranch_scc1 .LBB142_107
; %bb.103:
	;; [unrolled: 3-line block ×3, first 2 shown]
	s_cmp_gt_i32 s6, 9
	s_cbranch_scc0 .LBB142_109
; %bb.105:
	global_load_dwordx2 v[0:1], v[2:3], off
	s_movk_i32 s0, 0xffe0
	s_waitcnt vmcnt(0)
	v_trunc_f64_e32 v[0:1], v[0:1]
	v_ldexp_f64 v[4:5], v[0:1], s0
	s_mov_b32 s0, 0
	s_mov_b32 s1, 0xc1f00000
	v_floor_f64_e32 v[4:5], v[4:5]
	v_fma_f64 v[0:1], v[4:5], s[0:1], v[0:1]
	s_mov_b64 s[0:1], 0
	v_cvt_u32_f64_e32 v0, v[0:1]
	s_branch .LBB142_110
.LBB142_106:
                                        ; implicit-def: $vgpr0
	s_branch .LBB142_128
.LBB142_107:
	s_mov_b64 s[0:1], -1
                                        ; implicit-def: $vgpr0
	s_branch .LBB142_116
.LBB142_108:
	s_mov_b64 s[0:1], -1
                                        ; implicit-def: $vgpr0
	s_branch .LBB142_113
.LBB142_109:
	s_mov_b64 s[0:1], -1
                                        ; implicit-def: $vgpr0
.LBB142_110:
	s_andn2_b64 vcc, exec, s[0:1]
	s_cbranch_vccnz .LBB142_112
; %bb.111:
	global_load_dword v0, v[2:3], off
	s_mov_b32 s0, 0x2f800000
	s_waitcnt vmcnt(0)
	v_trunc_f32_e32 v0, v0
	v_mul_f32_e64 v1, |v0|, s0
	v_floor_f32_e32 v1, v1
	s_mov_b32 s0, 0xcf800000
	v_fma_f32 v1, v1, s0, |v0|
	v_cvt_u32_f32_e32 v1, v1
	v_ashrrev_i32_e32 v0, 31, v0
	v_xor_b32_e32 v1, v1, v0
	v_sub_u32_e32 v0, v1, v0
.LBB142_112:
	s_mov_b64 s[0:1], 0
.LBB142_113:
	s_andn2_b64 vcc, exec, s[0:1]
	s_cbranch_vccnz .LBB142_115
; %bb.114:
	global_load_dword v0, v[2:3], off
	s_waitcnt vmcnt(0)
	v_cvt_f32_f16_e32 v0, v0
	v_cvt_i32_f32_e32 v0, v0
.LBB142_115:
	s_mov_b64 s[0:1], 0
.LBB142_116:
	s_andn2_b64 vcc, exec, s[0:1]
	s_cbranch_vccnz .LBB142_127
; %bb.117:
	s_cmp_lt_i32 s6, 6
	s_cbranch_scc1 .LBB142_120
; %bb.118:
	s_cmp_gt_i32 s6, 6
	s_cbranch_scc0 .LBB142_121
; %bb.119:
	global_load_dwordx2 v[0:1], v[2:3], off
	s_movk_i32 s0, 0xffe0
	s_waitcnt vmcnt(0)
	v_trunc_f64_e32 v[0:1], v[0:1]
	v_ldexp_f64 v[4:5], v[0:1], s0
	s_mov_b32 s0, 0
	s_mov_b32 s1, 0xc1f00000
	v_floor_f64_e32 v[4:5], v[4:5]
	v_fma_f64 v[0:1], v[4:5], s[0:1], v[0:1]
	s_mov_b64 s[0:1], 0
	v_cvt_u32_f64_e32 v0, v[0:1]
	s_branch .LBB142_122
.LBB142_120:
	s_mov_b64 s[0:1], -1
                                        ; implicit-def: $vgpr0
	s_branch .LBB142_125
.LBB142_121:
	s_mov_b64 s[0:1], -1
                                        ; implicit-def: $vgpr0
.LBB142_122:
	s_andn2_b64 vcc, exec, s[0:1]
	s_cbranch_vccnz .LBB142_124
; %bb.123:
	global_load_dword v0, v[2:3], off
	s_mov_b32 s0, 0x2f800000
	s_waitcnt vmcnt(0)
	v_trunc_f32_e32 v0, v0
	v_mul_f32_e64 v1, |v0|, s0
	v_floor_f32_e32 v1, v1
	s_mov_b32 s0, 0xcf800000
	v_fma_f32 v1, v1, s0, |v0|
	v_cvt_u32_f32_e32 v1, v1
	v_ashrrev_i32_e32 v0, 31, v0
	v_xor_b32_e32 v1, v1, v0
	v_sub_u32_e32 v0, v1, v0
.LBB142_124:
	s_mov_b64 s[0:1], 0
.LBB142_125:
	s_andn2_b64 vcc, exec, s[0:1]
	s_cbranch_vccnz .LBB142_127
; %bb.126:
	global_load_ushort v0, v[2:3], off
	s_waitcnt vmcnt(0)
	v_cvt_f32_f16_e32 v0, v0
	v_cvt_i32_f32_e32 v0, v0
.LBB142_127:
	s_cbranch_execnz .LBB142_147
.LBB142_128:
	s_cmp_lt_i32 s6, 2
	s_cbranch_scc1 .LBB142_132
; %bb.129:
	s_cmp_lt_i32 s6, 3
	s_cbranch_scc1 .LBB142_133
; %bb.130:
	s_cmp_gt_i32 s6, 3
	s_cbranch_scc0 .LBB142_134
; %bb.131:
	global_load_dwordx2 v[0:1], v[2:3], off
	s_mov_b64 s[0:1], 0
	s_branch .LBB142_135
.LBB142_132:
	s_mov_b64 s[0:1], -1
                                        ; implicit-def: $vgpr0
	s_branch .LBB142_141
.LBB142_133:
	s_mov_b64 s[0:1], -1
                                        ; implicit-def: $vgpr0
	s_branch .LBB142_138
.LBB142_134:
	s_mov_b64 s[0:1], -1
                                        ; implicit-def: $vgpr0
.LBB142_135:
	s_andn2_b64 vcc, exec, s[0:1]
	s_cbranch_vccnz .LBB142_137
; %bb.136:
	global_load_dword v0, v[2:3], off
.LBB142_137:
	s_mov_b64 s[0:1], 0
.LBB142_138:
	s_andn2_b64 vcc, exec, s[0:1]
	s_cbranch_vccnz .LBB142_140
; %bb.139:
	global_load_ushort v0, v[2:3], off
.LBB142_140:
	s_mov_b64 s[0:1], 0
.LBB142_141:
	s_andn2_b64 vcc, exec, s[0:1]
	s_cbranch_vccnz .LBB142_147
; %bb.142:
	s_cmp_gt_i32 s6, 0
	s_cbranch_scc0 .LBB142_144
; %bb.143:
	global_load_ubyte v0, v[2:3], off
	s_mov_b64 s[0:1], 0
	s_branch .LBB142_145
.LBB142_144:
	s_mov_b64 s[0:1], -1
                                        ; implicit-def: $vgpr0
.LBB142_145:
	s_andn2_b64 vcc, exec, s[0:1]
	s_cbranch_vccnz .LBB142_147
; %bb.146:
	global_load_ubyte v0, v[2:3], off
.LBB142_147:
	s_branch .LBB142_11
.LBB142_148:
	s_mov_b64 s[0:1], 0
	s_mov_b64 s[18:19], 0
	s_branch .LBB142_373
.LBB142_149:
	s_mov_b64 s[18:19], -1
.LBB142_150:
	s_mov_b64 s[0:1], 0
                                        ; implicit-def: $vgpr3
.LBB142_151:
	s_and_b64 vcc, exec, s[6:7]
	s_cbranch_vccz .LBB142_267
; %bb.152:
	s_cmp_eq_u32 s25, 44
	s_cbranch_scc0 .LBB142_266
; %bb.153:
	global_load_ubyte v3, v[1:2], off
	s_mov_b32 s0, 0x2f800000
	s_mov_b32 s1, 0xcf800000
	s_mov_b64 s[18:19], 0
	s_waitcnt vmcnt(0)
	v_lshlrev_b32_e32 v4, 23, v3
	v_trunc_f32_e32 v4, v4
	v_mul_f32_e64 v5, |v4|, s0
	v_floor_f32_e32 v5, v5
	v_fma_f32 v5, v5, s1, |v4|
	v_cvt_u32_f32_e32 v5, v5
	v_ashrrev_i32_e32 v4, 31, v4
	v_cmp_ne_u32_e32 vcc, 0, v3
	s_mov_b64 s[0:1], -1
	v_xor_b32_e32 v5, v5, v4
	v_sub_u32_e32 v4, v5, v4
	v_cndmask_b32_e32 v3, 0, v4, vcc
	s_branch .LBB142_267
.LBB142_154:
	s_mov_b64 s[24:25], -1
	s_mov_b64 s[0:1], 0
	s_mov_b64 s[6:7], 0
.LBB142_155:
	s_and_b64 vcc, exec, s[24:25]
	s_cbranch_vccz .LBB142_160
; %bb.156:
	s_cmp_eq_u32 s31, 44
	s_mov_b64 s[0:1], -1
	s_cbranch_scc0 .LBB142_160
; %bb.157:
	v_cvt_f32_ubyte0_e32 v4, v2
	v_lshrrev_b32_e32 v3, 23, v4
	s_movk_i32 s0, 0xff
	v_cmp_ne_u32_e32 vcc, s0, v3
	v_mov_b32_e32 v5, 0xff
	s_and_saveexec_b64 s[6:7], vcc
; %bb.158:
	s_mov_b32 s0, 0x3fffff
	v_and_b32_e32 v5, 0x400000, v4
	v_and_or_b32 v4, v4, s0, v3
	v_cmp_ne_u32_e32 vcc, 0, v5
	v_cmp_ne_u32_e64 s[0:1], 0, v4
	s_and_b64 s[0:1], vcc, s[0:1]
	v_cndmask_b32_e64 v4, 0, 1, s[0:1]
	v_add_u32_e32 v5, v3, v4
; %bb.159:
	s_or_b64 exec, exec, s[6:7]
	s_mov_b64 s[6:7], -1
	s_mov_b64 s[0:1], 0
	global_store_byte v[0:1], v5, off
.LBB142_160:
	s_mov_b64 s[24:25], 0
.LBB142_161:
	s_and_b64 vcc, exec, s[24:25]
	s_cbranch_vccz .LBB142_164
; %bb.162:
	s_cmp_eq_u32 s31, 29
	s_mov_b64 s[0:1], -1
	s_cbranch_scc0 .LBB142_164
; %bb.163:
	s_mov_b32 s0, 0
	v_and_b32_e32 v3, 0xffff, v2
	v_mov_b32_e32 v4, s0
	global_store_dwordx2 v[0:1], v[3:4], off
	s_mov_b64 s[6:7], -1
	s_mov_b64 s[0:1], 0
.LBB142_164:
	s_mov_b64 s[24:25], 0
.LBB142_165:
	s_and_b64 vcc, exec, s[24:25]
	s_cbranch_vccz .LBB142_181
; %bb.166:
	s_cmp_lt_i32 s31, 27
	s_mov_b64 s[6:7], -1
	s_cbranch_scc1 .LBB142_172
; %bb.167:
	s_cmp_gt_i32 s31, 27
	s_cbranch_scc0 .LBB142_169
; %bb.168:
	v_and_b32_e32 v3, 0xffff, v2
	s_mov_b64 s[6:7], 0
	global_store_dword v[0:1], v3, off
.LBB142_169:
	s_andn2_b64 vcc, exec, s[6:7]
	s_cbranch_vccnz .LBB142_171
; %bb.170:
	global_store_short v[0:1], v2, off
.LBB142_171:
	s_mov_b64 s[6:7], 0
.LBB142_172:
	s_andn2_b64 vcc, exec, s[6:7]
	s_cbranch_vccnz .LBB142_180
; %bb.173:
	v_cvt_f32_ubyte0_e32 v4, v2
	s_mov_b32 s6, 0x43800000
	v_cmp_gt_u32_e32 vcc, s6, v4
	v_mov_b32_e32 v5, 0x80
	s_and_saveexec_b64 s[6:7], vcc
	s_cbranch_execz .LBB142_179
; %bb.174:
	s_mov_b32 s24, 0x3bffffff
	v_cmp_lt_u32_e32 vcc, s24, v4
	s_mov_b64 s[24:25], 0
                                        ; implicit-def: $vgpr3
	s_and_saveexec_b64 s[28:29], vcc
	s_xor_b64 s[28:29], exec, s[28:29]
	s_cbranch_execz .LBB142_404
; %bb.175:
	v_bfe_u32 v3, v4, 20, 1
	s_mov_b32 s34, 0x487ffff
	v_add3_u32 v3, v4, v3, s34
	s_mov_b64 s[24:25], exec
	v_lshrrev_b32_e32 v3, 20, v3
                                        ; implicit-def: $vgpr4
	s_andn2_saveexec_b64 s[28:29], s[28:29]
	s_cbranch_execnz .LBB142_405
.LBB142_176:
	s_or_b64 exec, exec, s[28:29]
	v_mov_b32_e32 v5, 0
	s_and_saveexec_b64 s[28:29], s[24:25]
.LBB142_177:
	v_mov_b32_e32 v5, v3
.LBB142_178:
	s_or_b64 exec, exec, s[28:29]
.LBB142_179:
	s_or_b64 exec, exec, s[6:7]
	global_store_byte v[0:1], v5, off
.LBB142_180:
	s_mov_b64 s[6:7], -1
.LBB142_181:
	s_mov_b64 s[24:25], 0
.LBB142_182:
	s_and_b64 vcc, exec, s[24:25]
	s_cbranch_vccz .LBB142_223
; %bb.183:
	s_cmp_gt_i32 s31, 22
	s_mov_b64 s[24:25], -1
	s_cbranch_scc0 .LBB142_215
; %bb.184:
	s_cmp_lt_i32 s31, 24
	s_mov_b64 s[6:7], -1
	s_cbranch_scc1 .LBB142_204
; %bb.185:
	s_cmp_gt_i32 s31, 24
	s_cbranch_scc0 .LBB142_193
; %bb.186:
	v_cvt_f32_ubyte0_e32 v4, v2
	s_mov_b32 s6, 0x47800000
	v_cmp_gt_u32_e32 vcc, s6, v4
	v_mov_b32_e32 v5, 0x80
	s_and_saveexec_b64 s[6:7], vcc
	s_cbranch_execz .LBB142_192
; %bb.187:
	s_mov_b32 s24, 0x37ffffff
	v_cmp_lt_u32_e32 vcc, s24, v4
	s_mov_b64 s[24:25], 0
                                        ; implicit-def: $vgpr3
	s_and_saveexec_b64 s[28:29], vcc
	s_xor_b64 s[28:29], exec, s[28:29]
	s_cbranch_execz .LBB142_519
; %bb.188:
	v_bfe_u32 v3, v4, 21, 1
	s_mov_b32 s34, 0x88fffff
	v_add3_u32 v3, v4, v3, s34
	s_mov_b64 s[24:25], exec
	v_lshrrev_b32_e32 v3, 21, v3
                                        ; implicit-def: $vgpr4
	s_andn2_saveexec_b64 s[28:29], s[28:29]
	s_cbranch_execnz .LBB142_520
.LBB142_189:
	s_or_b64 exec, exec, s[28:29]
	v_mov_b32_e32 v5, 0
	s_and_saveexec_b64 s[28:29], s[24:25]
.LBB142_190:
	v_mov_b32_e32 v5, v3
.LBB142_191:
	s_or_b64 exec, exec, s[28:29]
.LBB142_192:
	s_or_b64 exec, exec, s[6:7]
	s_mov_b64 s[6:7], 0
	global_store_byte v[0:1], v5, off
.LBB142_193:
	s_and_b64 vcc, exec, s[6:7]
	s_cbranch_vccz .LBB142_203
; %bb.194:
	v_cvt_f32_ubyte0_e32 v3, v2
	s_mov_b32 s6, 0x43f00000
	v_cmp_gt_u32_e32 vcc, s6, v3
                                        ; implicit-def: $vgpr4
	s_and_saveexec_b64 s[6:7], vcc
	s_xor_b64 s[6:7], exec, s[6:7]
	s_cbranch_execz .LBB142_200
; %bb.195:
	s_mov_b32 s24, 0x3c7fffff
	v_cmp_lt_u32_e32 vcc, s24, v3
                                        ; implicit-def: $vgpr4
	s_and_saveexec_b64 s[24:25], vcc
	s_xor_b64 s[24:25], exec, s[24:25]
; %bb.196:
	v_bfe_u32 v4, v3, 20, 1
	s_mov_b32 s28, 0x407ffff
	v_add3_u32 v3, v3, v4, s28
	v_lshrrev_b32_e32 v4, 20, v3
	v_and_b32_e32 v3, 0xff00000, v3
	s_mov_b32 s28, 0x7f00000
	v_mov_b32_e32 v5, 0x7e
	v_cmp_ne_u32_e32 vcc, s28, v3
	v_cndmask_b32_e32 v4, v5, v4, vcc
                                        ; implicit-def: $vgpr3
; %bb.197:
	s_andn2_saveexec_b64 s[24:25], s[24:25]
; %bb.198:
	v_add_f32_e32 v4, 0x46800000, v3
; %bb.199:
	s_or_b64 exec, exec, s[24:25]
                                        ; implicit-def: $vgpr3
.LBB142_200:
	s_andn2_saveexec_b64 s[6:7], s[6:7]
; %bb.201:
	s_mov_b32 s24, 0x7f800000
	v_mov_b32_e32 v4, 0x7e
	v_mov_b32_e32 v5, 0x7f
	v_cmp_lt_u32_e32 vcc, s24, v3
	v_cndmask_b32_e32 v4, v4, v5, vcc
; %bb.202:
	s_or_b64 exec, exec, s[6:7]
	global_store_byte v[0:1], v4, off
.LBB142_203:
	s_mov_b64 s[6:7], 0
.LBB142_204:
	s_andn2_b64 vcc, exec, s[6:7]
	s_cbranch_vccnz .LBB142_214
; %bb.205:
	v_cvt_f32_ubyte0_e32 v3, v2
	s_mov_b32 s6, 0x47800000
	v_cmp_gt_u32_e32 vcc, s6, v3
                                        ; implicit-def: $vgpr4
	s_and_saveexec_b64 s[6:7], vcc
	s_xor_b64 s[6:7], exec, s[6:7]
	s_cbranch_execz .LBB142_211
; %bb.206:
	s_mov_b32 s24, 0x387fffff
	v_cmp_lt_u32_e32 vcc, s24, v3
                                        ; implicit-def: $vgpr4
	s_and_saveexec_b64 s[24:25], vcc
	s_xor_b64 s[24:25], exec, s[24:25]
; %bb.207:
	v_bfe_u32 v4, v3, 21, 1
	s_mov_b32 s28, 0x80fffff
	v_add3_u32 v3, v3, v4, s28
	v_lshrrev_b32_e32 v4, 21, v3
                                        ; implicit-def: $vgpr3
; %bb.208:
	s_andn2_saveexec_b64 s[24:25], s[24:25]
; %bb.209:
	v_add_f32_e32 v4, 0x43000000, v3
; %bb.210:
	s_or_b64 exec, exec, s[24:25]
                                        ; implicit-def: $vgpr3
.LBB142_211:
	s_andn2_saveexec_b64 s[6:7], s[6:7]
; %bb.212:
	s_mov_b32 s24, 0x7f800000
	v_mov_b32_e32 v4, 0x7c
	v_mov_b32_e32 v5, 0x7f
	v_cmp_lt_u32_e32 vcc, s24, v3
	v_cndmask_b32_e32 v4, v4, v5, vcc
; %bb.213:
	s_or_b64 exec, exec, s[6:7]
	global_store_byte v[0:1], v4, off
.LBB142_214:
	s_mov_b64 s[24:25], 0
	s_mov_b64 s[6:7], -1
.LBB142_215:
	s_andn2_b64 vcc, exec, s[24:25]
	s_cbranch_vccnz .LBB142_223
; %bb.216:
	s_cmp_gt_i32 s31, 14
	s_mov_b64 s[24:25], -1
	s_cbranch_scc0 .LBB142_220
; %bb.217:
	s_cmp_eq_u32 s31, 15
	s_mov_b64 s[0:1], -1
	s_cbranch_scc0 .LBB142_219
; %bb.218:
	v_cvt_f32_ubyte0_e32 v3, v2
	v_bfe_u32 v4, v3, 16, 1
	s_movk_i32 s0, 0x7fff
	v_add3_u32 v3, v3, v4, s0
	global_store_short_d16_hi v[0:1], v3, off
	s_mov_b64 s[6:7], -1
	s_mov_b64 s[0:1], 0
.LBB142_219:
	s_mov_b64 s[24:25], 0
.LBB142_220:
	s_and_b64 vcc, exec, s[24:25]
	s_cbranch_vccz .LBB142_223
; %bb.221:
	s_cmp_eq_u32 s31, 11
	s_mov_b64 s[0:1], -1
	s_cbranch_scc0 .LBB142_223
; %bb.222:
	v_cmp_ne_u16_e32 vcc, 0, v2
	v_cndmask_b32_e64 v3, 0, 1, vcc
	s_mov_b64 s[6:7], -1
	s_mov_b64 s[0:1], 0
	global_store_byte v[0:1], v3, off
.LBB142_223:
	s_mov_b64 s[24:25], 0
.LBB142_224:
	s_and_b64 vcc, exec, s[24:25]
	s_cbranch_vccz .LBB142_263
; %bb.225:
	s_and_b32 s24, 0xffff, s30
	s_cmp_lt_i32 s24, 5
	s_mov_b64 s[6:7], -1
	s_cbranch_scc1 .LBB142_246
; %bb.226:
	s_cmp_lt_i32 s24, 8
	s_cbranch_scc1 .LBB142_236
; %bb.227:
	s_cmp_lt_i32 s24, 9
	s_cbranch_scc1 .LBB142_233
; %bb.228:
	s_cmp_gt_i32 s24, 9
	s_cbranch_scc0 .LBB142_230
; %bb.229:
	v_and_b32_e32 v3, 0xffff, v2
	v_cvt_f64_u32_e32 v[3:4], v3
	v_mov_b32_e32 v5, 0
	v_mov_b32_e32 v6, v5
	s_mov_b64 s[6:7], 0
	global_store_dwordx4 v[0:1], v[3:6], off
.LBB142_230:
	s_andn2_b64 vcc, exec, s[6:7]
	s_cbranch_vccnz .LBB142_232
; %bb.231:
	v_cvt_f32_ubyte0_e32 v3, v2
	v_mov_b32_e32 v4, 0
	global_store_dwordx2 v[0:1], v[3:4], off
.LBB142_232:
	s_mov_b64 s[6:7], 0
.LBB142_233:
	s_andn2_b64 vcc, exec, s[6:7]
	s_cbranch_vccnz .LBB142_235
; %bb.234:
	v_cvt_f16_u16_e32 v3, v2
	global_store_dword v[0:1], v3, off
.LBB142_235:
	s_mov_b64 s[6:7], 0
.LBB142_236:
	s_andn2_b64 vcc, exec, s[6:7]
	s_cbranch_vccnz .LBB142_245
; %bb.237:
	s_cmp_lt_i32 s24, 6
	s_mov_b64 s[6:7], -1
	s_cbranch_scc1 .LBB142_243
; %bb.238:
	s_cmp_gt_i32 s24, 6
	s_cbranch_scc0 .LBB142_240
; %bb.239:
	v_and_b32_e32 v3, 0xffff, v2
	v_cvt_f64_u32_e32 v[3:4], v3
	s_mov_b64 s[6:7], 0
	global_store_dwordx2 v[0:1], v[3:4], off
.LBB142_240:
	s_andn2_b64 vcc, exec, s[6:7]
	s_cbranch_vccnz .LBB142_242
; %bb.241:
	v_cvt_f32_ubyte0_e32 v3, v2
	global_store_dword v[0:1], v3, off
.LBB142_242:
	s_mov_b64 s[6:7], 0
.LBB142_243:
	s_andn2_b64 vcc, exec, s[6:7]
	s_cbranch_vccnz .LBB142_245
; %bb.244:
	v_cvt_f16_u16_e32 v3, v2
	global_store_short v[0:1], v3, off
.LBB142_245:
	s_mov_b64 s[6:7], 0
.LBB142_246:
	s_andn2_b64 vcc, exec, s[6:7]
	s_cbranch_vccnz .LBB142_262
; %bb.247:
	s_cmp_lt_i32 s24, 2
	s_mov_b64 s[6:7], -1
	s_cbranch_scc1 .LBB142_257
; %bb.248:
	s_cmp_lt_i32 s24, 3
	s_cbranch_scc1 .LBB142_254
; %bb.249:
	s_cmp_gt_i32 s24, 3
	s_cbranch_scc0 .LBB142_251
; %bb.250:
	s_mov_b32 s6, 0
	v_and_b32_e32 v3, 0xffff, v2
	v_mov_b32_e32 v4, s6
	global_store_dwordx2 v[0:1], v[3:4], off
	s_mov_b64 s[6:7], 0
.LBB142_251:
	s_andn2_b64 vcc, exec, s[6:7]
	s_cbranch_vccnz .LBB142_253
; %bb.252:
	v_and_b32_e32 v3, 0xffff, v2
	global_store_dword v[0:1], v3, off
.LBB142_253:
	s_mov_b64 s[6:7], 0
.LBB142_254:
	s_andn2_b64 vcc, exec, s[6:7]
	s_cbranch_vccnz .LBB142_256
; %bb.255:
	global_store_short v[0:1], v2, off
.LBB142_256:
	s_mov_b64 s[6:7], 0
.LBB142_257:
	s_andn2_b64 vcc, exec, s[6:7]
	s_cbranch_vccnz .LBB142_262
; %bb.258:
	s_cmp_gt_i32 s24, 0
	s_mov_b64 s[6:7], -1
	s_cbranch_scc0 .LBB142_260
; %bb.259:
	global_store_byte v[0:1], v2, off
	s_mov_b64 s[6:7], 0
.LBB142_260:
	s_andn2_b64 vcc, exec, s[6:7]
	s_cbranch_vccnz .LBB142_262
; %bb.261:
	global_store_byte v[0:1], v2, off
.LBB142_262:
	s_mov_b64 s[6:7], -1
.LBB142_263:
	s_andn2_b64 vcc, exec, s[6:7]
	s_cbranch_vccnz .LBB142_265
; %bb.264:
	v_add_u32_e32 v11, 0x80, v11
	s_mov_b64 s[24:25], -1
	s_branch .LBB142_374
.LBB142_265:
	s_mov_b64 s[24:25], 0
                                        ; implicit-def: $vgpr11
	s_branch .LBB142_374
.LBB142_266:
	s_mov_b64 s[18:19], -1
                                        ; implicit-def: $vgpr3
.LBB142_267:
	s_mov_b64 s[6:7], 0
.LBB142_268:
	s_and_b64 vcc, exec, s[6:7]
	s_cbranch_vccz .LBB142_272
; %bb.269:
	s_cmp_eq_u32 s25, 29
	s_cbranch_scc0 .LBB142_271
; %bb.270:
	global_load_dwordx2 v[3:4], v[1:2], off
	s_mov_b64 s[0:1], -1
	s_mov_b64 s[18:19], 0
	s_branch .LBB142_272
.LBB142_271:
	s_mov_b64 s[18:19], -1
                                        ; implicit-def: $vgpr3
.LBB142_272:
	s_mov_b64 s[6:7], 0
.LBB142_273:
	s_and_b64 vcc, exec, s[6:7]
	s_cbranch_vccz .LBB142_289
; %bb.274:
	s_cmp_lt_i32 s25, 27
	s_cbranch_scc1 .LBB142_277
; %bb.275:
	s_cmp_gt_i32 s25, 27
	s_cbranch_scc0 .LBB142_278
; %bb.276:
	global_load_dword v3, v[1:2], off
	s_mov_b64 s[0:1], 0
	s_branch .LBB142_279
.LBB142_277:
	s_mov_b64 s[0:1], -1
                                        ; implicit-def: $vgpr3
	s_branch .LBB142_282
.LBB142_278:
	s_mov_b64 s[0:1], -1
                                        ; implicit-def: $vgpr3
.LBB142_279:
	s_andn2_b64 vcc, exec, s[0:1]
	s_cbranch_vccnz .LBB142_281
; %bb.280:
	global_load_ushort v3, v[1:2], off
.LBB142_281:
	s_mov_b64 s[0:1], 0
.LBB142_282:
	s_andn2_b64 vcc, exec, s[0:1]
	s_cbranch_vccnz .LBB142_288
; %bb.283:
	global_load_ubyte v4, v[1:2], off
	s_movk_i32 s0, 0x7f
	s_mov_b64 s[6:7], 0
	s_waitcnt vmcnt(0)
	v_cmp_lt_i16_e32 vcc, s0, v4
	s_and_saveexec_b64 s[0:1], vcc
	s_xor_b64 s[0:1], exec, s[0:1]
	s_cbranch_execz .LBB142_300
; %bb.284:
	s_movk_i32 s6, 0x80
	v_cmp_ne_u16_e32 vcc, s6, v4
	s_and_b64 s[6:7], vcc, exec
	s_andn2_saveexec_b64 s[0:1], s[0:1]
	s_cbranch_execnz .LBB142_301
.LBB142_285:
	s_or_b64 exec, exec, s[0:1]
	v_mov_b32_e32 v3, 0
	s_and_saveexec_b64 s[0:1], s[6:7]
	s_cbranch_execz .LBB142_287
.LBB142_286:
	v_lshlrev_b32_e32 v3, 24, v4
	v_and_b32_e32 v4, 0xffff, v4
	v_and_b32_e32 v5, 7, v4
	v_ffbh_u32_e32 v7, v5
	v_min_u32_e32 v7, 32, v7
	v_subrev_u32_e32 v8, 28, v7
	v_bfe_u32 v6, v4, 3, 4
	v_lshlrev_b32_e32 v4, v8, v4
	v_sub_u32_e32 v7, 29, v7
	v_and_b32_e32 v4, 7, v4
	v_cmp_eq_u32_e32 vcc, 0, v6
	v_cndmask_b32_e32 v6, v6, v7, vcc
	v_cndmask_b32_e32 v4, v5, v4, vcc
	v_mov_b32_e32 v5, 0x3b800000
	v_lshlrev_b32_e32 v4, 20, v4
	v_and_b32_e32 v3, 0x80000000, v3
	v_lshl_add_u32 v5, v6, 23, v5
	v_or3_b32 v3, v3, v5, v4
	v_trunc_f32_e32 v3, v3
	s_mov_b32 s6, 0x2f800000
	v_mul_f32_e64 v4, |v3|, s6
	v_floor_f32_e32 v4, v4
	s_mov_b32 s6, 0xcf800000
	v_fma_f32 v4, v4, s6, |v3|
	v_cvt_u32_f32_e32 v4, v4
	v_ashrrev_i32_e32 v3, 31, v3
	v_xor_b32_e32 v4, v4, v3
	v_sub_u32_e32 v3, v4, v3
.LBB142_287:
	s_or_b64 exec, exec, s[0:1]
.LBB142_288:
	s_mov_b64 s[0:1], -1
.LBB142_289:
	s_mov_b64 s[6:7], 0
.LBB142_290:
	s_and_b64 vcc, exec, s[6:7]
	s_cbranch_vccz .LBB142_323
; %bb.291:
	s_cmp_gt_i32 s25, 22
	s_cbranch_scc0 .LBB142_299
; %bb.292:
	s_cmp_lt_i32 s25, 24
	s_cbranch_scc1 .LBB142_302
; %bb.293:
	s_cmp_gt_i32 s25, 24
	s_cbranch_scc0 .LBB142_303
; %bb.294:
	global_load_ubyte v4, v[1:2], off
	s_movk_i32 s0, 0x7f
	s_mov_b64 s[6:7], 0
	s_waitcnt vmcnt(0)
	v_cmp_lt_i16_e32 vcc, s0, v4
	s_and_saveexec_b64 s[0:1], vcc
	s_xor_b64 s[0:1], exec, s[0:1]
	s_cbranch_execz .LBB142_315
; %bb.295:
	s_movk_i32 s6, 0x80
	v_cmp_ne_u16_e32 vcc, s6, v4
	s_and_b64 s[6:7], vcc, exec
	s_andn2_saveexec_b64 s[0:1], s[0:1]
	s_cbranch_execnz .LBB142_316
.LBB142_296:
	s_or_b64 exec, exec, s[0:1]
	v_mov_b32_e32 v3, 0
	s_and_saveexec_b64 s[0:1], s[6:7]
	s_cbranch_execz .LBB142_298
.LBB142_297:
	v_lshlrev_b32_e32 v3, 24, v4
	v_and_b32_e32 v4, 0xffff, v4
	v_and_b32_e32 v5, 3, v4
	v_ffbh_u32_e32 v7, v5
	v_min_u32_e32 v7, 32, v7
	v_subrev_u32_e32 v8, 29, v7
	v_bfe_u32 v6, v4, 2, 5
	v_lshlrev_b32_e32 v4, v8, v4
	v_sub_u32_e32 v7, 30, v7
	v_and_b32_e32 v4, 3, v4
	v_cmp_eq_u32_e32 vcc, 0, v6
	v_cndmask_b32_e32 v6, v6, v7, vcc
	v_cndmask_b32_e32 v4, v5, v4, vcc
	v_mov_b32_e32 v5, 0x37800000
	v_lshlrev_b32_e32 v4, 21, v4
	v_and_b32_e32 v3, 0x80000000, v3
	v_lshl_add_u32 v5, v6, 23, v5
	v_or3_b32 v3, v3, v5, v4
	v_trunc_f32_e32 v3, v3
	s_mov_b32 s6, 0x2f800000
	v_mul_f32_e64 v4, |v3|, s6
	v_floor_f32_e32 v4, v4
	s_mov_b32 s6, 0xcf800000
	v_fma_f32 v4, v4, s6, |v3|
	v_cvt_u32_f32_e32 v4, v4
	v_ashrrev_i32_e32 v3, 31, v3
	v_xor_b32_e32 v4, v4, v3
	v_sub_u32_e32 v3, v4, v3
.LBB142_298:
	s_or_b64 exec, exec, s[0:1]
	s_mov_b64 s[0:1], 0
	s_branch .LBB142_304
.LBB142_299:
	s_mov_b64 s[6:7], -1
                                        ; implicit-def: $vgpr3
	s_branch .LBB142_310
.LBB142_300:
	s_andn2_saveexec_b64 s[0:1], s[0:1]
	s_cbranch_execz .LBB142_285
.LBB142_301:
	v_cmp_ne_u16_e32 vcc, 0, v4
	s_andn2_b64 s[6:7], s[6:7], exec
	s_and_b64 s[28:29], vcc, exec
	s_or_b64 s[6:7], s[6:7], s[28:29]
	s_or_b64 exec, exec, s[0:1]
	v_mov_b32_e32 v3, 0
	s_and_saveexec_b64 s[0:1], s[6:7]
	s_cbranch_execnz .LBB142_286
	s_branch .LBB142_287
.LBB142_302:
	s_mov_b64 s[0:1], -1
                                        ; implicit-def: $vgpr3
	s_branch .LBB142_307
.LBB142_303:
	s_mov_b64 s[0:1], -1
                                        ; implicit-def: $vgpr3
.LBB142_304:
	s_and_b64 vcc, exec, s[0:1]
	s_cbranch_vccz .LBB142_306
; %bb.305:
	global_load_ubyte v3, v[1:2], off
	s_mov_b32 s0, 0x7f800000
	s_brev_b32 s1, 1
	s_mov_b32 s6, 0x2f800000
	s_waitcnt vmcnt(0)
	v_lshlrev_b32_e32 v3, 24, v3
	v_and_b32_e32 v4, 0x7f000000, v3
	v_ffbh_u32_e32 v5, v4
	v_min_u32_e32 v5, 32, v5
	v_sub_u32_e64 v5, v5, 4 clamp
	v_lshlrev_b32_e32 v7, v5, v4
	v_lshlrev_b32_e32 v5, 23, v5
	v_lshrrev_b32_e32 v7, 4, v7
	v_add_u32_e32 v6, 0x1000000, v4
	v_sub_u32_e32 v5, v7, v5
	v_ashrrev_i32_e32 v6, 8, v6
	v_add_u32_e32 v5, 0x3c000000, v5
	v_and_or_b32 v5, v6, s0, v5
	v_cmp_ne_u32_e32 vcc, 0, v4
	v_cndmask_b32_e32 v4, 0, v5, vcc
	v_and_or_b32 v3, v3, s1, v4
	v_trunc_f32_e32 v3, v3
	v_mul_f32_e64 v4, |v3|, s6
	v_floor_f32_e32 v4, v4
	s_mov_b32 s0, 0xcf800000
	v_fma_f32 v4, v4, s0, |v3|
	v_cvt_u32_f32_e32 v4, v4
	v_ashrrev_i32_e32 v3, 31, v3
	v_xor_b32_e32 v4, v4, v3
	v_sub_u32_e32 v3, v4, v3
.LBB142_306:
	s_mov_b64 s[0:1], 0
.LBB142_307:
	s_andn2_b64 vcc, exec, s[0:1]
	s_cbranch_vccnz .LBB142_309
; %bb.308:
	global_load_ubyte v3, v[1:2], off
	s_movk_i32 s0, 0x7f00
	s_brev_b32 s1, 16
	s_brev_b32 s6, 1
	s_mov_b32 s7, 0x2f800000
	s_waitcnt vmcnt(0)
	v_lshlrev_b16_e32 v4, 8, v3
	v_lshlrev_b32_e32 v3, 25, v3
	v_lshrrev_b32_e32 v5, 4, v3
	v_and_or_b32 v6, v4, s0, 0.5
	v_or_b32_e32 v5, 0x70000000, v5
	v_add_f32_e32 v6, -0.5, v6
	v_mul_f32_e32 v5, 0x7800000, v5
	v_cmp_gt_u32_e32 vcc, s1, v3
	v_bfe_i32 v4, v4, 0, 16
	v_cndmask_b32_e32 v3, v5, v6, vcc
	v_and_or_b32 v3, v4, s6, v3
	v_trunc_f32_e32 v3, v3
	v_mul_f32_e64 v4, |v3|, s7
	v_floor_f32_e32 v4, v4
	s_mov_b32 s0, 0xcf800000
	v_fma_f32 v4, v4, s0, |v3|
	v_cvt_u32_f32_e32 v4, v4
	v_ashrrev_i32_e32 v3, 31, v3
	v_xor_b32_e32 v4, v4, v3
	v_sub_u32_e32 v3, v4, v3
.LBB142_309:
	s_mov_b64 s[6:7], 0
	s_mov_b64 s[0:1], -1
.LBB142_310:
	s_andn2_b64 vcc, exec, s[6:7]
	s_cbranch_vccnz .LBB142_323
; %bb.311:
	s_cmp_gt_i32 s25, 14
	s_cbranch_scc0 .LBB142_314
; %bb.312:
	s_cmp_eq_u32 s25, 15
	s_cbranch_scc0 .LBB142_317
; %bb.313:
	global_load_ushort v3, v[1:2], off
	s_mov_b32 s0, 0x2f800000
	s_mov_b32 s1, 0xcf800000
	s_mov_b64 s[18:19], 0
	s_waitcnt vmcnt(0)
	v_lshlrev_b32_e32 v3, 16, v3
	v_trunc_f32_e32 v3, v3
	v_mul_f32_e64 v4, |v3|, s0
	v_floor_f32_e32 v4, v4
	v_fma_f32 v4, v4, s1, |v3|
	v_cvt_u32_f32_e32 v4, v4
	v_ashrrev_i32_e32 v3, 31, v3
	s_mov_b64 s[0:1], -1
	v_xor_b32_e32 v4, v4, v3
	v_sub_u32_e32 v3, v4, v3
	s_branch .LBB142_318
.LBB142_314:
	s_mov_b64 s[6:7], -1
                                        ; implicit-def: $vgpr3
	s_branch .LBB142_319
.LBB142_315:
	s_andn2_saveexec_b64 s[0:1], s[0:1]
	s_cbranch_execz .LBB142_296
.LBB142_316:
	v_cmp_ne_u16_e32 vcc, 0, v4
	s_andn2_b64 s[6:7], s[6:7], exec
	s_and_b64 s[28:29], vcc, exec
	s_or_b64 s[6:7], s[6:7], s[28:29]
	s_or_b64 exec, exec, s[0:1]
	v_mov_b32_e32 v3, 0
	s_and_saveexec_b64 s[0:1], s[6:7]
	s_cbranch_execnz .LBB142_297
	s_branch .LBB142_298
.LBB142_317:
	s_mov_b64 s[18:19], -1
                                        ; implicit-def: $vgpr3
.LBB142_318:
	s_mov_b64 s[6:7], 0
.LBB142_319:
	s_and_b64 vcc, exec, s[6:7]
	s_cbranch_vccz .LBB142_323
; %bb.320:
	s_cmp_eq_u32 s25, 11
	s_cbranch_scc0 .LBB142_322
; %bb.321:
	global_load_ubyte v3, v[1:2], off
	s_mov_b64 s[0:1], -1
	s_mov_b64 s[18:19], 0
	s_waitcnt vmcnt(0)
	v_cmp_ne_u16_e32 vcc, 0, v3
	v_cndmask_b32_e64 v3, 0, 1, vcc
	s_branch .LBB142_323
.LBB142_322:
	s_mov_b64 s[18:19], -1
                                        ; implicit-def: $vgpr3
.LBB142_323:
	s_branch .LBB142_20
.LBB142_324:
	s_and_b32 s6, 0xffff, s24
	s_cmp_lt_i32 s6, 5
	s_cbranch_scc1 .LBB142_329
; %bb.325:
	s_cmp_lt_i32 s6, 8
	s_cbranch_scc1 .LBB142_330
; %bb.326:
	;; [unrolled: 3-line block ×3, first 2 shown]
	s_cmp_gt_i32 s6, 9
	s_cbranch_scc0 .LBB142_332
; %bb.328:
	global_load_dwordx2 v[3:4], v[1:2], off
	s_movk_i32 s0, 0xffe0
	s_waitcnt vmcnt(0)
	v_trunc_f64_e32 v[3:4], v[3:4]
	v_ldexp_f64 v[5:6], v[3:4], s0
	s_mov_b32 s0, 0
	s_mov_b32 s1, 0xc1f00000
	v_floor_f64_e32 v[5:6], v[5:6]
	v_fma_f64 v[3:4], v[5:6], s[0:1], v[3:4]
	s_mov_b64 s[0:1], 0
	v_cvt_u32_f64_e32 v3, v[3:4]
	s_branch .LBB142_333
.LBB142_329:
	s_mov_b64 s[0:1], -1
                                        ; implicit-def: $vgpr3
	s_branch .LBB142_351
.LBB142_330:
	s_mov_b64 s[0:1], -1
                                        ; implicit-def: $vgpr3
	s_branch .LBB142_339
.LBB142_331:
	s_mov_b64 s[0:1], -1
                                        ; implicit-def: $vgpr3
	s_branch .LBB142_336
.LBB142_332:
	s_mov_b64 s[0:1], -1
                                        ; implicit-def: $vgpr3
.LBB142_333:
	s_andn2_b64 vcc, exec, s[0:1]
	s_cbranch_vccnz .LBB142_335
; %bb.334:
	global_load_dword v3, v[1:2], off
	s_mov_b32 s0, 0x2f800000
	s_waitcnt vmcnt(0)
	v_trunc_f32_e32 v3, v3
	v_mul_f32_e64 v4, |v3|, s0
	v_floor_f32_e32 v4, v4
	s_mov_b32 s0, 0xcf800000
	v_fma_f32 v4, v4, s0, |v3|
	v_cvt_u32_f32_e32 v4, v4
	v_ashrrev_i32_e32 v3, 31, v3
	v_xor_b32_e32 v4, v4, v3
	v_sub_u32_e32 v3, v4, v3
.LBB142_335:
	s_mov_b64 s[0:1], 0
.LBB142_336:
	s_andn2_b64 vcc, exec, s[0:1]
	s_cbranch_vccnz .LBB142_338
; %bb.337:
	global_load_dword v3, v[1:2], off
	s_waitcnt vmcnt(0)
	v_cvt_f32_f16_e32 v3, v3
	v_cvt_i32_f32_e32 v3, v3
.LBB142_338:
	s_mov_b64 s[0:1], 0
.LBB142_339:
	s_andn2_b64 vcc, exec, s[0:1]
	s_cbranch_vccnz .LBB142_350
; %bb.340:
	s_cmp_lt_i32 s6, 6
	s_cbranch_scc1 .LBB142_343
; %bb.341:
	s_cmp_gt_i32 s6, 6
	s_cbranch_scc0 .LBB142_344
; %bb.342:
	global_load_dwordx2 v[3:4], v[1:2], off
	s_movk_i32 s0, 0xffe0
	s_waitcnt vmcnt(0)
	v_trunc_f64_e32 v[3:4], v[3:4]
	v_ldexp_f64 v[5:6], v[3:4], s0
	s_mov_b32 s0, 0
	s_mov_b32 s1, 0xc1f00000
	v_floor_f64_e32 v[5:6], v[5:6]
	v_fma_f64 v[3:4], v[5:6], s[0:1], v[3:4]
	s_mov_b64 s[0:1], 0
	v_cvt_u32_f64_e32 v3, v[3:4]
	s_branch .LBB142_345
.LBB142_343:
	s_mov_b64 s[0:1], -1
                                        ; implicit-def: $vgpr3
	s_branch .LBB142_348
.LBB142_344:
	s_mov_b64 s[0:1], -1
                                        ; implicit-def: $vgpr3
.LBB142_345:
	s_andn2_b64 vcc, exec, s[0:1]
	s_cbranch_vccnz .LBB142_347
; %bb.346:
	global_load_dword v3, v[1:2], off
	s_mov_b32 s0, 0x2f800000
	s_waitcnt vmcnt(0)
	v_trunc_f32_e32 v3, v3
	v_mul_f32_e64 v4, |v3|, s0
	v_floor_f32_e32 v4, v4
	s_mov_b32 s0, 0xcf800000
	v_fma_f32 v4, v4, s0, |v3|
	v_cvt_u32_f32_e32 v4, v4
	v_ashrrev_i32_e32 v3, 31, v3
	v_xor_b32_e32 v4, v4, v3
	v_sub_u32_e32 v3, v4, v3
.LBB142_347:
	s_mov_b64 s[0:1], 0
.LBB142_348:
	s_andn2_b64 vcc, exec, s[0:1]
	s_cbranch_vccnz .LBB142_350
; %bb.349:
	global_load_ushort v3, v[1:2], off
	s_waitcnt vmcnt(0)
	v_cvt_f32_f16_e32 v3, v3
	v_cvt_i32_f32_e32 v3, v3
.LBB142_350:
	s_mov_b64 s[0:1], 0
.LBB142_351:
	s_andn2_b64 vcc, exec, s[0:1]
	s_cbranch_vccnz .LBB142_371
; %bb.352:
	s_cmp_lt_i32 s6, 2
	s_cbranch_scc1 .LBB142_356
; %bb.353:
	s_cmp_lt_i32 s6, 3
	s_cbranch_scc1 .LBB142_357
; %bb.354:
	s_cmp_gt_i32 s6, 3
	s_cbranch_scc0 .LBB142_358
; %bb.355:
	global_load_dwordx2 v[3:4], v[1:2], off
	s_mov_b64 s[0:1], 0
	s_branch .LBB142_359
.LBB142_356:
	s_mov_b64 s[0:1], -1
                                        ; implicit-def: $vgpr3
	s_branch .LBB142_365
.LBB142_357:
	s_mov_b64 s[0:1], -1
                                        ; implicit-def: $vgpr3
	s_branch .LBB142_362
.LBB142_358:
	s_mov_b64 s[0:1], -1
                                        ; implicit-def: $vgpr3
.LBB142_359:
	s_andn2_b64 vcc, exec, s[0:1]
	s_cbranch_vccnz .LBB142_361
; %bb.360:
	global_load_dword v3, v[1:2], off
.LBB142_361:
	s_mov_b64 s[0:1], 0
.LBB142_362:
	s_andn2_b64 vcc, exec, s[0:1]
	s_cbranch_vccnz .LBB142_364
; %bb.363:
	global_load_ushort v3, v[1:2], off
.LBB142_364:
	s_mov_b64 s[0:1], 0
.LBB142_365:
	s_andn2_b64 vcc, exec, s[0:1]
	s_cbranch_vccnz .LBB142_371
; %bb.366:
	s_cmp_gt_i32 s6, 0
	s_cbranch_scc0 .LBB142_368
; %bb.367:
	global_load_ubyte v3, v[1:2], off
	s_mov_b64 s[0:1], 0
	s_branch .LBB142_369
.LBB142_368:
	s_mov_b64 s[0:1], -1
                                        ; implicit-def: $vgpr3
.LBB142_369:
	s_andn2_b64 vcc, exec, s[0:1]
	s_cbranch_vccnz .LBB142_371
; %bb.370:
	global_load_ubyte v3, v[1:2], off
.LBB142_371:
	s_branch .LBB142_21
.LBB142_372:
	s_mov_b64 s[0:1], 0
.LBB142_373:
                                        ; implicit-def: $vgpr11
	s_mov_b64 s[24:25], 0
.LBB142_374:
	s_and_b64 s[6:7], s[0:1], exec
	s_and_b64 s[18:19], s[18:19], exec
	;; [unrolled: 1-line block ×3, first 2 shown]
	s_orn2_b64 s[0:1], s[24:25], exec
.LBB142_375:
	s_or_b64 exec, exec, s[22:23]
	s_mov_b64 s[30:31], 0
	s_mov_b64 s[28:29], 0
                                        ; implicit-def: $sgpr55
                                        ; implicit-def: $vgpr2_vgpr3
                                        ; implicit-def: $vgpr0
	s_and_saveexec_b64 s[22:23], s[0:1]
	s_cbranch_execz .LBB142_384
; %bb.376:
	v_cmp_gt_i32_e32 vcc, s48, v11
	s_mov_b64 s[0:1], -1
	s_mov_b64 s[24:25], s[20:21]
	s_mov_b64 s[26:27], s[18:19]
	;; [unrolled: 1-line block ×3, first 2 shown]
	s_and_saveexec_b64 s[30:31], vcc
	s_cbranch_execz .LBB142_757
; %bb.377:
	s_waitcnt vmcnt(0)
	v_mul_lo_u32 v0, v11, s13
	v_mov_b32_e32 v1, s11
	s_and_b32 s28, s54, 0xff
	s_cmp_lt_i32 s28, 11
	v_ashrrev_i32_e32 v3, 31, v0
	v_add_co_u32_e32 v2, vcc, s10, v0
	v_addc_co_u32_e32 v3, vcc, v1, v3, vcc
	s_cbranch_scc1 .LBB142_387
; %bb.378:
	s_and_b32 s29, 0xffff, s28
	s_cmp_gt_i32 s29, 25
	s_cbranch_scc0 .LBB142_396
; %bb.379:
	s_cmp_gt_i32 s29, 28
	s_cbranch_scc0 .LBB142_398
; %bb.380:
	;; [unrolled: 3-line block ×4, first 2 shown]
	s_cmp_eq_u32 s29, 46
	s_mov_b64 s[26:27], 0
	s_cbranch_scc0 .LBB142_406
; %bb.383:
	global_load_dword v0, v[2:3], off
	s_mov_b32 s0, 0x2f800000
	s_mov_b32 s1, 0xcf800000
	s_mov_b64 s[24:25], 0
	s_waitcnt vmcnt(0)
	v_lshlrev_b32_e32 v0, 16, v0
	v_trunc_f32_e32 v0, v0
	v_mul_f32_e64 v1, |v0|, s0
	v_floor_f32_e32 v1, v1
	v_fma_f32 v1, v1, s1, |v0|
	v_cvt_u32_f32_e32 v1, v1
	v_ashrrev_i32_e32 v0, 31, v0
	s_mov_b64 s[0:1], -1
	v_xor_b32_e32 v1, v1, v0
	v_sub_u32_e32 v0, v1, v0
	s_branch .LBB142_407
.LBB142_384:
	s_or_b64 exec, exec, s[22:23]
	s_mov_b64 s[22:23], 0
	s_and_saveexec_b64 s[0:1], s[20:21]
	s_cbranch_execnz .LBB142_1220
.LBB142_385:
	s_or_b64 exec, exec, s[0:1]
	s_and_saveexec_b64 s[0:1], s[26:27]
	s_xor_b64 s[0:1], exec, s[0:1]
	s_cbranch_execz .LBB142_1221
.LBB142_386:
	s_waitcnt vmcnt(0)
	global_load_ubyte v0, v[2:3], off
	s_or_b64 s[28:29], s[28:29], exec
	s_waitcnt vmcnt(0)
	v_cmp_ne_u16_e32 vcc, 0, v0
	v_cndmask_b32_e64 v0, 0, 1, vcc
	s_or_b64 exec, exec, s[0:1]
	s_and_saveexec_b64 s[0:1], s[30:31]
	s_cbranch_execz .LBB142_1267
	s_branch .LBB142_1222
.LBB142_387:
	s_mov_b64 s[0:1], 0
                                        ; implicit-def: $vgpr0
	s_mov_b64 s[24:25], s[20:21]
	s_cbranch_execnz .LBB142_469
.LBB142_388:
	s_andn2_b64 vcc, exec, s[0:1]
	s_cbranch_vccnz .LBB142_517
.LBB142_389:
	s_waitcnt vmcnt(0)
	v_mul_lo_u32 v1, v11, s14
	v_mov_b32_e32 v2, s3
	s_and_b32 s34, s15, 0xff
	s_cmp_lt_i32 s34, 11
	v_ashrrev_i32_e32 v3, 31, v1
	v_add_co_u32_e32 v1, vcc, s2, v1
	v_addc_co_u32_e32 v2, vcc, v2, v3, vcc
	s_cbranch_scc1 .LBB142_397
; %bb.390:
	s_and_b32 s35, 0xffff, s34
	s_cmp_gt_i32 s35, 25
	s_cbranch_scc0 .LBB142_399
; %bb.391:
	s_cmp_gt_i32 s35, 28
	s_cbranch_scc0 .LBB142_401
; %bb.392:
	;; [unrolled: 3-line block ×4, first 2 shown]
	s_cmp_eq_u32 s35, 46
	s_mov_b64 s[28:29], 0
	s_cbranch_scc0 .LBB142_521
; %bb.395:
	global_load_dword v3, v[1:2], off
	s_mov_b32 s0, 0x2f800000
	s_mov_b32 s1, 0xcf800000
	s_mov_b64 s[26:27], 0
	s_waitcnt vmcnt(0)
	v_lshlrev_b32_e32 v3, 16, v3
	v_trunc_f32_e32 v3, v3
	v_mul_f32_e64 v4, |v3|, s0
	v_floor_f32_e32 v4, v4
	v_fma_f32 v4, v4, s1, |v3|
	v_cvt_u32_f32_e32 v4, v4
	v_ashrrev_i32_e32 v3, 31, v3
	s_mov_b64 s[0:1], -1
	v_xor_b32_e32 v4, v4, v3
	v_sub_u32_e32 v3, v4, v3
	s_branch .LBB142_522
.LBB142_396:
	s_mov_b64 s[26:27], -1
	s_mov_b64 s[0:1], 0
	s_mov_b64 s[24:25], s[20:21]
                                        ; implicit-def: $vgpr0
	s_branch .LBB142_435
.LBB142_397:
	s_mov_b64 s[28:29], -1
	s_mov_b64 s[0:1], 0
                                        ; implicit-def: $vgpr3
	s_mov_b64 s[26:27], s[18:19]
	s_branch .LBB142_583
.LBB142_398:
	s_mov_b64 s[26:27], -1
	s_mov_b64 s[0:1], 0
	s_mov_b64 s[24:25], s[20:21]
                                        ; implicit-def: $vgpr0
	s_branch .LBB142_418
.LBB142_399:
	s_mov_b64 s[28:29], -1
	s_mov_b64 s[0:1], 0
	s_mov_b64 s[26:27], s[18:19]
                                        ; implicit-def: $vgpr3
	s_branch .LBB142_549
.LBB142_400:
	s_mov_b64 s[26:27], -1
	s_mov_b64 s[0:1], 0
	s_mov_b64 s[24:25], s[20:21]
                                        ; implicit-def: $vgpr0
	s_branch .LBB142_413
.LBB142_401:
	s_mov_b64 s[28:29], -1
	s_mov_b64 s[0:1], 0
	s_mov_b64 s[26:27], s[18:19]
                                        ; implicit-def: $vgpr3
	s_branch .LBB142_532
.LBB142_402:
	s_mov_b64 s[26:27], -1
	s_mov_b64 s[0:1], 0
	s_mov_b64 s[24:25], s[20:21]
                                        ; implicit-def: $vgpr0
	s_branch .LBB142_407
.LBB142_403:
	s_mov_b64 s[28:29], -1
	s_mov_b64 s[0:1], 0
	s_mov_b64 s[26:27], s[18:19]
                                        ; implicit-def: $vgpr3
	s_branch .LBB142_527
.LBB142_404:
	s_andn2_saveexec_b64 s[28:29], s[28:29]
	s_cbranch_execz .LBB142_176
.LBB142_405:
	v_add_f32_e32 v3, 0x46000000, v4
	v_and_b32_e32 v3, 0xff, v3
	v_cmp_ne_u32_e32 vcc, 0, v3
	s_andn2_b64 s[24:25], s[24:25], exec
	s_and_b64 s[34:35], vcc, exec
	s_or_b64 s[24:25], s[24:25], s[34:35]
	s_or_b64 exec, exec, s[28:29]
	v_mov_b32_e32 v5, 0
	s_and_saveexec_b64 s[28:29], s[24:25]
	s_cbranch_execnz .LBB142_177
	s_branch .LBB142_178
.LBB142_406:
	s_mov_b64 s[24:25], -1
                                        ; implicit-def: $vgpr0
	s_mov_b64 s[0:1], 0
.LBB142_407:
	s_and_b64 vcc, exec, s[26:27]
	s_cbranch_vccz .LBB142_412
; %bb.408:
	s_cmp_eq_u32 s29, 44
	s_cbranch_scc0 .LBB142_411
; %bb.409:
	global_load_ubyte v0, v[2:3], off
	s_mov_b32 s0, 0x2f800000
	s_mov_b32 s1, 0xcf800000
	s_mov_b64 s[24:25], 0
	s_waitcnt vmcnt(0)
	v_lshlrev_b32_e32 v1, 23, v0
	v_trunc_f32_e32 v1, v1
	v_mul_f32_e64 v4, |v1|, s0
	v_floor_f32_e32 v4, v4
	v_fma_f32 v4, v4, s1, |v1|
	v_cvt_u32_f32_e32 v4, v4
	v_ashrrev_i32_e32 v1, 31, v1
	v_cmp_ne_u32_e32 vcc, 0, v0
	s_mov_b64 s[0:1], -1
	v_xor_b32_e32 v4, v4, v1
	v_sub_u32_e32 v1, v4, v1
	v_cndmask_b32_e32 v0, 0, v1, vcc
	s_branch .LBB142_412
.LBB142_410:
	s_mov_b64 s[28:29], -1
	s_mov_b64 s[0:1], 0
	s_mov_b64 s[26:27], s[18:19]
                                        ; implicit-def: $vgpr3
	s_branch .LBB142_522
.LBB142_411:
	s_mov_b64 s[24:25], -1
                                        ; implicit-def: $vgpr0
.LBB142_412:
	s_mov_b64 s[26:27], 0
.LBB142_413:
	s_and_b64 vcc, exec, s[26:27]
	s_cbranch_vccz .LBB142_417
; %bb.414:
	s_cmp_eq_u32 s29, 29
	s_cbranch_scc0 .LBB142_416
; %bb.415:
	global_load_dwordx2 v[0:1], v[2:3], off
	s_mov_b64 s[0:1], -1
	s_mov_b64 s[24:25], 0
	s_branch .LBB142_417
.LBB142_416:
	s_mov_b64 s[24:25], -1
                                        ; implicit-def: $vgpr0
.LBB142_417:
	s_mov_b64 s[26:27], 0
.LBB142_418:
	s_and_b64 vcc, exec, s[26:27]
	s_cbranch_vccz .LBB142_434
; %bb.419:
	s_cmp_lt_i32 s29, 27
	s_cbranch_scc1 .LBB142_422
; %bb.420:
	s_cmp_gt_i32 s29, 27
	s_cbranch_scc0 .LBB142_423
; %bb.421:
	global_load_dword v0, v[2:3], off
	s_mov_b64 s[0:1], 0
	s_branch .LBB142_424
.LBB142_422:
	s_mov_b64 s[0:1], -1
                                        ; implicit-def: $vgpr0
	s_branch .LBB142_427
.LBB142_423:
	s_mov_b64 s[0:1], -1
                                        ; implicit-def: $vgpr0
.LBB142_424:
	s_andn2_b64 vcc, exec, s[0:1]
	s_cbranch_vccnz .LBB142_426
; %bb.425:
	global_load_ushort v0, v[2:3], off
.LBB142_426:
	s_mov_b64 s[0:1], 0
.LBB142_427:
	s_andn2_b64 vcc, exec, s[0:1]
	s_cbranch_vccnz .LBB142_433
; %bb.428:
	global_load_ubyte v1, v[2:3], off
	s_movk_i32 s0, 0x7f
	s_mov_b64 s[26:27], 0
	s_waitcnt vmcnt(0)
	v_cmp_lt_i16_e32 vcc, s0, v1
	s_and_saveexec_b64 s[0:1], vcc
	s_xor_b64 s[0:1], exec, s[0:1]
	s_cbranch_execz .LBB142_445
; %bb.429:
	s_movk_i32 s26, 0x80
	v_cmp_ne_u16_e32 vcc, s26, v1
	s_and_b64 s[26:27], vcc, exec
	s_andn2_saveexec_b64 s[0:1], s[0:1]
	s_cbranch_execnz .LBB142_446
.LBB142_430:
	s_or_b64 exec, exec, s[0:1]
	v_mov_b32_e32 v0, 0
	s_and_saveexec_b64 s[0:1], s[26:27]
	s_cbranch_execz .LBB142_432
.LBB142_431:
	v_lshlrev_b32_e32 v0, 24, v1
	v_and_b32_e32 v1, 0xffff, v1
	v_and_b32_e32 v4, 7, v1
	v_ffbh_u32_e32 v6, v4
	v_min_u32_e32 v6, 32, v6
	v_subrev_u32_e32 v7, 28, v6
	v_bfe_u32 v5, v1, 3, 4
	v_lshlrev_b32_e32 v1, v7, v1
	v_sub_u32_e32 v6, 29, v6
	v_and_b32_e32 v1, 7, v1
	v_cmp_eq_u32_e32 vcc, 0, v5
	v_cndmask_b32_e32 v5, v5, v6, vcc
	v_cndmask_b32_e32 v1, v4, v1, vcc
	v_mov_b32_e32 v4, 0x3b800000
	v_lshlrev_b32_e32 v1, 20, v1
	v_and_b32_e32 v0, 0x80000000, v0
	v_lshl_add_u32 v4, v5, 23, v4
	v_or3_b32 v0, v0, v4, v1
	v_trunc_f32_e32 v0, v0
	s_mov_b32 s26, 0x2f800000
	v_mul_f32_e64 v1, |v0|, s26
	v_floor_f32_e32 v1, v1
	s_mov_b32 s26, 0xcf800000
	v_fma_f32 v1, v1, s26, |v0|
	v_cvt_u32_f32_e32 v1, v1
	v_ashrrev_i32_e32 v0, 31, v0
	v_xor_b32_e32 v1, v1, v0
	v_sub_u32_e32 v0, v1, v0
.LBB142_432:
	s_or_b64 exec, exec, s[0:1]
.LBB142_433:
	s_mov_b64 s[0:1], -1
.LBB142_434:
	s_mov_b64 s[26:27], 0
.LBB142_435:
	s_and_b64 vcc, exec, s[26:27]
	s_cbranch_vccz .LBB142_468
; %bb.436:
	s_cmp_gt_i32 s29, 22
	s_cbranch_scc0 .LBB142_444
; %bb.437:
	s_cmp_lt_i32 s29, 24
	s_cbranch_scc1 .LBB142_447
; %bb.438:
	s_cmp_gt_i32 s29, 24
	s_cbranch_scc0 .LBB142_448
; %bb.439:
	global_load_ubyte v1, v[2:3], off
	s_movk_i32 s0, 0x7f
	s_mov_b64 s[26:27], 0
	s_waitcnt vmcnt(0)
	v_cmp_lt_i16_e32 vcc, s0, v1
	s_and_saveexec_b64 s[0:1], vcc
	s_xor_b64 s[0:1], exec, s[0:1]
	s_cbranch_execz .LBB142_460
; %bb.440:
	s_movk_i32 s26, 0x80
	v_cmp_ne_u16_e32 vcc, s26, v1
	s_and_b64 s[26:27], vcc, exec
	s_andn2_saveexec_b64 s[0:1], s[0:1]
	s_cbranch_execnz .LBB142_461
.LBB142_441:
	s_or_b64 exec, exec, s[0:1]
	v_mov_b32_e32 v0, 0
	s_and_saveexec_b64 s[0:1], s[26:27]
	s_cbranch_execz .LBB142_443
.LBB142_442:
	v_lshlrev_b32_e32 v0, 24, v1
	v_and_b32_e32 v1, 0xffff, v1
	v_and_b32_e32 v4, 3, v1
	v_ffbh_u32_e32 v6, v4
	v_min_u32_e32 v6, 32, v6
	v_subrev_u32_e32 v7, 29, v6
	v_bfe_u32 v5, v1, 2, 5
	v_lshlrev_b32_e32 v1, v7, v1
	v_sub_u32_e32 v6, 30, v6
	v_and_b32_e32 v1, 3, v1
	v_cmp_eq_u32_e32 vcc, 0, v5
	v_cndmask_b32_e32 v5, v5, v6, vcc
	v_cndmask_b32_e32 v1, v4, v1, vcc
	v_mov_b32_e32 v4, 0x37800000
	v_lshlrev_b32_e32 v1, 21, v1
	v_and_b32_e32 v0, 0x80000000, v0
	v_lshl_add_u32 v4, v5, 23, v4
	v_or3_b32 v0, v0, v4, v1
	v_trunc_f32_e32 v0, v0
	s_mov_b32 s26, 0x2f800000
	v_mul_f32_e64 v1, |v0|, s26
	v_floor_f32_e32 v1, v1
	s_mov_b32 s26, 0xcf800000
	v_fma_f32 v1, v1, s26, |v0|
	v_cvt_u32_f32_e32 v1, v1
	v_ashrrev_i32_e32 v0, 31, v0
	v_xor_b32_e32 v1, v1, v0
	v_sub_u32_e32 v0, v1, v0
.LBB142_443:
	s_or_b64 exec, exec, s[0:1]
	s_mov_b64 s[0:1], 0
	s_branch .LBB142_449
.LBB142_444:
	s_mov_b64 s[26:27], -1
                                        ; implicit-def: $vgpr0
	s_branch .LBB142_455
.LBB142_445:
	s_andn2_saveexec_b64 s[0:1], s[0:1]
	s_cbranch_execz .LBB142_430
.LBB142_446:
	v_cmp_ne_u16_e32 vcc, 0, v1
	s_andn2_b64 s[26:27], s[26:27], exec
	s_and_b64 s[34:35], vcc, exec
	s_or_b64 s[26:27], s[26:27], s[34:35]
	s_or_b64 exec, exec, s[0:1]
	v_mov_b32_e32 v0, 0
	s_and_saveexec_b64 s[0:1], s[26:27]
	s_cbranch_execnz .LBB142_431
	s_branch .LBB142_432
.LBB142_447:
	s_mov_b64 s[0:1], -1
                                        ; implicit-def: $vgpr0
	s_branch .LBB142_452
.LBB142_448:
	s_mov_b64 s[0:1], -1
                                        ; implicit-def: $vgpr0
.LBB142_449:
	s_and_b64 vcc, exec, s[0:1]
	s_cbranch_vccz .LBB142_451
; %bb.450:
	global_load_ubyte v0, v[2:3], off
	s_mov_b32 s0, 0x7f800000
	s_brev_b32 s1, 1
	s_mov_b32 s26, 0x2f800000
	s_waitcnt vmcnt(0)
	v_lshlrev_b32_e32 v0, 24, v0
	v_and_b32_e32 v1, 0x7f000000, v0
	v_ffbh_u32_e32 v4, v1
	v_min_u32_e32 v4, 32, v4
	v_sub_u32_e64 v4, v4, 4 clamp
	v_lshlrev_b32_e32 v6, v4, v1
	v_lshlrev_b32_e32 v4, 23, v4
	v_lshrrev_b32_e32 v6, 4, v6
	v_add_u32_e32 v5, 0x1000000, v1
	v_sub_u32_e32 v4, v6, v4
	v_ashrrev_i32_e32 v5, 8, v5
	v_add_u32_e32 v4, 0x3c000000, v4
	v_and_or_b32 v4, v5, s0, v4
	v_cmp_ne_u32_e32 vcc, 0, v1
	v_cndmask_b32_e32 v1, 0, v4, vcc
	v_and_or_b32 v0, v0, s1, v1
	v_trunc_f32_e32 v0, v0
	v_mul_f32_e64 v1, |v0|, s26
	v_floor_f32_e32 v1, v1
	s_mov_b32 s0, 0xcf800000
	v_fma_f32 v1, v1, s0, |v0|
	v_cvt_u32_f32_e32 v1, v1
	v_ashrrev_i32_e32 v0, 31, v0
	v_xor_b32_e32 v1, v1, v0
	v_sub_u32_e32 v0, v1, v0
.LBB142_451:
	s_mov_b64 s[0:1], 0
.LBB142_452:
	s_andn2_b64 vcc, exec, s[0:1]
	s_cbranch_vccnz .LBB142_454
; %bb.453:
	global_load_ubyte v0, v[2:3], off
	s_movk_i32 s0, 0x7f00
	s_brev_b32 s1, 16
	s_brev_b32 s26, 1
	s_mov_b32 s27, 0x2f800000
	s_waitcnt vmcnt(0)
	v_lshlrev_b16_e32 v1, 8, v0
	v_lshlrev_b32_e32 v0, 25, v0
	v_lshrrev_b32_e32 v4, 4, v0
	v_and_or_b32 v5, v1, s0, 0.5
	v_or_b32_e32 v4, 0x70000000, v4
	v_add_f32_e32 v5, -0.5, v5
	v_mul_f32_e32 v4, 0x7800000, v4
	v_cmp_gt_u32_e32 vcc, s1, v0
	v_bfe_i32 v1, v1, 0, 16
	v_cndmask_b32_e32 v0, v4, v5, vcc
	v_and_or_b32 v0, v1, s26, v0
	v_trunc_f32_e32 v0, v0
	v_mul_f32_e64 v1, |v0|, s27
	v_floor_f32_e32 v1, v1
	s_mov_b32 s0, 0xcf800000
	v_fma_f32 v1, v1, s0, |v0|
	v_cvt_u32_f32_e32 v1, v1
	v_ashrrev_i32_e32 v0, 31, v0
	v_xor_b32_e32 v1, v1, v0
	v_sub_u32_e32 v0, v1, v0
.LBB142_454:
	s_mov_b64 s[26:27], 0
	s_mov_b64 s[0:1], -1
.LBB142_455:
	s_andn2_b64 vcc, exec, s[26:27]
	s_cbranch_vccnz .LBB142_468
; %bb.456:
	s_cmp_gt_i32 s29, 14
	s_cbranch_scc0 .LBB142_459
; %bb.457:
	s_cmp_eq_u32 s29, 15
	s_cbranch_scc0 .LBB142_462
; %bb.458:
	global_load_ushort v0, v[2:3], off
	s_mov_b32 s0, 0x2f800000
	s_mov_b32 s1, 0xcf800000
	s_mov_b64 s[24:25], 0
	s_waitcnt vmcnt(0)
	v_lshlrev_b32_e32 v0, 16, v0
	v_trunc_f32_e32 v0, v0
	v_mul_f32_e64 v1, |v0|, s0
	v_floor_f32_e32 v1, v1
	v_fma_f32 v1, v1, s1, |v0|
	v_cvt_u32_f32_e32 v1, v1
	v_ashrrev_i32_e32 v0, 31, v0
	s_mov_b64 s[0:1], -1
	v_xor_b32_e32 v1, v1, v0
	v_sub_u32_e32 v0, v1, v0
	s_branch .LBB142_463
.LBB142_459:
	s_mov_b64 s[26:27], -1
                                        ; implicit-def: $vgpr0
	s_branch .LBB142_464
.LBB142_460:
	s_andn2_saveexec_b64 s[0:1], s[0:1]
	s_cbranch_execz .LBB142_441
.LBB142_461:
	v_cmp_ne_u16_e32 vcc, 0, v1
	s_andn2_b64 s[26:27], s[26:27], exec
	s_and_b64 s[34:35], vcc, exec
	s_or_b64 s[26:27], s[26:27], s[34:35]
	s_or_b64 exec, exec, s[0:1]
	v_mov_b32_e32 v0, 0
	s_and_saveexec_b64 s[0:1], s[26:27]
	s_cbranch_execnz .LBB142_442
	s_branch .LBB142_443
.LBB142_462:
	s_mov_b64 s[24:25], -1
                                        ; implicit-def: $vgpr0
.LBB142_463:
	s_mov_b64 s[26:27], 0
.LBB142_464:
	s_and_b64 vcc, exec, s[26:27]
	s_cbranch_vccz .LBB142_468
; %bb.465:
	s_cmp_eq_u32 s29, 11
	s_cbranch_scc0 .LBB142_467
; %bb.466:
	global_load_ubyte v0, v[2:3], off
	s_mov_b64 s[0:1], -1
	s_mov_b64 s[24:25], 0
	s_waitcnt vmcnt(0)
	v_cmp_ne_u16_e32 vcc, 0, v0
	v_cndmask_b32_e64 v0, 0, 1, vcc
	s_branch .LBB142_468
.LBB142_467:
	s_mov_b64 s[24:25], -1
                                        ; implicit-def: $vgpr0
.LBB142_468:
	s_branch .LBB142_388
.LBB142_469:
	s_and_b32 s26, 0xffff, s28
	s_cmp_lt_i32 s26, 5
	s_cbranch_scc1 .LBB142_474
; %bb.470:
	s_cmp_lt_i32 s26, 8
	s_cbranch_scc1 .LBB142_475
; %bb.471:
	;; [unrolled: 3-line block ×3, first 2 shown]
	s_cmp_gt_i32 s26, 9
	s_cbranch_scc0 .LBB142_477
; %bb.473:
	global_load_dwordx2 v[0:1], v[2:3], off
	s_movk_i32 s0, 0xffe0
	s_waitcnt vmcnt(0)
	v_trunc_f64_e32 v[0:1], v[0:1]
	v_ldexp_f64 v[4:5], v[0:1], s0
	s_mov_b32 s0, 0
	s_mov_b32 s1, 0xc1f00000
	v_floor_f64_e32 v[4:5], v[4:5]
	v_fma_f64 v[0:1], v[4:5], s[0:1], v[0:1]
	s_mov_b64 s[0:1], 0
	v_cvt_u32_f64_e32 v0, v[0:1]
	s_branch .LBB142_478
.LBB142_474:
	s_mov_b64 s[0:1], -1
                                        ; implicit-def: $vgpr0
	s_branch .LBB142_496
.LBB142_475:
	s_mov_b64 s[0:1], -1
                                        ; implicit-def: $vgpr0
	s_branch .LBB142_484
.LBB142_476:
	s_mov_b64 s[0:1], -1
                                        ; implicit-def: $vgpr0
	s_branch .LBB142_481
.LBB142_477:
	s_mov_b64 s[0:1], -1
                                        ; implicit-def: $vgpr0
.LBB142_478:
	s_andn2_b64 vcc, exec, s[0:1]
	s_cbranch_vccnz .LBB142_480
; %bb.479:
	global_load_dword v0, v[2:3], off
	s_mov_b32 s0, 0x2f800000
	s_waitcnt vmcnt(0)
	v_trunc_f32_e32 v0, v0
	v_mul_f32_e64 v1, |v0|, s0
	v_floor_f32_e32 v1, v1
	s_mov_b32 s0, 0xcf800000
	v_fma_f32 v1, v1, s0, |v0|
	v_cvt_u32_f32_e32 v1, v1
	v_ashrrev_i32_e32 v0, 31, v0
	v_xor_b32_e32 v1, v1, v0
	v_sub_u32_e32 v0, v1, v0
.LBB142_480:
	s_mov_b64 s[0:1], 0
.LBB142_481:
	s_andn2_b64 vcc, exec, s[0:1]
	s_cbranch_vccnz .LBB142_483
; %bb.482:
	global_load_dword v0, v[2:3], off
	s_waitcnt vmcnt(0)
	v_cvt_f32_f16_e32 v0, v0
	v_cvt_i32_f32_e32 v0, v0
.LBB142_483:
	s_mov_b64 s[0:1], 0
.LBB142_484:
	s_andn2_b64 vcc, exec, s[0:1]
	s_cbranch_vccnz .LBB142_495
; %bb.485:
	s_cmp_lt_i32 s26, 6
	s_cbranch_scc1 .LBB142_488
; %bb.486:
	s_cmp_gt_i32 s26, 6
	s_cbranch_scc0 .LBB142_489
; %bb.487:
	global_load_dwordx2 v[0:1], v[2:3], off
	s_movk_i32 s0, 0xffe0
	s_waitcnt vmcnt(0)
	v_trunc_f64_e32 v[0:1], v[0:1]
	v_ldexp_f64 v[4:5], v[0:1], s0
	s_mov_b32 s0, 0
	s_mov_b32 s1, 0xc1f00000
	v_floor_f64_e32 v[4:5], v[4:5]
	v_fma_f64 v[0:1], v[4:5], s[0:1], v[0:1]
	s_mov_b64 s[0:1], 0
	v_cvt_u32_f64_e32 v0, v[0:1]
	s_branch .LBB142_490
.LBB142_488:
	s_mov_b64 s[0:1], -1
                                        ; implicit-def: $vgpr0
	s_branch .LBB142_493
.LBB142_489:
	s_mov_b64 s[0:1], -1
                                        ; implicit-def: $vgpr0
.LBB142_490:
	s_andn2_b64 vcc, exec, s[0:1]
	s_cbranch_vccnz .LBB142_492
; %bb.491:
	global_load_dword v0, v[2:3], off
	s_mov_b32 s0, 0x2f800000
	s_waitcnt vmcnt(0)
	v_trunc_f32_e32 v0, v0
	v_mul_f32_e64 v1, |v0|, s0
	v_floor_f32_e32 v1, v1
	s_mov_b32 s0, 0xcf800000
	v_fma_f32 v1, v1, s0, |v0|
	v_cvt_u32_f32_e32 v1, v1
	v_ashrrev_i32_e32 v0, 31, v0
	v_xor_b32_e32 v1, v1, v0
	v_sub_u32_e32 v0, v1, v0
.LBB142_492:
	s_mov_b64 s[0:1], 0
.LBB142_493:
	s_andn2_b64 vcc, exec, s[0:1]
	s_cbranch_vccnz .LBB142_495
; %bb.494:
	global_load_ushort v0, v[2:3], off
	s_waitcnt vmcnt(0)
	v_cvt_f32_f16_e32 v0, v0
	v_cvt_i32_f32_e32 v0, v0
.LBB142_495:
	s_mov_b64 s[0:1], 0
.LBB142_496:
	s_andn2_b64 vcc, exec, s[0:1]
	s_cbranch_vccnz .LBB142_516
; %bb.497:
	s_cmp_lt_i32 s26, 2
	s_cbranch_scc1 .LBB142_501
; %bb.498:
	s_cmp_lt_i32 s26, 3
	s_cbranch_scc1 .LBB142_502
; %bb.499:
	s_cmp_gt_i32 s26, 3
	s_cbranch_scc0 .LBB142_503
; %bb.500:
	global_load_dwordx2 v[0:1], v[2:3], off
	s_mov_b64 s[0:1], 0
	s_branch .LBB142_504
.LBB142_501:
	s_mov_b64 s[0:1], -1
                                        ; implicit-def: $vgpr0
	s_branch .LBB142_510
.LBB142_502:
	s_mov_b64 s[0:1], -1
                                        ; implicit-def: $vgpr0
	s_branch .LBB142_507
.LBB142_503:
	s_mov_b64 s[0:1], -1
                                        ; implicit-def: $vgpr0
.LBB142_504:
	s_andn2_b64 vcc, exec, s[0:1]
	s_cbranch_vccnz .LBB142_506
; %bb.505:
	global_load_dword v0, v[2:3], off
.LBB142_506:
	s_mov_b64 s[0:1], 0
.LBB142_507:
	s_andn2_b64 vcc, exec, s[0:1]
	s_cbranch_vccnz .LBB142_509
; %bb.508:
	global_load_ushort v0, v[2:3], off
.LBB142_509:
	s_mov_b64 s[0:1], 0
.LBB142_510:
	s_andn2_b64 vcc, exec, s[0:1]
	s_cbranch_vccnz .LBB142_516
; %bb.511:
	s_cmp_gt_i32 s26, 0
	s_cbranch_scc0 .LBB142_513
; %bb.512:
	global_load_ubyte v0, v[2:3], off
	s_mov_b64 s[0:1], 0
	s_branch .LBB142_514
.LBB142_513:
	s_mov_b64 s[0:1], -1
                                        ; implicit-def: $vgpr0
.LBB142_514:
	s_andn2_b64 vcc, exec, s[0:1]
	s_cbranch_vccnz .LBB142_516
; %bb.515:
	global_load_ubyte v0, v[2:3], off
.LBB142_516:
	s_branch .LBB142_389
.LBB142_517:
	s_mov_b64 s[34:35], 0
	s_mov_b64 s[0:1], s[6:7]
	;; [unrolled: 1-line block ×3, first 2 shown]
.LBB142_518:
                                        ; implicit-def: $vgpr11
	s_branch .LBB142_756
.LBB142_519:
	s_andn2_saveexec_b64 s[28:29], s[28:29]
	s_cbranch_execz .LBB142_189
.LBB142_520:
	v_add_f32_e32 v3, 0x42800000, v4
	v_and_b32_e32 v3, 0xff, v3
	v_cmp_ne_u32_e32 vcc, 0, v3
	s_andn2_b64 s[24:25], s[24:25], exec
	s_and_b64 s[34:35], vcc, exec
	s_or_b64 s[24:25], s[24:25], s[34:35]
	s_or_b64 exec, exec, s[28:29]
	v_mov_b32_e32 v5, 0
	s_and_saveexec_b64 s[28:29], s[24:25]
	s_cbranch_execnz .LBB142_190
	s_branch .LBB142_191
.LBB142_521:
	s_mov_b64 s[26:27], -1
                                        ; implicit-def: $vgpr3
	s_mov_b64 s[0:1], 0
.LBB142_522:
	s_and_b64 vcc, exec, s[28:29]
	s_cbranch_vccz .LBB142_526
; %bb.523:
	s_cmp_eq_u32 s35, 44
	s_cbranch_scc0 .LBB142_525
; %bb.524:
	global_load_ubyte v3, v[1:2], off
	s_mov_b32 s0, 0x2f800000
	s_mov_b32 s1, 0xcf800000
	s_mov_b64 s[26:27], 0
	s_waitcnt vmcnt(0)
	v_lshlrev_b32_e32 v4, 23, v3
	v_trunc_f32_e32 v4, v4
	v_mul_f32_e64 v5, |v4|, s0
	v_floor_f32_e32 v5, v5
	v_fma_f32 v5, v5, s1, |v4|
	v_cvt_u32_f32_e32 v5, v5
	v_ashrrev_i32_e32 v4, 31, v4
	v_cmp_ne_u32_e32 vcc, 0, v3
	s_mov_b64 s[0:1], -1
	v_xor_b32_e32 v5, v5, v4
	v_sub_u32_e32 v4, v5, v4
	v_cndmask_b32_e32 v3, 0, v4, vcc
	s_branch .LBB142_526
.LBB142_525:
	s_mov_b64 s[26:27], -1
                                        ; implicit-def: $vgpr3
.LBB142_526:
	s_mov_b64 s[28:29], 0
.LBB142_527:
	s_and_b64 vcc, exec, s[28:29]
	s_cbranch_vccz .LBB142_531
; %bb.528:
	s_cmp_eq_u32 s35, 29
	s_cbranch_scc0 .LBB142_530
; %bb.529:
	global_load_dwordx2 v[3:4], v[1:2], off
	s_mov_b64 s[0:1], -1
	s_mov_b64 s[26:27], 0
	s_branch .LBB142_531
.LBB142_530:
	s_mov_b64 s[26:27], -1
                                        ; implicit-def: $vgpr3
.LBB142_531:
	s_mov_b64 s[28:29], 0
.LBB142_532:
	s_and_b64 vcc, exec, s[28:29]
	s_cbranch_vccz .LBB142_548
; %bb.533:
	s_cmp_lt_i32 s35, 27
	s_cbranch_scc1 .LBB142_536
; %bb.534:
	s_cmp_gt_i32 s35, 27
	s_cbranch_scc0 .LBB142_537
; %bb.535:
	global_load_dword v3, v[1:2], off
	s_mov_b64 s[0:1], 0
	s_branch .LBB142_538
.LBB142_536:
	s_mov_b64 s[0:1], -1
                                        ; implicit-def: $vgpr3
	s_branch .LBB142_541
.LBB142_537:
	s_mov_b64 s[0:1], -1
                                        ; implicit-def: $vgpr3
.LBB142_538:
	s_andn2_b64 vcc, exec, s[0:1]
	s_cbranch_vccnz .LBB142_540
; %bb.539:
	global_load_ushort v3, v[1:2], off
.LBB142_540:
	s_mov_b64 s[0:1], 0
.LBB142_541:
	s_andn2_b64 vcc, exec, s[0:1]
	s_cbranch_vccnz .LBB142_547
; %bb.542:
	global_load_ubyte v4, v[1:2], off
	s_movk_i32 s0, 0x7f
	s_mov_b64 s[28:29], 0
	s_waitcnt vmcnt(0)
	v_cmp_lt_i16_e32 vcc, s0, v4
	s_and_saveexec_b64 s[0:1], vcc
	s_xor_b64 s[0:1], exec, s[0:1]
	s_cbranch_execz .LBB142_559
; %bb.543:
	s_movk_i32 s28, 0x80
	v_cmp_ne_u16_e32 vcc, s28, v4
	s_and_b64 s[28:29], vcc, exec
	s_andn2_saveexec_b64 s[0:1], s[0:1]
	s_cbranch_execnz .LBB142_560
.LBB142_544:
	s_or_b64 exec, exec, s[0:1]
	v_mov_b32_e32 v3, 0
	s_and_saveexec_b64 s[0:1], s[28:29]
	s_cbranch_execz .LBB142_546
.LBB142_545:
	v_lshlrev_b32_e32 v3, 24, v4
	v_and_b32_e32 v4, 0xffff, v4
	v_and_b32_e32 v5, 7, v4
	v_ffbh_u32_e32 v7, v5
	v_min_u32_e32 v7, 32, v7
	v_subrev_u32_e32 v8, 28, v7
	v_bfe_u32 v6, v4, 3, 4
	v_lshlrev_b32_e32 v4, v8, v4
	v_sub_u32_e32 v7, 29, v7
	v_and_b32_e32 v4, 7, v4
	v_cmp_eq_u32_e32 vcc, 0, v6
	v_cndmask_b32_e32 v6, v6, v7, vcc
	v_cndmask_b32_e32 v4, v5, v4, vcc
	v_mov_b32_e32 v5, 0x3b800000
	v_lshlrev_b32_e32 v4, 20, v4
	v_and_b32_e32 v3, 0x80000000, v3
	v_lshl_add_u32 v5, v6, 23, v5
	v_or3_b32 v3, v3, v5, v4
	v_trunc_f32_e32 v3, v3
	s_mov_b32 s28, 0x2f800000
	v_mul_f32_e64 v4, |v3|, s28
	v_floor_f32_e32 v4, v4
	s_mov_b32 s28, 0xcf800000
	v_fma_f32 v4, v4, s28, |v3|
	v_cvt_u32_f32_e32 v4, v4
	v_ashrrev_i32_e32 v3, 31, v3
	v_xor_b32_e32 v4, v4, v3
	v_sub_u32_e32 v3, v4, v3
.LBB142_546:
	s_or_b64 exec, exec, s[0:1]
.LBB142_547:
	s_mov_b64 s[0:1], -1
.LBB142_548:
	s_mov_b64 s[28:29], 0
.LBB142_549:
	s_and_b64 vcc, exec, s[28:29]
	s_cbranch_vccz .LBB142_582
; %bb.550:
	s_cmp_gt_i32 s35, 22
	s_cbranch_scc0 .LBB142_558
; %bb.551:
	s_cmp_lt_i32 s35, 24
	s_cbranch_scc1 .LBB142_561
; %bb.552:
	s_cmp_gt_i32 s35, 24
	s_cbranch_scc0 .LBB142_562
; %bb.553:
	global_load_ubyte v4, v[1:2], off
	s_movk_i32 s0, 0x7f
	s_mov_b64 s[28:29], 0
	s_waitcnt vmcnt(0)
	v_cmp_lt_i16_e32 vcc, s0, v4
	s_and_saveexec_b64 s[0:1], vcc
	s_xor_b64 s[0:1], exec, s[0:1]
	s_cbranch_execz .LBB142_574
; %bb.554:
	s_movk_i32 s28, 0x80
	v_cmp_ne_u16_e32 vcc, s28, v4
	s_and_b64 s[28:29], vcc, exec
	s_andn2_saveexec_b64 s[0:1], s[0:1]
	s_cbranch_execnz .LBB142_575
.LBB142_555:
	s_or_b64 exec, exec, s[0:1]
	v_mov_b32_e32 v3, 0
	s_and_saveexec_b64 s[0:1], s[28:29]
	s_cbranch_execz .LBB142_557
.LBB142_556:
	v_lshlrev_b32_e32 v3, 24, v4
	v_and_b32_e32 v4, 0xffff, v4
	v_and_b32_e32 v5, 3, v4
	v_ffbh_u32_e32 v7, v5
	v_min_u32_e32 v7, 32, v7
	v_subrev_u32_e32 v8, 29, v7
	v_bfe_u32 v6, v4, 2, 5
	v_lshlrev_b32_e32 v4, v8, v4
	v_sub_u32_e32 v7, 30, v7
	v_and_b32_e32 v4, 3, v4
	v_cmp_eq_u32_e32 vcc, 0, v6
	v_cndmask_b32_e32 v6, v6, v7, vcc
	v_cndmask_b32_e32 v4, v5, v4, vcc
	v_mov_b32_e32 v5, 0x37800000
	v_lshlrev_b32_e32 v4, 21, v4
	v_and_b32_e32 v3, 0x80000000, v3
	v_lshl_add_u32 v5, v6, 23, v5
	v_or3_b32 v3, v3, v5, v4
	v_trunc_f32_e32 v3, v3
	s_mov_b32 s28, 0x2f800000
	v_mul_f32_e64 v4, |v3|, s28
	v_floor_f32_e32 v4, v4
	s_mov_b32 s28, 0xcf800000
	v_fma_f32 v4, v4, s28, |v3|
	v_cvt_u32_f32_e32 v4, v4
	v_ashrrev_i32_e32 v3, 31, v3
	v_xor_b32_e32 v4, v4, v3
	v_sub_u32_e32 v3, v4, v3
.LBB142_557:
	s_or_b64 exec, exec, s[0:1]
	s_mov_b64 s[0:1], 0
	s_branch .LBB142_563
.LBB142_558:
	s_mov_b64 s[28:29], -1
                                        ; implicit-def: $vgpr3
	s_branch .LBB142_569
.LBB142_559:
	s_andn2_saveexec_b64 s[0:1], s[0:1]
	s_cbranch_execz .LBB142_544
.LBB142_560:
	v_cmp_ne_u16_e32 vcc, 0, v4
	s_andn2_b64 s[28:29], s[28:29], exec
	s_and_b64 s[36:37], vcc, exec
	s_or_b64 s[28:29], s[28:29], s[36:37]
	s_or_b64 exec, exec, s[0:1]
	v_mov_b32_e32 v3, 0
	s_and_saveexec_b64 s[0:1], s[28:29]
	s_cbranch_execnz .LBB142_545
	s_branch .LBB142_546
.LBB142_561:
	s_mov_b64 s[0:1], -1
                                        ; implicit-def: $vgpr3
	s_branch .LBB142_566
.LBB142_562:
	s_mov_b64 s[0:1], -1
                                        ; implicit-def: $vgpr3
.LBB142_563:
	s_and_b64 vcc, exec, s[0:1]
	s_cbranch_vccz .LBB142_565
; %bb.564:
	global_load_ubyte v3, v[1:2], off
	s_mov_b32 s0, 0x7f800000
	s_brev_b32 s1, 1
	s_mov_b32 s28, 0x2f800000
	s_waitcnt vmcnt(0)
	v_lshlrev_b32_e32 v3, 24, v3
	v_and_b32_e32 v4, 0x7f000000, v3
	v_ffbh_u32_e32 v5, v4
	v_min_u32_e32 v5, 32, v5
	v_sub_u32_e64 v5, v5, 4 clamp
	v_lshlrev_b32_e32 v7, v5, v4
	v_lshlrev_b32_e32 v5, 23, v5
	v_lshrrev_b32_e32 v7, 4, v7
	v_add_u32_e32 v6, 0x1000000, v4
	v_sub_u32_e32 v5, v7, v5
	v_ashrrev_i32_e32 v6, 8, v6
	v_add_u32_e32 v5, 0x3c000000, v5
	v_and_or_b32 v5, v6, s0, v5
	v_cmp_ne_u32_e32 vcc, 0, v4
	v_cndmask_b32_e32 v4, 0, v5, vcc
	v_and_or_b32 v3, v3, s1, v4
	v_trunc_f32_e32 v3, v3
	v_mul_f32_e64 v4, |v3|, s28
	v_floor_f32_e32 v4, v4
	s_mov_b32 s0, 0xcf800000
	v_fma_f32 v4, v4, s0, |v3|
	v_cvt_u32_f32_e32 v4, v4
	v_ashrrev_i32_e32 v3, 31, v3
	v_xor_b32_e32 v4, v4, v3
	v_sub_u32_e32 v3, v4, v3
.LBB142_565:
	s_mov_b64 s[0:1], 0
.LBB142_566:
	s_andn2_b64 vcc, exec, s[0:1]
	s_cbranch_vccnz .LBB142_568
; %bb.567:
	global_load_ubyte v3, v[1:2], off
	s_movk_i32 s0, 0x7f00
	s_brev_b32 s1, 16
	s_brev_b32 s28, 1
	s_mov_b32 s29, 0x2f800000
	s_waitcnt vmcnt(0)
	v_lshlrev_b16_e32 v4, 8, v3
	v_lshlrev_b32_e32 v3, 25, v3
	v_lshrrev_b32_e32 v5, 4, v3
	v_and_or_b32 v6, v4, s0, 0.5
	v_or_b32_e32 v5, 0x70000000, v5
	v_add_f32_e32 v6, -0.5, v6
	v_mul_f32_e32 v5, 0x7800000, v5
	v_cmp_gt_u32_e32 vcc, s1, v3
	v_bfe_i32 v4, v4, 0, 16
	v_cndmask_b32_e32 v3, v5, v6, vcc
	v_and_or_b32 v3, v4, s28, v3
	v_trunc_f32_e32 v3, v3
	v_mul_f32_e64 v4, |v3|, s29
	v_floor_f32_e32 v4, v4
	s_mov_b32 s0, 0xcf800000
	v_fma_f32 v4, v4, s0, |v3|
	v_cvt_u32_f32_e32 v4, v4
	v_ashrrev_i32_e32 v3, 31, v3
	v_xor_b32_e32 v4, v4, v3
	v_sub_u32_e32 v3, v4, v3
.LBB142_568:
	s_mov_b64 s[28:29], 0
	s_mov_b64 s[0:1], -1
.LBB142_569:
	s_andn2_b64 vcc, exec, s[28:29]
	s_cbranch_vccnz .LBB142_582
; %bb.570:
	s_cmp_gt_i32 s35, 14
	s_cbranch_scc0 .LBB142_573
; %bb.571:
	s_cmp_eq_u32 s35, 15
	s_cbranch_scc0 .LBB142_576
; %bb.572:
	global_load_ushort v3, v[1:2], off
	s_mov_b32 s0, 0x2f800000
	s_mov_b32 s1, 0xcf800000
	s_mov_b64 s[26:27], 0
	s_waitcnt vmcnt(0)
	v_lshlrev_b32_e32 v3, 16, v3
	v_trunc_f32_e32 v3, v3
	v_mul_f32_e64 v4, |v3|, s0
	v_floor_f32_e32 v4, v4
	v_fma_f32 v4, v4, s1, |v3|
	v_cvt_u32_f32_e32 v4, v4
	v_ashrrev_i32_e32 v3, 31, v3
	s_mov_b64 s[0:1], -1
	v_xor_b32_e32 v4, v4, v3
	v_sub_u32_e32 v3, v4, v3
	s_branch .LBB142_577
.LBB142_573:
	s_mov_b64 s[28:29], -1
                                        ; implicit-def: $vgpr3
	s_branch .LBB142_578
.LBB142_574:
	s_andn2_saveexec_b64 s[0:1], s[0:1]
	s_cbranch_execz .LBB142_555
.LBB142_575:
	v_cmp_ne_u16_e32 vcc, 0, v4
	s_andn2_b64 s[28:29], s[28:29], exec
	s_and_b64 s[36:37], vcc, exec
	s_or_b64 s[28:29], s[28:29], s[36:37]
	s_or_b64 exec, exec, s[0:1]
	v_mov_b32_e32 v3, 0
	s_and_saveexec_b64 s[0:1], s[28:29]
	s_cbranch_execnz .LBB142_556
	s_branch .LBB142_557
.LBB142_576:
	s_mov_b64 s[26:27], -1
                                        ; implicit-def: $vgpr3
.LBB142_577:
	s_mov_b64 s[28:29], 0
.LBB142_578:
	s_and_b64 vcc, exec, s[28:29]
	s_cbranch_vccz .LBB142_582
; %bb.579:
	s_cmp_eq_u32 s35, 11
	s_cbranch_scc0 .LBB142_581
; %bb.580:
	global_load_ubyte v3, v[1:2], off
	s_mov_b64 s[0:1], -1
	s_mov_b64 s[26:27], 0
	s_waitcnt vmcnt(0)
	v_cmp_ne_u16_e32 vcc, 0, v3
	v_cndmask_b32_e64 v3, 0, 1, vcc
	s_branch .LBB142_582
.LBB142_581:
	s_mov_b64 s[26:27], -1
                                        ; implicit-def: $vgpr3
.LBB142_582:
	s_mov_b64 s[28:29], 0
.LBB142_583:
	s_and_b64 vcc, exec, s[28:29]
	s_cbranch_vccz .LBB142_632
; %bb.584:
	s_and_b32 s28, 0xffff, s34
	s_cmp_lt_i32 s28, 5
	s_cbranch_scc1 .LBB142_589
; %bb.585:
	s_cmp_lt_i32 s28, 8
	s_cbranch_scc1 .LBB142_590
; %bb.586:
	;; [unrolled: 3-line block ×3, first 2 shown]
	s_cmp_gt_i32 s28, 9
	s_cbranch_scc0 .LBB142_592
; %bb.588:
	global_load_dwordx2 v[3:4], v[1:2], off
	s_movk_i32 s0, 0xffe0
	s_waitcnt vmcnt(0)
	v_trunc_f64_e32 v[3:4], v[3:4]
	v_ldexp_f64 v[5:6], v[3:4], s0
	s_mov_b32 s0, 0
	s_mov_b32 s1, 0xc1f00000
	v_floor_f64_e32 v[5:6], v[5:6]
	v_fma_f64 v[3:4], v[5:6], s[0:1], v[3:4]
	s_mov_b64 s[0:1], 0
	v_cvt_u32_f64_e32 v3, v[3:4]
	s_branch .LBB142_593
.LBB142_589:
	s_mov_b64 s[0:1], -1
                                        ; implicit-def: $vgpr3
	s_branch .LBB142_611
.LBB142_590:
	s_mov_b64 s[0:1], -1
                                        ; implicit-def: $vgpr3
	s_branch .LBB142_599
.LBB142_591:
	s_mov_b64 s[0:1], -1
                                        ; implicit-def: $vgpr3
	s_branch .LBB142_596
.LBB142_592:
	s_mov_b64 s[0:1], -1
                                        ; implicit-def: $vgpr3
.LBB142_593:
	s_andn2_b64 vcc, exec, s[0:1]
	s_cbranch_vccnz .LBB142_595
; %bb.594:
	global_load_dword v3, v[1:2], off
	s_mov_b32 s0, 0x2f800000
	s_waitcnt vmcnt(0)
	v_trunc_f32_e32 v3, v3
	v_mul_f32_e64 v4, |v3|, s0
	v_floor_f32_e32 v4, v4
	s_mov_b32 s0, 0xcf800000
	v_fma_f32 v4, v4, s0, |v3|
	v_cvt_u32_f32_e32 v4, v4
	v_ashrrev_i32_e32 v3, 31, v3
	v_xor_b32_e32 v4, v4, v3
	v_sub_u32_e32 v3, v4, v3
.LBB142_595:
	s_mov_b64 s[0:1], 0
.LBB142_596:
	s_andn2_b64 vcc, exec, s[0:1]
	s_cbranch_vccnz .LBB142_598
; %bb.597:
	global_load_dword v3, v[1:2], off
	s_waitcnt vmcnt(0)
	v_cvt_f32_f16_e32 v3, v3
	v_cvt_i32_f32_e32 v3, v3
.LBB142_598:
	s_mov_b64 s[0:1], 0
.LBB142_599:
	s_andn2_b64 vcc, exec, s[0:1]
	s_cbranch_vccnz .LBB142_610
; %bb.600:
	s_cmp_lt_i32 s28, 6
	s_cbranch_scc1 .LBB142_603
; %bb.601:
	s_cmp_gt_i32 s28, 6
	s_cbranch_scc0 .LBB142_604
; %bb.602:
	global_load_dwordx2 v[3:4], v[1:2], off
	s_movk_i32 s0, 0xffe0
	s_waitcnt vmcnt(0)
	v_trunc_f64_e32 v[3:4], v[3:4]
	v_ldexp_f64 v[5:6], v[3:4], s0
	s_mov_b32 s0, 0
	s_mov_b32 s1, 0xc1f00000
	v_floor_f64_e32 v[5:6], v[5:6]
	v_fma_f64 v[3:4], v[5:6], s[0:1], v[3:4]
	s_mov_b64 s[0:1], 0
	v_cvt_u32_f64_e32 v3, v[3:4]
	s_branch .LBB142_605
.LBB142_603:
	s_mov_b64 s[0:1], -1
                                        ; implicit-def: $vgpr3
	s_branch .LBB142_608
.LBB142_604:
	s_mov_b64 s[0:1], -1
                                        ; implicit-def: $vgpr3
.LBB142_605:
	s_andn2_b64 vcc, exec, s[0:1]
	s_cbranch_vccnz .LBB142_607
; %bb.606:
	global_load_dword v3, v[1:2], off
	s_mov_b32 s0, 0x2f800000
	s_waitcnt vmcnt(0)
	v_trunc_f32_e32 v3, v3
	v_mul_f32_e64 v4, |v3|, s0
	v_floor_f32_e32 v4, v4
	s_mov_b32 s0, 0xcf800000
	v_fma_f32 v4, v4, s0, |v3|
	v_cvt_u32_f32_e32 v4, v4
	v_ashrrev_i32_e32 v3, 31, v3
	v_xor_b32_e32 v4, v4, v3
	v_sub_u32_e32 v3, v4, v3
.LBB142_607:
	s_mov_b64 s[0:1], 0
.LBB142_608:
	s_andn2_b64 vcc, exec, s[0:1]
	s_cbranch_vccnz .LBB142_610
; %bb.609:
	global_load_ushort v3, v[1:2], off
	s_waitcnt vmcnt(0)
	v_cvt_f32_f16_e32 v3, v3
	v_cvt_i32_f32_e32 v3, v3
.LBB142_610:
	s_mov_b64 s[0:1], 0
.LBB142_611:
	s_andn2_b64 vcc, exec, s[0:1]
	s_cbranch_vccnz .LBB142_631
; %bb.612:
	s_cmp_lt_i32 s28, 2
	s_cbranch_scc1 .LBB142_616
; %bb.613:
	s_cmp_lt_i32 s28, 3
	s_cbranch_scc1 .LBB142_617
; %bb.614:
	s_cmp_gt_i32 s28, 3
	s_cbranch_scc0 .LBB142_618
; %bb.615:
	global_load_dwordx2 v[3:4], v[1:2], off
	s_mov_b64 s[0:1], 0
	s_branch .LBB142_619
.LBB142_616:
	s_mov_b64 s[0:1], -1
                                        ; implicit-def: $vgpr3
	s_branch .LBB142_625
.LBB142_617:
	s_mov_b64 s[0:1], -1
                                        ; implicit-def: $vgpr3
	s_branch .LBB142_622
.LBB142_618:
	s_mov_b64 s[0:1], -1
                                        ; implicit-def: $vgpr3
.LBB142_619:
	s_andn2_b64 vcc, exec, s[0:1]
	s_cbranch_vccnz .LBB142_621
; %bb.620:
	global_load_dword v3, v[1:2], off
.LBB142_621:
	s_mov_b64 s[0:1], 0
.LBB142_622:
	s_andn2_b64 vcc, exec, s[0:1]
	s_cbranch_vccnz .LBB142_624
; %bb.623:
	global_load_ushort v3, v[1:2], off
.LBB142_624:
	s_mov_b64 s[0:1], 0
.LBB142_625:
	s_andn2_b64 vcc, exec, s[0:1]
	s_cbranch_vccnz .LBB142_631
; %bb.626:
	s_cmp_gt_i32 s28, 0
	s_cbranch_scc0 .LBB142_628
; %bb.627:
	global_load_ubyte v3, v[1:2], off
	s_mov_b64 s[0:1], 0
	s_branch .LBB142_629
.LBB142_628:
	s_mov_b64 s[0:1], -1
                                        ; implicit-def: $vgpr3
.LBB142_629:
	s_andn2_b64 vcc, exec, s[0:1]
	s_cbranch_vccnz .LBB142_631
; %bb.630:
	global_load_ubyte v3, v[1:2], off
.LBB142_631:
	s_mov_b64 s[0:1], -1
.LBB142_632:
	s_andn2_b64 vcc, exec, s[0:1]
	s_cbranch_vccnz .LBB142_640
; %bb.633:
	v_mul_lo_u32 v1, v11, s12
	v_mov_b32_e32 v2, 8
	s_waitcnt vmcnt(0)
	v_lshrrev_b16_sdwa v0, v3, v0 dst_sel:DWORD dst_unused:UNUSED_PAD src0_sel:BYTE_0 src1_sel:BYTE_0
	v_cmp_lt_u16_sdwa vcc, v3, v2 src0_sel:BYTE_0 src1_sel:DWORD
	v_cndmask_b32_e32 v2, 0, v0, vcc
	v_ashrrev_i32_e32 v3, 31, v1
	v_mov_b32_e32 v4, s9
	s_and_b32 s38, s33, 0xff
	v_add_co_u32_e32 v0, vcc, s8, v1
	s_cmp_lt_i32 s38, 11
	v_addc_co_u32_e32 v1, vcc, v4, v3, vcc
	s_cbranch_scc1 .LBB142_641
; %bb.634:
	s_and_b32 s39, 0xffff, s38
	s_cmp_gt_i32 s39, 25
	s_cbranch_scc0 .LBB142_642
; %bb.635:
	s_cmp_gt_i32 s39, 28
	s_cbranch_scc0 .LBB142_643
; %bb.636:
	s_cmp_gt_i32 s39, 43
	s_cbranch_scc0 .LBB142_644
; %bb.637:
	s_cmp_gt_i32 s39, 45
	s_cbranch_scc0 .LBB142_645
; %bb.638:
	s_mov_b64 s[34:35], 0
	s_mov_b64 s[0:1], -1
	s_cmp_eq_u32 s39, 46
	s_mov_b64 s[28:29], 0
	s_cbranch_scc0 .LBB142_646
; %bb.639:
	v_cvt_f32_ubyte0_e32 v3, v2
	v_bfe_u32 v4, v3, 16, 1
	s_movk_i32 s0, 0x7fff
	v_add3_u32 v3, v3, v4, s0
	v_lshrrev_b32_e32 v3, 16, v3
	global_store_dword v[0:1], v3, off
	s_mov_b64 s[28:29], -1
	s_mov_b64 s[0:1], 0
	s_branch .LBB142_646
.LBB142_640:
	s_mov_b64 s[34:35], 0
                                        ; implicit-def: $vgpr11
	s_mov_b64 s[0:1], s[6:7]
	s_branch .LBB142_756
.LBB142_641:
	s_mov_b64 s[34:35], -1
	s_mov_b64 s[28:29], 0
	s_mov_b64 s[0:1], s[6:7]
	s_branch .LBB142_715
.LBB142_642:
	s_mov_b64 s[34:35], -1
	s_mov_b64 s[28:29], 0
	s_mov_b64 s[0:1], s[6:7]
	s_branch .LBB142_673
.LBB142_643:
	s_mov_b64 s[34:35], -1
	s_mov_b64 s[28:29], 0
	s_mov_b64 s[0:1], s[6:7]
	s_branch .LBB142_656
.LBB142_644:
	s_mov_b64 s[34:35], -1
	s_mov_b64 s[28:29], 0
	s_mov_b64 s[0:1], s[6:7]
	s_branch .LBB142_652
.LBB142_645:
	s_mov_b64 s[34:35], -1
	s_mov_b64 s[28:29], 0
	s_mov_b64 s[0:1], s[6:7]
.LBB142_646:
	s_and_b64 vcc, exec, s[34:35]
	s_cbranch_vccz .LBB142_651
; %bb.647:
	s_cmp_eq_u32 s39, 44
	s_mov_b64 s[0:1], -1
	s_cbranch_scc0 .LBB142_651
; %bb.648:
	v_cvt_f32_ubyte0_e32 v4, v2
	v_lshrrev_b32_e32 v3, 23, v4
	s_movk_i32 s0, 0xff
	v_cmp_ne_u32_e32 vcc, s0, v3
	v_mov_b32_e32 v5, 0xff
	s_and_saveexec_b64 s[28:29], vcc
; %bb.649:
	s_mov_b32 s0, 0x3fffff
	v_and_b32_e32 v5, 0x400000, v4
	v_and_or_b32 v4, v4, s0, v3
	v_cmp_ne_u32_e32 vcc, 0, v5
	v_cmp_ne_u32_e64 s[0:1], 0, v4
	s_and_b64 s[0:1], vcc, s[0:1]
	v_cndmask_b32_e64 v4, 0, 1, s[0:1]
	v_add_u32_e32 v5, v3, v4
; %bb.650:
	s_or_b64 exec, exec, s[28:29]
	s_mov_b64 s[28:29], -1
	s_mov_b64 s[0:1], 0
	global_store_byte v[0:1], v5, off
.LBB142_651:
	s_mov_b64 s[34:35], 0
.LBB142_652:
	s_and_b64 vcc, exec, s[34:35]
	s_cbranch_vccz .LBB142_655
; %bb.653:
	s_cmp_eq_u32 s39, 29
	s_mov_b64 s[0:1], -1
	s_cbranch_scc0 .LBB142_655
; %bb.654:
	s_mov_b32 s0, 0
	v_and_b32_e32 v3, 0xffff, v2
	v_mov_b32_e32 v4, s0
	global_store_dwordx2 v[0:1], v[3:4], off
	s_mov_b64 s[28:29], -1
	s_mov_b64 s[0:1], 0
.LBB142_655:
	s_mov_b64 s[34:35], 0
.LBB142_656:
	s_and_b64 vcc, exec, s[34:35]
	s_cbranch_vccz .LBB142_672
; %bb.657:
	s_cmp_lt_i32 s39, 27
	s_mov_b64 s[28:29], -1
	s_cbranch_scc1 .LBB142_663
; %bb.658:
	s_cmp_gt_i32 s39, 27
	s_cbranch_scc0 .LBB142_660
; %bb.659:
	v_and_b32_e32 v3, 0xffff, v2
	s_mov_b64 s[28:29], 0
	global_store_dword v[0:1], v3, off
.LBB142_660:
	s_andn2_b64 vcc, exec, s[28:29]
	s_cbranch_vccnz .LBB142_662
; %bb.661:
	global_store_short v[0:1], v2, off
.LBB142_662:
	s_mov_b64 s[28:29], 0
.LBB142_663:
	s_andn2_b64 vcc, exec, s[28:29]
	s_cbranch_vccnz .LBB142_671
; %bb.664:
	v_cvt_f32_ubyte0_e32 v4, v2
	s_mov_b32 s28, 0x43800000
	v_cmp_gt_u32_e32 vcc, s28, v4
	v_mov_b32_e32 v5, 0x80
	s_and_saveexec_b64 s[28:29], vcc
	s_cbranch_execz .LBB142_670
; %bb.665:
	s_mov_b32 s34, 0x3bffffff
	v_cmp_lt_u32_e32 vcc, s34, v4
	s_mov_b64 s[34:35], 0
                                        ; implicit-def: $vgpr3
	s_and_saveexec_b64 s[36:37], vcc
	s_xor_b64 s[36:37], exec, s[36:37]
	s_cbranch_execz .LBB142_772
; %bb.666:
	v_bfe_u32 v3, v4, 20, 1
	s_mov_b32 s40, 0x487ffff
	v_add3_u32 v3, v4, v3, s40
	s_mov_b64 s[34:35], exec
	v_lshrrev_b32_e32 v3, 20, v3
                                        ; implicit-def: $vgpr4
	s_andn2_saveexec_b64 s[36:37], s[36:37]
	s_cbranch_execnz .LBB142_773
.LBB142_667:
	s_or_b64 exec, exec, s[36:37]
	v_mov_b32_e32 v5, 0
	s_and_saveexec_b64 s[36:37], s[34:35]
.LBB142_668:
	v_mov_b32_e32 v5, v3
.LBB142_669:
	s_or_b64 exec, exec, s[36:37]
.LBB142_670:
	s_or_b64 exec, exec, s[28:29]
	global_store_byte v[0:1], v5, off
.LBB142_671:
	s_mov_b64 s[28:29], -1
.LBB142_672:
	s_mov_b64 s[34:35], 0
.LBB142_673:
	s_and_b64 vcc, exec, s[34:35]
	s_cbranch_vccz .LBB142_714
; %bb.674:
	s_cmp_gt_i32 s39, 22
	s_mov_b64 s[34:35], -1
	s_cbranch_scc0 .LBB142_706
; %bb.675:
	s_cmp_lt_i32 s39, 24
	s_mov_b64 s[28:29], -1
	s_cbranch_scc1 .LBB142_695
; %bb.676:
	s_cmp_gt_i32 s39, 24
	s_cbranch_scc0 .LBB142_684
; %bb.677:
	v_cvt_f32_ubyte0_e32 v4, v2
	s_mov_b32 s28, 0x47800000
	v_cmp_gt_u32_e32 vcc, s28, v4
	v_mov_b32_e32 v5, 0x80
	s_and_saveexec_b64 s[28:29], vcc
	s_cbranch_execz .LBB142_683
; %bb.678:
	s_mov_b32 s34, 0x37ffffff
	v_cmp_lt_u32_e32 vcc, s34, v4
	s_mov_b64 s[34:35], 0
                                        ; implicit-def: $vgpr3
	s_and_saveexec_b64 s[36:37], vcc
	s_xor_b64 s[36:37], exec, s[36:37]
	s_cbranch_execz .LBB142_900
; %bb.679:
	v_bfe_u32 v3, v4, 21, 1
	s_mov_b32 s40, 0x88fffff
	v_add3_u32 v3, v4, v3, s40
	s_mov_b64 s[34:35], exec
	v_lshrrev_b32_e32 v3, 21, v3
                                        ; implicit-def: $vgpr4
	s_andn2_saveexec_b64 s[36:37], s[36:37]
	s_cbranch_execnz .LBB142_901
.LBB142_680:
	s_or_b64 exec, exec, s[36:37]
	v_mov_b32_e32 v5, 0
	s_and_saveexec_b64 s[36:37], s[34:35]
.LBB142_681:
	v_mov_b32_e32 v5, v3
.LBB142_682:
	s_or_b64 exec, exec, s[36:37]
.LBB142_683:
	s_or_b64 exec, exec, s[28:29]
	s_mov_b64 s[28:29], 0
	global_store_byte v[0:1], v5, off
.LBB142_684:
	s_and_b64 vcc, exec, s[28:29]
	s_cbranch_vccz .LBB142_694
; %bb.685:
	v_cvt_f32_ubyte0_e32 v3, v2
	s_mov_b32 s28, 0x43f00000
	v_cmp_gt_u32_e32 vcc, s28, v3
                                        ; implicit-def: $vgpr4
	s_and_saveexec_b64 s[28:29], vcc
	s_xor_b64 s[28:29], exec, s[28:29]
	s_cbranch_execz .LBB142_691
; %bb.686:
	s_mov_b32 s34, 0x3c7fffff
	v_cmp_lt_u32_e32 vcc, s34, v3
                                        ; implicit-def: $vgpr4
	s_and_saveexec_b64 s[34:35], vcc
	s_xor_b64 s[34:35], exec, s[34:35]
; %bb.687:
	v_bfe_u32 v4, v3, 20, 1
	s_mov_b32 s36, 0x407ffff
	v_add3_u32 v3, v3, v4, s36
	v_lshrrev_b32_e32 v4, 20, v3
	v_and_b32_e32 v3, 0xff00000, v3
	s_mov_b32 s36, 0x7f00000
	v_mov_b32_e32 v5, 0x7e
	v_cmp_ne_u32_e32 vcc, s36, v3
	v_cndmask_b32_e32 v4, v5, v4, vcc
                                        ; implicit-def: $vgpr3
; %bb.688:
	s_andn2_saveexec_b64 s[34:35], s[34:35]
; %bb.689:
	v_add_f32_e32 v4, 0x46800000, v3
; %bb.690:
	s_or_b64 exec, exec, s[34:35]
                                        ; implicit-def: $vgpr3
.LBB142_691:
	s_andn2_saveexec_b64 s[28:29], s[28:29]
; %bb.692:
	s_mov_b32 s34, 0x7f800000
	v_mov_b32_e32 v4, 0x7e
	v_mov_b32_e32 v5, 0x7f
	v_cmp_lt_u32_e32 vcc, s34, v3
	v_cndmask_b32_e32 v4, v4, v5, vcc
; %bb.693:
	s_or_b64 exec, exec, s[28:29]
	global_store_byte v[0:1], v4, off
.LBB142_694:
	s_mov_b64 s[28:29], 0
.LBB142_695:
	s_andn2_b64 vcc, exec, s[28:29]
	s_cbranch_vccnz .LBB142_705
; %bb.696:
	v_cvt_f32_ubyte0_e32 v3, v2
	s_mov_b32 s28, 0x47800000
	v_cmp_gt_u32_e32 vcc, s28, v3
                                        ; implicit-def: $vgpr4
	s_and_saveexec_b64 s[28:29], vcc
	s_xor_b64 s[28:29], exec, s[28:29]
	s_cbranch_execz .LBB142_702
; %bb.697:
	s_mov_b32 s34, 0x387fffff
	v_cmp_lt_u32_e32 vcc, s34, v3
                                        ; implicit-def: $vgpr4
	s_and_saveexec_b64 s[34:35], vcc
	s_xor_b64 s[34:35], exec, s[34:35]
; %bb.698:
	v_bfe_u32 v4, v3, 21, 1
	s_mov_b32 s36, 0x80fffff
	v_add3_u32 v3, v3, v4, s36
	v_lshrrev_b32_e32 v4, 21, v3
                                        ; implicit-def: $vgpr3
; %bb.699:
	s_andn2_saveexec_b64 s[34:35], s[34:35]
; %bb.700:
	v_add_f32_e32 v4, 0x43000000, v3
; %bb.701:
	s_or_b64 exec, exec, s[34:35]
                                        ; implicit-def: $vgpr3
.LBB142_702:
	s_andn2_saveexec_b64 s[28:29], s[28:29]
; %bb.703:
	s_mov_b32 s34, 0x7f800000
	v_mov_b32_e32 v4, 0x7c
	v_mov_b32_e32 v5, 0x7f
	v_cmp_lt_u32_e32 vcc, s34, v3
	v_cndmask_b32_e32 v4, v4, v5, vcc
; %bb.704:
	s_or_b64 exec, exec, s[28:29]
	global_store_byte v[0:1], v4, off
.LBB142_705:
	s_mov_b64 s[34:35], 0
	s_mov_b64 s[28:29], -1
.LBB142_706:
	s_andn2_b64 vcc, exec, s[34:35]
	s_cbranch_vccnz .LBB142_714
; %bb.707:
	s_cmp_gt_i32 s39, 14
	s_mov_b64 s[34:35], -1
	s_cbranch_scc0 .LBB142_711
; %bb.708:
	s_cmp_eq_u32 s39, 15
	s_mov_b64 s[0:1], -1
	s_cbranch_scc0 .LBB142_710
; %bb.709:
	v_cvt_f32_ubyte0_e32 v3, v2
	v_bfe_u32 v4, v3, 16, 1
	s_movk_i32 s0, 0x7fff
	v_add3_u32 v3, v3, v4, s0
	global_store_short_d16_hi v[0:1], v3, off
	s_mov_b64 s[28:29], -1
	s_mov_b64 s[0:1], 0
.LBB142_710:
	s_mov_b64 s[34:35], 0
.LBB142_711:
	s_and_b64 vcc, exec, s[34:35]
	s_cbranch_vccz .LBB142_714
; %bb.712:
	s_cmp_eq_u32 s39, 11
	s_mov_b64 s[0:1], -1
	s_cbranch_scc0 .LBB142_714
; %bb.713:
	v_cmp_ne_u16_e32 vcc, 0, v2
	v_cndmask_b32_e64 v3, 0, 1, vcc
	s_mov_b64 s[28:29], -1
	s_mov_b64 s[0:1], 0
	global_store_byte v[0:1], v3, off
.LBB142_714:
	s_mov_b64 s[34:35], 0
.LBB142_715:
	s_and_b64 vcc, exec, s[34:35]
	s_cbranch_vccz .LBB142_754
; %bb.716:
	s_and_b32 s34, 0xffff, s38
	s_cmp_lt_i32 s34, 5
	s_mov_b64 s[28:29], -1
	s_cbranch_scc1 .LBB142_737
; %bb.717:
	s_cmp_lt_i32 s34, 8
	s_cbranch_scc1 .LBB142_727
; %bb.718:
	s_cmp_lt_i32 s34, 9
	s_cbranch_scc1 .LBB142_724
; %bb.719:
	s_cmp_gt_i32 s34, 9
	s_cbranch_scc0 .LBB142_721
; %bb.720:
	v_and_b32_e32 v3, 0xffff, v2
	v_cvt_f64_u32_e32 v[3:4], v3
	v_mov_b32_e32 v5, 0
	v_mov_b32_e32 v6, v5
	s_mov_b64 s[28:29], 0
	global_store_dwordx4 v[0:1], v[3:6], off
.LBB142_721:
	s_andn2_b64 vcc, exec, s[28:29]
	s_cbranch_vccnz .LBB142_723
; %bb.722:
	v_cvt_f32_ubyte0_e32 v3, v2
	v_mov_b32_e32 v4, 0
	global_store_dwordx2 v[0:1], v[3:4], off
.LBB142_723:
	s_mov_b64 s[28:29], 0
.LBB142_724:
	s_andn2_b64 vcc, exec, s[28:29]
	s_cbranch_vccnz .LBB142_726
; %bb.725:
	v_cvt_f16_u16_e32 v3, v2
	global_store_dword v[0:1], v3, off
.LBB142_726:
	s_mov_b64 s[28:29], 0
.LBB142_727:
	s_andn2_b64 vcc, exec, s[28:29]
	s_cbranch_vccnz .LBB142_736
; %bb.728:
	s_cmp_lt_i32 s34, 6
	s_mov_b64 s[28:29], -1
	s_cbranch_scc1 .LBB142_734
; %bb.729:
	s_cmp_gt_i32 s34, 6
	s_cbranch_scc0 .LBB142_731
; %bb.730:
	v_and_b32_e32 v3, 0xffff, v2
	v_cvt_f64_u32_e32 v[3:4], v3
	s_mov_b64 s[28:29], 0
	global_store_dwordx2 v[0:1], v[3:4], off
.LBB142_731:
	s_andn2_b64 vcc, exec, s[28:29]
	s_cbranch_vccnz .LBB142_733
; %bb.732:
	v_cvt_f32_ubyte0_e32 v3, v2
	global_store_dword v[0:1], v3, off
.LBB142_733:
	s_mov_b64 s[28:29], 0
.LBB142_734:
	s_andn2_b64 vcc, exec, s[28:29]
	s_cbranch_vccnz .LBB142_736
; %bb.735:
	v_cvt_f16_u16_e32 v3, v2
	global_store_short v[0:1], v3, off
.LBB142_736:
	s_mov_b64 s[28:29], 0
.LBB142_737:
	s_andn2_b64 vcc, exec, s[28:29]
	s_cbranch_vccnz .LBB142_753
; %bb.738:
	s_cmp_lt_i32 s34, 2
	s_mov_b64 s[28:29], -1
	s_cbranch_scc1 .LBB142_748
; %bb.739:
	s_cmp_lt_i32 s34, 3
	s_cbranch_scc1 .LBB142_745
; %bb.740:
	s_cmp_gt_i32 s34, 3
	s_cbranch_scc0 .LBB142_742
; %bb.741:
	s_mov_b32 s28, 0
	v_and_b32_e32 v3, 0xffff, v2
	v_mov_b32_e32 v4, s28
	s_mov_b64 s[28:29], 0
	global_store_dwordx2 v[0:1], v[3:4], off
.LBB142_742:
	s_andn2_b64 vcc, exec, s[28:29]
	s_cbranch_vccnz .LBB142_744
; %bb.743:
	v_and_b32_e32 v3, 0xffff, v2
	global_store_dword v[0:1], v3, off
.LBB142_744:
	s_mov_b64 s[28:29], 0
.LBB142_745:
	s_andn2_b64 vcc, exec, s[28:29]
	s_cbranch_vccnz .LBB142_747
; %bb.746:
	global_store_short v[0:1], v2, off
.LBB142_747:
	s_mov_b64 s[28:29], 0
.LBB142_748:
	s_andn2_b64 vcc, exec, s[28:29]
	s_cbranch_vccnz .LBB142_753
; %bb.749:
	s_cmp_gt_i32 s34, 0
	s_mov_b64 s[28:29], -1
	s_cbranch_scc0 .LBB142_751
; %bb.750:
	s_mov_b64 s[28:29], 0
	global_store_byte v[0:1], v2, off
.LBB142_751:
	s_andn2_b64 vcc, exec, s[28:29]
	s_cbranch_vccnz .LBB142_753
; %bb.752:
	global_store_byte v[0:1], v2, off
.LBB142_753:
	s_mov_b64 s[28:29], -1
.LBB142_754:
	s_andn2_b64 vcc, exec, s[28:29]
	s_cbranch_vccnz .LBB142_767
; %bb.755:
	v_add_u32_e32 v11, 0x80, v11
	s_mov_b64 s[34:35], -1
.LBB142_756:
	s_andn2_b64 s[28:29], s[6:7], exec
	s_and_b64 s[0:1], s[0:1], exec
	s_or_b64 s[28:29], s[28:29], s[0:1]
	s_andn2_b64 s[0:1], s[18:19], exec
	s_and_b64 s[26:27], s[26:27], exec
	s_or_b64 s[26:27], s[0:1], s[26:27]
	s_andn2_b64 s[0:1], s[20:21], exec
	s_and_b64 s[24:25], s[24:25], exec
	s_or_b64 s[24:25], s[0:1], s[24:25]
	s_orn2_b64 s[0:1], s[34:35], exec
.LBB142_757:
	s_or_b64 exec, exec, s[30:31]
	s_mov_b64 s[34:35], 0
	s_mov_b64 s[36:37], 0
	;; [unrolled: 1-line block ×3, first 2 shown]
                                        ; implicit-def: $sgpr55
                                        ; implicit-def: $vgpr2_vgpr3
                                        ; implicit-def: $vgpr0
	s_and_saveexec_b64 s[30:31], s[0:1]
	s_cbranch_execz .LBB142_1219
; %bb.758:
	v_cmp_gt_i32_e32 vcc, s48, v11
	s_mov_b64 s[46:47], -1
	s_mov_b64 s[0:1], s[24:25]
	s_mov_b64 s[38:39], s[26:27]
	;; [unrolled: 1-line block ×3, first 2 shown]
	s_and_saveexec_b64 s[34:35], vcc
	s_cbranch_execz .LBB142_1138
; %bb.759:
	s_waitcnt vmcnt(0)
	v_mul_lo_u32 v0, v11, s13
	v_mov_b32_e32 v1, s11
	s_and_b32 s40, s54, 0xff
	s_cmp_lt_i32 s40, 11
	v_ashrrev_i32_e32 v3, 31, v0
	v_add_co_u32_e32 v2, vcc, s10, v0
	v_addc_co_u32_e32 v3, vcc, v1, v3, vcc
	s_cbranch_scc1 .LBB142_766
; %bb.760:
	s_and_b32 s41, 0xffff, s40
	s_cmp_gt_i32 s41, 25
	s_cbranch_scc0 .LBB142_768
; %bb.761:
	s_cmp_gt_i32 s41, 28
	s_cbranch_scc0 .LBB142_769
; %bb.762:
	;; [unrolled: 3-line block ×4, first 2 shown]
	s_cmp_eq_u32 s41, 46
	s_mov_b64 s[38:39], 0
	s_cbranch_scc0 .LBB142_774
; %bb.765:
	global_load_dword v0, v[2:3], off
	s_mov_b32 s0, 0x2f800000
	s_mov_b32 s1, 0xcf800000
	s_waitcnt vmcnt(0)
	v_lshlrev_b32_e32 v0, 16, v0
	v_trunc_f32_e32 v0, v0
	v_mul_f32_e64 v1, |v0|, s0
	v_floor_f32_e32 v1, v1
	v_fma_f32 v1, v1, s1, |v0|
	v_cvt_u32_f32_e32 v1, v1
	v_ashrrev_i32_e32 v0, 31, v0
	s_mov_b64 s[0:1], -1
	v_xor_b32_e32 v1, v1, v0
	v_sub_u32_e32 v0, v1, v0
	s_branch .LBB142_775
.LBB142_766:
	s_mov_b64 s[38:39], -1
	s_mov_b64 s[0:1], 0
                                        ; implicit-def: $vgpr0
	s_mov_b64 s[36:37], s[24:25]
	s_branch .LBB142_836
.LBB142_767:
	s_mov_b64 s[34:35], 0
	s_branch .LBB142_518
.LBB142_768:
	s_mov_b64 s[38:39], -1
	s_mov_b64 s[0:1], 0
	s_mov_b64 s[36:37], s[24:25]
                                        ; implicit-def: $vgpr0
	s_branch .LBB142_802
.LBB142_769:
	s_mov_b64 s[38:39], -1
	s_mov_b64 s[0:1], 0
	s_mov_b64 s[36:37], s[24:25]
                                        ; implicit-def: $vgpr0
	s_branch .LBB142_785
.LBB142_770:
	s_mov_b64 s[38:39], -1
	s_mov_b64 s[0:1], 0
	s_mov_b64 s[36:37], s[24:25]
                                        ; implicit-def: $vgpr0
	s_branch .LBB142_780
.LBB142_771:
	s_mov_b64 s[38:39], -1
	s_mov_b64 s[0:1], 0
	s_mov_b64 s[36:37], s[24:25]
                                        ; implicit-def: $vgpr0
	s_branch .LBB142_775
.LBB142_772:
	s_andn2_saveexec_b64 s[36:37], s[36:37]
	s_cbranch_execz .LBB142_667
.LBB142_773:
	v_add_f32_e32 v3, 0x46000000, v4
	v_and_b32_e32 v3, 0xff, v3
	v_cmp_ne_u32_e32 vcc, 0, v3
	s_andn2_b64 s[34:35], s[34:35], exec
	s_and_b64 s[40:41], vcc, exec
	s_or_b64 s[34:35], s[34:35], s[40:41]
	s_or_b64 exec, exec, s[36:37]
	v_mov_b32_e32 v5, 0
	s_and_saveexec_b64 s[36:37], s[34:35]
	s_cbranch_execnz .LBB142_668
	s_branch .LBB142_669
.LBB142_774:
	s_mov_b64 s[36:37], -1
                                        ; implicit-def: $vgpr0
	s_mov_b64 s[0:1], 0
.LBB142_775:
	s_and_b64 vcc, exec, s[38:39]
	s_cbranch_vccz .LBB142_779
; %bb.776:
	s_cmp_eq_u32 s41, 44
	s_cbranch_scc0 .LBB142_778
; %bb.777:
	global_load_ubyte v0, v[2:3], off
	s_mov_b32 s0, 0x2f800000
	s_mov_b32 s1, 0xcf800000
	s_mov_b64 s[36:37], 0
	s_waitcnt vmcnt(0)
	v_lshlrev_b32_e32 v1, 23, v0
	v_trunc_f32_e32 v1, v1
	v_mul_f32_e64 v4, |v1|, s0
	v_floor_f32_e32 v4, v4
	v_fma_f32 v4, v4, s1, |v1|
	v_cvt_u32_f32_e32 v4, v4
	v_ashrrev_i32_e32 v1, 31, v1
	v_cmp_ne_u32_e32 vcc, 0, v0
	s_mov_b64 s[0:1], -1
	v_xor_b32_e32 v4, v4, v1
	v_sub_u32_e32 v1, v4, v1
	v_cndmask_b32_e32 v0, 0, v1, vcc
	s_branch .LBB142_779
.LBB142_778:
	s_mov_b64 s[36:37], -1
                                        ; implicit-def: $vgpr0
.LBB142_779:
	s_mov_b64 s[38:39], 0
.LBB142_780:
	s_and_b64 vcc, exec, s[38:39]
	s_cbranch_vccz .LBB142_784
; %bb.781:
	s_cmp_eq_u32 s41, 29
	s_cbranch_scc0 .LBB142_783
; %bb.782:
	global_load_dwordx2 v[0:1], v[2:3], off
	s_mov_b64 s[0:1], -1
	s_mov_b64 s[36:37], 0
	s_branch .LBB142_784
.LBB142_783:
	s_mov_b64 s[36:37], -1
                                        ; implicit-def: $vgpr0
.LBB142_784:
	s_mov_b64 s[38:39], 0
.LBB142_785:
	s_and_b64 vcc, exec, s[38:39]
	s_cbranch_vccz .LBB142_801
; %bb.786:
	s_cmp_lt_i32 s41, 27
	s_cbranch_scc1 .LBB142_789
; %bb.787:
	s_cmp_gt_i32 s41, 27
	s_cbranch_scc0 .LBB142_790
; %bb.788:
	global_load_dword v0, v[2:3], off
	s_mov_b64 s[0:1], 0
	s_branch .LBB142_791
.LBB142_789:
	s_mov_b64 s[0:1], -1
                                        ; implicit-def: $vgpr0
	s_branch .LBB142_794
.LBB142_790:
	s_mov_b64 s[0:1], -1
                                        ; implicit-def: $vgpr0
.LBB142_791:
	s_andn2_b64 vcc, exec, s[0:1]
	s_cbranch_vccnz .LBB142_793
; %bb.792:
	global_load_ushort v0, v[2:3], off
.LBB142_793:
	s_mov_b64 s[0:1], 0
.LBB142_794:
	s_andn2_b64 vcc, exec, s[0:1]
	s_cbranch_vccnz .LBB142_800
; %bb.795:
	global_load_ubyte v1, v[2:3], off
	s_movk_i32 s0, 0x7f
	s_mov_b64 s[38:39], 0
	s_waitcnt vmcnt(0)
	v_cmp_lt_i16_e32 vcc, s0, v1
	s_and_saveexec_b64 s[0:1], vcc
	s_xor_b64 s[0:1], exec, s[0:1]
	s_cbranch_execz .LBB142_812
; %bb.796:
	s_movk_i32 s38, 0x80
	v_cmp_ne_u16_e32 vcc, s38, v1
	s_and_b64 s[38:39], vcc, exec
	s_andn2_saveexec_b64 s[0:1], s[0:1]
	s_cbranch_execnz .LBB142_813
.LBB142_797:
	s_or_b64 exec, exec, s[0:1]
	v_mov_b32_e32 v0, 0
	s_and_saveexec_b64 s[0:1], s[38:39]
	s_cbranch_execz .LBB142_799
.LBB142_798:
	v_lshlrev_b32_e32 v0, 24, v1
	v_and_b32_e32 v1, 0xffff, v1
	v_and_b32_e32 v4, 7, v1
	v_ffbh_u32_e32 v6, v4
	v_min_u32_e32 v6, 32, v6
	v_subrev_u32_e32 v7, 28, v6
	v_bfe_u32 v5, v1, 3, 4
	v_lshlrev_b32_e32 v1, v7, v1
	v_sub_u32_e32 v6, 29, v6
	v_and_b32_e32 v1, 7, v1
	v_cmp_eq_u32_e32 vcc, 0, v5
	v_cndmask_b32_e32 v5, v5, v6, vcc
	v_cndmask_b32_e32 v1, v4, v1, vcc
	v_mov_b32_e32 v4, 0x3b800000
	v_lshlrev_b32_e32 v1, 20, v1
	v_and_b32_e32 v0, 0x80000000, v0
	v_lshl_add_u32 v4, v5, 23, v4
	v_or3_b32 v0, v0, v4, v1
	v_trunc_f32_e32 v0, v0
	s_mov_b32 s38, 0x2f800000
	v_mul_f32_e64 v1, |v0|, s38
	v_floor_f32_e32 v1, v1
	s_mov_b32 s38, 0xcf800000
	v_fma_f32 v1, v1, s38, |v0|
	v_cvt_u32_f32_e32 v1, v1
	v_ashrrev_i32_e32 v0, 31, v0
	v_xor_b32_e32 v1, v1, v0
	v_sub_u32_e32 v0, v1, v0
.LBB142_799:
	s_or_b64 exec, exec, s[0:1]
.LBB142_800:
	s_mov_b64 s[0:1], -1
.LBB142_801:
	s_mov_b64 s[38:39], 0
.LBB142_802:
	s_and_b64 vcc, exec, s[38:39]
	s_cbranch_vccz .LBB142_835
; %bb.803:
	s_cmp_gt_i32 s41, 22
	s_cbranch_scc0 .LBB142_811
; %bb.804:
	s_cmp_lt_i32 s41, 24
	s_cbranch_scc1 .LBB142_814
; %bb.805:
	s_cmp_gt_i32 s41, 24
	s_cbranch_scc0 .LBB142_815
; %bb.806:
	global_load_ubyte v1, v[2:3], off
	s_movk_i32 s0, 0x7f
	s_mov_b64 s[38:39], 0
	s_waitcnt vmcnt(0)
	v_cmp_lt_i16_e32 vcc, s0, v1
	s_and_saveexec_b64 s[0:1], vcc
	s_xor_b64 s[0:1], exec, s[0:1]
	s_cbranch_execz .LBB142_827
; %bb.807:
	s_movk_i32 s38, 0x80
	v_cmp_ne_u16_e32 vcc, s38, v1
	s_and_b64 s[38:39], vcc, exec
	s_andn2_saveexec_b64 s[0:1], s[0:1]
	s_cbranch_execnz .LBB142_828
.LBB142_808:
	s_or_b64 exec, exec, s[0:1]
	v_mov_b32_e32 v0, 0
	s_and_saveexec_b64 s[0:1], s[38:39]
	s_cbranch_execz .LBB142_810
.LBB142_809:
	v_lshlrev_b32_e32 v0, 24, v1
	v_and_b32_e32 v1, 0xffff, v1
	v_and_b32_e32 v4, 3, v1
	v_ffbh_u32_e32 v6, v4
	v_min_u32_e32 v6, 32, v6
	v_subrev_u32_e32 v7, 29, v6
	v_bfe_u32 v5, v1, 2, 5
	v_lshlrev_b32_e32 v1, v7, v1
	v_sub_u32_e32 v6, 30, v6
	v_and_b32_e32 v1, 3, v1
	v_cmp_eq_u32_e32 vcc, 0, v5
	v_cndmask_b32_e32 v5, v5, v6, vcc
	v_cndmask_b32_e32 v1, v4, v1, vcc
	v_mov_b32_e32 v4, 0x37800000
	v_lshlrev_b32_e32 v1, 21, v1
	v_and_b32_e32 v0, 0x80000000, v0
	v_lshl_add_u32 v4, v5, 23, v4
	v_or3_b32 v0, v0, v4, v1
	v_trunc_f32_e32 v0, v0
	s_mov_b32 s38, 0x2f800000
	v_mul_f32_e64 v1, |v0|, s38
	v_floor_f32_e32 v1, v1
	s_mov_b32 s38, 0xcf800000
	v_fma_f32 v1, v1, s38, |v0|
	v_cvt_u32_f32_e32 v1, v1
	v_ashrrev_i32_e32 v0, 31, v0
	v_xor_b32_e32 v1, v1, v0
	v_sub_u32_e32 v0, v1, v0
.LBB142_810:
	s_or_b64 exec, exec, s[0:1]
	s_mov_b64 s[0:1], 0
	s_branch .LBB142_816
.LBB142_811:
	s_mov_b64 s[38:39], -1
                                        ; implicit-def: $vgpr0
	s_branch .LBB142_822
.LBB142_812:
	s_andn2_saveexec_b64 s[0:1], s[0:1]
	s_cbranch_execz .LBB142_797
.LBB142_813:
	v_cmp_ne_u16_e32 vcc, 0, v1
	s_andn2_b64 s[38:39], s[38:39], exec
	s_and_b64 s[42:43], vcc, exec
	s_or_b64 s[38:39], s[38:39], s[42:43]
	s_or_b64 exec, exec, s[0:1]
	v_mov_b32_e32 v0, 0
	s_and_saveexec_b64 s[0:1], s[38:39]
	s_cbranch_execnz .LBB142_798
	s_branch .LBB142_799
.LBB142_814:
	s_mov_b64 s[0:1], -1
                                        ; implicit-def: $vgpr0
	s_branch .LBB142_819
.LBB142_815:
	s_mov_b64 s[0:1], -1
                                        ; implicit-def: $vgpr0
.LBB142_816:
	s_and_b64 vcc, exec, s[0:1]
	s_cbranch_vccz .LBB142_818
; %bb.817:
	global_load_ubyte v0, v[2:3], off
	s_mov_b32 s0, 0x7f800000
	s_brev_b32 s1, 1
	s_mov_b32 s38, 0x2f800000
	s_waitcnt vmcnt(0)
	v_lshlrev_b32_e32 v0, 24, v0
	v_and_b32_e32 v1, 0x7f000000, v0
	v_ffbh_u32_e32 v4, v1
	v_min_u32_e32 v4, 32, v4
	v_sub_u32_e64 v4, v4, 4 clamp
	v_lshlrev_b32_e32 v6, v4, v1
	v_lshlrev_b32_e32 v4, 23, v4
	v_lshrrev_b32_e32 v6, 4, v6
	v_add_u32_e32 v5, 0x1000000, v1
	v_sub_u32_e32 v4, v6, v4
	v_ashrrev_i32_e32 v5, 8, v5
	v_add_u32_e32 v4, 0x3c000000, v4
	v_and_or_b32 v4, v5, s0, v4
	v_cmp_ne_u32_e32 vcc, 0, v1
	v_cndmask_b32_e32 v1, 0, v4, vcc
	v_and_or_b32 v0, v0, s1, v1
	v_trunc_f32_e32 v0, v0
	v_mul_f32_e64 v1, |v0|, s38
	v_floor_f32_e32 v1, v1
	s_mov_b32 s0, 0xcf800000
	v_fma_f32 v1, v1, s0, |v0|
	v_cvt_u32_f32_e32 v1, v1
	v_ashrrev_i32_e32 v0, 31, v0
	v_xor_b32_e32 v1, v1, v0
	v_sub_u32_e32 v0, v1, v0
.LBB142_818:
	s_mov_b64 s[0:1], 0
.LBB142_819:
	s_andn2_b64 vcc, exec, s[0:1]
	s_cbranch_vccnz .LBB142_821
; %bb.820:
	global_load_ubyte v0, v[2:3], off
	s_movk_i32 s0, 0x7f00
	s_brev_b32 s1, 16
	s_brev_b32 s38, 1
	s_mov_b32 s39, 0x2f800000
	s_waitcnt vmcnt(0)
	v_lshlrev_b16_e32 v1, 8, v0
	v_lshlrev_b32_e32 v0, 25, v0
	v_lshrrev_b32_e32 v4, 4, v0
	v_and_or_b32 v5, v1, s0, 0.5
	v_or_b32_e32 v4, 0x70000000, v4
	v_add_f32_e32 v5, -0.5, v5
	v_mul_f32_e32 v4, 0x7800000, v4
	v_cmp_gt_u32_e32 vcc, s1, v0
	v_bfe_i32 v1, v1, 0, 16
	v_cndmask_b32_e32 v0, v4, v5, vcc
	v_and_or_b32 v0, v1, s38, v0
	v_trunc_f32_e32 v0, v0
	v_mul_f32_e64 v1, |v0|, s39
	v_floor_f32_e32 v1, v1
	s_mov_b32 s0, 0xcf800000
	v_fma_f32 v1, v1, s0, |v0|
	v_cvt_u32_f32_e32 v1, v1
	v_ashrrev_i32_e32 v0, 31, v0
	v_xor_b32_e32 v1, v1, v0
	v_sub_u32_e32 v0, v1, v0
.LBB142_821:
	s_mov_b64 s[38:39], 0
	s_mov_b64 s[0:1], -1
.LBB142_822:
	s_andn2_b64 vcc, exec, s[38:39]
	s_cbranch_vccnz .LBB142_835
; %bb.823:
	s_cmp_gt_i32 s41, 14
	s_cbranch_scc0 .LBB142_826
; %bb.824:
	s_cmp_eq_u32 s41, 15
	s_cbranch_scc0 .LBB142_829
; %bb.825:
	global_load_ushort v0, v[2:3], off
	s_mov_b32 s0, 0x2f800000
	s_mov_b32 s1, 0xcf800000
	s_mov_b64 s[36:37], 0
	s_waitcnt vmcnt(0)
	v_lshlrev_b32_e32 v0, 16, v0
	v_trunc_f32_e32 v0, v0
	v_mul_f32_e64 v1, |v0|, s0
	v_floor_f32_e32 v1, v1
	v_fma_f32 v1, v1, s1, |v0|
	v_cvt_u32_f32_e32 v1, v1
	v_ashrrev_i32_e32 v0, 31, v0
	s_mov_b64 s[0:1], -1
	v_xor_b32_e32 v1, v1, v0
	v_sub_u32_e32 v0, v1, v0
	s_branch .LBB142_830
.LBB142_826:
	s_mov_b64 s[38:39], -1
                                        ; implicit-def: $vgpr0
	s_branch .LBB142_831
.LBB142_827:
	s_andn2_saveexec_b64 s[0:1], s[0:1]
	s_cbranch_execz .LBB142_808
.LBB142_828:
	v_cmp_ne_u16_e32 vcc, 0, v1
	s_andn2_b64 s[38:39], s[38:39], exec
	s_and_b64 s[42:43], vcc, exec
	s_or_b64 s[38:39], s[38:39], s[42:43]
	s_or_b64 exec, exec, s[0:1]
	v_mov_b32_e32 v0, 0
	s_and_saveexec_b64 s[0:1], s[38:39]
	s_cbranch_execnz .LBB142_809
	s_branch .LBB142_810
.LBB142_829:
	s_mov_b64 s[36:37], -1
                                        ; implicit-def: $vgpr0
.LBB142_830:
	s_mov_b64 s[38:39], 0
.LBB142_831:
	s_and_b64 vcc, exec, s[38:39]
	s_cbranch_vccz .LBB142_835
; %bb.832:
	s_cmp_eq_u32 s41, 11
	s_cbranch_scc0 .LBB142_834
; %bb.833:
	global_load_ubyte v0, v[2:3], off
	s_mov_b64 s[0:1], -1
	s_mov_b64 s[36:37], 0
	s_waitcnt vmcnt(0)
	v_cmp_ne_u16_e32 vcc, 0, v0
	v_cndmask_b32_e64 v0, 0, 1, vcc
	s_branch .LBB142_835
.LBB142_834:
	s_mov_b64 s[36:37], -1
                                        ; implicit-def: $vgpr0
.LBB142_835:
	s_mov_b64 s[38:39], 0
.LBB142_836:
	s_and_b64 vcc, exec, s[38:39]
	s_cbranch_vccz .LBB142_885
; %bb.837:
	s_and_b32 s38, 0xffff, s40
	s_cmp_lt_i32 s38, 5
	s_cbranch_scc1 .LBB142_842
; %bb.838:
	s_cmp_lt_i32 s38, 8
	s_cbranch_scc1 .LBB142_843
; %bb.839:
	;; [unrolled: 3-line block ×3, first 2 shown]
	s_cmp_gt_i32 s38, 9
	s_cbranch_scc0 .LBB142_845
; %bb.841:
	global_load_dwordx2 v[0:1], v[2:3], off
	s_movk_i32 s0, 0xffe0
	s_waitcnt vmcnt(0)
	v_trunc_f64_e32 v[0:1], v[0:1]
	v_ldexp_f64 v[4:5], v[0:1], s0
	s_mov_b32 s0, 0
	s_mov_b32 s1, 0xc1f00000
	v_floor_f64_e32 v[4:5], v[4:5]
	v_fma_f64 v[0:1], v[4:5], s[0:1], v[0:1]
	s_mov_b64 s[0:1], 0
	v_cvt_u32_f64_e32 v0, v[0:1]
	s_branch .LBB142_846
.LBB142_842:
	s_mov_b64 s[0:1], -1
                                        ; implicit-def: $vgpr0
	s_branch .LBB142_864
.LBB142_843:
	s_mov_b64 s[0:1], -1
                                        ; implicit-def: $vgpr0
	s_branch .LBB142_852
.LBB142_844:
	s_mov_b64 s[0:1], -1
                                        ; implicit-def: $vgpr0
	s_branch .LBB142_849
.LBB142_845:
	s_mov_b64 s[0:1], -1
                                        ; implicit-def: $vgpr0
.LBB142_846:
	s_andn2_b64 vcc, exec, s[0:1]
	s_cbranch_vccnz .LBB142_848
; %bb.847:
	global_load_dword v0, v[2:3], off
	s_mov_b32 s0, 0x2f800000
	s_waitcnt vmcnt(0)
	v_trunc_f32_e32 v0, v0
	v_mul_f32_e64 v1, |v0|, s0
	v_floor_f32_e32 v1, v1
	s_mov_b32 s0, 0xcf800000
	v_fma_f32 v1, v1, s0, |v0|
	v_cvt_u32_f32_e32 v1, v1
	v_ashrrev_i32_e32 v0, 31, v0
	v_xor_b32_e32 v1, v1, v0
	v_sub_u32_e32 v0, v1, v0
.LBB142_848:
	s_mov_b64 s[0:1], 0
.LBB142_849:
	s_andn2_b64 vcc, exec, s[0:1]
	s_cbranch_vccnz .LBB142_851
; %bb.850:
	global_load_dword v0, v[2:3], off
	s_waitcnt vmcnt(0)
	v_cvt_f32_f16_e32 v0, v0
	v_cvt_i32_f32_e32 v0, v0
.LBB142_851:
	s_mov_b64 s[0:1], 0
.LBB142_852:
	s_andn2_b64 vcc, exec, s[0:1]
	s_cbranch_vccnz .LBB142_863
; %bb.853:
	s_cmp_lt_i32 s38, 6
	s_cbranch_scc1 .LBB142_856
; %bb.854:
	s_cmp_gt_i32 s38, 6
	s_cbranch_scc0 .LBB142_857
; %bb.855:
	global_load_dwordx2 v[0:1], v[2:3], off
	s_movk_i32 s0, 0xffe0
	s_waitcnt vmcnt(0)
	v_trunc_f64_e32 v[0:1], v[0:1]
	v_ldexp_f64 v[4:5], v[0:1], s0
	s_mov_b32 s0, 0
	s_mov_b32 s1, 0xc1f00000
	v_floor_f64_e32 v[4:5], v[4:5]
	v_fma_f64 v[0:1], v[4:5], s[0:1], v[0:1]
	s_mov_b64 s[0:1], 0
	v_cvt_u32_f64_e32 v0, v[0:1]
	s_branch .LBB142_858
.LBB142_856:
	s_mov_b64 s[0:1], -1
                                        ; implicit-def: $vgpr0
	s_branch .LBB142_861
.LBB142_857:
	s_mov_b64 s[0:1], -1
                                        ; implicit-def: $vgpr0
.LBB142_858:
	s_andn2_b64 vcc, exec, s[0:1]
	s_cbranch_vccnz .LBB142_860
; %bb.859:
	global_load_dword v0, v[2:3], off
	s_mov_b32 s0, 0x2f800000
	s_waitcnt vmcnt(0)
	v_trunc_f32_e32 v0, v0
	v_mul_f32_e64 v1, |v0|, s0
	v_floor_f32_e32 v1, v1
	s_mov_b32 s0, 0xcf800000
	v_fma_f32 v1, v1, s0, |v0|
	v_cvt_u32_f32_e32 v1, v1
	v_ashrrev_i32_e32 v0, 31, v0
	v_xor_b32_e32 v1, v1, v0
	v_sub_u32_e32 v0, v1, v0
.LBB142_860:
	s_mov_b64 s[0:1], 0
.LBB142_861:
	s_andn2_b64 vcc, exec, s[0:1]
	s_cbranch_vccnz .LBB142_863
; %bb.862:
	global_load_ushort v0, v[2:3], off
	s_waitcnt vmcnt(0)
	v_cvt_f32_f16_e32 v0, v0
	v_cvt_i32_f32_e32 v0, v0
.LBB142_863:
	s_mov_b64 s[0:1], 0
.LBB142_864:
	s_andn2_b64 vcc, exec, s[0:1]
	s_cbranch_vccnz .LBB142_884
; %bb.865:
	s_cmp_lt_i32 s38, 2
	s_cbranch_scc1 .LBB142_869
; %bb.866:
	s_cmp_lt_i32 s38, 3
	s_cbranch_scc1 .LBB142_870
; %bb.867:
	s_cmp_gt_i32 s38, 3
	s_cbranch_scc0 .LBB142_871
; %bb.868:
	global_load_dwordx2 v[0:1], v[2:3], off
	s_mov_b64 s[0:1], 0
	s_branch .LBB142_872
.LBB142_869:
	s_mov_b64 s[0:1], -1
                                        ; implicit-def: $vgpr0
	s_branch .LBB142_878
.LBB142_870:
	s_mov_b64 s[0:1], -1
                                        ; implicit-def: $vgpr0
	s_branch .LBB142_875
.LBB142_871:
	s_mov_b64 s[0:1], -1
                                        ; implicit-def: $vgpr0
.LBB142_872:
	s_andn2_b64 vcc, exec, s[0:1]
	s_cbranch_vccnz .LBB142_874
; %bb.873:
	global_load_dword v0, v[2:3], off
.LBB142_874:
	s_mov_b64 s[0:1], 0
.LBB142_875:
	s_andn2_b64 vcc, exec, s[0:1]
	s_cbranch_vccnz .LBB142_877
; %bb.876:
	global_load_ushort v0, v[2:3], off
.LBB142_877:
	s_mov_b64 s[0:1], 0
.LBB142_878:
	s_andn2_b64 vcc, exec, s[0:1]
	s_cbranch_vccnz .LBB142_884
; %bb.879:
	s_cmp_gt_i32 s38, 0
	s_cbranch_scc0 .LBB142_881
; %bb.880:
	global_load_ubyte v0, v[2:3], off
	s_mov_b64 s[0:1], 0
	s_branch .LBB142_882
.LBB142_881:
	s_mov_b64 s[0:1], -1
                                        ; implicit-def: $vgpr0
.LBB142_882:
	s_andn2_b64 vcc, exec, s[0:1]
	s_cbranch_vccnz .LBB142_884
; %bb.883:
	global_load_ubyte v0, v[2:3], off
.LBB142_884:
	s_mov_b64 s[0:1], -1
.LBB142_885:
	s_andn2_b64 vcc, exec, s[0:1]
	s_cbranch_vccnz .LBB142_893
; %bb.886:
	s_waitcnt vmcnt(0)
	v_mul_lo_u32 v1, v11, s14
	v_mov_b32_e32 v2, s3
	s_and_b32 s42, s15, 0xff
	s_cmp_lt_i32 s42, 11
	v_ashrrev_i32_e32 v3, 31, v1
	v_add_co_u32_e32 v1, vcc, s2, v1
	v_addc_co_u32_e32 v2, vcc, v2, v3, vcc
	s_cbranch_scc1 .LBB142_895
; %bb.887:
	s_and_b32 s43, 0xffff, s42
	s_cmp_gt_i32 s43, 25
	s_cbranch_scc0 .LBB142_896
; %bb.888:
	s_cmp_gt_i32 s43, 28
	s_cbranch_scc0 .LBB142_897
; %bb.889:
	;; [unrolled: 3-line block ×4, first 2 shown]
	s_cmp_eq_u32 s43, 46
	s_mov_b64 s[40:41], 0
	s_cbranch_scc0 .LBB142_902
; %bb.892:
	global_load_dword v3, v[1:2], off
	s_mov_b32 s0, 0x2f800000
	s_mov_b32 s1, 0xcf800000
	s_mov_b64 s[38:39], 0
	s_waitcnt vmcnt(0)
	v_lshlrev_b32_e32 v3, 16, v3
	v_trunc_f32_e32 v3, v3
	v_mul_f32_e64 v4, |v3|, s0
	v_floor_f32_e32 v4, v4
	v_fma_f32 v4, v4, s1, |v3|
	v_cvt_u32_f32_e32 v4, v4
	v_ashrrev_i32_e32 v3, 31, v3
	s_mov_b64 s[0:1], -1
	v_xor_b32_e32 v4, v4, v3
	v_sub_u32_e32 v3, v4, v3
	s_branch .LBB142_903
.LBB142_893:
	s_mov_b64 s[42:43], 0
	s_mov_b64 s[0:1], s[28:29]
	;; [unrolled: 1-line block ×3, first 2 shown]
.LBB142_894:
                                        ; implicit-def: $vgpr11
	s_branch .LBB142_1137
.LBB142_895:
	s_mov_b64 s[40:41], -1
	s_mov_b64 s[0:1], 0
                                        ; implicit-def: $vgpr3
	s_mov_b64 s[38:39], s[26:27]
	s_branch .LBB142_964
.LBB142_896:
	s_mov_b64 s[40:41], -1
	s_mov_b64 s[0:1], 0
	s_mov_b64 s[38:39], s[26:27]
                                        ; implicit-def: $vgpr3
	s_branch .LBB142_930
.LBB142_897:
	s_mov_b64 s[40:41], -1
	s_mov_b64 s[0:1], 0
	s_mov_b64 s[38:39], s[26:27]
                                        ; implicit-def: $vgpr3
	s_branch .LBB142_913
.LBB142_898:
	s_mov_b64 s[40:41], -1
	s_mov_b64 s[0:1], 0
	s_mov_b64 s[38:39], s[26:27]
                                        ; implicit-def: $vgpr3
	s_branch .LBB142_908
.LBB142_899:
	s_mov_b64 s[40:41], -1
	s_mov_b64 s[0:1], 0
	s_mov_b64 s[38:39], s[26:27]
                                        ; implicit-def: $vgpr3
	s_branch .LBB142_903
.LBB142_900:
	s_andn2_saveexec_b64 s[36:37], s[36:37]
	s_cbranch_execz .LBB142_680
.LBB142_901:
	v_add_f32_e32 v3, 0x42800000, v4
	v_and_b32_e32 v3, 0xff, v3
	v_cmp_ne_u32_e32 vcc, 0, v3
	s_andn2_b64 s[34:35], s[34:35], exec
	s_and_b64 s[40:41], vcc, exec
	s_or_b64 s[34:35], s[34:35], s[40:41]
	s_or_b64 exec, exec, s[36:37]
	v_mov_b32_e32 v5, 0
	s_and_saveexec_b64 s[36:37], s[34:35]
	s_cbranch_execnz .LBB142_681
	s_branch .LBB142_682
.LBB142_902:
	s_mov_b64 s[38:39], -1
                                        ; implicit-def: $vgpr3
	s_mov_b64 s[0:1], 0
.LBB142_903:
	s_and_b64 vcc, exec, s[40:41]
	s_cbranch_vccz .LBB142_907
; %bb.904:
	s_cmp_eq_u32 s43, 44
	s_cbranch_scc0 .LBB142_906
; %bb.905:
	global_load_ubyte v3, v[1:2], off
	s_mov_b32 s0, 0x2f800000
	s_mov_b32 s1, 0xcf800000
	s_mov_b64 s[38:39], 0
	s_waitcnt vmcnt(0)
	v_lshlrev_b32_e32 v4, 23, v3
	v_trunc_f32_e32 v4, v4
	v_mul_f32_e64 v5, |v4|, s0
	v_floor_f32_e32 v5, v5
	v_fma_f32 v5, v5, s1, |v4|
	v_cvt_u32_f32_e32 v5, v5
	v_ashrrev_i32_e32 v4, 31, v4
	v_cmp_ne_u32_e32 vcc, 0, v3
	s_mov_b64 s[0:1], -1
	v_xor_b32_e32 v5, v5, v4
	v_sub_u32_e32 v4, v5, v4
	v_cndmask_b32_e32 v3, 0, v4, vcc
	s_branch .LBB142_907
.LBB142_906:
	s_mov_b64 s[38:39], -1
                                        ; implicit-def: $vgpr3
.LBB142_907:
	s_mov_b64 s[40:41], 0
.LBB142_908:
	s_and_b64 vcc, exec, s[40:41]
	s_cbranch_vccz .LBB142_912
; %bb.909:
	s_cmp_eq_u32 s43, 29
	s_cbranch_scc0 .LBB142_911
; %bb.910:
	global_load_dwordx2 v[3:4], v[1:2], off
	s_mov_b64 s[0:1], -1
	s_mov_b64 s[38:39], 0
	s_branch .LBB142_912
.LBB142_911:
	s_mov_b64 s[38:39], -1
                                        ; implicit-def: $vgpr3
.LBB142_912:
	s_mov_b64 s[40:41], 0
.LBB142_913:
	s_and_b64 vcc, exec, s[40:41]
	s_cbranch_vccz .LBB142_929
; %bb.914:
	s_cmp_lt_i32 s43, 27
	s_cbranch_scc1 .LBB142_917
; %bb.915:
	s_cmp_gt_i32 s43, 27
	s_cbranch_scc0 .LBB142_918
; %bb.916:
	global_load_dword v3, v[1:2], off
	s_mov_b64 s[0:1], 0
	s_branch .LBB142_919
.LBB142_917:
	s_mov_b64 s[0:1], -1
                                        ; implicit-def: $vgpr3
	s_branch .LBB142_922
.LBB142_918:
	s_mov_b64 s[0:1], -1
                                        ; implicit-def: $vgpr3
.LBB142_919:
	s_andn2_b64 vcc, exec, s[0:1]
	s_cbranch_vccnz .LBB142_921
; %bb.920:
	global_load_ushort v3, v[1:2], off
.LBB142_921:
	s_mov_b64 s[0:1], 0
.LBB142_922:
	s_andn2_b64 vcc, exec, s[0:1]
	s_cbranch_vccnz .LBB142_928
; %bb.923:
	global_load_ubyte v4, v[1:2], off
	s_movk_i32 s0, 0x7f
	s_mov_b64 s[40:41], 0
	s_waitcnt vmcnt(0)
	v_cmp_lt_i16_e32 vcc, s0, v4
	s_and_saveexec_b64 s[0:1], vcc
	s_xor_b64 s[0:1], exec, s[0:1]
	s_cbranch_execz .LBB142_940
; %bb.924:
	s_movk_i32 s40, 0x80
	v_cmp_ne_u16_e32 vcc, s40, v4
	s_and_b64 s[40:41], vcc, exec
	s_andn2_saveexec_b64 s[0:1], s[0:1]
	s_cbranch_execnz .LBB142_941
.LBB142_925:
	s_or_b64 exec, exec, s[0:1]
	v_mov_b32_e32 v3, 0
	s_and_saveexec_b64 s[0:1], s[40:41]
	s_cbranch_execz .LBB142_927
.LBB142_926:
	v_lshlrev_b32_e32 v3, 24, v4
	v_and_b32_e32 v4, 0xffff, v4
	v_and_b32_e32 v5, 7, v4
	v_ffbh_u32_e32 v7, v5
	v_min_u32_e32 v7, 32, v7
	v_subrev_u32_e32 v8, 28, v7
	v_bfe_u32 v6, v4, 3, 4
	v_lshlrev_b32_e32 v4, v8, v4
	v_sub_u32_e32 v7, 29, v7
	v_and_b32_e32 v4, 7, v4
	v_cmp_eq_u32_e32 vcc, 0, v6
	v_cndmask_b32_e32 v6, v6, v7, vcc
	v_cndmask_b32_e32 v4, v5, v4, vcc
	v_mov_b32_e32 v5, 0x3b800000
	v_lshlrev_b32_e32 v4, 20, v4
	v_and_b32_e32 v3, 0x80000000, v3
	v_lshl_add_u32 v5, v6, 23, v5
	v_or3_b32 v3, v3, v5, v4
	v_trunc_f32_e32 v3, v3
	s_mov_b32 s40, 0x2f800000
	v_mul_f32_e64 v4, |v3|, s40
	v_floor_f32_e32 v4, v4
	s_mov_b32 s40, 0xcf800000
	v_fma_f32 v4, v4, s40, |v3|
	v_cvt_u32_f32_e32 v4, v4
	v_ashrrev_i32_e32 v3, 31, v3
	v_xor_b32_e32 v4, v4, v3
	v_sub_u32_e32 v3, v4, v3
.LBB142_927:
	s_or_b64 exec, exec, s[0:1]
.LBB142_928:
	s_mov_b64 s[0:1], -1
.LBB142_929:
	s_mov_b64 s[40:41], 0
.LBB142_930:
	s_and_b64 vcc, exec, s[40:41]
	s_cbranch_vccz .LBB142_963
; %bb.931:
	s_cmp_gt_i32 s43, 22
	s_cbranch_scc0 .LBB142_939
; %bb.932:
	s_cmp_lt_i32 s43, 24
	s_cbranch_scc1 .LBB142_942
; %bb.933:
	s_cmp_gt_i32 s43, 24
	s_cbranch_scc0 .LBB142_943
; %bb.934:
	global_load_ubyte v4, v[1:2], off
	s_movk_i32 s0, 0x7f
	s_mov_b64 s[40:41], 0
	s_waitcnt vmcnt(0)
	v_cmp_lt_i16_e32 vcc, s0, v4
	s_and_saveexec_b64 s[0:1], vcc
	s_xor_b64 s[0:1], exec, s[0:1]
	s_cbranch_execz .LBB142_955
; %bb.935:
	s_movk_i32 s40, 0x80
	v_cmp_ne_u16_e32 vcc, s40, v4
	s_and_b64 s[40:41], vcc, exec
	s_andn2_saveexec_b64 s[0:1], s[0:1]
	s_cbranch_execnz .LBB142_956
.LBB142_936:
	s_or_b64 exec, exec, s[0:1]
	v_mov_b32_e32 v3, 0
	s_and_saveexec_b64 s[0:1], s[40:41]
	s_cbranch_execz .LBB142_938
.LBB142_937:
	v_lshlrev_b32_e32 v3, 24, v4
	v_and_b32_e32 v4, 0xffff, v4
	v_and_b32_e32 v5, 3, v4
	v_ffbh_u32_e32 v7, v5
	v_min_u32_e32 v7, 32, v7
	v_subrev_u32_e32 v8, 29, v7
	v_bfe_u32 v6, v4, 2, 5
	v_lshlrev_b32_e32 v4, v8, v4
	v_sub_u32_e32 v7, 30, v7
	v_and_b32_e32 v4, 3, v4
	v_cmp_eq_u32_e32 vcc, 0, v6
	v_cndmask_b32_e32 v6, v6, v7, vcc
	v_cndmask_b32_e32 v4, v5, v4, vcc
	v_mov_b32_e32 v5, 0x37800000
	v_lshlrev_b32_e32 v4, 21, v4
	v_and_b32_e32 v3, 0x80000000, v3
	v_lshl_add_u32 v5, v6, 23, v5
	v_or3_b32 v3, v3, v5, v4
	v_trunc_f32_e32 v3, v3
	s_mov_b32 s40, 0x2f800000
	v_mul_f32_e64 v4, |v3|, s40
	v_floor_f32_e32 v4, v4
	s_mov_b32 s40, 0xcf800000
	v_fma_f32 v4, v4, s40, |v3|
	v_cvt_u32_f32_e32 v4, v4
	v_ashrrev_i32_e32 v3, 31, v3
	v_xor_b32_e32 v4, v4, v3
	v_sub_u32_e32 v3, v4, v3
.LBB142_938:
	s_or_b64 exec, exec, s[0:1]
	s_mov_b64 s[0:1], 0
	s_branch .LBB142_944
.LBB142_939:
	s_mov_b64 s[40:41], -1
                                        ; implicit-def: $vgpr3
	s_branch .LBB142_950
.LBB142_940:
	s_andn2_saveexec_b64 s[0:1], s[0:1]
	s_cbranch_execz .LBB142_925
.LBB142_941:
	v_cmp_ne_u16_e32 vcc, 0, v4
	s_andn2_b64 s[40:41], s[40:41], exec
	s_and_b64 s[44:45], vcc, exec
	s_or_b64 s[40:41], s[40:41], s[44:45]
	s_or_b64 exec, exec, s[0:1]
	v_mov_b32_e32 v3, 0
	s_and_saveexec_b64 s[0:1], s[40:41]
	s_cbranch_execnz .LBB142_926
	s_branch .LBB142_927
.LBB142_942:
	s_mov_b64 s[0:1], -1
                                        ; implicit-def: $vgpr3
	s_branch .LBB142_947
.LBB142_943:
	s_mov_b64 s[0:1], -1
                                        ; implicit-def: $vgpr3
.LBB142_944:
	s_and_b64 vcc, exec, s[0:1]
	s_cbranch_vccz .LBB142_946
; %bb.945:
	global_load_ubyte v3, v[1:2], off
	s_mov_b32 s0, 0x7f800000
	s_brev_b32 s1, 1
	s_mov_b32 s40, 0x2f800000
	s_waitcnt vmcnt(0)
	v_lshlrev_b32_e32 v3, 24, v3
	v_and_b32_e32 v4, 0x7f000000, v3
	v_ffbh_u32_e32 v5, v4
	v_min_u32_e32 v5, 32, v5
	v_sub_u32_e64 v5, v5, 4 clamp
	v_lshlrev_b32_e32 v7, v5, v4
	v_lshlrev_b32_e32 v5, 23, v5
	v_lshrrev_b32_e32 v7, 4, v7
	v_add_u32_e32 v6, 0x1000000, v4
	v_sub_u32_e32 v5, v7, v5
	v_ashrrev_i32_e32 v6, 8, v6
	v_add_u32_e32 v5, 0x3c000000, v5
	v_and_or_b32 v5, v6, s0, v5
	v_cmp_ne_u32_e32 vcc, 0, v4
	v_cndmask_b32_e32 v4, 0, v5, vcc
	v_and_or_b32 v3, v3, s1, v4
	v_trunc_f32_e32 v3, v3
	v_mul_f32_e64 v4, |v3|, s40
	v_floor_f32_e32 v4, v4
	s_mov_b32 s0, 0xcf800000
	v_fma_f32 v4, v4, s0, |v3|
	v_cvt_u32_f32_e32 v4, v4
	v_ashrrev_i32_e32 v3, 31, v3
	v_xor_b32_e32 v4, v4, v3
	v_sub_u32_e32 v3, v4, v3
.LBB142_946:
	s_mov_b64 s[0:1], 0
.LBB142_947:
	s_andn2_b64 vcc, exec, s[0:1]
	s_cbranch_vccnz .LBB142_949
; %bb.948:
	global_load_ubyte v3, v[1:2], off
	s_movk_i32 s0, 0x7f00
	s_brev_b32 s1, 16
	s_brev_b32 s40, 1
	s_mov_b32 s41, 0x2f800000
	s_waitcnt vmcnt(0)
	v_lshlrev_b16_e32 v4, 8, v3
	v_lshlrev_b32_e32 v3, 25, v3
	v_lshrrev_b32_e32 v5, 4, v3
	v_and_or_b32 v6, v4, s0, 0.5
	v_or_b32_e32 v5, 0x70000000, v5
	v_add_f32_e32 v6, -0.5, v6
	v_mul_f32_e32 v5, 0x7800000, v5
	v_cmp_gt_u32_e32 vcc, s1, v3
	v_bfe_i32 v4, v4, 0, 16
	v_cndmask_b32_e32 v3, v5, v6, vcc
	v_and_or_b32 v3, v4, s40, v3
	v_trunc_f32_e32 v3, v3
	v_mul_f32_e64 v4, |v3|, s41
	v_floor_f32_e32 v4, v4
	s_mov_b32 s0, 0xcf800000
	v_fma_f32 v4, v4, s0, |v3|
	v_cvt_u32_f32_e32 v4, v4
	v_ashrrev_i32_e32 v3, 31, v3
	v_xor_b32_e32 v4, v4, v3
	v_sub_u32_e32 v3, v4, v3
.LBB142_949:
	s_mov_b64 s[40:41], 0
	s_mov_b64 s[0:1], -1
.LBB142_950:
	s_andn2_b64 vcc, exec, s[40:41]
	s_cbranch_vccnz .LBB142_963
; %bb.951:
	s_cmp_gt_i32 s43, 14
	s_cbranch_scc0 .LBB142_954
; %bb.952:
	s_cmp_eq_u32 s43, 15
	s_cbranch_scc0 .LBB142_957
; %bb.953:
	global_load_ushort v3, v[1:2], off
	s_mov_b32 s0, 0x2f800000
	s_mov_b32 s1, 0xcf800000
	s_mov_b64 s[38:39], 0
	s_waitcnt vmcnt(0)
	v_lshlrev_b32_e32 v3, 16, v3
	v_trunc_f32_e32 v3, v3
	v_mul_f32_e64 v4, |v3|, s0
	v_floor_f32_e32 v4, v4
	v_fma_f32 v4, v4, s1, |v3|
	v_cvt_u32_f32_e32 v4, v4
	v_ashrrev_i32_e32 v3, 31, v3
	s_mov_b64 s[0:1], -1
	v_xor_b32_e32 v4, v4, v3
	v_sub_u32_e32 v3, v4, v3
	s_branch .LBB142_958
.LBB142_954:
	s_mov_b64 s[40:41], -1
                                        ; implicit-def: $vgpr3
	s_branch .LBB142_959
.LBB142_955:
	s_andn2_saveexec_b64 s[0:1], s[0:1]
	s_cbranch_execz .LBB142_936
.LBB142_956:
	v_cmp_ne_u16_e32 vcc, 0, v4
	s_andn2_b64 s[40:41], s[40:41], exec
	s_and_b64 s[44:45], vcc, exec
	s_or_b64 s[40:41], s[40:41], s[44:45]
	s_or_b64 exec, exec, s[0:1]
	v_mov_b32_e32 v3, 0
	s_and_saveexec_b64 s[0:1], s[40:41]
	s_cbranch_execnz .LBB142_937
	s_branch .LBB142_938
.LBB142_957:
	s_mov_b64 s[38:39], -1
                                        ; implicit-def: $vgpr3
.LBB142_958:
	s_mov_b64 s[40:41], 0
.LBB142_959:
	s_and_b64 vcc, exec, s[40:41]
	s_cbranch_vccz .LBB142_963
; %bb.960:
	s_cmp_eq_u32 s43, 11
	s_cbranch_scc0 .LBB142_962
; %bb.961:
	global_load_ubyte v3, v[1:2], off
	s_mov_b64 s[0:1], -1
	s_mov_b64 s[38:39], 0
	s_waitcnt vmcnt(0)
	v_cmp_ne_u16_e32 vcc, 0, v3
	v_cndmask_b32_e64 v3, 0, 1, vcc
	s_branch .LBB142_963
.LBB142_962:
	s_mov_b64 s[38:39], -1
                                        ; implicit-def: $vgpr3
.LBB142_963:
	s_mov_b64 s[40:41], 0
.LBB142_964:
	s_and_b64 vcc, exec, s[40:41]
	s_cbranch_vccz .LBB142_1013
; %bb.965:
	s_and_b32 s40, 0xffff, s42
	s_cmp_lt_i32 s40, 5
	s_cbranch_scc1 .LBB142_970
; %bb.966:
	s_cmp_lt_i32 s40, 8
	s_cbranch_scc1 .LBB142_971
; %bb.967:
	;; [unrolled: 3-line block ×3, first 2 shown]
	s_cmp_gt_i32 s40, 9
	s_cbranch_scc0 .LBB142_973
; %bb.969:
	global_load_dwordx2 v[3:4], v[1:2], off
	s_movk_i32 s0, 0xffe0
	s_waitcnt vmcnt(0)
	v_trunc_f64_e32 v[3:4], v[3:4]
	v_ldexp_f64 v[5:6], v[3:4], s0
	s_mov_b32 s0, 0
	s_mov_b32 s1, 0xc1f00000
	v_floor_f64_e32 v[5:6], v[5:6]
	v_fma_f64 v[3:4], v[5:6], s[0:1], v[3:4]
	s_mov_b64 s[0:1], 0
	v_cvt_u32_f64_e32 v3, v[3:4]
	s_branch .LBB142_974
.LBB142_970:
	s_mov_b64 s[0:1], -1
                                        ; implicit-def: $vgpr3
	s_branch .LBB142_992
.LBB142_971:
	s_mov_b64 s[0:1], -1
                                        ; implicit-def: $vgpr3
	s_branch .LBB142_980
.LBB142_972:
	s_mov_b64 s[0:1], -1
                                        ; implicit-def: $vgpr3
	s_branch .LBB142_977
.LBB142_973:
	s_mov_b64 s[0:1], -1
                                        ; implicit-def: $vgpr3
.LBB142_974:
	s_andn2_b64 vcc, exec, s[0:1]
	s_cbranch_vccnz .LBB142_976
; %bb.975:
	global_load_dword v3, v[1:2], off
	s_mov_b32 s0, 0x2f800000
	s_waitcnt vmcnt(0)
	v_trunc_f32_e32 v3, v3
	v_mul_f32_e64 v4, |v3|, s0
	v_floor_f32_e32 v4, v4
	s_mov_b32 s0, 0xcf800000
	v_fma_f32 v4, v4, s0, |v3|
	v_cvt_u32_f32_e32 v4, v4
	v_ashrrev_i32_e32 v3, 31, v3
	v_xor_b32_e32 v4, v4, v3
	v_sub_u32_e32 v3, v4, v3
.LBB142_976:
	s_mov_b64 s[0:1], 0
.LBB142_977:
	s_andn2_b64 vcc, exec, s[0:1]
	s_cbranch_vccnz .LBB142_979
; %bb.978:
	global_load_dword v3, v[1:2], off
	s_waitcnt vmcnt(0)
	v_cvt_f32_f16_e32 v3, v3
	v_cvt_i32_f32_e32 v3, v3
.LBB142_979:
	s_mov_b64 s[0:1], 0
.LBB142_980:
	s_andn2_b64 vcc, exec, s[0:1]
	s_cbranch_vccnz .LBB142_991
; %bb.981:
	s_cmp_lt_i32 s40, 6
	s_cbranch_scc1 .LBB142_984
; %bb.982:
	s_cmp_gt_i32 s40, 6
	s_cbranch_scc0 .LBB142_985
; %bb.983:
	global_load_dwordx2 v[3:4], v[1:2], off
	s_movk_i32 s0, 0xffe0
	s_waitcnt vmcnt(0)
	v_trunc_f64_e32 v[3:4], v[3:4]
	v_ldexp_f64 v[5:6], v[3:4], s0
	s_mov_b32 s0, 0
	s_mov_b32 s1, 0xc1f00000
	v_floor_f64_e32 v[5:6], v[5:6]
	v_fma_f64 v[3:4], v[5:6], s[0:1], v[3:4]
	s_mov_b64 s[0:1], 0
	v_cvt_u32_f64_e32 v3, v[3:4]
	s_branch .LBB142_986
.LBB142_984:
	s_mov_b64 s[0:1], -1
                                        ; implicit-def: $vgpr3
	s_branch .LBB142_989
.LBB142_985:
	s_mov_b64 s[0:1], -1
                                        ; implicit-def: $vgpr3
.LBB142_986:
	s_andn2_b64 vcc, exec, s[0:1]
	s_cbranch_vccnz .LBB142_988
; %bb.987:
	global_load_dword v3, v[1:2], off
	s_mov_b32 s0, 0x2f800000
	s_waitcnt vmcnt(0)
	v_trunc_f32_e32 v3, v3
	v_mul_f32_e64 v4, |v3|, s0
	v_floor_f32_e32 v4, v4
	s_mov_b32 s0, 0xcf800000
	v_fma_f32 v4, v4, s0, |v3|
	v_cvt_u32_f32_e32 v4, v4
	v_ashrrev_i32_e32 v3, 31, v3
	v_xor_b32_e32 v4, v4, v3
	v_sub_u32_e32 v3, v4, v3
.LBB142_988:
	s_mov_b64 s[0:1], 0
.LBB142_989:
	s_andn2_b64 vcc, exec, s[0:1]
	s_cbranch_vccnz .LBB142_991
; %bb.990:
	global_load_ushort v3, v[1:2], off
	s_waitcnt vmcnt(0)
	v_cvt_f32_f16_e32 v3, v3
	v_cvt_i32_f32_e32 v3, v3
.LBB142_991:
	s_mov_b64 s[0:1], 0
.LBB142_992:
	s_andn2_b64 vcc, exec, s[0:1]
	s_cbranch_vccnz .LBB142_1012
; %bb.993:
	s_cmp_lt_i32 s40, 2
	s_cbranch_scc1 .LBB142_997
; %bb.994:
	s_cmp_lt_i32 s40, 3
	s_cbranch_scc1 .LBB142_998
; %bb.995:
	s_cmp_gt_i32 s40, 3
	s_cbranch_scc0 .LBB142_999
; %bb.996:
	global_load_dwordx2 v[3:4], v[1:2], off
	s_mov_b64 s[0:1], 0
	s_branch .LBB142_1000
.LBB142_997:
	s_mov_b64 s[0:1], -1
                                        ; implicit-def: $vgpr3
	s_branch .LBB142_1006
.LBB142_998:
	s_mov_b64 s[0:1], -1
                                        ; implicit-def: $vgpr3
	s_branch .LBB142_1003
.LBB142_999:
	s_mov_b64 s[0:1], -1
                                        ; implicit-def: $vgpr3
.LBB142_1000:
	s_andn2_b64 vcc, exec, s[0:1]
	s_cbranch_vccnz .LBB142_1002
; %bb.1001:
	global_load_dword v3, v[1:2], off
.LBB142_1002:
	s_mov_b64 s[0:1], 0
.LBB142_1003:
	s_andn2_b64 vcc, exec, s[0:1]
	s_cbranch_vccnz .LBB142_1005
; %bb.1004:
	global_load_ushort v3, v[1:2], off
.LBB142_1005:
	s_mov_b64 s[0:1], 0
.LBB142_1006:
	s_andn2_b64 vcc, exec, s[0:1]
	s_cbranch_vccnz .LBB142_1012
; %bb.1007:
	s_cmp_gt_i32 s40, 0
	s_cbranch_scc0 .LBB142_1009
; %bb.1008:
	global_load_ubyte v3, v[1:2], off
	s_mov_b64 s[0:1], 0
	s_branch .LBB142_1010
.LBB142_1009:
	s_mov_b64 s[0:1], -1
                                        ; implicit-def: $vgpr3
.LBB142_1010:
	s_andn2_b64 vcc, exec, s[0:1]
	s_cbranch_vccnz .LBB142_1012
; %bb.1011:
	global_load_ubyte v3, v[1:2], off
.LBB142_1012:
	s_mov_b64 s[0:1], -1
.LBB142_1013:
	s_andn2_b64 vcc, exec, s[0:1]
	s_cbranch_vccnz .LBB142_1021
; %bb.1014:
	v_mul_lo_u32 v1, v11, s12
	v_mov_b32_e32 v2, 8
	s_waitcnt vmcnt(0)
	v_lshrrev_b16_sdwa v0, v3, v0 dst_sel:DWORD dst_unused:UNUSED_PAD src0_sel:BYTE_0 src1_sel:BYTE_0
	v_cmp_lt_u16_sdwa vcc, v3, v2 src0_sel:BYTE_0 src1_sel:DWORD
	v_cndmask_b32_e32 v2, 0, v0, vcc
	v_ashrrev_i32_e32 v3, 31, v1
	v_mov_b32_e32 v4, s9
	s_and_b32 s46, s33, 0xff
	v_add_co_u32_e32 v0, vcc, s8, v1
	s_cmp_lt_i32 s46, 11
	v_addc_co_u32_e32 v1, vcc, v4, v3, vcc
	s_cbranch_scc1 .LBB142_1022
; %bb.1015:
	s_and_b32 s47, 0xffff, s46
	s_cmp_gt_i32 s47, 25
	s_cbranch_scc0 .LBB142_1023
; %bb.1016:
	s_cmp_gt_i32 s47, 28
	s_cbranch_scc0 .LBB142_1024
; %bb.1017:
	;; [unrolled: 3-line block ×4, first 2 shown]
	s_mov_b64 s[42:43], 0
	s_mov_b64 s[0:1], -1
	s_cmp_eq_u32 s47, 46
	s_mov_b64 s[40:41], 0
	s_cbranch_scc0 .LBB142_1027
; %bb.1020:
	v_cvt_f32_ubyte0_e32 v3, v2
	v_bfe_u32 v4, v3, 16, 1
	s_movk_i32 s0, 0x7fff
	v_add3_u32 v3, v3, v4, s0
	v_lshrrev_b32_e32 v3, 16, v3
	global_store_dword v[0:1], v3, off
	s_mov_b64 s[40:41], -1
	s_mov_b64 s[0:1], 0
	s_branch .LBB142_1027
.LBB142_1021:
	s_mov_b64 s[42:43], 0
                                        ; implicit-def: $vgpr11
	s_mov_b64 s[0:1], s[28:29]
	s_branch .LBB142_1137
.LBB142_1022:
	s_mov_b64 s[42:43], -1
	s_mov_b64 s[40:41], 0
	s_mov_b64 s[0:1], s[28:29]
	s_branch .LBB142_1096
.LBB142_1023:
	s_mov_b64 s[42:43], -1
	s_mov_b64 s[40:41], 0
	s_mov_b64 s[0:1], s[28:29]
	s_branch .LBB142_1054
.LBB142_1024:
	s_mov_b64 s[42:43], -1
	s_mov_b64 s[40:41], 0
	s_mov_b64 s[0:1], s[28:29]
	s_branch .LBB142_1037
.LBB142_1025:
	s_mov_b64 s[42:43], -1
	s_mov_b64 s[40:41], 0
	s_mov_b64 s[0:1], s[28:29]
	s_branch .LBB142_1033
.LBB142_1026:
	s_mov_b64 s[42:43], -1
	s_mov_b64 s[40:41], 0
	s_mov_b64 s[0:1], s[28:29]
.LBB142_1027:
	s_and_b64 vcc, exec, s[42:43]
	s_cbranch_vccz .LBB142_1032
; %bb.1028:
	s_cmp_eq_u32 s47, 44
	s_mov_b64 s[0:1], -1
	s_cbranch_scc0 .LBB142_1032
; %bb.1029:
	v_cvt_f32_ubyte0_e32 v4, v2
	v_lshrrev_b32_e32 v3, 23, v4
	s_movk_i32 s0, 0xff
	v_cmp_ne_u32_e32 vcc, s0, v3
	v_mov_b32_e32 v5, 0xff
	s_and_saveexec_b64 s[40:41], vcc
; %bb.1030:
	s_mov_b32 s0, 0x3fffff
	v_and_b32_e32 v5, 0x400000, v4
	v_and_or_b32 v4, v4, s0, v3
	v_cmp_ne_u32_e32 vcc, 0, v5
	v_cmp_ne_u32_e64 s[0:1], 0, v4
	s_and_b64 s[0:1], vcc, s[0:1]
	v_cndmask_b32_e64 v4, 0, 1, s[0:1]
	v_add_u32_e32 v5, v3, v4
; %bb.1031:
	s_or_b64 exec, exec, s[40:41]
	s_mov_b64 s[40:41], -1
	s_mov_b64 s[0:1], 0
	global_store_byte v[0:1], v5, off
.LBB142_1032:
	s_mov_b64 s[42:43], 0
.LBB142_1033:
	s_and_b64 vcc, exec, s[42:43]
	s_cbranch_vccz .LBB142_1036
; %bb.1034:
	s_cmp_eq_u32 s47, 29
	s_mov_b64 s[0:1], -1
	s_cbranch_scc0 .LBB142_1036
; %bb.1035:
	s_mov_b32 s0, 0
	v_and_b32_e32 v3, 0xffff, v2
	v_mov_b32_e32 v4, s0
	global_store_dwordx2 v[0:1], v[3:4], off
	s_mov_b64 s[40:41], -1
	s_mov_b64 s[0:1], 0
.LBB142_1036:
	s_mov_b64 s[42:43], 0
.LBB142_1037:
	s_and_b64 vcc, exec, s[42:43]
	s_cbranch_vccz .LBB142_1053
; %bb.1038:
	s_cmp_lt_i32 s47, 27
	s_mov_b64 s[40:41], -1
	s_cbranch_scc1 .LBB142_1044
; %bb.1039:
	s_cmp_gt_i32 s47, 27
	s_cbranch_scc0 .LBB142_1041
; %bb.1040:
	v_and_b32_e32 v3, 0xffff, v2
	s_mov_b64 s[40:41], 0
	global_store_dword v[0:1], v3, off
.LBB142_1041:
	s_andn2_b64 vcc, exec, s[40:41]
	s_cbranch_vccnz .LBB142_1043
; %bb.1042:
	global_store_short v[0:1], v2, off
.LBB142_1043:
	s_mov_b64 s[40:41], 0
.LBB142_1044:
	s_andn2_b64 vcc, exec, s[40:41]
	s_cbranch_vccnz .LBB142_1052
; %bb.1045:
	v_cvt_f32_ubyte0_e32 v4, v2
	s_mov_b32 s40, 0x43800000
	v_cmp_gt_u32_e32 vcc, s40, v4
	v_mov_b32_e32 v5, 0x80
	s_and_saveexec_b64 s[40:41], vcc
	s_cbranch_execz .LBB142_1051
; %bb.1046:
	s_mov_b32 s42, 0x3bffffff
	v_cmp_lt_u32_e32 vcc, s42, v4
	s_mov_b64 s[42:43], 0
                                        ; implicit-def: $vgpr3
	s_and_saveexec_b64 s[44:45], vcc
	s_xor_b64 s[44:45], exec, s[44:45]
	s_cbranch_execz .LBB142_1153
; %bb.1047:
	v_bfe_u32 v3, v4, 20, 1
	s_mov_b32 s49, 0x487ffff
	v_add3_u32 v3, v4, v3, s49
	s_mov_b64 s[42:43], exec
	v_lshrrev_b32_e32 v3, 20, v3
                                        ; implicit-def: $vgpr4
	s_andn2_saveexec_b64 s[44:45], s[44:45]
	s_cbranch_execnz .LBB142_1154
.LBB142_1048:
	s_or_b64 exec, exec, s[44:45]
	v_mov_b32_e32 v5, 0
	s_and_saveexec_b64 s[44:45], s[42:43]
.LBB142_1049:
	v_mov_b32_e32 v5, v3
.LBB142_1050:
	s_or_b64 exec, exec, s[44:45]
.LBB142_1051:
	s_or_b64 exec, exec, s[40:41]
	global_store_byte v[0:1], v5, off
.LBB142_1052:
	s_mov_b64 s[40:41], -1
.LBB142_1053:
	s_mov_b64 s[42:43], 0
.LBB142_1054:
	s_and_b64 vcc, exec, s[42:43]
	s_cbranch_vccz .LBB142_1095
; %bb.1055:
	s_cmp_gt_i32 s47, 22
	s_mov_b64 s[42:43], -1
	s_cbranch_scc0 .LBB142_1087
; %bb.1056:
	s_cmp_lt_i32 s47, 24
	s_mov_b64 s[40:41], -1
	s_cbranch_scc1 .LBB142_1076
; %bb.1057:
	s_cmp_gt_i32 s47, 24
	s_cbranch_scc0 .LBB142_1065
; %bb.1058:
	v_cvt_f32_ubyte0_e32 v4, v2
	s_mov_b32 s40, 0x47800000
	v_cmp_gt_u32_e32 vcc, s40, v4
	v_mov_b32_e32 v5, 0x80
	s_and_saveexec_b64 s[40:41], vcc
	s_cbranch_execz .LBB142_1064
; %bb.1059:
	s_mov_b32 s42, 0x37ffffff
	v_cmp_lt_u32_e32 vcc, s42, v4
	s_mov_b64 s[42:43], 0
                                        ; implicit-def: $vgpr3
	s_and_saveexec_b64 s[44:45], vcc
	s_xor_b64 s[44:45], exec, s[44:45]
	s_cbranch_execz .LBB142_2147
; %bb.1060:
	v_bfe_u32 v3, v4, 21, 1
	s_mov_b32 s49, 0x88fffff
	v_add3_u32 v3, v4, v3, s49
	s_mov_b64 s[42:43], exec
	v_lshrrev_b32_e32 v3, 21, v3
                                        ; implicit-def: $vgpr4
	s_andn2_saveexec_b64 s[44:45], s[44:45]
	s_cbranch_execnz .LBB142_2148
.LBB142_1061:
	s_or_b64 exec, exec, s[44:45]
	v_mov_b32_e32 v5, 0
	s_and_saveexec_b64 s[44:45], s[42:43]
.LBB142_1062:
	v_mov_b32_e32 v5, v3
.LBB142_1063:
	s_or_b64 exec, exec, s[44:45]
.LBB142_1064:
	s_or_b64 exec, exec, s[40:41]
	s_mov_b64 s[40:41], 0
	global_store_byte v[0:1], v5, off
.LBB142_1065:
	s_and_b64 vcc, exec, s[40:41]
	s_cbranch_vccz .LBB142_1075
; %bb.1066:
	v_cvt_f32_ubyte0_e32 v3, v2
	s_mov_b32 s40, 0x43f00000
	v_cmp_gt_u32_e32 vcc, s40, v3
                                        ; implicit-def: $vgpr4
	s_and_saveexec_b64 s[40:41], vcc
	s_xor_b64 s[40:41], exec, s[40:41]
	s_cbranch_execz .LBB142_1072
; %bb.1067:
	s_mov_b32 s42, 0x3c7fffff
	v_cmp_lt_u32_e32 vcc, s42, v3
                                        ; implicit-def: $vgpr4
	s_and_saveexec_b64 s[42:43], vcc
	s_xor_b64 s[42:43], exec, s[42:43]
; %bb.1068:
	v_bfe_u32 v4, v3, 20, 1
	s_mov_b32 s44, 0x407ffff
	v_add3_u32 v3, v3, v4, s44
	v_lshrrev_b32_e32 v4, 20, v3
	v_and_b32_e32 v3, 0xff00000, v3
	s_mov_b32 s44, 0x7f00000
	v_mov_b32_e32 v5, 0x7e
	v_cmp_ne_u32_e32 vcc, s44, v3
	v_cndmask_b32_e32 v4, v5, v4, vcc
                                        ; implicit-def: $vgpr3
; %bb.1069:
	s_andn2_saveexec_b64 s[42:43], s[42:43]
; %bb.1070:
	v_add_f32_e32 v4, 0x46800000, v3
; %bb.1071:
	s_or_b64 exec, exec, s[42:43]
                                        ; implicit-def: $vgpr3
.LBB142_1072:
	s_andn2_saveexec_b64 s[40:41], s[40:41]
; %bb.1073:
	s_mov_b32 s42, 0x7f800000
	v_mov_b32_e32 v4, 0x7e
	v_mov_b32_e32 v5, 0x7f
	v_cmp_lt_u32_e32 vcc, s42, v3
	v_cndmask_b32_e32 v4, v4, v5, vcc
; %bb.1074:
	s_or_b64 exec, exec, s[40:41]
	global_store_byte v[0:1], v4, off
.LBB142_1075:
	s_mov_b64 s[40:41], 0
.LBB142_1076:
	s_andn2_b64 vcc, exec, s[40:41]
	s_cbranch_vccnz .LBB142_1086
; %bb.1077:
	v_cvt_f32_ubyte0_e32 v3, v2
	s_mov_b32 s40, 0x47800000
	v_cmp_gt_u32_e32 vcc, s40, v3
                                        ; implicit-def: $vgpr4
	s_and_saveexec_b64 s[40:41], vcc
	s_xor_b64 s[40:41], exec, s[40:41]
	s_cbranch_execz .LBB142_1083
; %bb.1078:
	s_mov_b32 s42, 0x387fffff
	v_cmp_lt_u32_e32 vcc, s42, v3
                                        ; implicit-def: $vgpr4
	s_and_saveexec_b64 s[42:43], vcc
	s_xor_b64 s[42:43], exec, s[42:43]
; %bb.1079:
	v_bfe_u32 v4, v3, 21, 1
	s_mov_b32 s44, 0x80fffff
	v_add3_u32 v3, v3, v4, s44
	v_lshrrev_b32_e32 v4, 21, v3
                                        ; implicit-def: $vgpr3
; %bb.1080:
	s_andn2_saveexec_b64 s[42:43], s[42:43]
; %bb.1081:
	v_add_f32_e32 v4, 0x43000000, v3
; %bb.1082:
	s_or_b64 exec, exec, s[42:43]
                                        ; implicit-def: $vgpr3
.LBB142_1083:
	s_andn2_saveexec_b64 s[40:41], s[40:41]
; %bb.1084:
	s_mov_b32 s42, 0x7f800000
	v_mov_b32_e32 v4, 0x7c
	v_mov_b32_e32 v5, 0x7f
	v_cmp_lt_u32_e32 vcc, s42, v3
	v_cndmask_b32_e32 v4, v4, v5, vcc
; %bb.1085:
	s_or_b64 exec, exec, s[40:41]
	global_store_byte v[0:1], v4, off
.LBB142_1086:
	s_mov_b64 s[42:43], 0
	s_mov_b64 s[40:41], -1
.LBB142_1087:
	s_andn2_b64 vcc, exec, s[42:43]
	s_cbranch_vccnz .LBB142_1095
; %bb.1088:
	s_cmp_gt_i32 s47, 14
	s_mov_b64 s[42:43], -1
	s_cbranch_scc0 .LBB142_1092
; %bb.1089:
	s_cmp_eq_u32 s47, 15
	s_mov_b64 s[0:1], -1
	s_cbranch_scc0 .LBB142_1091
; %bb.1090:
	v_cvt_f32_ubyte0_e32 v3, v2
	v_bfe_u32 v4, v3, 16, 1
	s_movk_i32 s0, 0x7fff
	v_add3_u32 v3, v3, v4, s0
	global_store_short_d16_hi v[0:1], v3, off
	s_mov_b64 s[40:41], -1
	s_mov_b64 s[0:1], 0
.LBB142_1091:
	s_mov_b64 s[42:43], 0
.LBB142_1092:
	s_and_b64 vcc, exec, s[42:43]
	s_cbranch_vccz .LBB142_1095
; %bb.1093:
	s_cmp_eq_u32 s47, 11
	s_mov_b64 s[0:1], -1
	s_cbranch_scc0 .LBB142_1095
; %bb.1094:
	v_cmp_ne_u16_e32 vcc, 0, v2
	v_cndmask_b32_e64 v3, 0, 1, vcc
	s_mov_b64 s[40:41], -1
	s_mov_b64 s[0:1], 0
	global_store_byte v[0:1], v3, off
.LBB142_1095:
	s_mov_b64 s[42:43], 0
.LBB142_1096:
	s_and_b64 vcc, exec, s[42:43]
	s_cbranch_vccz .LBB142_1135
; %bb.1097:
	s_and_b32 s42, 0xffff, s46
	s_cmp_lt_i32 s42, 5
	s_mov_b64 s[40:41], -1
	s_cbranch_scc1 .LBB142_1118
; %bb.1098:
	s_cmp_lt_i32 s42, 8
	s_cbranch_scc1 .LBB142_1108
; %bb.1099:
	s_cmp_lt_i32 s42, 9
	s_cbranch_scc1 .LBB142_1105
; %bb.1100:
	s_cmp_gt_i32 s42, 9
	s_cbranch_scc0 .LBB142_1102
; %bb.1101:
	v_and_b32_e32 v3, 0xffff, v2
	v_cvt_f64_u32_e32 v[3:4], v3
	v_mov_b32_e32 v5, 0
	v_mov_b32_e32 v6, v5
	s_mov_b64 s[40:41], 0
	global_store_dwordx4 v[0:1], v[3:6], off
.LBB142_1102:
	s_andn2_b64 vcc, exec, s[40:41]
	s_cbranch_vccnz .LBB142_1104
; %bb.1103:
	v_cvt_f32_ubyte0_e32 v3, v2
	v_mov_b32_e32 v4, 0
	global_store_dwordx2 v[0:1], v[3:4], off
.LBB142_1104:
	s_mov_b64 s[40:41], 0
.LBB142_1105:
	s_andn2_b64 vcc, exec, s[40:41]
	s_cbranch_vccnz .LBB142_1107
; %bb.1106:
	v_cvt_f16_u16_e32 v3, v2
	global_store_dword v[0:1], v3, off
.LBB142_1107:
	s_mov_b64 s[40:41], 0
.LBB142_1108:
	s_andn2_b64 vcc, exec, s[40:41]
	s_cbranch_vccnz .LBB142_1117
; %bb.1109:
	s_cmp_lt_i32 s42, 6
	s_mov_b64 s[40:41], -1
	s_cbranch_scc1 .LBB142_1115
; %bb.1110:
	s_cmp_gt_i32 s42, 6
	s_cbranch_scc0 .LBB142_1112
; %bb.1111:
	v_and_b32_e32 v3, 0xffff, v2
	v_cvt_f64_u32_e32 v[3:4], v3
	s_mov_b64 s[40:41], 0
	global_store_dwordx2 v[0:1], v[3:4], off
.LBB142_1112:
	s_andn2_b64 vcc, exec, s[40:41]
	s_cbranch_vccnz .LBB142_1114
; %bb.1113:
	v_cvt_f32_ubyte0_e32 v3, v2
	global_store_dword v[0:1], v3, off
.LBB142_1114:
	s_mov_b64 s[40:41], 0
.LBB142_1115:
	s_andn2_b64 vcc, exec, s[40:41]
	s_cbranch_vccnz .LBB142_1117
; %bb.1116:
	v_cvt_f16_u16_e32 v3, v2
	global_store_short v[0:1], v3, off
.LBB142_1117:
	s_mov_b64 s[40:41], 0
.LBB142_1118:
	s_andn2_b64 vcc, exec, s[40:41]
	s_cbranch_vccnz .LBB142_1134
; %bb.1119:
	s_cmp_lt_i32 s42, 2
	s_mov_b64 s[40:41], -1
	s_cbranch_scc1 .LBB142_1129
; %bb.1120:
	s_cmp_lt_i32 s42, 3
	s_cbranch_scc1 .LBB142_1126
; %bb.1121:
	s_cmp_gt_i32 s42, 3
	s_cbranch_scc0 .LBB142_1123
; %bb.1122:
	s_mov_b32 s40, 0
	v_and_b32_e32 v3, 0xffff, v2
	v_mov_b32_e32 v4, s40
	s_mov_b64 s[40:41], 0
	global_store_dwordx2 v[0:1], v[3:4], off
.LBB142_1123:
	s_andn2_b64 vcc, exec, s[40:41]
	s_cbranch_vccnz .LBB142_1125
; %bb.1124:
	v_and_b32_e32 v3, 0xffff, v2
	global_store_dword v[0:1], v3, off
.LBB142_1125:
	s_mov_b64 s[40:41], 0
.LBB142_1126:
	s_andn2_b64 vcc, exec, s[40:41]
	s_cbranch_vccnz .LBB142_1128
; %bb.1127:
	global_store_short v[0:1], v2, off
.LBB142_1128:
	s_mov_b64 s[40:41], 0
.LBB142_1129:
	s_andn2_b64 vcc, exec, s[40:41]
	s_cbranch_vccnz .LBB142_1134
; %bb.1130:
	s_cmp_gt_i32 s42, 0
	s_mov_b64 s[40:41], -1
	s_cbranch_scc0 .LBB142_1132
; %bb.1131:
	s_mov_b64 s[40:41], 0
	global_store_byte v[0:1], v2, off
.LBB142_1132:
	s_andn2_b64 vcc, exec, s[40:41]
	s_cbranch_vccnz .LBB142_1134
; %bb.1133:
	global_store_byte v[0:1], v2, off
.LBB142_1134:
	s_mov_b64 s[40:41], -1
.LBB142_1135:
	s_andn2_b64 vcc, exec, s[40:41]
	s_cbranch_vccnz .LBB142_1148
; %bb.1136:
	v_add_u32_e32 v11, 0x80, v11
	s_mov_b64 s[42:43], -1
.LBB142_1137:
	s_andn2_b64 s[40:41], s[28:29], exec
	s_and_b64 s[0:1], s[0:1], exec
	s_or_b64 s[40:41], s[40:41], s[0:1]
	s_andn2_b64 s[0:1], s[26:27], exec
	s_and_b64 s[38:39], s[38:39], exec
	s_or_b64 s[38:39], s[0:1], s[38:39]
	;; [unrolled: 3-line block ×3, first 2 shown]
	s_orn2_b64 s[46:47], s[42:43], exec
.LBB142_1138:
	s_or_b64 exec, exec, s[34:35]
	s_mov_b64 s[42:43], 0
	s_mov_b64 s[36:37], 0
	;; [unrolled: 1-line block ×3, first 2 shown]
                                        ; implicit-def: $sgpr55
                                        ; implicit-def: $vgpr2_vgpr3
                                        ; implicit-def: $vgpr0
	s_and_saveexec_b64 s[34:35], s[46:47]
	s_cbranch_execz .LBB142_1218
; %bb.1139:
	v_cmp_gt_i32_e32 vcc, s48, v11
	s_mov_b64 s[46:47], 0
	s_mov_b64 s[48:49], s[0:1]
	s_mov_b64 s[50:51], 0
	s_mov_b64 s[52:53], 0
                                        ; implicit-def: $sgpr55
                                        ; implicit-def: $vgpr2_vgpr3
                                        ; implicit-def: $vgpr0
	s_and_saveexec_b64 s[36:37], vcc
	s_cbranch_execz .LBB142_1217
; %bb.1140:
	s_waitcnt vmcnt(0)
	v_mul_lo_u32 v0, v11, s13
	v_mov_b32_e32 v1, s11
	s_and_b32 s55, s54, 0xff
	s_cmp_lt_i32 s55, 11
	v_ashrrev_i32_e32 v3, 31, v0
	v_add_co_u32_e32 v2, vcc, s10, v0
	v_addc_co_u32_e32 v3, vcc, v1, v3, vcc
	s_cbranch_scc1 .LBB142_1147
; %bb.1141:
	s_and_b32 s50, 0xffff, s55
	s_cmp_gt_i32 s50, 25
	s_cbranch_scc0 .LBB142_1149
; %bb.1142:
	s_cmp_gt_i32 s50, 28
	s_cbranch_scc0 .LBB142_1150
; %bb.1143:
	;; [unrolled: 3-line block ×4, first 2 shown]
	s_cmp_eq_u32 s50, 46
	s_mov_b64 s[48:49], 0
	s_cbranch_scc0 .LBB142_1155
; %bb.1146:
	global_load_dword v0, v[2:3], off
	s_mov_b32 s42, 0x2f800000
	s_mov_b32 s43, 0xcf800000
	s_mov_b64 s[46:47], -1
	s_waitcnt vmcnt(0)
	v_lshlrev_b32_e32 v0, 16, v0
	v_trunc_f32_e32 v0, v0
	v_mul_f32_e64 v1, |v0|, s42
	v_floor_f32_e32 v1, v1
	v_fma_f32 v1, v1, s43, |v0|
	v_cvt_u32_f32_e32 v1, v1
	v_ashrrev_i32_e32 v0, 31, v0
	s_mov_b64 s[42:43], 0
	v_xor_b32_e32 v1, v1, v0
	v_sub_u32_e32 v0, v1, v0
	s_branch .LBB142_1157
.LBB142_1147:
	s_mov_b64 s[48:49], -1
                                        ; implicit-def: $vgpr0
	s_mov_b64 s[42:43], s[0:1]
	s_branch .LBB142_1216
.LBB142_1148:
	s_mov_b64 s[42:43], 0
	s_branch .LBB142_894
.LBB142_1149:
	s_mov_b64 s[48:49], -1
	s_mov_b64 s[42:43], s[0:1]
                                        ; implicit-def: $vgpr0
	s_branch .LBB142_1184
.LBB142_1150:
	s_mov_b64 s[48:49], -1
	s_mov_b64 s[42:43], s[0:1]
                                        ; implicit-def: $vgpr0
	s_branch .LBB142_1167
.LBB142_1151:
	s_mov_b64 s[48:49], -1
	s_mov_b64 s[42:43], s[0:1]
                                        ; implicit-def: $vgpr0
	s_branch .LBB142_1162
.LBB142_1152:
	s_mov_b64 s[48:49], -1
	s_mov_b64 s[42:43], s[0:1]
	s_branch .LBB142_1156
.LBB142_1153:
	s_andn2_saveexec_b64 s[44:45], s[44:45]
	s_cbranch_execz .LBB142_1048
.LBB142_1154:
	v_add_f32_e32 v3, 0x46000000, v4
	v_and_b32_e32 v3, 0xff, v3
	v_cmp_ne_u32_e32 vcc, 0, v3
	s_andn2_b64 s[42:43], s[42:43], exec
	s_and_b64 s[50:51], vcc, exec
	s_or_b64 s[42:43], s[42:43], s[50:51]
	s_or_b64 exec, exec, s[44:45]
	v_mov_b32_e32 v5, 0
	s_and_saveexec_b64 s[44:45], s[42:43]
	s_cbranch_execnz .LBB142_1049
	s_branch .LBB142_1050
.LBB142_1155:
	s_mov_b64 s[42:43], -1
.LBB142_1156:
                                        ; implicit-def: $vgpr0
.LBB142_1157:
	s_and_b64 vcc, exec, s[48:49]
	s_cbranch_vccz .LBB142_1161
; %bb.1158:
	s_cmp_eq_u32 s50, 44
	s_cbranch_scc0 .LBB142_1160
; %bb.1159:
	global_load_ubyte v0, v[2:3], off
	s_mov_b32 s42, 0x2f800000
	s_mov_b32 s43, 0xcf800000
	s_mov_b64 s[46:47], -1
	s_waitcnt vmcnt(0)
	v_lshlrev_b32_e32 v1, 23, v0
	v_trunc_f32_e32 v1, v1
	v_mul_f32_e64 v4, |v1|, s42
	v_floor_f32_e32 v4, v4
	v_fma_f32 v4, v4, s43, |v1|
	v_cvt_u32_f32_e32 v4, v4
	v_ashrrev_i32_e32 v1, 31, v1
	v_cmp_ne_u32_e32 vcc, 0, v0
	s_mov_b64 s[42:43], 0
	v_xor_b32_e32 v4, v4, v1
	v_sub_u32_e32 v1, v4, v1
	v_cndmask_b32_e32 v0, 0, v1, vcc
	s_branch .LBB142_1161
.LBB142_1160:
	s_mov_b64 s[42:43], -1
                                        ; implicit-def: $vgpr0
.LBB142_1161:
	s_mov_b64 s[48:49], 0
.LBB142_1162:
	s_and_b64 vcc, exec, s[48:49]
	s_cbranch_vccz .LBB142_1166
; %bb.1163:
	s_cmp_eq_u32 s50, 29
	s_cbranch_scc0 .LBB142_1165
; %bb.1164:
	global_load_dwordx2 v[0:1], v[2:3], off
	s_mov_b64 s[42:43], 0
	s_mov_b64 s[46:47], -1
	s_branch .LBB142_1166
.LBB142_1165:
	s_mov_b64 s[42:43], -1
                                        ; implicit-def: $vgpr0
.LBB142_1166:
	s_mov_b64 s[48:49], 0
.LBB142_1167:
	s_and_b64 vcc, exec, s[48:49]
	s_cbranch_vccz .LBB142_1183
; %bb.1168:
	s_cmp_lt_i32 s50, 27
	s_cbranch_scc1 .LBB142_1171
; %bb.1169:
	s_cmp_gt_i32 s50, 27
	s_cbranch_scc0 .LBB142_1172
; %bb.1170:
	global_load_dword v0, v[2:3], off
	s_mov_b64 s[46:47], 0
	s_branch .LBB142_1173
.LBB142_1171:
	s_mov_b64 s[46:47], -1
                                        ; implicit-def: $vgpr0
	s_branch .LBB142_1176
.LBB142_1172:
	s_mov_b64 s[46:47], -1
                                        ; implicit-def: $vgpr0
.LBB142_1173:
	s_andn2_b64 vcc, exec, s[46:47]
	s_cbranch_vccnz .LBB142_1175
; %bb.1174:
	global_load_ushort v0, v[2:3], off
.LBB142_1175:
	s_mov_b64 s[46:47], 0
.LBB142_1176:
	s_andn2_b64 vcc, exec, s[46:47]
	s_cbranch_vccnz .LBB142_1182
; %bb.1177:
	global_load_ubyte v1, v[2:3], off
	s_movk_i32 s46, 0x7f
	s_mov_b64 s[48:49], 0
	s_waitcnt vmcnt(0)
	v_cmp_lt_i16_e32 vcc, s46, v1
	s_and_saveexec_b64 s[46:47], vcc
	s_xor_b64 s[46:47], exec, s[46:47]
	s_cbranch_execz .LBB142_1194
; %bb.1178:
	s_movk_i32 s48, 0x80
	v_cmp_ne_u16_e32 vcc, s48, v1
	s_and_b64 s[48:49], vcc, exec
	s_andn2_saveexec_b64 s[46:47], s[46:47]
	s_cbranch_execnz .LBB142_1195
.LBB142_1179:
	s_or_b64 exec, exec, s[46:47]
	v_mov_b32_e32 v0, 0
	s_and_saveexec_b64 s[46:47], s[48:49]
	s_cbranch_execz .LBB142_1181
.LBB142_1180:
	v_lshlrev_b32_e32 v0, 24, v1
	v_and_b32_e32 v1, 0xffff, v1
	v_and_b32_e32 v4, 7, v1
	v_ffbh_u32_e32 v6, v4
	v_min_u32_e32 v6, 32, v6
	v_subrev_u32_e32 v7, 28, v6
	v_bfe_u32 v5, v1, 3, 4
	v_lshlrev_b32_e32 v1, v7, v1
	v_sub_u32_e32 v6, 29, v6
	v_and_b32_e32 v1, 7, v1
	v_cmp_eq_u32_e32 vcc, 0, v5
	v_cndmask_b32_e32 v5, v5, v6, vcc
	v_cndmask_b32_e32 v1, v4, v1, vcc
	v_mov_b32_e32 v4, 0x3b800000
	v_lshlrev_b32_e32 v1, 20, v1
	v_and_b32_e32 v0, 0x80000000, v0
	v_lshl_add_u32 v4, v5, 23, v4
	v_or3_b32 v0, v0, v4, v1
	v_trunc_f32_e32 v0, v0
	s_mov_b32 s48, 0x2f800000
	v_mul_f32_e64 v1, |v0|, s48
	v_floor_f32_e32 v1, v1
	s_mov_b32 s48, 0xcf800000
	v_fma_f32 v1, v1, s48, |v0|
	v_cvt_u32_f32_e32 v1, v1
	v_ashrrev_i32_e32 v0, 31, v0
	v_xor_b32_e32 v1, v1, v0
	v_sub_u32_e32 v0, v1, v0
.LBB142_1181:
	s_or_b64 exec, exec, s[46:47]
.LBB142_1182:
	s_mov_b64 s[46:47], -1
.LBB142_1183:
	s_mov_b64 s[48:49], 0
.LBB142_1184:
	s_and_b64 vcc, exec, s[48:49]
	s_cbranch_vccz .LBB142_1215
; %bb.1185:
	s_cmp_gt_i32 s50, 22
	s_cbranch_scc0 .LBB142_1193
; %bb.1186:
	s_cmp_lt_i32 s50, 24
	s_cbranch_scc1 .LBB142_1196
; %bb.1187:
	s_cmp_gt_i32 s50, 24
	s_cbranch_scc0 .LBB142_1197
; %bb.1188:
	global_load_ubyte v1, v[2:3], off
	s_movk_i32 s44, 0x7f
	s_mov_b64 s[46:47], 0
	s_waitcnt vmcnt(0)
	v_cmp_lt_i16_e32 vcc, s44, v1
	s_and_saveexec_b64 s[44:45], vcc
	s_xor_b64 s[44:45], exec, s[44:45]
	s_cbranch_execz .LBB142_1209
; %bb.1189:
	s_movk_i32 s46, 0x80
	v_cmp_ne_u16_e32 vcc, s46, v1
	s_and_b64 s[46:47], vcc, exec
	s_andn2_saveexec_b64 s[44:45], s[44:45]
	s_cbranch_execnz .LBB142_1210
.LBB142_1190:
	s_or_b64 exec, exec, s[44:45]
	v_mov_b32_e32 v0, 0
	s_and_saveexec_b64 s[44:45], s[46:47]
	s_cbranch_execz .LBB142_1192
.LBB142_1191:
	v_lshlrev_b32_e32 v0, 24, v1
	v_and_b32_e32 v1, 0xffff, v1
	v_and_b32_e32 v4, 3, v1
	v_ffbh_u32_e32 v6, v4
	v_min_u32_e32 v6, 32, v6
	v_subrev_u32_e32 v7, 29, v6
	v_bfe_u32 v5, v1, 2, 5
	v_lshlrev_b32_e32 v1, v7, v1
	v_sub_u32_e32 v6, 30, v6
	v_and_b32_e32 v1, 3, v1
	v_cmp_eq_u32_e32 vcc, 0, v5
	v_cndmask_b32_e32 v5, v5, v6, vcc
	v_cndmask_b32_e32 v1, v4, v1, vcc
	v_mov_b32_e32 v4, 0x37800000
	v_lshlrev_b32_e32 v1, 21, v1
	v_and_b32_e32 v0, 0x80000000, v0
	v_lshl_add_u32 v4, v5, 23, v4
	v_or3_b32 v0, v0, v4, v1
	v_trunc_f32_e32 v0, v0
	s_mov_b32 s46, 0x2f800000
	v_mul_f32_e64 v1, |v0|, s46
	v_floor_f32_e32 v1, v1
	s_mov_b32 s46, 0xcf800000
	v_fma_f32 v1, v1, s46, |v0|
	v_cvt_u32_f32_e32 v1, v1
	v_ashrrev_i32_e32 v0, 31, v0
	v_xor_b32_e32 v1, v1, v0
	v_sub_u32_e32 v0, v1, v0
.LBB142_1192:
	s_or_b64 exec, exec, s[44:45]
	s_mov_b64 s[44:45], 0
	s_branch .LBB142_1198
.LBB142_1193:
	s_mov_b64 s[44:45], -1
                                        ; implicit-def: $vgpr0
	s_branch .LBB142_1204
.LBB142_1194:
	s_andn2_saveexec_b64 s[46:47], s[46:47]
	s_cbranch_execz .LBB142_1179
.LBB142_1195:
	v_cmp_ne_u16_e32 vcc, 0, v1
	s_andn2_b64 s[48:49], s[48:49], exec
	s_and_b64 s[52:53], vcc, exec
	s_or_b64 s[48:49], s[48:49], s[52:53]
	s_or_b64 exec, exec, s[46:47]
	v_mov_b32_e32 v0, 0
	s_and_saveexec_b64 s[46:47], s[48:49]
	s_cbranch_execnz .LBB142_1180
	s_branch .LBB142_1181
.LBB142_1196:
	s_mov_b64 s[44:45], -1
                                        ; implicit-def: $vgpr0
	s_branch .LBB142_1201
.LBB142_1197:
	s_mov_b64 s[44:45], -1
                                        ; implicit-def: $vgpr0
.LBB142_1198:
	s_and_b64 vcc, exec, s[44:45]
	s_cbranch_vccz .LBB142_1200
; %bb.1199:
	global_load_ubyte v0, v[2:3], off
	s_mov_b32 s44, 0x7f800000
	s_brev_b32 s45, 1
	s_mov_b32 s46, 0x2f800000
	s_waitcnt vmcnt(0)
	v_lshlrev_b32_e32 v0, 24, v0
	v_and_b32_e32 v1, 0x7f000000, v0
	v_ffbh_u32_e32 v4, v1
	v_min_u32_e32 v4, 32, v4
	v_sub_u32_e64 v4, v4, 4 clamp
	v_lshlrev_b32_e32 v6, v4, v1
	v_lshlrev_b32_e32 v4, 23, v4
	v_lshrrev_b32_e32 v6, 4, v6
	v_add_u32_e32 v5, 0x1000000, v1
	v_sub_u32_e32 v4, v6, v4
	v_ashrrev_i32_e32 v5, 8, v5
	v_add_u32_e32 v4, 0x3c000000, v4
	v_and_or_b32 v4, v5, s44, v4
	v_cmp_ne_u32_e32 vcc, 0, v1
	v_cndmask_b32_e32 v1, 0, v4, vcc
	v_and_or_b32 v0, v0, s45, v1
	v_trunc_f32_e32 v0, v0
	v_mul_f32_e64 v1, |v0|, s46
	v_floor_f32_e32 v1, v1
	s_mov_b32 s44, 0xcf800000
	v_fma_f32 v1, v1, s44, |v0|
	v_cvt_u32_f32_e32 v1, v1
	v_ashrrev_i32_e32 v0, 31, v0
	v_xor_b32_e32 v1, v1, v0
	v_sub_u32_e32 v0, v1, v0
.LBB142_1200:
	s_mov_b64 s[44:45], 0
.LBB142_1201:
	s_andn2_b64 vcc, exec, s[44:45]
	s_cbranch_vccnz .LBB142_1203
; %bb.1202:
	global_load_ubyte v0, v[2:3], off
	s_movk_i32 s44, 0x7f00
	s_brev_b32 s45, 16
	s_brev_b32 s46, 1
	s_mov_b32 s47, 0x2f800000
	s_waitcnt vmcnt(0)
	v_lshlrev_b16_e32 v1, 8, v0
	v_lshlrev_b32_e32 v0, 25, v0
	v_lshrrev_b32_e32 v4, 4, v0
	v_and_or_b32 v5, v1, s44, 0.5
	v_or_b32_e32 v4, 0x70000000, v4
	v_add_f32_e32 v5, -0.5, v5
	v_mul_f32_e32 v4, 0x7800000, v4
	v_cmp_gt_u32_e32 vcc, s45, v0
	v_bfe_i32 v1, v1, 0, 16
	v_cndmask_b32_e32 v0, v4, v5, vcc
	v_and_or_b32 v0, v1, s46, v0
	v_trunc_f32_e32 v0, v0
	v_mul_f32_e64 v1, |v0|, s47
	v_floor_f32_e32 v1, v1
	s_mov_b32 s44, 0xcf800000
	v_fma_f32 v1, v1, s44, |v0|
	v_cvt_u32_f32_e32 v1, v1
	v_ashrrev_i32_e32 v0, 31, v0
	v_xor_b32_e32 v1, v1, v0
	v_sub_u32_e32 v0, v1, v0
.LBB142_1203:
	s_mov_b64 s[44:45], 0
	s_mov_b64 s[46:47], -1
.LBB142_1204:
	s_andn2_b64 vcc, exec, s[44:45]
	s_mov_b64 s[44:45], 0
	s_cbranch_vccnz .LBB142_1215
; %bb.1205:
	s_cmp_gt_i32 s50, 14
	s_cbranch_scc0 .LBB142_1208
; %bb.1206:
	s_cmp_eq_u32 s50, 15
	s_cbranch_scc0 .LBB142_1211
; %bb.1207:
	global_load_ushort v0, v[2:3], off
	s_mov_b32 s42, 0x2f800000
	s_mov_b32 s43, 0xcf800000
	s_mov_b64 s[46:47], -1
	s_waitcnt vmcnt(0)
	v_lshlrev_b32_e32 v0, 16, v0
	v_trunc_f32_e32 v0, v0
	v_mul_f32_e64 v1, |v0|, s42
	v_floor_f32_e32 v1, v1
	v_fma_f32 v1, v1, s43, |v0|
	v_cvt_u32_f32_e32 v1, v1
	v_ashrrev_i32_e32 v0, 31, v0
	s_mov_b64 s[42:43], 0
	v_xor_b32_e32 v1, v1, v0
	v_sub_u32_e32 v0, v1, v0
	s_branch .LBB142_1212
.LBB142_1208:
	s_mov_b64 s[48:49], -1
                                        ; implicit-def: $vgpr0
	s_branch .LBB142_1213
.LBB142_1209:
	s_andn2_saveexec_b64 s[44:45], s[44:45]
	s_cbranch_execz .LBB142_1190
.LBB142_1210:
	v_cmp_ne_u16_e32 vcc, 0, v1
	s_andn2_b64 s[46:47], s[46:47], exec
	s_and_b64 s[48:49], vcc, exec
	s_or_b64 s[46:47], s[46:47], s[48:49]
	s_or_b64 exec, exec, s[44:45]
	v_mov_b32_e32 v0, 0
	s_and_saveexec_b64 s[44:45], s[46:47]
	s_cbranch_execnz .LBB142_1191
	s_branch .LBB142_1192
.LBB142_1211:
	s_mov_b64 s[42:43], -1
                                        ; implicit-def: $vgpr0
.LBB142_1212:
	s_mov_b64 s[48:49], 0
.LBB142_1213:
	s_and_b64 vcc, exec, s[48:49]
	s_cbranch_vccz .LBB142_1215
; %bb.1214:
	s_cmp_lg_u32 s50, 11
	s_cselect_b64 s[48:49], -1, 0
	s_andn2_b64 s[42:43], s[42:43], exec
	s_and_b64 s[48:49], s[48:49], exec
	s_mov_b64 s[44:45], -1
	s_or_b64 s[42:43], s[42:43], s[48:49]
.LBB142_1215:
	s_mov_b64 s[48:49], 0
.LBB142_1216:
	s_and_b64 s[52:53], s[46:47], exec
	s_and_b64 s[46:47], s[44:45], exec
	s_andn2_b64 s[44:45], s[0:1], exec
	s_and_b64 s[42:43], s[42:43], exec
	s_and_b64 s[50:51], s[48:49], exec
	s_or_b64 s[48:49], s[44:45], s[42:43]
.LBB142_1217:
	s_or_b64 exec, exec, s[36:37]
	s_and_b64 s[42:43], s[46:47], exec
	s_andn2_b64 s[0:1], s[0:1], exec
	s_and_b64 s[46:47], s[48:49], exec
	s_and_b64 s[44:45], s[52:53], exec
	;; [unrolled: 1-line block ×3, first 2 shown]
	s_or_b64 s[0:1], s[0:1], s[46:47]
.LBB142_1218:
	s_or_b64 exec, exec, s[34:35]
	s_andn2_b64 s[28:29], s[28:29], exec
	s_and_b64 s[34:35], s[40:41], exec
	s_or_b64 s[28:29], s[28:29], s[34:35]
	s_andn2_b64 s[26:27], s[26:27], exec
	s_and_b64 s[34:35], s[38:39], exec
	s_andn2_b64 s[24:25], s[24:25], exec
	s_and_b64 s[0:1], s[0:1], exec
	s_or_b64 s[26:27], s[26:27], s[34:35]
	s_and_b64 s[38:39], s[44:45], exec
	s_and_b64 s[36:37], s[36:37], exec
	;; [unrolled: 1-line block ×3, first 2 shown]
	s_or_b64 s[24:25], s[24:25], s[0:1]
.LBB142_1219:
	s_or_b64 exec, exec, s[30:31]
	s_andn2_b64 s[0:1], s[6:7], exec
	s_and_b64 s[6:7], s[28:29], exec
	s_or_b64 s[6:7], s[0:1], s[6:7]
	s_andn2_b64 s[0:1], s[18:19], exec
	s_and_b64 s[18:19], s[26:27], exec
	s_or_b64 s[18:19], s[0:1], s[18:19]
	s_andn2_b64 s[0:1], s[20:21], exec
	s_and_b64 s[20:21], s[24:25], exec
	s_and_b64 s[28:29], s[38:39], exec
	;; [unrolled: 1-line block ×4, first 2 shown]
	s_or_b64 s[20:21], s[0:1], s[20:21]
	s_or_b64 exec, exec, s[22:23]
	s_mov_b64 s[22:23], 0
	s_and_saveexec_b64 s[0:1], s[20:21]
	s_cbranch_execz .LBB142_385
.LBB142_1220:
	s_mov_b64 s[22:23], exec
	s_andn2_b64 s[26:27], s[26:27], exec
	s_trap 2
	s_or_b64 exec, exec, s[0:1]
	s_and_saveexec_b64 s[0:1], s[26:27]
	s_xor_b64 s[0:1], exec, s[0:1]
	s_cbranch_execnz .LBB142_386
.LBB142_1221:
	s_or_b64 exec, exec, s[0:1]
	s_and_saveexec_b64 s[0:1], s[30:31]
	s_cbranch_execz .LBB142_1267
.LBB142_1222:
	s_sext_i32_i16 s20, s55
	s_cmp_lt_i32 s20, 5
	s_cbranch_scc1 .LBB142_1227
; %bb.1223:
	s_cmp_lt_i32 s20, 8
	s_cbranch_scc1 .LBB142_1228
; %bb.1224:
	;; [unrolled: 3-line block ×3, first 2 shown]
	s_cmp_gt_i32 s20, 9
	s_cbranch_scc0 .LBB142_1230
; %bb.1226:
	s_waitcnt vmcnt(0)
	global_load_dwordx2 v[0:1], v[2:3], off
	s_movk_i32 s20, 0xffe0
	s_waitcnt vmcnt(0)
	v_trunc_f64_e32 v[0:1], v[0:1]
	v_ldexp_f64 v[4:5], v[0:1], s20
	s_mov_b32 s20, 0
	s_mov_b32 s21, 0xc1f00000
	v_floor_f64_e32 v[4:5], v[4:5]
	v_fma_f64 v[0:1], v[4:5], s[20:21], v[0:1]
	s_mov_b64 s[20:21], 0
	v_cvt_u32_f64_e32 v0, v[0:1]
	s_branch .LBB142_1231
.LBB142_1227:
                                        ; implicit-def: $vgpr0
	s_branch .LBB142_1248
.LBB142_1228:
                                        ; implicit-def: $vgpr0
	s_branch .LBB142_1237
.LBB142_1229:
	s_mov_b64 s[20:21], -1
                                        ; implicit-def: $vgpr0
	s_branch .LBB142_1234
.LBB142_1230:
	s_mov_b64 s[20:21], -1
                                        ; implicit-def: $vgpr0
.LBB142_1231:
	s_andn2_b64 vcc, exec, s[20:21]
	s_cbranch_vccnz .LBB142_1233
; %bb.1232:
	s_waitcnt vmcnt(0)
	global_load_dword v0, v[2:3], off
	s_mov_b32 s20, 0x2f800000
	s_waitcnt vmcnt(0)
	v_trunc_f32_e32 v0, v0
	v_mul_f32_e64 v1, |v0|, s20
	v_floor_f32_e32 v1, v1
	s_mov_b32 s20, 0xcf800000
	v_fma_f32 v1, v1, s20, |v0|
	v_cvt_u32_f32_e32 v1, v1
	v_ashrrev_i32_e32 v0, 31, v0
	v_xor_b32_e32 v1, v1, v0
	v_sub_u32_e32 v0, v1, v0
.LBB142_1233:
	s_mov_b64 s[20:21], 0
.LBB142_1234:
	s_andn2_b64 vcc, exec, s[20:21]
	s_cbranch_vccnz .LBB142_1236
; %bb.1235:
	s_waitcnt vmcnt(0)
	global_load_dword v0, v[2:3], off
	s_waitcnt vmcnt(0)
	v_cvt_f32_f16_e32 v0, v0
	v_cvt_i32_f32_e32 v0, v0
.LBB142_1236:
	s_cbranch_execnz .LBB142_1247
.LBB142_1237:
	s_sext_i32_i16 s20, s55
	s_cmp_lt_i32 s20, 6
	s_cbranch_scc1 .LBB142_1240
; %bb.1238:
	s_cmp_gt_i32 s20, 6
	s_cbranch_scc0 .LBB142_1241
; %bb.1239:
	s_waitcnt vmcnt(0)
	global_load_dwordx2 v[0:1], v[2:3], off
	s_movk_i32 s20, 0xffe0
	s_waitcnt vmcnt(0)
	v_trunc_f64_e32 v[0:1], v[0:1]
	v_ldexp_f64 v[4:5], v[0:1], s20
	s_mov_b32 s20, 0
	s_mov_b32 s21, 0xc1f00000
	v_floor_f64_e32 v[4:5], v[4:5]
	v_fma_f64 v[0:1], v[4:5], s[20:21], v[0:1]
	s_mov_b64 s[20:21], 0
	v_cvt_u32_f64_e32 v0, v[0:1]
	s_branch .LBB142_1242
.LBB142_1240:
	s_mov_b64 s[20:21], -1
                                        ; implicit-def: $vgpr0
	s_branch .LBB142_1245
.LBB142_1241:
	s_mov_b64 s[20:21], -1
                                        ; implicit-def: $vgpr0
.LBB142_1242:
	s_andn2_b64 vcc, exec, s[20:21]
	s_cbranch_vccnz .LBB142_1244
; %bb.1243:
	s_waitcnt vmcnt(0)
	global_load_dword v0, v[2:3], off
	s_mov_b32 s20, 0x2f800000
	s_waitcnt vmcnt(0)
	v_trunc_f32_e32 v0, v0
	v_mul_f32_e64 v1, |v0|, s20
	v_floor_f32_e32 v1, v1
	s_mov_b32 s20, 0xcf800000
	v_fma_f32 v1, v1, s20, |v0|
	v_cvt_u32_f32_e32 v1, v1
	v_ashrrev_i32_e32 v0, 31, v0
	v_xor_b32_e32 v1, v1, v0
	v_sub_u32_e32 v0, v1, v0
.LBB142_1244:
	s_mov_b64 s[20:21], 0
.LBB142_1245:
	s_andn2_b64 vcc, exec, s[20:21]
	s_cbranch_vccnz .LBB142_1247
; %bb.1246:
	s_waitcnt vmcnt(0)
	global_load_ushort v0, v[2:3], off
	s_waitcnt vmcnt(0)
	v_cvt_f32_f16_e32 v0, v0
	v_cvt_i32_f32_e32 v0, v0
.LBB142_1247:
	s_cbranch_execnz .LBB142_1266
.LBB142_1248:
	s_sext_i32_i16 s20, s55
	s_cmp_lt_i32 s20, 2
	s_cbranch_scc1 .LBB142_1252
; %bb.1249:
	s_cmp_lt_i32 s20, 3
	s_cbranch_scc1 .LBB142_1253
; %bb.1250:
	s_cmp_gt_i32 s20, 3
	s_cbranch_scc0 .LBB142_1254
; %bb.1251:
	s_waitcnt vmcnt(0)
	global_load_dwordx2 v[0:1], v[2:3], off
	s_mov_b64 s[20:21], 0
	s_branch .LBB142_1255
.LBB142_1252:
                                        ; implicit-def: $vgpr0
	s_branch .LBB142_1261
.LBB142_1253:
	s_mov_b64 s[20:21], -1
                                        ; implicit-def: $vgpr0
	s_branch .LBB142_1258
.LBB142_1254:
	s_mov_b64 s[20:21], -1
                                        ; implicit-def: $vgpr0
.LBB142_1255:
	s_andn2_b64 vcc, exec, s[20:21]
	s_cbranch_vccnz .LBB142_1257
; %bb.1256:
	s_waitcnt vmcnt(0)
	global_load_dword v0, v[2:3], off
.LBB142_1257:
	s_mov_b64 s[20:21], 0
.LBB142_1258:
	s_andn2_b64 vcc, exec, s[20:21]
	s_cbranch_vccnz .LBB142_1260
; %bb.1259:
	s_waitcnt vmcnt(0)
	global_load_ushort v0, v[2:3], off
.LBB142_1260:
	s_cbranch_execnz .LBB142_1266
.LBB142_1261:
	s_sext_i32_i16 s20, s55
	s_cmp_gt_i32 s20, 0
	s_cbranch_scc0 .LBB142_1263
; %bb.1262:
	s_waitcnt vmcnt(0)
	global_load_ubyte v0, v[2:3], off
	s_mov_b64 s[20:21], 0
	s_branch .LBB142_1264
.LBB142_1263:
	s_mov_b64 s[20:21], -1
                                        ; implicit-def: $vgpr0
.LBB142_1264:
	s_andn2_b64 vcc, exec, s[20:21]
	s_cbranch_vccnz .LBB142_1266
; %bb.1265:
	s_waitcnt vmcnt(0)
	global_load_ubyte v0, v[2:3], off
.LBB142_1266:
	s_or_b64 s[28:29], s[28:29], exec
.LBB142_1267:
	s_or_b64 exec, exec, s[0:1]
	s_mov_b64 s[26:27], 0
	s_mov_b64 s[30:31], 0
	;; [unrolled: 1-line block ×3, first 2 shown]
                                        ; implicit-def: $sgpr34
                                        ; implicit-def: $vgpr1_vgpr2
                                        ; implicit-def: $vgpr3
	s_and_saveexec_b64 s[0:1], s[28:29]
	s_cbranch_execz .LBB142_1275
; %bb.1268:
	s_waitcnt vmcnt(0)
	v_mul_lo_u32 v1, v11, s14
	v_mov_b32_e32 v2, s3
	s_and_b32 s34, s15, 0xff
	s_cmp_lt_i32 s34, 11
	v_ashrrev_i32_e32 v3, 31, v1
	v_add_co_u32_e32 v1, vcc, s2, v1
	v_addc_co_u32_e32 v2, vcc, v2, v3, vcc
	s_cbranch_scc1 .LBB142_1278
; %bb.1269:
	s_and_b32 s30, 0xffff, s34
	s_cmp_gt_i32 s30, 25
	s_cbranch_scc0 .LBB142_1279
; %bb.1270:
	s_cmp_gt_i32 s30, 28
	s_cbranch_scc0 .LBB142_1280
; %bb.1271:
	;; [unrolled: 3-line block ×4, first 2 shown]
	s_cmp_eq_u32 s30, 46
	s_mov_b64 s[28:29], 0
	s_cbranch_scc0 .LBB142_1283
; %bb.1274:
	global_load_dword v3, v[1:2], off
	s_mov_b32 s20, 0x2f800000
	s_mov_b32 s21, 0xcf800000
	s_mov_b64 s[24:25], -1
	s_waitcnt vmcnt(0)
	v_lshlrev_b32_e32 v3, 16, v3
	v_trunc_f32_e32 v3, v3
	v_mul_f32_e64 v4, |v3|, s20
	v_floor_f32_e32 v4, v4
	v_fma_f32 v4, v4, s21, |v3|
	v_cvt_u32_f32_e32 v4, v4
	v_ashrrev_i32_e32 v3, 31, v3
	s_mov_b64 s[20:21], 0
	v_xor_b32_e32 v4, v4, v3
	v_sub_u32_e32 v3, v4, v3
	s_branch .LBB142_1285
.LBB142_1275:
	s_or_b64 exec, exec, s[0:1]
	s_and_saveexec_b64 s[0:1], s[18:19]
	s_cbranch_execnz .LBB142_1344
.LBB142_1276:
	s_or_b64 exec, exec, s[0:1]
	s_and_saveexec_b64 s[0:1], s[26:27]
	s_xor_b64 s[0:1], exec, s[0:1]
	s_cbranch_execz .LBB142_1345
.LBB142_1277:
	s_waitcnt vmcnt(0)
	global_load_ubyte v3, v[1:2], off
	s_or_b64 s[24:25], s[24:25], exec
	s_waitcnt vmcnt(0)
	v_cmp_ne_u16_e32 vcc, 0, v3
	v_cndmask_b32_e64 v3, 0, 1, vcc
	s_or_b64 exec, exec, s[0:1]
	s_and_saveexec_b64 s[0:1], s[30:31]
	s_cbranch_execz .LBB142_1391
	s_branch .LBB142_1346
.LBB142_1278:
	s_mov_b64 s[28:29], -1
                                        ; implicit-def: $vgpr3
	s_mov_b64 s[20:21], s[18:19]
	s_branch .LBB142_1343
.LBB142_1279:
	s_mov_b64 s[20:21], s[18:19]
                                        ; implicit-def: $vgpr3
	s_cbranch_execnz .LBB142_1312
	s_branch .LBB142_1342
.LBB142_1280:
	s_mov_b64 s[28:29], -1
	s_mov_b64 s[20:21], s[18:19]
                                        ; implicit-def: $vgpr3
	s_branch .LBB142_1295
.LBB142_1281:
	s_mov_b64 s[28:29], -1
	s_mov_b64 s[20:21], s[18:19]
                                        ; implicit-def: $vgpr3
	s_branch .LBB142_1290
.LBB142_1282:
	s_mov_b64 s[28:29], -1
	s_mov_b64 s[20:21], s[18:19]
	s_branch .LBB142_1284
.LBB142_1283:
	s_mov_b64 s[20:21], -1
.LBB142_1284:
                                        ; implicit-def: $vgpr3
.LBB142_1285:
	s_and_b64 vcc, exec, s[28:29]
	s_cbranch_vccz .LBB142_1289
; %bb.1286:
	s_cmp_eq_u32 s30, 44
	s_cbranch_scc0 .LBB142_1288
; %bb.1287:
	global_load_ubyte v3, v[1:2], off
	s_mov_b32 s20, 0x2f800000
	s_mov_b32 s21, 0xcf800000
	s_mov_b64 s[24:25], -1
	s_waitcnt vmcnt(0)
	v_lshlrev_b32_e32 v4, 23, v3
	v_trunc_f32_e32 v4, v4
	v_mul_f32_e64 v5, |v4|, s20
	v_floor_f32_e32 v5, v5
	v_fma_f32 v5, v5, s21, |v4|
	v_cvt_u32_f32_e32 v5, v5
	v_ashrrev_i32_e32 v4, 31, v4
	v_cmp_ne_u32_e32 vcc, 0, v3
	s_mov_b64 s[20:21], 0
	v_xor_b32_e32 v5, v5, v4
	v_sub_u32_e32 v4, v5, v4
	v_cndmask_b32_e32 v3, 0, v4, vcc
	s_branch .LBB142_1289
.LBB142_1288:
	s_mov_b64 s[20:21], -1
                                        ; implicit-def: $vgpr3
.LBB142_1289:
	s_mov_b64 s[28:29], 0
.LBB142_1290:
	s_and_b64 vcc, exec, s[28:29]
	s_cbranch_vccz .LBB142_1294
; %bb.1291:
	s_cmp_eq_u32 s30, 29
	s_cbranch_scc0 .LBB142_1293
; %bb.1292:
	global_load_dwordx2 v[3:4], v[1:2], off
	s_mov_b64 s[20:21], 0
	s_mov_b64 s[24:25], -1
	s_branch .LBB142_1294
.LBB142_1293:
	s_mov_b64 s[20:21], -1
                                        ; implicit-def: $vgpr3
.LBB142_1294:
	s_mov_b64 s[28:29], 0
.LBB142_1295:
	s_and_b64 vcc, exec, s[28:29]
	s_cbranch_vccz .LBB142_1311
; %bb.1296:
	s_cmp_lt_i32 s30, 27
	s_cbranch_scc1 .LBB142_1299
; %bb.1297:
	s_cmp_gt_i32 s30, 27
	s_cbranch_scc0 .LBB142_1300
; %bb.1298:
	global_load_dword v3, v[1:2], off
	s_mov_b64 s[24:25], 0
	s_branch .LBB142_1301
.LBB142_1299:
	s_mov_b64 s[24:25], -1
                                        ; implicit-def: $vgpr3
	s_branch .LBB142_1304
.LBB142_1300:
	s_mov_b64 s[24:25], -1
                                        ; implicit-def: $vgpr3
.LBB142_1301:
	s_andn2_b64 vcc, exec, s[24:25]
	s_cbranch_vccnz .LBB142_1303
; %bb.1302:
	global_load_ushort v3, v[1:2], off
.LBB142_1303:
	s_mov_b64 s[24:25], 0
.LBB142_1304:
	s_andn2_b64 vcc, exec, s[24:25]
	s_cbranch_vccnz .LBB142_1310
; %bb.1305:
	global_load_ubyte v4, v[1:2], off
	s_movk_i32 s24, 0x7f
	s_mov_b64 s[28:29], 0
	s_waitcnt vmcnt(0)
	v_cmp_lt_i16_e32 vcc, s24, v4
	s_and_saveexec_b64 s[24:25], vcc
	s_xor_b64 s[24:25], exec, s[24:25]
	s_cbranch_execz .LBB142_1321
; %bb.1306:
	s_movk_i32 s28, 0x80
	v_cmp_ne_u16_e32 vcc, s28, v4
	s_and_b64 s[28:29], vcc, exec
	s_andn2_saveexec_b64 s[24:25], s[24:25]
	s_cbranch_execnz .LBB142_1322
.LBB142_1307:
	s_or_b64 exec, exec, s[24:25]
	v_mov_b32_e32 v3, 0
	s_and_saveexec_b64 s[24:25], s[28:29]
	s_cbranch_execz .LBB142_1309
.LBB142_1308:
	v_lshlrev_b32_e32 v3, 24, v4
	v_and_b32_e32 v4, 0xffff, v4
	v_and_b32_e32 v5, 7, v4
	v_ffbh_u32_e32 v7, v5
	v_min_u32_e32 v7, 32, v7
	v_subrev_u32_e32 v8, 28, v7
	v_bfe_u32 v6, v4, 3, 4
	v_lshlrev_b32_e32 v4, v8, v4
	v_sub_u32_e32 v7, 29, v7
	v_and_b32_e32 v4, 7, v4
	v_cmp_eq_u32_e32 vcc, 0, v6
	v_cndmask_b32_e32 v6, v6, v7, vcc
	v_cndmask_b32_e32 v4, v5, v4, vcc
	v_mov_b32_e32 v5, 0x3b800000
	v_lshlrev_b32_e32 v4, 20, v4
	v_and_b32_e32 v3, 0x80000000, v3
	v_lshl_add_u32 v5, v6, 23, v5
	v_or3_b32 v3, v3, v5, v4
	v_trunc_f32_e32 v3, v3
	s_mov_b32 s28, 0x2f800000
	v_mul_f32_e64 v4, |v3|, s28
	v_floor_f32_e32 v4, v4
	s_mov_b32 s28, 0xcf800000
	v_fma_f32 v4, v4, s28, |v3|
	v_cvt_u32_f32_e32 v4, v4
	v_ashrrev_i32_e32 v3, 31, v3
	v_xor_b32_e32 v4, v4, v3
	v_sub_u32_e32 v3, v4, v3
.LBB142_1309:
	s_or_b64 exec, exec, s[24:25]
.LBB142_1310:
	s_mov_b64 s[24:25], -1
.LBB142_1311:
	s_branch .LBB142_1342
.LBB142_1312:
	s_cmp_gt_i32 s30, 22
	s_cbranch_scc0 .LBB142_1320
; %bb.1313:
	s_cmp_lt_i32 s30, 24
	s_cbranch_scc1 .LBB142_1323
; %bb.1314:
	s_cmp_gt_i32 s30, 24
	s_cbranch_scc0 .LBB142_1324
; %bb.1315:
	global_load_ubyte v4, v[1:2], off
	s_movk_i32 s24, 0x7f
	s_waitcnt vmcnt(0)
	v_cmp_lt_i16_e32 vcc, s24, v4
	s_and_saveexec_b64 s[24:25], vcc
	s_xor_b64 s[24:25], exec, s[24:25]
	s_cbranch_execz .LBB142_1336
; %bb.1316:
	s_movk_i32 s26, 0x80
	v_cmp_ne_u16_e32 vcc, s26, v4
	s_and_b64 s[26:27], vcc, exec
	s_andn2_saveexec_b64 s[24:25], s[24:25]
	s_cbranch_execnz .LBB142_1337
.LBB142_1317:
	s_or_b64 exec, exec, s[24:25]
	v_mov_b32_e32 v3, 0
	s_and_saveexec_b64 s[24:25], s[26:27]
	s_cbranch_execz .LBB142_1319
.LBB142_1318:
	v_lshlrev_b32_e32 v3, 24, v4
	v_and_b32_e32 v4, 0xffff, v4
	v_and_b32_e32 v5, 3, v4
	v_ffbh_u32_e32 v7, v5
	v_min_u32_e32 v7, 32, v7
	v_subrev_u32_e32 v8, 29, v7
	v_bfe_u32 v6, v4, 2, 5
	v_lshlrev_b32_e32 v4, v8, v4
	v_sub_u32_e32 v7, 30, v7
	v_and_b32_e32 v4, 3, v4
	v_cmp_eq_u32_e32 vcc, 0, v6
	v_cndmask_b32_e32 v6, v6, v7, vcc
	v_cndmask_b32_e32 v4, v5, v4, vcc
	v_mov_b32_e32 v5, 0x37800000
	v_lshlrev_b32_e32 v4, 21, v4
	v_and_b32_e32 v3, 0x80000000, v3
	v_lshl_add_u32 v5, v6, 23, v5
	v_or3_b32 v3, v3, v5, v4
	v_trunc_f32_e32 v3, v3
	s_mov_b32 s26, 0x2f800000
	v_mul_f32_e64 v4, |v3|, s26
	v_floor_f32_e32 v4, v4
	s_mov_b32 s26, 0xcf800000
	v_fma_f32 v4, v4, s26, |v3|
	v_cvt_u32_f32_e32 v4, v4
	v_ashrrev_i32_e32 v3, 31, v3
	v_xor_b32_e32 v4, v4, v3
	v_sub_u32_e32 v3, v4, v3
.LBB142_1319:
	s_or_b64 exec, exec, s[24:25]
	s_mov_b64 s[24:25], 0
	s_branch .LBB142_1325
.LBB142_1320:
	s_mov_b64 s[26:27], -1
                                        ; implicit-def: $vgpr3
	s_branch .LBB142_1331
.LBB142_1321:
	s_andn2_saveexec_b64 s[24:25], s[24:25]
	s_cbranch_execz .LBB142_1307
.LBB142_1322:
	v_cmp_ne_u16_e32 vcc, 0, v4
	s_andn2_b64 s[28:29], s[28:29], exec
	s_and_b64 s[36:37], vcc, exec
	s_or_b64 s[28:29], s[28:29], s[36:37]
	s_or_b64 exec, exec, s[24:25]
	v_mov_b32_e32 v3, 0
	s_and_saveexec_b64 s[24:25], s[28:29]
	s_cbranch_execnz .LBB142_1308
	s_branch .LBB142_1309
.LBB142_1323:
	s_mov_b64 s[24:25], -1
                                        ; implicit-def: $vgpr3
	s_branch .LBB142_1328
.LBB142_1324:
	s_mov_b64 s[24:25], -1
                                        ; implicit-def: $vgpr3
.LBB142_1325:
	s_and_b64 vcc, exec, s[24:25]
	s_cbranch_vccz .LBB142_1327
; %bb.1326:
	global_load_ubyte v3, v[1:2], off
	s_mov_b32 s24, 0x7f800000
	s_brev_b32 s25, 1
	s_mov_b32 s26, 0x2f800000
	s_waitcnt vmcnt(0)
	v_lshlrev_b32_e32 v3, 24, v3
	v_and_b32_e32 v4, 0x7f000000, v3
	v_ffbh_u32_e32 v5, v4
	v_min_u32_e32 v5, 32, v5
	v_sub_u32_e64 v5, v5, 4 clamp
	v_lshlrev_b32_e32 v7, v5, v4
	v_lshlrev_b32_e32 v5, 23, v5
	v_lshrrev_b32_e32 v7, 4, v7
	v_add_u32_e32 v6, 0x1000000, v4
	v_sub_u32_e32 v5, v7, v5
	v_ashrrev_i32_e32 v6, 8, v6
	v_add_u32_e32 v5, 0x3c000000, v5
	v_and_or_b32 v5, v6, s24, v5
	v_cmp_ne_u32_e32 vcc, 0, v4
	v_cndmask_b32_e32 v4, 0, v5, vcc
	v_and_or_b32 v3, v3, s25, v4
	v_trunc_f32_e32 v3, v3
	v_mul_f32_e64 v4, |v3|, s26
	v_floor_f32_e32 v4, v4
	s_mov_b32 s24, 0xcf800000
	v_fma_f32 v4, v4, s24, |v3|
	v_cvt_u32_f32_e32 v4, v4
	v_ashrrev_i32_e32 v3, 31, v3
	v_xor_b32_e32 v4, v4, v3
	v_sub_u32_e32 v3, v4, v3
.LBB142_1327:
	s_mov_b64 s[24:25], 0
.LBB142_1328:
	s_andn2_b64 vcc, exec, s[24:25]
	s_cbranch_vccnz .LBB142_1330
; %bb.1329:
	global_load_ubyte v3, v[1:2], off
	s_movk_i32 s24, 0x7f00
	s_brev_b32 s25, 16
	s_brev_b32 s26, 1
	s_mov_b32 s27, 0x2f800000
	s_waitcnt vmcnt(0)
	v_lshlrev_b16_e32 v4, 8, v3
	v_lshlrev_b32_e32 v3, 25, v3
	v_lshrrev_b32_e32 v5, 4, v3
	v_and_or_b32 v6, v4, s24, 0.5
	v_or_b32_e32 v5, 0x70000000, v5
	v_add_f32_e32 v6, -0.5, v6
	v_mul_f32_e32 v5, 0x7800000, v5
	v_cmp_gt_u32_e32 vcc, s25, v3
	v_bfe_i32 v4, v4, 0, 16
	v_cndmask_b32_e32 v3, v5, v6, vcc
	v_and_or_b32 v3, v4, s26, v3
	v_trunc_f32_e32 v3, v3
	v_mul_f32_e64 v4, |v3|, s27
	v_floor_f32_e32 v4, v4
	s_mov_b32 s24, 0xcf800000
	v_fma_f32 v4, v4, s24, |v3|
	v_cvt_u32_f32_e32 v4, v4
	v_ashrrev_i32_e32 v3, 31, v3
	v_xor_b32_e32 v4, v4, v3
	v_sub_u32_e32 v3, v4, v3
.LBB142_1330:
	s_mov_b64 s[26:27], 0
	s_mov_b64 s[24:25], -1
.LBB142_1331:
	s_andn2_b64 vcc, exec, s[26:27]
	s_mov_b64 s[26:27], 0
	s_cbranch_vccnz .LBB142_1342
; %bb.1332:
	s_cmp_gt_i32 s30, 14
	s_cbranch_scc0 .LBB142_1335
; %bb.1333:
	s_cmp_eq_u32 s30, 15
	s_cbranch_scc0 .LBB142_1338
; %bb.1334:
	global_load_ushort v3, v[1:2], off
	s_mov_b32 s20, 0x2f800000
	s_mov_b32 s21, 0xcf800000
	s_mov_b64 s[24:25], -1
	s_waitcnt vmcnt(0)
	v_lshlrev_b32_e32 v3, 16, v3
	v_trunc_f32_e32 v3, v3
	v_mul_f32_e64 v4, |v3|, s20
	v_floor_f32_e32 v4, v4
	v_fma_f32 v4, v4, s21, |v3|
	v_cvt_u32_f32_e32 v4, v4
	v_ashrrev_i32_e32 v3, 31, v3
	s_mov_b64 s[20:21], 0
	v_xor_b32_e32 v4, v4, v3
	v_sub_u32_e32 v3, v4, v3
	s_branch .LBB142_1339
.LBB142_1335:
	s_mov_b64 s[28:29], -1
                                        ; implicit-def: $vgpr3
	s_branch .LBB142_1340
.LBB142_1336:
	s_andn2_saveexec_b64 s[24:25], s[24:25]
	s_cbranch_execz .LBB142_1317
.LBB142_1337:
	v_cmp_ne_u16_e32 vcc, 0, v4
	s_andn2_b64 s[26:27], s[26:27], exec
	s_and_b64 s[28:29], vcc, exec
	s_or_b64 s[26:27], s[26:27], s[28:29]
	s_or_b64 exec, exec, s[24:25]
	v_mov_b32_e32 v3, 0
	s_and_saveexec_b64 s[24:25], s[26:27]
	s_cbranch_execnz .LBB142_1318
	s_branch .LBB142_1319
.LBB142_1338:
	s_mov_b64 s[20:21], -1
                                        ; implicit-def: $vgpr3
.LBB142_1339:
	s_mov_b64 s[28:29], 0
.LBB142_1340:
	s_and_b64 vcc, exec, s[28:29]
	s_cbranch_vccz .LBB142_1342
; %bb.1341:
	s_cmp_lg_u32 s30, 11
	s_cselect_b64 s[28:29], -1, 0
	s_andn2_b64 s[20:21], s[20:21], exec
	s_and_b64 s[28:29], s[28:29], exec
	s_mov_b64 s[26:27], -1
	s_or_b64 s[20:21], s[20:21], s[28:29]
.LBB142_1342:
	s_mov_b64 s[28:29], 0
.LBB142_1343:
	s_andn2_b64 s[18:19], s[18:19], exec
	s_and_b64 s[20:21], s[20:21], exec
	s_and_b64 s[24:25], s[24:25], exec
	s_and_b64 s[30:31], s[28:29], exec
	s_and_b64 s[26:27], s[26:27], exec
	s_or_b64 s[18:19], s[18:19], s[20:21]
	s_or_b64 exec, exec, s[0:1]
	s_and_saveexec_b64 s[0:1], s[18:19]
	s_cbranch_execz .LBB142_1276
.LBB142_1344:
	s_or_b64 s[22:23], s[22:23], exec
	s_andn2_b64 s[26:27], s[26:27], exec
	s_trap 2
	s_or_b64 exec, exec, s[0:1]
	s_and_saveexec_b64 s[0:1], s[26:27]
	s_xor_b64 s[0:1], exec, s[0:1]
	s_cbranch_execnz .LBB142_1277
.LBB142_1345:
	s_or_b64 exec, exec, s[0:1]
	s_and_saveexec_b64 s[0:1], s[30:31]
	s_cbranch_execz .LBB142_1391
.LBB142_1346:
	s_sext_i32_i16 s18, s34
	s_cmp_lt_i32 s18, 5
	s_cbranch_scc1 .LBB142_1351
; %bb.1347:
	s_cmp_lt_i32 s18, 8
	s_cbranch_scc1 .LBB142_1352
; %bb.1348:
	;; [unrolled: 3-line block ×3, first 2 shown]
	s_cmp_gt_i32 s18, 9
	s_cbranch_scc0 .LBB142_1354
; %bb.1350:
	s_waitcnt vmcnt(0)
	global_load_dwordx2 v[3:4], v[1:2], off
	s_movk_i32 s18, 0xffe0
	s_waitcnt vmcnt(0)
	v_trunc_f64_e32 v[3:4], v[3:4]
	v_ldexp_f64 v[5:6], v[3:4], s18
	s_mov_b32 s18, 0
	s_mov_b32 s19, 0xc1f00000
	v_floor_f64_e32 v[5:6], v[5:6]
	v_fma_f64 v[3:4], v[5:6], s[18:19], v[3:4]
	s_mov_b64 s[18:19], 0
	v_cvt_u32_f64_e32 v3, v[3:4]
	s_branch .LBB142_1355
.LBB142_1351:
                                        ; implicit-def: $vgpr3
	s_branch .LBB142_1372
.LBB142_1352:
                                        ; implicit-def: $vgpr3
	s_branch .LBB142_1361
.LBB142_1353:
	s_mov_b64 s[18:19], -1
                                        ; implicit-def: $vgpr3
	s_branch .LBB142_1358
.LBB142_1354:
	s_mov_b64 s[18:19], -1
                                        ; implicit-def: $vgpr3
.LBB142_1355:
	s_andn2_b64 vcc, exec, s[18:19]
	s_cbranch_vccnz .LBB142_1357
; %bb.1356:
	s_waitcnt vmcnt(0)
	global_load_dword v3, v[1:2], off
	s_mov_b32 s18, 0x2f800000
	s_waitcnt vmcnt(0)
	v_trunc_f32_e32 v3, v3
	v_mul_f32_e64 v4, |v3|, s18
	v_floor_f32_e32 v4, v4
	s_mov_b32 s18, 0xcf800000
	v_fma_f32 v4, v4, s18, |v3|
	v_cvt_u32_f32_e32 v4, v4
	v_ashrrev_i32_e32 v3, 31, v3
	v_xor_b32_e32 v4, v4, v3
	v_sub_u32_e32 v3, v4, v3
.LBB142_1357:
	s_mov_b64 s[18:19], 0
.LBB142_1358:
	s_andn2_b64 vcc, exec, s[18:19]
	s_cbranch_vccnz .LBB142_1360
; %bb.1359:
	s_waitcnt vmcnt(0)
	global_load_dword v3, v[1:2], off
	s_waitcnt vmcnt(0)
	v_cvt_f32_f16_e32 v3, v3
	v_cvt_i32_f32_e32 v3, v3
.LBB142_1360:
	s_cbranch_execnz .LBB142_1371
.LBB142_1361:
	s_sext_i32_i16 s18, s34
	s_cmp_lt_i32 s18, 6
	s_cbranch_scc1 .LBB142_1364
; %bb.1362:
	s_cmp_gt_i32 s18, 6
	s_cbranch_scc0 .LBB142_1365
; %bb.1363:
	s_waitcnt vmcnt(0)
	global_load_dwordx2 v[3:4], v[1:2], off
	s_movk_i32 s18, 0xffe0
	s_waitcnt vmcnt(0)
	v_trunc_f64_e32 v[3:4], v[3:4]
	v_ldexp_f64 v[5:6], v[3:4], s18
	s_mov_b32 s18, 0
	s_mov_b32 s19, 0xc1f00000
	v_floor_f64_e32 v[5:6], v[5:6]
	v_fma_f64 v[3:4], v[5:6], s[18:19], v[3:4]
	s_mov_b64 s[18:19], 0
	v_cvt_u32_f64_e32 v3, v[3:4]
	s_branch .LBB142_1366
.LBB142_1364:
	s_mov_b64 s[18:19], -1
                                        ; implicit-def: $vgpr3
	s_branch .LBB142_1369
.LBB142_1365:
	s_mov_b64 s[18:19], -1
                                        ; implicit-def: $vgpr3
.LBB142_1366:
	s_andn2_b64 vcc, exec, s[18:19]
	s_cbranch_vccnz .LBB142_1368
; %bb.1367:
	s_waitcnt vmcnt(0)
	global_load_dword v3, v[1:2], off
	s_mov_b32 s18, 0x2f800000
	s_waitcnt vmcnt(0)
	v_trunc_f32_e32 v3, v3
	v_mul_f32_e64 v4, |v3|, s18
	v_floor_f32_e32 v4, v4
	s_mov_b32 s18, 0xcf800000
	v_fma_f32 v4, v4, s18, |v3|
	v_cvt_u32_f32_e32 v4, v4
	v_ashrrev_i32_e32 v3, 31, v3
	v_xor_b32_e32 v4, v4, v3
	v_sub_u32_e32 v3, v4, v3
.LBB142_1368:
	s_mov_b64 s[18:19], 0
.LBB142_1369:
	s_andn2_b64 vcc, exec, s[18:19]
	s_cbranch_vccnz .LBB142_1371
; %bb.1370:
	s_waitcnt vmcnt(0)
	global_load_ushort v3, v[1:2], off
	s_waitcnt vmcnt(0)
	v_cvt_f32_f16_e32 v3, v3
	v_cvt_i32_f32_e32 v3, v3
.LBB142_1371:
	s_cbranch_execnz .LBB142_1390
.LBB142_1372:
	s_sext_i32_i16 s18, s34
	s_cmp_lt_i32 s18, 2
	s_cbranch_scc1 .LBB142_1376
; %bb.1373:
	s_cmp_lt_i32 s18, 3
	s_cbranch_scc1 .LBB142_1377
; %bb.1374:
	s_cmp_gt_i32 s18, 3
	s_cbranch_scc0 .LBB142_1378
; %bb.1375:
	s_waitcnt vmcnt(0)
	global_load_dwordx2 v[3:4], v[1:2], off
	s_mov_b64 s[18:19], 0
	s_branch .LBB142_1379
.LBB142_1376:
                                        ; implicit-def: $vgpr3
	s_branch .LBB142_1385
.LBB142_1377:
	s_mov_b64 s[18:19], -1
                                        ; implicit-def: $vgpr3
	s_branch .LBB142_1382
.LBB142_1378:
	s_mov_b64 s[18:19], -1
                                        ; implicit-def: $vgpr3
.LBB142_1379:
	s_andn2_b64 vcc, exec, s[18:19]
	s_cbranch_vccnz .LBB142_1381
; %bb.1380:
	s_waitcnt vmcnt(0)
	global_load_dword v3, v[1:2], off
.LBB142_1381:
	s_mov_b64 s[18:19], 0
.LBB142_1382:
	s_andn2_b64 vcc, exec, s[18:19]
	s_cbranch_vccnz .LBB142_1384
; %bb.1383:
	s_waitcnt vmcnt(0)
	global_load_ushort v3, v[1:2], off
.LBB142_1384:
	s_cbranch_execnz .LBB142_1390
.LBB142_1385:
	s_sext_i32_i16 s18, s34
	s_cmp_gt_i32 s18, 0
	s_cbranch_scc0 .LBB142_1387
; %bb.1386:
	s_waitcnt vmcnt(0)
	global_load_ubyte v3, v[1:2], off
	s_mov_b64 s[18:19], 0
	s_branch .LBB142_1388
.LBB142_1387:
	s_mov_b64 s[18:19], -1
                                        ; implicit-def: $vgpr3
.LBB142_1388:
	s_andn2_b64 vcc, exec, s[18:19]
	s_cbranch_vccnz .LBB142_1390
; %bb.1389:
	s_waitcnt vmcnt(0)
	global_load_ubyte v3, v[1:2], off
.LBB142_1390:
	s_or_b64 s[24:25], s[24:25], exec
.LBB142_1391:
	s_or_b64 exec, exec, s[0:1]
	s_mov_b64 s[26:27], 0
	s_mov_b64 s[20:21], 0
                                        ; implicit-def: $sgpr30
                                        ; implicit-def: $vgpr1_vgpr2
                                        ; implicit-def: $vgpr4
	s_and_saveexec_b64 s[18:19], s[24:25]
	s_cbranch_execz .LBB142_1466
; %bb.1392:
	s_waitcnt vmcnt(0)
	v_mul_lo_u32 v1, v11, s12
	v_mov_b32_e32 v2, 8
	v_lshrrev_b16_sdwa v0, v3, v0 dst_sel:DWORD dst_unused:UNUSED_PAD src0_sel:BYTE_0 src1_sel:BYTE_0
	v_cmp_lt_u16_sdwa vcc, v3, v2 src0_sel:BYTE_0 src1_sel:DWORD
	v_cndmask_b32_e32 v4, 0, v0, vcc
	v_ashrrev_i32_e32 v0, 31, v1
	v_mov_b32_e32 v2, s9
	s_and_b32 s30, s33, 0xff
	v_add_co_u32_e32 v1, vcc, s8, v1
	s_cmp_lt_i32 s30, 11
	v_addc_co_u32_e32 v2, vcc, v2, v0, vcc
	s_cbranch_scc1 .LBB142_1469
; %bb.1393:
	s_and_b32 s31, 0xffff, s30
	s_mov_b64 s[24:25], -1
	s_cmp_gt_i32 s31, 25
	s_mov_b64 s[0:1], s[6:7]
	s_cbranch_scc0 .LBB142_1426
; %bb.1394:
	s_mov_b64 s[20:21], -1
	s_cmp_gt_i32 s31, 28
	s_mov_b64 s[0:1], s[6:7]
	s_cbranch_scc0 .LBB142_1410
; %bb.1395:
	s_cmp_gt_i32 s31, 43
	s_mov_b64 s[0:1], s[6:7]
	s_cbranch_scc0 .LBB142_1406
; %bb.1396:
	;; [unrolled: 4-line block ×3, first 2 shown]
	s_cmp_eq_u32 s31, 46
	s_mov_b64 s[0:1], -1
	s_cbranch_scc0 .LBB142_1399
; %bb.1398:
	v_cvt_f32_ubyte0_e32 v0, v4
	v_bfe_u32 v3, v0, 16, 1
	s_movk_i32 s0, 0x7fff
	v_add3_u32 v0, v0, v3, s0
	v_lshrrev_b32_e32 v0, 16, v0
	global_store_dword v[1:2], v0, off
	s_mov_b64 s[0:1], 0
.LBB142_1399:
	s_mov_b64 s[20:21], 0
.LBB142_1400:
	s_and_b64 vcc, exec, s[20:21]
	s_cbranch_vccz .LBB142_1405
; %bb.1401:
	s_cmp_eq_u32 s31, 44
	s_mov_b64 s[0:1], -1
	s_cbranch_scc0 .LBB142_1405
; %bb.1402:
	v_cvt_f32_ubyte0_e32 v3, v4
	v_lshrrev_b32_e32 v0, 23, v3
	s_movk_i32 s0, 0xff
	v_cmp_ne_u32_e32 vcc, s0, v0
	v_mov_b32_e32 v5, 0xff
	s_and_saveexec_b64 s[20:21], vcc
; %bb.1403:
	s_mov_b32 s0, 0x3fffff
	v_and_b32_e32 v5, 0x400000, v3
	v_and_or_b32 v3, v3, s0, v0
	v_cmp_ne_u32_e32 vcc, 0, v5
	v_cmp_ne_u32_e64 s[0:1], 0, v3
	s_and_b64 s[0:1], vcc, s[0:1]
	v_cndmask_b32_e64 v3, 0, 1, s[0:1]
	v_add_u32_e32 v5, v0, v3
; %bb.1404:
	s_or_b64 exec, exec, s[20:21]
	s_mov_b64 s[0:1], 0
	global_store_byte v[1:2], v5, off
.LBB142_1405:
	s_mov_b64 s[20:21], 0
.LBB142_1406:
	s_and_b64 vcc, exec, s[20:21]
	s_cbranch_vccz .LBB142_1409
; %bb.1407:
	s_cmp_eq_u32 s31, 29
	s_mov_b64 s[0:1], -1
	s_cbranch_scc0 .LBB142_1409
; %bb.1408:
	s_mov_b32 s0, 0
	v_and_b32_e32 v5, 0xffff, v4
	v_mov_b32_e32 v6, s0
	global_store_dwordx2 v[1:2], v[5:6], off
	s_mov_b64 s[0:1], 0
.LBB142_1409:
	s_mov_b64 s[20:21], 0
.LBB142_1410:
	s_and_b64 vcc, exec, s[20:21]
	s_cbranch_vccz .LBB142_1425
; %bb.1411:
	s_cmp_lt_i32 s31, 27
	s_mov_b64 s[20:21], -1
	s_cbranch_scc1 .LBB142_1417
; %bb.1412:
	s_cmp_gt_i32 s31, 27
	s_cbranch_scc0 .LBB142_1414
; %bb.1413:
	v_and_b32_e32 v0, 0xffff, v4
	s_mov_b64 s[20:21], 0
	global_store_dword v[1:2], v0, off
.LBB142_1414:
	s_andn2_b64 vcc, exec, s[20:21]
	s_cbranch_vccnz .LBB142_1416
; %bb.1415:
	global_store_short v[1:2], v4, off
.LBB142_1416:
	s_mov_b64 s[20:21], 0
.LBB142_1417:
	s_andn2_b64 vcc, exec, s[20:21]
	s_cbranch_vccnz .LBB142_1425
; %bb.1418:
	v_cvt_f32_ubyte0_e32 v3, v4
	s_mov_b32 s20, 0x43800000
	v_cmp_gt_u32_e32 vcc, s20, v3
	v_mov_b32_e32 v5, 0x80
	s_and_saveexec_b64 s[20:21], vcc
	s_cbranch_execz .LBB142_1424
; %bb.1419:
	s_mov_b32 s24, 0x3bffffff
	v_cmp_lt_u32_e32 vcc, s24, v3
	s_mov_b64 s[24:25], 0
                                        ; implicit-def: $vgpr0
	s_and_saveexec_b64 s[26:27], vcc
	s_xor_b64 s[26:27], exec, s[26:27]
	s_cbranch_execz .LBB142_1526
; %bb.1420:
	v_bfe_u32 v0, v3, 20, 1
	s_mov_b32 s28, 0x487ffff
	v_add3_u32 v0, v3, v0, s28
	s_mov_b64 s[24:25], exec
	v_lshrrev_b32_e32 v0, 20, v0
                                        ; implicit-def: $vgpr3
	s_andn2_saveexec_b64 s[26:27], s[26:27]
	s_cbranch_execnz .LBB142_1527
.LBB142_1421:
	s_or_b64 exec, exec, s[26:27]
	v_mov_b32_e32 v5, 0
	s_and_saveexec_b64 s[26:27], s[24:25]
.LBB142_1422:
	v_mov_b32_e32 v5, v0
.LBB142_1423:
	s_or_b64 exec, exec, s[26:27]
.LBB142_1424:
	s_or_b64 exec, exec, s[20:21]
	global_store_byte v[1:2], v5, off
.LBB142_1425:
	s_mov_b64 s[24:25], 0
.LBB142_1426:
	s_mov_b64 s[20:21], 0
	s_and_b64 vcc, exec, s[24:25]
	s_cbranch_vccz .LBB142_1470
; %bb.1427:
	s_cmp_gt_i32 s31, 22
	s_mov_b64 s[24:25], -1
	s_cbranch_scc0 .LBB142_1459
; %bb.1428:
	s_cmp_lt_i32 s31, 24
	s_cbranch_scc1 .LBB142_1448
; %bb.1429:
	s_cmp_gt_i32 s31, 24
	s_cbranch_scc0 .LBB142_1437
; %bb.1430:
	v_cvt_f32_ubyte0_e32 v3, v4
	s_mov_b32 s24, 0x47800000
	v_cmp_gt_u32_e32 vcc, s24, v3
	v_mov_b32_e32 v5, 0x80
	s_and_saveexec_b64 s[24:25], vcc
	s_cbranch_execz .LBB142_1436
; %bb.1431:
	s_mov_b32 s26, 0x37ffffff
	v_cmp_lt_u32_e32 vcc, s26, v3
	s_mov_b64 s[26:27], 0
                                        ; implicit-def: $vgpr0
	s_and_saveexec_b64 s[28:29], vcc
	s_xor_b64 s[28:29], exec, s[28:29]
	s_cbranch_execz .LBB142_1646
; %bb.1432:
	v_bfe_u32 v0, v3, 21, 1
	s_mov_b32 s34, 0x88fffff
	v_add3_u32 v0, v3, v0, s34
	s_mov_b64 s[26:27], exec
	v_lshrrev_b32_e32 v0, 21, v0
                                        ; implicit-def: $vgpr3
	s_andn2_saveexec_b64 s[28:29], s[28:29]
	s_cbranch_execnz .LBB142_1647
.LBB142_1433:
	s_or_b64 exec, exec, s[28:29]
	v_mov_b32_e32 v5, 0
	s_and_saveexec_b64 s[28:29], s[26:27]
.LBB142_1434:
	v_mov_b32_e32 v5, v0
.LBB142_1435:
	s_or_b64 exec, exec, s[28:29]
.LBB142_1436:
	s_or_b64 exec, exec, s[24:25]
	s_mov_b64 s[24:25], 0
	global_store_byte v[1:2], v5, off
.LBB142_1437:
	s_and_b64 vcc, exec, s[24:25]
	s_cbranch_vccz .LBB142_1447
; %bb.1438:
	v_cvt_f32_ubyte0_e32 v0, v4
	s_mov_b32 s24, 0x43f00000
	v_cmp_gt_u32_e32 vcc, s24, v0
                                        ; implicit-def: $vgpr3
	s_and_saveexec_b64 s[24:25], vcc
	s_xor_b64 s[24:25], exec, s[24:25]
	s_cbranch_execz .LBB142_1444
; %bb.1439:
	s_mov_b32 s26, 0x3c7fffff
	v_cmp_lt_u32_e32 vcc, s26, v0
                                        ; implicit-def: $vgpr3
	s_and_saveexec_b64 s[26:27], vcc
	s_xor_b64 s[26:27], exec, s[26:27]
; %bb.1440:
	v_bfe_u32 v3, v0, 20, 1
	s_mov_b32 s28, 0x407ffff
	v_add3_u32 v0, v0, v3, s28
	v_lshrrev_b32_e32 v3, 20, v0
	v_and_b32_e32 v0, 0xff00000, v0
	s_mov_b32 s28, 0x7f00000
	v_mov_b32_e32 v5, 0x7e
	v_cmp_ne_u32_e32 vcc, s28, v0
	v_cndmask_b32_e32 v3, v5, v3, vcc
                                        ; implicit-def: $vgpr0
; %bb.1441:
	s_andn2_saveexec_b64 s[26:27], s[26:27]
; %bb.1442:
	v_add_f32_e32 v3, 0x46800000, v0
; %bb.1443:
	s_or_b64 exec, exec, s[26:27]
                                        ; implicit-def: $vgpr0
.LBB142_1444:
	s_andn2_saveexec_b64 s[24:25], s[24:25]
; %bb.1445:
	s_mov_b32 s26, 0x7f800000
	v_mov_b32_e32 v3, 0x7e
	v_mov_b32_e32 v5, 0x7f
	v_cmp_lt_u32_e32 vcc, s26, v0
	v_cndmask_b32_e32 v3, v3, v5, vcc
; %bb.1446:
	s_or_b64 exec, exec, s[24:25]
	global_store_byte v[1:2], v3, off
.LBB142_1447:
	s_mov_b64 s[24:25], 0
.LBB142_1448:
	s_andn2_b64 vcc, exec, s[24:25]
	s_cbranch_vccnz .LBB142_1458
; %bb.1449:
	v_cvt_f32_ubyte0_e32 v0, v4
	s_mov_b32 s24, 0x47800000
	v_cmp_gt_u32_e32 vcc, s24, v0
                                        ; implicit-def: $vgpr3
	s_and_saveexec_b64 s[24:25], vcc
	s_xor_b64 s[24:25], exec, s[24:25]
	s_cbranch_execz .LBB142_1455
; %bb.1450:
	s_mov_b32 s26, 0x387fffff
	v_cmp_lt_u32_e32 vcc, s26, v0
                                        ; implicit-def: $vgpr3
	s_and_saveexec_b64 s[26:27], vcc
	s_xor_b64 s[26:27], exec, s[26:27]
; %bb.1451:
	v_bfe_u32 v3, v0, 21, 1
	s_mov_b32 s28, 0x80fffff
	v_add3_u32 v0, v0, v3, s28
	v_lshrrev_b32_e32 v3, 21, v0
                                        ; implicit-def: $vgpr0
; %bb.1452:
	s_andn2_saveexec_b64 s[26:27], s[26:27]
; %bb.1453:
	v_add_f32_e32 v3, 0x43000000, v0
; %bb.1454:
	s_or_b64 exec, exec, s[26:27]
                                        ; implicit-def: $vgpr0
.LBB142_1455:
	s_andn2_saveexec_b64 s[24:25], s[24:25]
; %bb.1456:
	s_mov_b32 s26, 0x7f800000
	v_mov_b32_e32 v3, 0x7c
	v_mov_b32_e32 v5, 0x7f
	v_cmp_lt_u32_e32 vcc, s26, v0
	v_cndmask_b32_e32 v3, v3, v5, vcc
; %bb.1457:
	s_or_b64 exec, exec, s[24:25]
	global_store_byte v[1:2], v3, off
.LBB142_1458:
	s_mov_b64 s[24:25], 0
.LBB142_1459:
	s_andn2_b64 vcc, exec, s[24:25]
	s_mov_b64 s[24:25], 0
	s_cbranch_vccnz .LBB142_1471
; %bb.1460:
	s_cmp_gt_i32 s31, 14
	s_mov_b64 s[26:27], -1
	s_cbranch_scc0 .LBB142_1464
; %bb.1461:
	s_cmp_eq_u32 s31, 15
	s_mov_b64 s[0:1], -1
	s_cbranch_scc0 .LBB142_1463
; %bb.1462:
	v_cvt_f32_ubyte0_e32 v0, v4
	v_bfe_u32 v3, v0, 16, 1
	s_movk_i32 s0, 0x7fff
	v_add3_u32 v0, v0, v3, s0
	global_store_short_d16_hi v[1:2], v0, off
	s_mov_b64 s[0:1], 0
.LBB142_1463:
	s_mov_b64 s[26:27], 0
.LBB142_1464:
	s_and_b64 vcc, exec, s[26:27]
	s_cbranch_vccz .LBB142_1471
; %bb.1465:
	s_cmp_lg_u32 s31, 11
	s_cselect_b64 s[26:27], -1, 0
	s_andn2_b64 s[0:1], s[0:1], exec
	s_and_b64 s[26:27], s[26:27], exec
	s_mov_b64 s[24:25], -1
	s_or_b64 s[0:1], s[0:1], s[26:27]
	s_branch .LBB142_1471
.LBB142_1466:
	s_or_b64 exec, exec, s[18:19]
	s_and_saveexec_b64 s[0:1], s[6:7]
	s_cbranch_execnz .LBB142_1472
.LBB142_1467:
	s_or_b64 exec, exec, s[0:1]
	s_and_saveexec_b64 s[0:1], s[26:27]
	s_xor_b64 s[0:1], exec, s[0:1]
	s_cbranch_execz .LBB142_1473
.LBB142_1468:
	s_waitcnt vmcnt(0)
	v_mov_b32_e32 v0, 0
	v_cmp_ne_u16_sdwa s[6:7], v4, v0 src0_sel:BYTE_0 src1_sel:DWORD
	v_cndmask_b32_e64 v0, 0, 1, s[6:7]
	global_store_byte v[1:2], v0, off
	s_or_b64 exec, exec, s[0:1]
	s_and_saveexec_b64 s[0:1], s[20:21]
	s_xor_b64 s[0:1], exec, s[0:1]
	s_cbranch_execz .LBB142_1511
	s_branch .LBB142_1474
.LBB142_1469:
	s_mov_b64 s[24:25], 0
	s_mov_b64 s[20:21], -1
	s_mov_b64 s[0:1], s[6:7]
	s_branch .LBB142_1471
.LBB142_1470:
	s_mov_b64 s[24:25], 0
.LBB142_1471:
	s_andn2_b64 s[6:7], s[6:7], exec
	s_and_b64 s[0:1], s[0:1], exec
	s_and_b64 s[20:21], s[20:21], exec
	s_and_b64 s[26:27], s[24:25], exec
	s_or_b64 s[6:7], s[6:7], s[0:1]
	s_or_b64 exec, exec, s[18:19]
	s_and_saveexec_b64 s[0:1], s[6:7]
	s_cbranch_execz .LBB142_1467
.LBB142_1472:
	s_or_b64 s[22:23], s[22:23], exec
	s_andn2_b64 s[26:27], s[26:27], exec
	s_trap 2
	s_or_b64 exec, exec, s[0:1]
	s_and_saveexec_b64 s[0:1], s[26:27]
	s_xor_b64 s[0:1], exec, s[0:1]
	s_cbranch_execnz .LBB142_1468
.LBB142_1473:
	s_or_b64 exec, exec, s[0:1]
	s_and_saveexec_b64 s[0:1], s[20:21]
	s_xor_b64 s[0:1], exec, s[0:1]
	s_cbranch_execz .LBB142_1511
.LBB142_1474:
	s_sext_i32_i16 s18, s30
	s_cmp_lt_i32 s18, 5
	s_mov_b64 s[6:7], -1
	s_cbranch_scc1 .LBB142_1495
; %bb.1475:
	s_cmp_lt_i32 s18, 8
	s_cbranch_scc1 .LBB142_1485
; %bb.1476:
	s_cmp_lt_i32 s18, 9
	s_cbranch_scc1 .LBB142_1482
; %bb.1477:
	s_cmp_gt_i32 s18, 9
	s_cbranch_scc0 .LBB142_1479
; %bb.1478:
	s_mov_b32 s6, 0xffff
	s_waitcnt vmcnt(0)
	v_and_b32_sdwa v0, s6, v4 dst_sel:DWORD dst_unused:UNUSED_PAD src0_sel:DWORD src1_sel:BYTE_0
	v_cvt_f64_u32_e32 v[5:6], v0
	v_mov_b32_e32 v7, 0
	v_mov_b32_e32 v8, v7
	s_mov_b64 s[6:7], 0
	global_store_dwordx4 v[1:2], v[5:8], off
.LBB142_1479:
	s_andn2_b64 vcc, exec, s[6:7]
	s_cbranch_vccnz .LBB142_1481
; %bb.1480:
	s_waitcnt vmcnt(0)
	v_cvt_f32_ubyte0_e32 v5, v4
	v_mov_b32_e32 v6, 0
	global_store_dwordx2 v[1:2], v[5:6], off
.LBB142_1481:
	s_mov_b64 s[6:7], 0
.LBB142_1482:
	s_andn2_b64 vcc, exec, s[6:7]
	s_cbranch_vccnz .LBB142_1484
; %bb.1483:
	s_waitcnt vmcnt(0)
	v_cvt_f16_u16_sdwa v0, v4 dst_sel:DWORD dst_unused:UNUSED_PAD src0_sel:BYTE_0
	global_store_dword v[1:2], v0, off
.LBB142_1484:
	s_mov_b64 s[6:7], 0
.LBB142_1485:
	s_andn2_b64 vcc, exec, s[6:7]
	s_cbranch_vccnz .LBB142_1494
; %bb.1486:
	s_sext_i32_i16 s18, s30
	s_cmp_lt_i32 s18, 6
	s_mov_b64 s[6:7], -1
	s_cbranch_scc1 .LBB142_1492
; %bb.1487:
	s_cmp_gt_i32 s18, 6
	s_cbranch_scc0 .LBB142_1489
; %bb.1488:
	s_mov_b32 s6, 0xffff
	s_waitcnt vmcnt(0)
	v_and_b32_sdwa v0, s6, v4 dst_sel:DWORD dst_unused:UNUSED_PAD src0_sel:DWORD src1_sel:BYTE_0
	v_cvt_f64_u32_e32 v[5:6], v0
	s_mov_b64 s[6:7], 0
	global_store_dwordx2 v[1:2], v[5:6], off
.LBB142_1489:
	s_andn2_b64 vcc, exec, s[6:7]
	s_cbranch_vccnz .LBB142_1491
; %bb.1490:
	s_waitcnt vmcnt(0)
	v_cvt_f32_ubyte0_e32 v0, v4
	global_store_dword v[1:2], v0, off
.LBB142_1491:
	s_mov_b64 s[6:7], 0
.LBB142_1492:
	s_andn2_b64 vcc, exec, s[6:7]
	s_cbranch_vccnz .LBB142_1494
; %bb.1493:
	s_waitcnt vmcnt(0)
	v_cvt_f16_u16_sdwa v0, v4 dst_sel:DWORD dst_unused:UNUSED_PAD src0_sel:BYTE_0
	global_store_short v[1:2], v0, off
.LBB142_1494:
	s_mov_b64 s[6:7], 0
.LBB142_1495:
	s_andn2_b64 vcc, exec, s[6:7]
	s_cbranch_vccnz .LBB142_1511
; %bb.1496:
	s_sext_i32_i16 s18, s30
	s_cmp_lt_i32 s18, 2
	s_mov_b64 s[6:7], -1
	s_cbranch_scc1 .LBB142_1506
; %bb.1497:
	s_cmp_lt_i32 s18, 3
	s_cbranch_scc1 .LBB142_1503
; %bb.1498:
	s_cmp_gt_i32 s18, 3
	s_cbranch_scc0 .LBB142_1500
; %bb.1499:
	s_waitcnt vmcnt(0)
	v_and_b32_e32 v5, 0xff, v4
	v_mov_b32_e32 v6, 0
	s_mov_b64 s[6:7], 0
	global_store_dwordx2 v[1:2], v[5:6], off
.LBB142_1500:
	s_andn2_b64 vcc, exec, s[6:7]
	s_cbranch_vccnz .LBB142_1502
; %bb.1501:
	s_waitcnt vmcnt(0)
	v_and_b32_e32 v0, 0xff, v4
	global_store_dword v[1:2], v0, off
.LBB142_1502:
	s_mov_b64 s[6:7], 0
.LBB142_1503:
	s_andn2_b64 vcc, exec, s[6:7]
	s_cbranch_vccnz .LBB142_1505
; %bb.1504:
	s_waitcnt vmcnt(0)
	v_and_b32_e32 v0, 0xff, v4
	global_store_short v[1:2], v0, off
.LBB142_1505:
	s_mov_b64 s[6:7], 0
.LBB142_1506:
	s_andn2_b64 vcc, exec, s[6:7]
	s_cbranch_vccnz .LBB142_1511
; %bb.1507:
	s_sext_i32_i16 s6, s30
	s_cmp_gt_i32 s6, 0
	s_mov_b64 s[6:7], -1
	s_cbranch_scc0 .LBB142_1509
; %bb.1508:
	s_mov_b64 s[6:7], 0
	s_waitcnt vmcnt(0)
	global_store_byte v[1:2], v4, off
.LBB142_1509:
	s_andn2_b64 vcc, exec, s[6:7]
	s_cbranch_vccnz .LBB142_1511
; %bb.1510:
	s_waitcnt vmcnt(0)
	global_store_byte v[1:2], v4, off
.LBB142_1511:
	s_or_b64 exec, exec, s[0:1]
	s_and_b64 s[6:7], s[22:23], exec
                                        ; implicit-def: $vgpr11
.LBB142_1512:
	s_or_saveexec_b64 s[4:5], s[4:5]
	s_mov_b64 s[0:1], 0
                                        ; implicit-def: $sgpr20
                                        ; implicit-def: $vgpr0_vgpr1
                                        ; implicit-def: $vgpr2
	s_xor_b64 exec, exec, s[4:5]
	s_cbranch_execz .LBB142_2949
; %bb.1513:
	v_mul_lo_u32 v5, s13, v11
	s_waitcnt vmcnt(0)
	v_mov_b32_e32 v0, s11
	s_and_b32 s24, s54, 0xff
	s_cmp_lt_i32 s24, 11
	v_ashrrev_i32_e32 v1, 31, v5
	v_add_co_u32_e32 v2, vcc, s10, v5
	v_addc_co_u32_e32 v3, vcc, v0, v1, vcc
	s_cbranch_scc1 .LBB142_1520
; %bb.1514:
	s_and_b32 s22, 0xffff, s24
	s_cmp_gt_i32 s22, 25
	s_cbranch_scc0 .LBB142_1522
; %bb.1515:
	s_cmp_gt_i32 s22, 28
	s_cbranch_scc0 .LBB142_1523
; %bb.1516:
	;; [unrolled: 3-line block ×4, first 2 shown]
	s_cmp_eq_u32 s22, 46
	s_mov_b64 s[18:19], 0
	s_cbranch_scc0 .LBB142_1528
; %bb.1519:
	global_load_dword v0, v[2:3], off
	s_mov_b32 s0, 0x2f800000
	s_mov_b32 s1, 0xcf800000
	s_mov_b64 s[20:21], -1
	s_waitcnt vmcnt(0)
	v_lshlrev_b32_e32 v0, 16, v0
	v_trunc_f32_e32 v0, v0
	v_mul_f32_e64 v1, |v0|, s0
	v_floor_f32_e32 v1, v1
	v_fma_f32 v1, v1, s1, |v0|
	v_cvt_u32_f32_e32 v1, v1
	v_ashrrev_i32_e32 v0, 31, v0
	s_mov_b64 s[0:1], 0
	v_xor_b32_e32 v1, v1, v0
	v_sub_u32_e32 v0, v1, v0
	s_branch .LBB142_1529
.LBB142_1520:
	s_mov_b64 s[20:21], 0
                                        ; implicit-def: $vgpr0
	s_mov_b64 s[18:19], s[6:7]
	s_cbranch_execnz .LBB142_1587
.LBB142_1521:
	s_andn2_b64 vcc, exec, s[20:21]
	s_cbranch_vccz .LBB142_1632
	s_branch .LBB142_2947
.LBB142_1522:
	s_mov_b64 s[20:21], 0
                                        ; implicit-def: $vgpr0
	s_cbranch_execnz .LBB142_1554
	s_branch .LBB142_1583
.LBB142_1523:
	s_mov_b64 s[20:21], 0
                                        ; implicit-def: $vgpr0
	s_cbranch_execz .LBB142_1553
	s_branch .LBB142_1538
.LBB142_1524:
	s_mov_b64 s[20:21], 0
                                        ; implicit-def: $vgpr0
	s_cbranch_execnz .LBB142_1534
	s_branch .LBB142_1537
.LBB142_1525:
	s_mov_b64 s[18:19], -1
	s_mov_b64 s[20:21], 0
                                        ; implicit-def: $vgpr0
	s_branch .LBB142_1529
.LBB142_1526:
	s_andn2_saveexec_b64 s[26:27], s[26:27]
	s_cbranch_execz .LBB142_1421
.LBB142_1527:
	v_add_f32_e32 v0, 0x46000000, v3
	v_and_b32_e32 v0, 0xff, v0
	v_cmp_ne_u32_e32 vcc, 0, v0
	s_andn2_b64 s[24:25], s[24:25], exec
	s_and_b64 s[28:29], vcc, exec
	s_or_b64 s[24:25], s[24:25], s[28:29]
	s_or_b64 exec, exec, s[26:27]
	v_mov_b32_e32 v5, 0
	s_and_saveexec_b64 s[26:27], s[24:25]
	s_cbranch_execnz .LBB142_1422
	s_branch .LBB142_1423
.LBB142_1528:
	s_mov_b64 s[0:1], -1
                                        ; implicit-def: $vgpr0
	s_mov_b64 s[20:21], 0
.LBB142_1529:
	s_and_b64 vcc, exec, s[18:19]
	s_cbranch_vccz .LBB142_1532
; %bb.1530:
	s_cmp_eq_u32 s22, 44
	s_cbranch_scc0 .LBB142_1533
; %bb.1531:
	global_load_ubyte v0, v[2:3], off
	s_mov_b32 s0, 0x2f800000
	s_mov_b32 s1, 0xcf800000
	s_mov_b64 s[20:21], -1
	s_waitcnt vmcnt(0)
	v_lshlrev_b32_e32 v1, 23, v0
	v_trunc_f32_e32 v1, v1
	v_mul_f32_e64 v4, |v1|, s0
	v_floor_f32_e32 v4, v4
	v_fma_f32 v4, v4, s1, |v1|
	v_cvt_u32_f32_e32 v4, v4
	v_ashrrev_i32_e32 v1, 31, v1
	v_cmp_ne_u32_e32 vcc, 0, v0
	s_mov_b64 s[0:1], 0
	v_xor_b32_e32 v4, v4, v1
	v_sub_u32_e32 v1, v4, v1
	v_cndmask_b32_e32 v0, 0, v1, vcc
.LBB142_1532:
	s_branch .LBB142_1537
.LBB142_1533:
	s_mov_b64 s[0:1], -1
                                        ; implicit-def: $vgpr0
	s_branch .LBB142_1537
.LBB142_1534:
	s_cmp_eq_u32 s22, 29
	s_cbranch_scc0 .LBB142_1536
; %bb.1535:
	global_load_dwordx2 v[0:1], v[2:3], off
	s_mov_b64 s[0:1], 0
	s_mov_b64 s[20:21], -1
	s_branch .LBB142_1537
.LBB142_1536:
	s_mov_b64 s[0:1], -1
                                        ; implicit-def: $vgpr0
.LBB142_1537:
	s_branch .LBB142_1553
.LBB142_1538:
	s_cmp_lt_i32 s22, 27
	s_cbranch_scc1 .LBB142_1541
; %bb.1539:
	s_cmp_gt_i32 s22, 27
	s_cbranch_scc0 .LBB142_1542
; %bb.1540:
	global_load_dword v0, v[2:3], off
	s_mov_b64 s[18:19], 0
	s_branch .LBB142_1543
.LBB142_1541:
	s_mov_b64 s[18:19], -1
                                        ; implicit-def: $vgpr0
	s_branch .LBB142_1546
.LBB142_1542:
	s_mov_b64 s[18:19], -1
                                        ; implicit-def: $vgpr0
.LBB142_1543:
	s_andn2_b64 vcc, exec, s[18:19]
	s_cbranch_vccnz .LBB142_1545
; %bb.1544:
	global_load_ushort v0, v[2:3], off
.LBB142_1545:
	s_mov_b64 s[18:19], 0
.LBB142_1546:
	s_andn2_b64 vcc, exec, s[18:19]
	s_cbranch_vccnz .LBB142_1552
; %bb.1547:
	global_load_ubyte v1, v[2:3], off
	s_movk_i32 s18, 0x7f
	s_mov_b64 s[20:21], 0
	s_waitcnt vmcnt(0)
	v_cmp_lt_i16_e32 vcc, s18, v1
	s_and_saveexec_b64 s[18:19], vcc
	s_xor_b64 s[18:19], exec, s[18:19]
	s_cbranch_execz .LBB142_1563
; %bb.1548:
	s_movk_i32 s20, 0x80
	v_cmp_ne_u16_e32 vcc, s20, v1
	s_and_b64 s[20:21], vcc, exec
	s_andn2_saveexec_b64 s[18:19], s[18:19]
	s_cbranch_execnz .LBB142_1564
.LBB142_1549:
	s_or_b64 exec, exec, s[18:19]
	v_mov_b32_e32 v0, 0
	s_and_saveexec_b64 s[18:19], s[20:21]
	s_cbranch_execz .LBB142_1551
.LBB142_1550:
	v_lshlrev_b32_e32 v0, 24, v1
	v_and_b32_e32 v1, 0xffff, v1
	v_and_b32_e32 v4, 7, v1
	v_ffbh_u32_e32 v7, v4
	v_min_u32_e32 v7, 32, v7
	v_subrev_u32_e32 v8, 28, v7
	v_bfe_u32 v6, v1, 3, 4
	v_lshlrev_b32_e32 v1, v8, v1
	v_sub_u32_e32 v7, 29, v7
	v_and_b32_e32 v1, 7, v1
	v_cmp_eq_u32_e32 vcc, 0, v6
	v_cndmask_b32_e32 v6, v6, v7, vcc
	v_cndmask_b32_e32 v1, v4, v1, vcc
	v_mov_b32_e32 v4, 0x3b800000
	v_lshlrev_b32_e32 v1, 20, v1
	v_and_b32_e32 v0, 0x80000000, v0
	v_lshl_add_u32 v4, v6, 23, v4
	v_or3_b32 v0, v0, v4, v1
	v_trunc_f32_e32 v0, v0
	s_mov_b32 s20, 0x2f800000
	v_mul_f32_e64 v1, |v0|, s20
	v_floor_f32_e32 v1, v1
	s_mov_b32 s20, 0xcf800000
	v_fma_f32 v1, v1, s20, |v0|
	v_cvt_u32_f32_e32 v1, v1
	v_ashrrev_i32_e32 v0, 31, v0
	v_xor_b32_e32 v1, v1, v0
	v_sub_u32_e32 v0, v1, v0
.LBB142_1551:
	s_or_b64 exec, exec, s[18:19]
.LBB142_1552:
	s_mov_b64 s[20:21], -1
.LBB142_1553:
	s_branch .LBB142_1583
.LBB142_1554:
	s_cmp_gt_i32 s22, 22
	s_cbranch_scc0 .LBB142_1562
; %bb.1555:
	s_cmp_lt_i32 s22, 24
	s_cbranch_scc1 .LBB142_1565
; %bb.1556:
	s_cmp_gt_i32 s22, 24
	s_cbranch_scc0 .LBB142_1566
; %bb.1557:
	global_load_ubyte v1, v[2:3], off
	s_movk_i32 s16, 0x7f
	s_mov_b64 s[18:19], 0
	s_waitcnt vmcnt(0)
	v_cmp_lt_i16_e32 vcc, s16, v1
	s_and_saveexec_b64 s[16:17], vcc
	s_xor_b64 s[16:17], exec, s[16:17]
	s_cbranch_execz .LBB142_1577
; %bb.1558:
	s_movk_i32 s18, 0x80
	v_cmp_ne_u16_e32 vcc, s18, v1
	s_and_b64 s[18:19], vcc, exec
	s_andn2_saveexec_b64 s[16:17], s[16:17]
	s_cbranch_execnz .LBB142_1578
.LBB142_1559:
	s_or_b64 exec, exec, s[16:17]
	v_mov_b32_e32 v0, 0
	s_and_saveexec_b64 s[16:17], s[18:19]
	s_cbranch_execz .LBB142_1561
.LBB142_1560:
	v_lshlrev_b32_e32 v0, 24, v1
	v_and_b32_e32 v1, 0xffff, v1
	v_and_b32_e32 v4, 3, v1
	v_ffbh_u32_e32 v7, v4
	v_min_u32_e32 v7, 32, v7
	v_subrev_u32_e32 v8, 29, v7
	v_bfe_u32 v6, v1, 2, 5
	v_lshlrev_b32_e32 v1, v8, v1
	v_sub_u32_e32 v7, 30, v7
	v_and_b32_e32 v1, 3, v1
	v_cmp_eq_u32_e32 vcc, 0, v6
	v_cndmask_b32_e32 v6, v6, v7, vcc
	v_cndmask_b32_e32 v1, v4, v1, vcc
	v_mov_b32_e32 v4, 0x37800000
	v_lshlrev_b32_e32 v1, 21, v1
	v_and_b32_e32 v0, 0x80000000, v0
	v_lshl_add_u32 v4, v6, 23, v4
	v_or3_b32 v0, v0, v4, v1
	v_trunc_f32_e32 v0, v0
	s_mov_b32 s18, 0x2f800000
	v_mul_f32_e64 v1, |v0|, s18
	v_floor_f32_e32 v1, v1
	s_mov_b32 s18, 0xcf800000
	v_fma_f32 v1, v1, s18, |v0|
	v_cvt_u32_f32_e32 v1, v1
	v_ashrrev_i32_e32 v0, 31, v0
	v_xor_b32_e32 v1, v1, v0
	v_sub_u32_e32 v0, v1, v0
.LBB142_1561:
	s_or_b64 exec, exec, s[16:17]
	s_mov_b64 s[16:17], 0
	s_branch .LBB142_1567
.LBB142_1562:
                                        ; implicit-def: $vgpr0
	s_mov_b64 s[16:17], 0
	s_branch .LBB142_1573
.LBB142_1563:
	s_andn2_saveexec_b64 s[18:19], s[18:19]
	s_cbranch_execz .LBB142_1549
.LBB142_1564:
	v_cmp_ne_u16_e32 vcc, 0, v1
	s_andn2_b64 s[20:21], s[20:21], exec
	s_and_b64 s[26:27], vcc, exec
	s_or_b64 s[20:21], s[20:21], s[26:27]
	s_or_b64 exec, exec, s[18:19]
	v_mov_b32_e32 v0, 0
	s_and_saveexec_b64 s[18:19], s[20:21]
	s_cbranch_execnz .LBB142_1550
	s_branch .LBB142_1551
.LBB142_1565:
	s_mov_b64 s[16:17], -1
                                        ; implicit-def: $vgpr0
	s_branch .LBB142_1570
.LBB142_1566:
	s_mov_b64 s[16:17], -1
                                        ; implicit-def: $vgpr0
.LBB142_1567:
	s_and_b64 vcc, exec, s[16:17]
	s_cbranch_vccz .LBB142_1569
; %bb.1568:
	global_load_ubyte v0, v[2:3], off
	s_mov_b32 s16, 0x7f800000
	s_brev_b32 s17, 1
	s_mov_b32 s18, 0x2f800000
	s_waitcnt vmcnt(0)
	v_lshlrev_b32_e32 v0, 24, v0
	v_and_b32_e32 v1, 0x7f000000, v0
	v_ffbh_u32_e32 v4, v1
	v_min_u32_e32 v4, 32, v4
	v_sub_u32_e64 v4, v4, 4 clamp
	v_lshlrev_b32_e32 v7, v4, v1
	v_lshlrev_b32_e32 v4, 23, v4
	v_lshrrev_b32_e32 v7, 4, v7
	v_add_u32_e32 v6, 0x1000000, v1
	v_sub_u32_e32 v4, v7, v4
	v_ashrrev_i32_e32 v6, 8, v6
	v_add_u32_e32 v4, 0x3c000000, v4
	v_and_or_b32 v4, v6, s16, v4
	v_cmp_ne_u32_e32 vcc, 0, v1
	v_cndmask_b32_e32 v1, 0, v4, vcc
	v_and_or_b32 v0, v0, s17, v1
	v_trunc_f32_e32 v0, v0
	v_mul_f32_e64 v1, |v0|, s18
	v_floor_f32_e32 v1, v1
	s_mov_b32 s16, 0xcf800000
	v_fma_f32 v1, v1, s16, |v0|
	v_cvt_u32_f32_e32 v1, v1
	v_ashrrev_i32_e32 v0, 31, v0
	v_xor_b32_e32 v1, v1, v0
	v_sub_u32_e32 v0, v1, v0
.LBB142_1569:
	s_mov_b64 s[16:17], 0
.LBB142_1570:
	s_andn2_b64 vcc, exec, s[16:17]
	s_cbranch_vccnz .LBB142_1572
; %bb.1571:
	global_load_ubyte v0, v[2:3], off
	s_movk_i32 s16, 0x7f00
	s_brev_b32 s17, 16
	s_brev_b32 s18, 1
	s_mov_b32 s19, 0x2f800000
	s_waitcnt vmcnt(0)
	v_lshlrev_b16_e32 v1, 8, v0
	v_lshlrev_b32_e32 v0, 25, v0
	v_lshrrev_b32_e32 v4, 4, v0
	v_and_or_b32 v6, v1, s16, 0.5
	v_or_b32_e32 v4, 0x70000000, v4
	v_add_f32_e32 v6, -0.5, v6
	v_mul_f32_e32 v4, 0x7800000, v4
	v_cmp_gt_u32_e32 vcc, s17, v0
	v_bfe_i32 v1, v1, 0, 16
	v_cndmask_b32_e32 v0, v4, v6, vcc
	v_and_or_b32 v0, v1, s18, v0
	v_trunc_f32_e32 v0, v0
	v_mul_f32_e64 v1, |v0|, s19
	v_floor_f32_e32 v1, v1
	s_mov_b32 s16, 0xcf800000
	v_fma_f32 v1, v1, s16, |v0|
	v_cvt_u32_f32_e32 v1, v1
	v_ashrrev_i32_e32 v0, 31, v0
	v_xor_b32_e32 v1, v1, v0
	v_sub_u32_e32 v0, v1, v0
.LBB142_1572:
	s_mov_b64 s[20:21], -1
	s_mov_b64 s[16:17], 0
	s_cbranch_execnz .LBB142_1583
.LBB142_1573:
	s_cmp_gt_i32 s22, 14
	s_cbranch_scc0 .LBB142_1576
; %bb.1574:
	s_cmp_eq_u32 s22, 15
	s_cbranch_scc0 .LBB142_1579
; %bb.1575:
	global_load_ushort v0, v[2:3], off
	s_mov_b32 s0, 0x2f800000
	s_mov_b32 s1, 0xcf800000
	s_mov_b64 s[20:21], -1
	s_waitcnt vmcnt(0)
	v_lshlrev_b32_e32 v0, 16, v0
	v_trunc_f32_e32 v0, v0
	v_mul_f32_e64 v1, |v0|, s0
	v_floor_f32_e32 v1, v1
	v_fma_f32 v1, v1, s1, |v0|
	v_cvt_u32_f32_e32 v1, v1
	v_ashrrev_i32_e32 v0, 31, v0
	s_mov_b64 s[0:1], 0
	v_xor_b32_e32 v1, v1, v0
	v_sub_u32_e32 v0, v1, v0
	s_branch .LBB142_1580
.LBB142_1576:
	s_mov_b64 s[18:19], -1
                                        ; implicit-def: $vgpr0
	s_branch .LBB142_1581
.LBB142_1577:
	s_andn2_saveexec_b64 s[16:17], s[16:17]
	s_cbranch_execz .LBB142_1559
.LBB142_1578:
	v_cmp_ne_u16_e32 vcc, 0, v1
	s_andn2_b64 s[18:19], s[18:19], exec
	s_and_b64 s[20:21], vcc, exec
	s_or_b64 s[18:19], s[18:19], s[20:21]
	s_or_b64 exec, exec, s[16:17]
	v_mov_b32_e32 v0, 0
	s_and_saveexec_b64 s[16:17], s[18:19]
	s_cbranch_execnz .LBB142_1560
	s_branch .LBB142_1561
.LBB142_1579:
	s_mov_b64 s[0:1], -1
                                        ; implicit-def: $vgpr0
.LBB142_1580:
	s_mov_b64 s[18:19], 0
.LBB142_1581:
	s_and_b64 vcc, exec, s[18:19]
	s_cbranch_vccz .LBB142_1583
; %bb.1582:
	s_cmp_lg_u32 s22, 11
	s_mov_b64 s[16:17], -1
	s_cselect_b64 s[0:1], -1, 0
.LBB142_1583:
	s_and_b64 vcc, exec, s[0:1]
	s_mov_b64 s[18:19], s[6:7]
	s_cbranch_vccnz .LBB142_1644
; %bb.1584:
	s_andn2_b64 vcc, exec, s[16:17]
	s_cbranch_vccnz .LBB142_1586
.LBB142_1585:
	global_load_ubyte v0, v[2:3], off
	s_mov_b64 s[20:21], -1
	s_waitcnt vmcnt(0)
	v_cmp_ne_u16_e32 vcc, 0, v0
	v_cndmask_b32_e64 v0, 0, 1, vcc
.LBB142_1586:
	s_branch .LBB142_1521
.LBB142_1587:
	s_and_b32 s16, 0xffff, s24
	s_cmp_lt_i32 s16, 5
	s_cbranch_scc1 .LBB142_1592
; %bb.1588:
	s_cmp_lt_i32 s16, 8
	s_cbranch_scc1 .LBB142_1593
; %bb.1589:
	;; [unrolled: 3-line block ×3, first 2 shown]
	s_cmp_gt_i32 s16, 9
	s_cbranch_scc0 .LBB142_1595
; %bb.1591:
	global_load_dwordx2 v[0:1], v[2:3], off
	s_movk_i32 s0, 0xffe0
	s_waitcnt vmcnt(0)
	v_trunc_f64_e32 v[0:1], v[0:1]
	v_ldexp_f64 v[6:7], v[0:1], s0
	s_mov_b32 s0, 0
	s_mov_b32 s1, 0xc1f00000
	v_floor_f64_e32 v[6:7], v[6:7]
	v_fma_f64 v[0:1], v[6:7], s[0:1], v[0:1]
	s_mov_b64 s[0:1], 0
	v_cvt_u32_f64_e32 v0, v[0:1]
	s_branch .LBB142_1596
.LBB142_1592:
                                        ; implicit-def: $vgpr0
	s_branch .LBB142_1613
.LBB142_1593:
                                        ; implicit-def: $vgpr0
	s_branch .LBB142_1602
.LBB142_1594:
	s_mov_b64 s[0:1], -1
                                        ; implicit-def: $vgpr0
	s_branch .LBB142_1599
.LBB142_1595:
	s_mov_b64 s[0:1], -1
                                        ; implicit-def: $vgpr0
.LBB142_1596:
	s_andn2_b64 vcc, exec, s[0:1]
	s_cbranch_vccnz .LBB142_1598
; %bb.1597:
	global_load_dword v0, v[2:3], off
	s_mov_b32 s0, 0x2f800000
	s_waitcnt vmcnt(0)
	v_trunc_f32_e32 v0, v0
	v_mul_f32_e64 v1, |v0|, s0
	v_floor_f32_e32 v1, v1
	s_mov_b32 s0, 0xcf800000
	v_fma_f32 v1, v1, s0, |v0|
	v_cvt_u32_f32_e32 v1, v1
	v_ashrrev_i32_e32 v0, 31, v0
	v_xor_b32_e32 v1, v1, v0
	v_sub_u32_e32 v0, v1, v0
.LBB142_1598:
	s_mov_b64 s[0:1], 0
.LBB142_1599:
	s_andn2_b64 vcc, exec, s[0:1]
	s_cbranch_vccnz .LBB142_1601
; %bb.1600:
	global_load_dword v0, v[2:3], off
	s_waitcnt vmcnt(0)
	v_cvt_f32_f16_e32 v0, v0
	v_cvt_i32_f32_e32 v0, v0
.LBB142_1601:
	s_cbranch_execnz .LBB142_1612
.LBB142_1602:
	s_cmp_lt_i32 s16, 6
	s_cbranch_scc1 .LBB142_1605
; %bb.1603:
	s_cmp_gt_i32 s16, 6
	s_cbranch_scc0 .LBB142_1606
; %bb.1604:
	global_load_dwordx2 v[0:1], v[2:3], off
	s_movk_i32 s0, 0xffe0
	s_waitcnt vmcnt(0)
	v_trunc_f64_e32 v[0:1], v[0:1]
	v_ldexp_f64 v[6:7], v[0:1], s0
	s_mov_b32 s0, 0
	s_mov_b32 s1, 0xc1f00000
	v_floor_f64_e32 v[6:7], v[6:7]
	v_fma_f64 v[0:1], v[6:7], s[0:1], v[0:1]
	s_mov_b64 s[0:1], 0
	v_cvt_u32_f64_e32 v0, v[0:1]
	s_branch .LBB142_1607
.LBB142_1605:
	s_mov_b64 s[0:1], -1
                                        ; implicit-def: $vgpr0
	s_branch .LBB142_1610
.LBB142_1606:
	s_mov_b64 s[0:1], -1
                                        ; implicit-def: $vgpr0
.LBB142_1607:
	s_andn2_b64 vcc, exec, s[0:1]
	s_cbranch_vccnz .LBB142_1609
; %bb.1608:
	global_load_dword v0, v[2:3], off
	s_mov_b32 s0, 0x2f800000
	s_waitcnt vmcnt(0)
	v_trunc_f32_e32 v0, v0
	v_mul_f32_e64 v1, |v0|, s0
	v_floor_f32_e32 v1, v1
	s_mov_b32 s0, 0xcf800000
	v_fma_f32 v1, v1, s0, |v0|
	v_cvt_u32_f32_e32 v1, v1
	v_ashrrev_i32_e32 v0, 31, v0
	v_xor_b32_e32 v1, v1, v0
	v_sub_u32_e32 v0, v1, v0
.LBB142_1609:
	s_mov_b64 s[0:1], 0
.LBB142_1610:
	s_andn2_b64 vcc, exec, s[0:1]
	s_cbranch_vccnz .LBB142_1612
; %bb.1611:
	global_load_ushort v0, v[2:3], off
	s_waitcnt vmcnt(0)
	v_cvt_f32_f16_e32 v0, v0
	v_cvt_i32_f32_e32 v0, v0
.LBB142_1612:
	s_cbranch_execnz .LBB142_1631
.LBB142_1613:
	s_cmp_lt_i32 s16, 2
	s_cbranch_scc1 .LBB142_1617
; %bb.1614:
	s_cmp_lt_i32 s16, 3
	s_cbranch_scc1 .LBB142_1618
; %bb.1615:
	s_cmp_gt_i32 s16, 3
	s_cbranch_scc0 .LBB142_1619
; %bb.1616:
	global_load_dwordx2 v[0:1], v[2:3], off
	s_mov_b64 s[0:1], 0
	s_branch .LBB142_1620
.LBB142_1617:
                                        ; implicit-def: $vgpr0
	s_branch .LBB142_1626
.LBB142_1618:
	s_mov_b64 s[0:1], -1
                                        ; implicit-def: $vgpr0
	s_branch .LBB142_1623
.LBB142_1619:
	s_mov_b64 s[0:1], -1
                                        ; implicit-def: $vgpr0
.LBB142_1620:
	s_andn2_b64 vcc, exec, s[0:1]
	s_cbranch_vccnz .LBB142_1622
; %bb.1621:
	global_load_dword v0, v[2:3], off
.LBB142_1622:
	s_mov_b64 s[0:1], 0
.LBB142_1623:
	s_andn2_b64 vcc, exec, s[0:1]
	s_cbranch_vccnz .LBB142_1625
; %bb.1624:
	global_load_ushort v0, v[2:3], off
.LBB142_1625:
	s_cbranch_execnz .LBB142_1631
.LBB142_1626:
	s_cmp_gt_i32 s16, 0
	s_cbranch_scc0 .LBB142_1628
; %bb.1627:
	global_load_ubyte v0, v[2:3], off
	s_mov_b64 s[0:1], 0
	s_branch .LBB142_1629
.LBB142_1628:
	s_mov_b64 s[0:1], -1
                                        ; implicit-def: $vgpr0
.LBB142_1629:
	s_andn2_b64 vcc, exec, s[0:1]
	s_cbranch_vccnz .LBB142_1631
; %bb.1630:
	global_load_ubyte v0, v[2:3], off
.LBB142_1631:
.LBB142_1632:
	v_mul_lo_u32 v6, s14, v11
	s_waitcnt vmcnt(0)
	v_mov_b32_e32 v1, s3
	s_and_b32 s25, s15, 0xff
	s_cmp_lt_i32 s25, 11
	v_ashrrev_i32_e32 v2, 31, v6
	v_add_co_u32_e32 v3, vcc, s2, v6
	v_addc_co_u32_e32 v4, vcc, v1, v2, vcc
	s_cbranch_scc1 .LBB142_1639
; %bb.1633:
	s_and_b32 s15, 0xffff, s25
	s_cmp_gt_i32 s15, 25
	s_mov_b64 s[16:17], 0
	s_cbranch_scc0 .LBB142_1641
; %bb.1634:
	s_cmp_gt_i32 s15, 28
	s_cbranch_scc0 .LBB142_1642
; %bb.1635:
	s_cmp_gt_i32 s15, 43
	;; [unrolled: 3-line block ×3, first 2 shown]
	s_cbranch_scc0 .LBB142_1645
; %bb.1637:
	s_cmp_eq_u32 s15, 46
	s_mov_b64 s[22:23], 0
	s_cbranch_scc0 .LBB142_1648
; %bb.1638:
	global_load_dword v1, v[3:4], off
	s_mov_b32 s0, 0x2f800000
	s_mov_b32 s1, 0xcf800000
	s_mov_b64 s[20:21], -1
	s_waitcnt vmcnt(0)
	v_lshlrev_b32_e32 v1, 16, v1
	v_trunc_f32_e32 v1, v1
	v_mul_f32_e64 v2, |v1|, s0
	v_floor_f32_e32 v2, v2
	v_fma_f32 v2, v2, s1, |v1|
	v_cvt_u32_f32_e32 v2, v2
	v_ashrrev_i32_e32 v1, 31, v1
	s_mov_b64 s[0:1], 0
	v_xor_b32_e32 v2, v2, v1
	v_sub_u32_e32 v1, v2, v1
	s_branch .LBB142_1649
.LBB142_1639:
	s_mov_b64 s[20:21], 0
                                        ; implicit-def: $vgpr1
	s_cbranch_execnz .LBB142_1710
.LBB142_1640:
	s_andn2_b64 vcc, exec, s[20:21]
	s_cbranch_vccnz .LBB142_2947
	s_branch .LBB142_1757
.LBB142_1641:
	s_mov_b64 s[20:21], 0
	s_mov_b64 s[0:1], 0
                                        ; implicit-def: $vgpr1
	s_cbranch_execnz .LBB142_1676
	s_branch .LBB142_1706
.LBB142_1642:
	s_mov_b64 s[22:23], -1
	s_mov_b64 s[20:21], 0
	s_mov_b64 s[0:1], 0
                                        ; implicit-def: $vgpr1
	s_branch .LBB142_1659
.LBB142_1643:
	s_mov_b64 s[22:23], -1
	s_mov_b64 s[20:21], 0
	s_mov_b64 s[0:1], 0
                                        ; implicit-def: $vgpr1
	s_branch .LBB142_1654
.LBB142_1644:
	s_or_b64 s[18:19], s[6:7], exec
	s_trap 2
	s_cbranch_execz .LBB142_1585
	s_branch .LBB142_1586
.LBB142_1645:
	s_mov_b64 s[22:23], -1
	s_mov_b64 s[20:21], 0
	s_mov_b64 s[0:1], 0
                                        ; implicit-def: $vgpr1
	s_branch .LBB142_1649
.LBB142_1646:
	s_andn2_saveexec_b64 s[28:29], s[28:29]
	s_cbranch_execz .LBB142_1433
.LBB142_1647:
	v_add_f32_e32 v0, 0x42800000, v3
	v_and_b32_e32 v0, 0xff, v0
	v_cmp_ne_u32_e32 vcc, 0, v0
	s_andn2_b64 s[26:27], s[26:27], exec
	s_and_b64 s[34:35], vcc, exec
	s_or_b64 s[26:27], s[26:27], s[34:35]
	s_or_b64 exec, exec, s[28:29]
	v_mov_b32_e32 v5, 0
	s_and_saveexec_b64 s[28:29], s[26:27]
	s_cbranch_execnz .LBB142_1434
	s_branch .LBB142_1435
.LBB142_1648:
	s_mov_b64 s[0:1], -1
                                        ; implicit-def: $vgpr1
	s_mov_b64 s[20:21], 0
.LBB142_1649:
	s_and_b64 vcc, exec, s[22:23]
	s_cbranch_vccz .LBB142_1653
; %bb.1650:
	s_cmp_eq_u32 s15, 44
	s_cbranch_scc0 .LBB142_1652
; %bb.1651:
	global_load_ubyte v1, v[3:4], off
	s_mov_b32 s0, 0x2f800000
	s_mov_b32 s1, 0xcf800000
	s_mov_b64 s[20:21], -1
	s_waitcnt vmcnt(0)
	v_lshlrev_b32_e32 v2, 23, v1
	v_trunc_f32_e32 v2, v2
	v_mul_f32_e64 v7, |v2|, s0
	v_floor_f32_e32 v7, v7
	v_fma_f32 v7, v7, s1, |v2|
	v_cvt_u32_f32_e32 v7, v7
	v_ashrrev_i32_e32 v2, 31, v2
	v_cmp_ne_u32_e32 vcc, 0, v1
	s_mov_b64 s[0:1], 0
	v_xor_b32_e32 v7, v7, v2
	v_sub_u32_e32 v2, v7, v2
	v_cndmask_b32_e32 v1, 0, v2, vcc
	s_branch .LBB142_1653
.LBB142_1652:
	s_mov_b64 s[0:1], -1
                                        ; implicit-def: $vgpr1
.LBB142_1653:
	s_mov_b64 s[22:23], 0
.LBB142_1654:
	s_and_b64 vcc, exec, s[22:23]
	s_cbranch_vccz .LBB142_1658
; %bb.1655:
	s_cmp_eq_u32 s15, 29
	s_cbranch_scc0 .LBB142_1657
; %bb.1656:
	global_load_dwordx2 v[1:2], v[3:4], off
	s_mov_b64 s[0:1], 0
	s_mov_b64 s[20:21], -1
	s_branch .LBB142_1658
.LBB142_1657:
	s_mov_b64 s[0:1], -1
                                        ; implicit-def: $vgpr1
.LBB142_1658:
	s_mov_b64 s[22:23], 0
.LBB142_1659:
	s_and_b64 vcc, exec, s[22:23]
	s_cbranch_vccz .LBB142_1675
; %bb.1660:
	s_cmp_lt_i32 s15, 27
	s_cbranch_scc1 .LBB142_1663
; %bb.1661:
	s_cmp_gt_i32 s15, 27
	s_cbranch_scc0 .LBB142_1664
; %bb.1662:
	global_load_dword v1, v[3:4], off
	s_mov_b64 s[20:21], 0
	s_branch .LBB142_1665
.LBB142_1663:
	s_mov_b64 s[20:21], -1
                                        ; implicit-def: $vgpr1
	s_branch .LBB142_1668
.LBB142_1664:
	s_mov_b64 s[20:21], -1
                                        ; implicit-def: $vgpr1
.LBB142_1665:
	s_andn2_b64 vcc, exec, s[20:21]
	s_cbranch_vccnz .LBB142_1667
; %bb.1666:
	global_load_ushort v1, v[3:4], off
.LBB142_1667:
	s_mov_b64 s[20:21], 0
.LBB142_1668:
	s_andn2_b64 vcc, exec, s[20:21]
	s_cbranch_vccnz .LBB142_1674
; %bb.1669:
	global_load_ubyte v2, v[3:4], off
	s_movk_i32 s20, 0x7f
	s_mov_b64 s[22:23], 0
	s_waitcnt vmcnt(0)
	v_cmp_lt_i16_e32 vcc, s20, v2
	s_and_saveexec_b64 s[20:21], vcc
	s_xor_b64 s[20:21], exec, s[20:21]
	s_cbranch_execz .LBB142_1685
; %bb.1670:
	s_movk_i32 s22, 0x80
	v_cmp_ne_u16_e32 vcc, s22, v2
	s_and_b64 s[22:23], vcc, exec
	s_andn2_saveexec_b64 s[20:21], s[20:21]
	s_cbranch_execnz .LBB142_1686
.LBB142_1671:
	s_or_b64 exec, exec, s[20:21]
	v_mov_b32_e32 v1, 0
	s_and_saveexec_b64 s[20:21], s[22:23]
	s_cbranch_execz .LBB142_1673
.LBB142_1672:
	v_lshlrev_b32_e32 v1, 24, v2
	v_and_b32_e32 v2, 0xffff, v2
	v_and_b32_e32 v7, 7, v2
	v_ffbh_u32_e32 v9, v7
	v_min_u32_e32 v9, 32, v9
	v_subrev_u32_e32 v10, 28, v9
	v_bfe_u32 v8, v2, 3, 4
	v_lshlrev_b32_e32 v2, v10, v2
	v_sub_u32_e32 v9, 29, v9
	v_and_b32_e32 v2, 7, v2
	v_cmp_eq_u32_e32 vcc, 0, v8
	v_cndmask_b32_e32 v8, v8, v9, vcc
	v_cndmask_b32_e32 v2, v7, v2, vcc
	v_mov_b32_e32 v7, 0x3b800000
	v_lshlrev_b32_e32 v2, 20, v2
	v_and_b32_e32 v1, 0x80000000, v1
	v_lshl_add_u32 v7, v8, 23, v7
	v_or3_b32 v1, v1, v7, v2
	v_trunc_f32_e32 v1, v1
	s_mov_b32 s22, 0x2f800000
	v_mul_f32_e64 v2, |v1|, s22
	v_floor_f32_e32 v2, v2
	s_mov_b32 s22, 0xcf800000
	v_fma_f32 v2, v2, s22, |v1|
	v_cvt_u32_f32_e32 v2, v2
	v_ashrrev_i32_e32 v1, 31, v1
	v_xor_b32_e32 v2, v2, v1
	v_sub_u32_e32 v1, v2, v1
.LBB142_1673:
	s_or_b64 exec, exec, s[20:21]
.LBB142_1674:
	s_mov_b64 s[20:21], -1
.LBB142_1675:
	s_branch .LBB142_1706
.LBB142_1676:
	s_cmp_gt_i32 s15, 22
	s_cbranch_scc0 .LBB142_1684
; %bb.1677:
	s_cmp_lt_i32 s15, 24
	s_cbranch_scc1 .LBB142_1687
; %bb.1678:
	s_cmp_gt_i32 s15, 24
	s_cbranch_scc0 .LBB142_1688
; %bb.1679:
	global_load_ubyte v2, v[3:4], off
	s_movk_i32 s16, 0x7f
	s_mov_b64 s[20:21], 0
	s_waitcnt vmcnt(0)
	v_cmp_lt_i16_e32 vcc, s16, v2
	s_and_saveexec_b64 s[16:17], vcc
	s_xor_b64 s[16:17], exec, s[16:17]
	s_cbranch_execz .LBB142_1700
; %bb.1680:
	s_movk_i32 s20, 0x80
	v_cmp_ne_u16_e32 vcc, s20, v2
	s_and_b64 s[20:21], vcc, exec
	s_andn2_saveexec_b64 s[16:17], s[16:17]
	s_cbranch_execnz .LBB142_1701
.LBB142_1681:
	s_or_b64 exec, exec, s[16:17]
	v_mov_b32_e32 v1, 0
	s_and_saveexec_b64 s[16:17], s[20:21]
	s_cbranch_execz .LBB142_1683
.LBB142_1682:
	v_lshlrev_b32_e32 v1, 24, v2
	v_and_b32_e32 v2, 0xffff, v2
	v_and_b32_e32 v7, 3, v2
	v_ffbh_u32_e32 v9, v7
	v_min_u32_e32 v9, 32, v9
	v_subrev_u32_e32 v10, 29, v9
	v_bfe_u32 v8, v2, 2, 5
	v_lshlrev_b32_e32 v2, v10, v2
	v_sub_u32_e32 v9, 30, v9
	v_and_b32_e32 v2, 3, v2
	v_cmp_eq_u32_e32 vcc, 0, v8
	v_cndmask_b32_e32 v8, v8, v9, vcc
	v_cndmask_b32_e32 v2, v7, v2, vcc
	v_mov_b32_e32 v7, 0x37800000
	v_lshlrev_b32_e32 v2, 21, v2
	v_and_b32_e32 v1, 0x80000000, v1
	v_lshl_add_u32 v7, v8, 23, v7
	v_or3_b32 v1, v1, v7, v2
	v_trunc_f32_e32 v1, v1
	s_mov_b32 s20, 0x2f800000
	v_mul_f32_e64 v2, |v1|, s20
	v_floor_f32_e32 v2, v2
	s_mov_b32 s20, 0xcf800000
	v_fma_f32 v2, v2, s20, |v1|
	v_cvt_u32_f32_e32 v2, v2
	v_ashrrev_i32_e32 v1, 31, v1
	v_xor_b32_e32 v2, v2, v1
	v_sub_u32_e32 v1, v2, v1
.LBB142_1683:
	s_or_b64 exec, exec, s[16:17]
	s_mov_b64 s[16:17], 0
	s_branch .LBB142_1689
.LBB142_1684:
	s_mov_b64 s[16:17], -1
                                        ; implicit-def: $vgpr1
	s_branch .LBB142_1695
.LBB142_1685:
	s_andn2_saveexec_b64 s[20:21], s[20:21]
	s_cbranch_execz .LBB142_1671
.LBB142_1686:
	v_cmp_ne_u16_e32 vcc, 0, v2
	s_andn2_b64 s[22:23], s[22:23], exec
	s_and_b64 s[26:27], vcc, exec
	s_or_b64 s[22:23], s[22:23], s[26:27]
	s_or_b64 exec, exec, s[20:21]
	v_mov_b32_e32 v1, 0
	s_and_saveexec_b64 s[20:21], s[22:23]
	s_cbranch_execnz .LBB142_1672
	s_branch .LBB142_1673
.LBB142_1687:
	s_mov_b64 s[16:17], -1
                                        ; implicit-def: $vgpr1
	s_branch .LBB142_1692
.LBB142_1688:
	s_mov_b64 s[16:17], -1
                                        ; implicit-def: $vgpr1
.LBB142_1689:
	s_and_b64 vcc, exec, s[16:17]
	s_cbranch_vccz .LBB142_1691
; %bb.1690:
	global_load_ubyte v1, v[3:4], off
	s_mov_b32 s16, 0x7f800000
	s_brev_b32 s17, 1
	s_mov_b32 s20, 0x2f800000
	s_waitcnt vmcnt(0)
	v_lshlrev_b32_e32 v1, 24, v1
	v_and_b32_e32 v2, 0x7f000000, v1
	v_ffbh_u32_e32 v7, v2
	v_min_u32_e32 v7, 32, v7
	v_sub_u32_e64 v7, v7, 4 clamp
	v_lshlrev_b32_e32 v9, v7, v2
	v_lshlrev_b32_e32 v7, 23, v7
	v_lshrrev_b32_e32 v9, 4, v9
	v_add_u32_e32 v8, 0x1000000, v2
	v_sub_u32_e32 v7, v9, v7
	v_ashrrev_i32_e32 v8, 8, v8
	v_add_u32_e32 v7, 0x3c000000, v7
	v_and_or_b32 v7, v8, s16, v7
	v_cmp_ne_u32_e32 vcc, 0, v2
	v_cndmask_b32_e32 v2, 0, v7, vcc
	v_and_or_b32 v1, v1, s17, v2
	v_trunc_f32_e32 v1, v1
	v_mul_f32_e64 v2, |v1|, s20
	v_floor_f32_e32 v2, v2
	s_mov_b32 s16, 0xcf800000
	v_fma_f32 v2, v2, s16, |v1|
	v_cvt_u32_f32_e32 v2, v2
	v_ashrrev_i32_e32 v1, 31, v1
	v_xor_b32_e32 v2, v2, v1
	v_sub_u32_e32 v1, v2, v1
.LBB142_1691:
	s_mov_b64 s[16:17], 0
.LBB142_1692:
	s_andn2_b64 vcc, exec, s[16:17]
	s_cbranch_vccnz .LBB142_1694
; %bb.1693:
	global_load_ubyte v1, v[3:4], off
	s_movk_i32 s16, 0x7f00
	s_brev_b32 s17, 16
	s_brev_b32 s20, 1
	s_mov_b32 s21, 0x2f800000
	s_waitcnt vmcnt(0)
	v_lshlrev_b16_e32 v2, 8, v1
	v_lshlrev_b32_e32 v1, 25, v1
	v_lshrrev_b32_e32 v7, 4, v1
	v_and_or_b32 v8, v2, s16, 0.5
	v_or_b32_e32 v7, 0x70000000, v7
	v_add_f32_e32 v8, -0.5, v8
	v_mul_f32_e32 v7, 0x7800000, v7
	v_cmp_gt_u32_e32 vcc, s17, v1
	v_bfe_i32 v2, v2, 0, 16
	v_cndmask_b32_e32 v1, v7, v8, vcc
	v_and_or_b32 v1, v2, s20, v1
	v_trunc_f32_e32 v1, v1
	v_mul_f32_e64 v2, |v1|, s21
	v_floor_f32_e32 v2, v2
	s_mov_b32 s16, 0xcf800000
	v_fma_f32 v2, v2, s16, |v1|
	v_cvt_u32_f32_e32 v2, v2
	v_ashrrev_i32_e32 v1, 31, v1
	v_xor_b32_e32 v2, v2, v1
	v_sub_u32_e32 v1, v2, v1
.LBB142_1694:
	s_mov_b64 s[16:17], 0
	s_mov_b64 s[20:21], -1
.LBB142_1695:
	s_andn2_b64 vcc, exec, s[16:17]
	s_mov_b64 s[16:17], 0
	s_cbranch_vccnz .LBB142_1706
; %bb.1696:
	s_cmp_gt_i32 s15, 14
	s_cbranch_scc0 .LBB142_1699
; %bb.1697:
	s_cmp_eq_u32 s15, 15
	s_cbranch_scc0 .LBB142_1702
; %bb.1698:
	global_load_ushort v1, v[3:4], off
	s_mov_b32 s0, 0x2f800000
	s_mov_b32 s1, 0xcf800000
	s_mov_b64 s[20:21], -1
	s_waitcnt vmcnt(0)
	v_lshlrev_b32_e32 v1, 16, v1
	v_trunc_f32_e32 v1, v1
	v_mul_f32_e64 v2, |v1|, s0
	v_floor_f32_e32 v2, v2
	v_fma_f32 v2, v2, s1, |v1|
	v_cvt_u32_f32_e32 v2, v2
	v_ashrrev_i32_e32 v1, 31, v1
	s_mov_b64 s[0:1], 0
	v_xor_b32_e32 v2, v2, v1
	v_sub_u32_e32 v1, v2, v1
	s_branch .LBB142_1703
.LBB142_1699:
	s_mov_b64 s[22:23], -1
                                        ; implicit-def: $vgpr1
	s_branch .LBB142_1704
.LBB142_1700:
	s_andn2_saveexec_b64 s[16:17], s[16:17]
	s_cbranch_execz .LBB142_1681
.LBB142_1701:
	v_cmp_ne_u16_e32 vcc, 0, v2
	s_andn2_b64 s[20:21], s[20:21], exec
	s_and_b64 s[22:23], vcc, exec
	s_or_b64 s[20:21], s[20:21], s[22:23]
	s_or_b64 exec, exec, s[16:17]
	v_mov_b32_e32 v1, 0
	s_and_saveexec_b64 s[16:17], s[20:21]
	s_cbranch_execnz .LBB142_1682
	s_branch .LBB142_1683
.LBB142_1702:
	s_mov_b64 s[0:1], -1
                                        ; implicit-def: $vgpr1
.LBB142_1703:
	s_mov_b64 s[22:23], 0
.LBB142_1704:
	s_and_b64 vcc, exec, s[22:23]
	s_cbranch_vccz .LBB142_1706
; %bb.1705:
	s_cmp_lg_u32 s15, 11
	s_mov_b64 s[16:17], -1
	s_cselect_b64 s[0:1], -1, 0
.LBB142_1706:
	s_and_b64 vcc, exec, s[0:1]
	s_cbranch_vccnz .LBB142_1769
; %bb.1707:
	s_andn2_b64 vcc, exec, s[16:17]
	s_cbranch_vccnz .LBB142_1709
.LBB142_1708:
	global_load_ubyte v1, v[3:4], off
	s_mov_b64 s[20:21], -1
	s_waitcnt vmcnt(0)
	v_cmp_ne_u16_e32 vcc, 0, v1
	v_cndmask_b32_e64 v1, 0, 1, vcc
.LBB142_1709:
	s_branch .LBB142_1640
.LBB142_1710:
	s_and_b32 s15, 0xffff, s25
	s_cmp_lt_i32 s15, 5
	s_cbranch_scc1 .LBB142_1715
; %bb.1711:
	s_cmp_lt_i32 s15, 8
	s_cbranch_scc1 .LBB142_1716
; %bb.1712:
	;; [unrolled: 3-line block ×3, first 2 shown]
	s_cmp_gt_i32 s15, 9
	s_cbranch_scc0 .LBB142_1718
; %bb.1714:
	global_load_dwordx2 v[1:2], v[3:4], off
	s_movk_i32 s0, 0xffe0
	s_waitcnt vmcnt(0)
	v_trunc_f64_e32 v[1:2], v[1:2]
	v_ldexp_f64 v[7:8], v[1:2], s0
	s_mov_b32 s0, 0
	s_mov_b32 s1, 0xc1f00000
	v_floor_f64_e32 v[7:8], v[7:8]
	v_fma_f64 v[1:2], v[7:8], s[0:1], v[1:2]
	s_mov_b64 s[0:1], 0
	v_cvt_u32_f64_e32 v1, v[1:2]
	s_branch .LBB142_1719
.LBB142_1715:
                                        ; implicit-def: $vgpr1
	s_branch .LBB142_1737
.LBB142_1716:
	s_mov_b64 s[0:1], -1
                                        ; implicit-def: $vgpr1
	s_branch .LBB142_1725
.LBB142_1717:
	s_mov_b64 s[0:1], -1
                                        ; implicit-def: $vgpr1
	s_branch .LBB142_1722
.LBB142_1718:
	s_mov_b64 s[0:1], -1
                                        ; implicit-def: $vgpr1
.LBB142_1719:
	s_andn2_b64 vcc, exec, s[0:1]
	s_cbranch_vccnz .LBB142_1721
; %bb.1720:
	global_load_dword v1, v[3:4], off
	s_mov_b32 s0, 0x2f800000
	s_waitcnt vmcnt(0)
	v_trunc_f32_e32 v1, v1
	v_mul_f32_e64 v2, |v1|, s0
	v_floor_f32_e32 v2, v2
	s_mov_b32 s0, 0xcf800000
	v_fma_f32 v2, v2, s0, |v1|
	v_cvt_u32_f32_e32 v2, v2
	v_ashrrev_i32_e32 v1, 31, v1
	v_xor_b32_e32 v2, v2, v1
	v_sub_u32_e32 v1, v2, v1
.LBB142_1721:
	s_mov_b64 s[0:1], 0
.LBB142_1722:
	s_andn2_b64 vcc, exec, s[0:1]
	s_cbranch_vccnz .LBB142_1724
; %bb.1723:
	global_load_dword v1, v[3:4], off
	s_waitcnt vmcnt(0)
	v_cvt_f32_f16_e32 v1, v1
	v_cvt_i32_f32_e32 v1, v1
.LBB142_1724:
	s_mov_b64 s[0:1], 0
.LBB142_1725:
	s_andn2_b64 vcc, exec, s[0:1]
	s_cbranch_vccnz .LBB142_1736
; %bb.1726:
	s_cmp_lt_i32 s15, 6
	s_cbranch_scc1 .LBB142_1729
; %bb.1727:
	s_cmp_gt_i32 s15, 6
	s_cbranch_scc0 .LBB142_1730
; %bb.1728:
	global_load_dwordx2 v[1:2], v[3:4], off
	s_movk_i32 s0, 0xffe0
	s_waitcnt vmcnt(0)
	v_trunc_f64_e32 v[1:2], v[1:2]
	v_ldexp_f64 v[7:8], v[1:2], s0
	s_mov_b32 s0, 0
	s_mov_b32 s1, 0xc1f00000
	v_floor_f64_e32 v[7:8], v[7:8]
	v_fma_f64 v[1:2], v[7:8], s[0:1], v[1:2]
	s_mov_b64 s[0:1], 0
	v_cvt_u32_f64_e32 v1, v[1:2]
	s_branch .LBB142_1731
.LBB142_1729:
	s_mov_b64 s[0:1], -1
                                        ; implicit-def: $vgpr1
	s_branch .LBB142_1734
.LBB142_1730:
	s_mov_b64 s[0:1], -1
                                        ; implicit-def: $vgpr1
.LBB142_1731:
	s_andn2_b64 vcc, exec, s[0:1]
	s_cbranch_vccnz .LBB142_1733
; %bb.1732:
	global_load_dword v1, v[3:4], off
	s_mov_b32 s0, 0x2f800000
	s_waitcnt vmcnt(0)
	v_trunc_f32_e32 v1, v1
	v_mul_f32_e64 v2, |v1|, s0
	v_floor_f32_e32 v2, v2
	s_mov_b32 s0, 0xcf800000
	v_fma_f32 v2, v2, s0, |v1|
	v_cvt_u32_f32_e32 v2, v2
	v_ashrrev_i32_e32 v1, 31, v1
	v_xor_b32_e32 v2, v2, v1
	v_sub_u32_e32 v1, v2, v1
.LBB142_1733:
	s_mov_b64 s[0:1], 0
.LBB142_1734:
	s_andn2_b64 vcc, exec, s[0:1]
	s_cbranch_vccnz .LBB142_1736
; %bb.1735:
	global_load_ushort v1, v[3:4], off
	s_waitcnt vmcnt(0)
	v_cvt_f32_f16_e32 v1, v1
	v_cvt_i32_f32_e32 v1, v1
.LBB142_1736:
	s_cbranch_execnz .LBB142_1756
.LBB142_1737:
	s_cmp_lt_i32 s15, 2
	s_cbranch_scc1 .LBB142_1741
; %bb.1738:
	s_cmp_lt_i32 s15, 3
	s_cbranch_scc1 .LBB142_1742
; %bb.1739:
	s_cmp_gt_i32 s15, 3
	s_cbranch_scc0 .LBB142_1743
; %bb.1740:
	global_load_dwordx2 v[1:2], v[3:4], off
	s_mov_b64 s[0:1], 0
	s_branch .LBB142_1744
.LBB142_1741:
	s_mov_b64 s[0:1], -1
                                        ; implicit-def: $vgpr1
	s_branch .LBB142_1750
.LBB142_1742:
	s_mov_b64 s[0:1], -1
                                        ; implicit-def: $vgpr1
	s_branch .LBB142_1747
.LBB142_1743:
	s_mov_b64 s[0:1], -1
                                        ; implicit-def: $vgpr1
.LBB142_1744:
	s_andn2_b64 vcc, exec, s[0:1]
	s_cbranch_vccnz .LBB142_1746
; %bb.1745:
	global_load_dword v1, v[3:4], off
.LBB142_1746:
	s_mov_b64 s[0:1], 0
.LBB142_1747:
	s_andn2_b64 vcc, exec, s[0:1]
	s_cbranch_vccnz .LBB142_1749
; %bb.1748:
	global_load_ushort v1, v[3:4], off
.LBB142_1749:
	s_mov_b64 s[0:1], 0
.LBB142_1750:
	s_andn2_b64 vcc, exec, s[0:1]
	s_cbranch_vccnz .LBB142_1756
; %bb.1751:
	s_cmp_gt_i32 s15, 0
	s_cbranch_scc0 .LBB142_1753
; %bb.1752:
	global_load_ubyte v1, v[3:4], off
	s_mov_b64 s[0:1], 0
	s_branch .LBB142_1754
.LBB142_1753:
	s_mov_b64 s[0:1], -1
                                        ; implicit-def: $vgpr1
.LBB142_1754:
	s_andn2_b64 vcc, exec, s[0:1]
	s_cbranch_vccnz .LBB142_1756
; %bb.1755:
	global_load_ubyte v1, v[3:4], off
.LBB142_1756:
.LBB142_1757:
	s_lshl_b32 s13, s13, 7
	v_add_u32_e32 v7, s13, v5
	s_waitcnt vmcnt(0)
	v_ashrrev_i32_e32 v2, 31, v7
	v_mov_b32_e32 v3, s11
	v_add_co_u32_e32 v4, vcc, s10, v7
	s_cmp_lt_i32 s24, 11
	v_addc_co_u32_e32 v5, vcc, v3, v2, vcc
	s_cbranch_scc1 .LBB142_1764
; %bb.1758:
	s_and_b32 s15, 0xffff, s24
	s_cmp_gt_i32 s15, 25
	s_mov_b64 s[16:17], 0
	s_cbranch_scc0 .LBB142_1766
; %bb.1759:
	s_cmp_gt_i32 s15, 28
	s_cbranch_scc0 .LBB142_1767
; %bb.1760:
	s_cmp_gt_i32 s15, 43
	s_cbranch_scc0 .LBB142_1768
; %bb.1761:
	s_cmp_gt_i32 s15, 45
	s_cbranch_scc0 .LBB142_1770
; %bb.1762:
	s_cmp_eq_u32 s15, 46
	s_mov_b64 s[22:23], 0
	s_cbranch_scc0 .LBB142_1771
; %bb.1763:
	global_load_dword v2, v[4:5], off
	s_mov_b32 s0, 0x2f800000
	s_mov_b32 s1, 0xcf800000
	s_mov_b64 s[20:21], -1
	s_waitcnt vmcnt(0)
	v_lshlrev_b32_e32 v2, 16, v2
	v_trunc_f32_e32 v2, v2
	v_mul_f32_e64 v3, |v2|, s0
	v_floor_f32_e32 v3, v3
	v_fma_f32 v3, v3, s1, |v2|
	v_cvt_u32_f32_e32 v3, v3
	v_ashrrev_i32_e32 v2, 31, v2
	s_mov_b64 s[0:1], 0
	v_xor_b32_e32 v3, v3, v2
	v_sub_u32_e32 v2, v3, v2
	s_branch .LBB142_1772
.LBB142_1764:
	s_mov_b64 s[20:21], 0
                                        ; implicit-def: $vgpr2
	s_cbranch_execnz .LBB142_1834
.LBB142_1765:
	s_andn2_b64 vcc, exec, s[20:21]
	s_cbranch_vccnz .LBB142_2947
	s_branch .LBB142_1882
.LBB142_1766:
	s_mov_b64 s[22:23], -1
	s_mov_b64 s[20:21], 0
	s_mov_b64 s[0:1], 0
                                        ; implicit-def: $vgpr2
	s_branch .LBB142_1799
.LBB142_1767:
	s_mov_b64 s[22:23], -1
	s_mov_b64 s[20:21], 0
	s_mov_b64 s[0:1], 0
                                        ; implicit-def: $vgpr2
	s_branch .LBB142_1782
.LBB142_1768:
	s_mov_b64 s[22:23], -1
	s_mov_b64 s[20:21], 0
	s_mov_b64 s[0:1], 0
                                        ; implicit-def: $vgpr2
	s_branch .LBB142_1777
.LBB142_1769:
	s_trap 2
	s_or_b64 s[18:19], s[18:19], exec
	s_cbranch_execz .LBB142_1708
	s_branch .LBB142_1709
.LBB142_1770:
	s_mov_b64 s[22:23], -1
	s_mov_b64 s[20:21], 0
	s_mov_b64 s[0:1], 0
                                        ; implicit-def: $vgpr2
	s_branch .LBB142_1772
.LBB142_1771:
	s_mov_b64 s[0:1], -1
                                        ; implicit-def: $vgpr2
	s_mov_b64 s[20:21], 0
.LBB142_1772:
	s_and_b64 vcc, exec, s[22:23]
	s_cbranch_vccz .LBB142_1776
; %bb.1773:
	s_cmp_eq_u32 s15, 44
	s_cbranch_scc0 .LBB142_1775
; %bb.1774:
	global_load_ubyte v2, v[4:5], off
	s_mov_b32 s0, 0x2f800000
	s_mov_b32 s1, 0xcf800000
	s_mov_b64 s[20:21], -1
	s_waitcnt vmcnt(0)
	v_lshlrev_b32_e32 v3, 23, v2
	v_trunc_f32_e32 v3, v3
	v_mul_f32_e64 v8, |v3|, s0
	v_floor_f32_e32 v8, v8
	v_fma_f32 v8, v8, s1, |v3|
	v_cvt_u32_f32_e32 v8, v8
	v_ashrrev_i32_e32 v3, 31, v3
	v_cmp_ne_u32_e32 vcc, 0, v2
	s_mov_b64 s[0:1], 0
	v_xor_b32_e32 v8, v8, v3
	v_sub_u32_e32 v3, v8, v3
	v_cndmask_b32_e32 v2, 0, v3, vcc
	s_branch .LBB142_1776
.LBB142_1775:
	s_mov_b64 s[0:1], -1
                                        ; implicit-def: $vgpr2
.LBB142_1776:
	s_mov_b64 s[22:23], 0
.LBB142_1777:
	s_and_b64 vcc, exec, s[22:23]
	s_cbranch_vccz .LBB142_1781
; %bb.1778:
	s_cmp_eq_u32 s15, 29
	s_cbranch_scc0 .LBB142_1780
; %bb.1779:
	global_load_dwordx2 v[2:3], v[4:5], off
	s_mov_b64 s[0:1], 0
	s_mov_b64 s[20:21], -1
	s_branch .LBB142_1781
.LBB142_1780:
	s_mov_b64 s[0:1], -1
                                        ; implicit-def: $vgpr2
.LBB142_1781:
	s_mov_b64 s[22:23], 0
.LBB142_1782:
	s_and_b64 vcc, exec, s[22:23]
	s_cbranch_vccz .LBB142_1798
; %bb.1783:
	s_cmp_lt_i32 s15, 27
	s_cbranch_scc1 .LBB142_1786
; %bb.1784:
	s_cmp_gt_i32 s15, 27
	s_cbranch_scc0 .LBB142_1787
; %bb.1785:
	global_load_dword v2, v[4:5], off
	s_mov_b64 s[20:21], 0
	s_branch .LBB142_1788
.LBB142_1786:
	s_mov_b64 s[20:21], -1
                                        ; implicit-def: $vgpr2
	s_branch .LBB142_1791
.LBB142_1787:
	s_mov_b64 s[20:21], -1
                                        ; implicit-def: $vgpr2
.LBB142_1788:
	s_andn2_b64 vcc, exec, s[20:21]
	s_cbranch_vccnz .LBB142_1790
; %bb.1789:
	global_load_ushort v2, v[4:5], off
.LBB142_1790:
	s_mov_b64 s[20:21], 0
.LBB142_1791:
	s_andn2_b64 vcc, exec, s[20:21]
	s_cbranch_vccnz .LBB142_1797
; %bb.1792:
	global_load_ubyte v3, v[4:5], off
	s_movk_i32 s20, 0x7f
	s_mov_b64 s[22:23], 0
	s_waitcnt vmcnt(0)
	v_cmp_lt_i16_e32 vcc, s20, v3
	s_and_saveexec_b64 s[20:21], vcc
	s_xor_b64 s[20:21], exec, s[20:21]
	s_cbranch_execz .LBB142_1809
; %bb.1793:
	s_movk_i32 s22, 0x80
	v_cmp_ne_u16_e32 vcc, s22, v3
	s_and_b64 s[22:23], vcc, exec
	s_andn2_saveexec_b64 s[20:21], s[20:21]
	s_cbranch_execnz .LBB142_1810
.LBB142_1794:
	s_or_b64 exec, exec, s[20:21]
	v_mov_b32_e32 v2, 0
	s_and_saveexec_b64 s[20:21], s[22:23]
	s_cbranch_execz .LBB142_1796
.LBB142_1795:
	v_lshlrev_b32_e32 v2, 24, v3
	v_and_b32_e32 v3, 0xffff, v3
	v_and_b32_e32 v8, 7, v3
	v_ffbh_u32_e32 v10, v8
	v_min_u32_e32 v10, 32, v10
	v_subrev_u32_e32 v12, 28, v10
	v_bfe_u32 v9, v3, 3, 4
	v_lshlrev_b32_e32 v3, v12, v3
	v_sub_u32_e32 v10, 29, v10
	v_and_b32_e32 v3, 7, v3
	v_cmp_eq_u32_e32 vcc, 0, v9
	v_cndmask_b32_e32 v9, v9, v10, vcc
	v_cndmask_b32_e32 v3, v8, v3, vcc
	v_mov_b32_e32 v8, 0x3b800000
	v_lshlrev_b32_e32 v3, 20, v3
	v_and_b32_e32 v2, 0x80000000, v2
	v_lshl_add_u32 v8, v9, 23, v8
	v_or3_b32 v2, v2, v8, v3
	v_trunc_f32_e32 v2, v2
	s_mov_b32 s22, 0x2f800000
	v_mul_f32_e64 v3, |v2|, s22
	v_floor_f32_e32 v3, v3
	s_mov_b32 s22, 0xcf800000
	v_fma_f32 v3, v3, s22, |v2|
	v_cvt_u32_f32_e32 v3, v3
	v_ashrrev_i32_e32 v2, 31, v2
	v_xor_b32_e32 v3, v3, v2
	v_sub_u32_e32 v2, v3, v2
.LBB142_1796:
	s_or_b64 exec, exec, s[20:21]
.LBB142_1797:
	s_mov_b64 s[20:21], -1
.LBB142_1798:
	s_mov_b64 s[22:23], 0
.LBB142_1799:
	s_and_b64 vcc, exec, s[22:23]
	s_cbranch_vccz .LBB142_1830
; %bb.1800:
	s_cmp_gt_i32 s15, 22
	s_cbranch_scc0 .LBB142_1808
; %bb.1801:
	s_cmp_lt_i32 s15, 24
	s_cbranch_scc1 .LBB142_1811
; %bb.1802:
	s_cmp_gt_i32 s15, 24
	s_cbranch_scc0 .LBB142_1812
; %bb.1803:
	global_load_ubyte v3, v[4:5], off
	s_movk_i32 s16, 0x7f
	s_mov_b64 s[20:21], 0
	s_waitcnt vmcnt(0)
	v_cmp_lt_i16_e32 vcc, s16, v3
	s_and_saveexec_b64 s[16:17], vcc
	s_xor_b64 s[16:17], exec, s[16:17]
	s_cbranch_execz .LBB142_1824
; %bb.1804:
	s_movk_i32 s20, 0x80
	v_cmp_ne_u16_e32 vcc, s20, v3
	s_and_b64 s[20:21], vcc, exec
	s_andn2_saveexec_b64 s[16:17], s[16:17]
	s_cbranch_execnz .LBB142_1825
.LBB142_1805:
	s_or_b64 exec, exec, s[16:17]
	v_mov_b32_e32 v2, 0
	s_and_saveexec_b64 s[16:17], s[20:21]
	s_cbranch_execz .LBB142_1807
.LBB142_1806:
	v_lshlrev_b32_e32 v2, 24, v3
	v_and_b32_e32 v3, 0xffff, v3
	v_and_b32_e32 v8, 3, v3
	v_ffbh_u32_e32 v10, v8
	v_min_u32_e32 v10, 32, v10
	v_subrev_u32_e32 v12, 29, v10
	v_bfe_u32 v9, v3, 2, 5
	v_lshlrev_b32_e32 v3, v12, v3
	v_sub_u32_e32 v10, 30, v10
	v_and_b32_e32 v3, 3, v3
	v_cmp_eq_u32_e32 vcc, 0, v9
	v_cndmask_b32_e32 v9, v9, v10, vcc
	v_cndmask_b32_e32 v3, v8, v3, vcc
	v_mov_b32_e32 v8, 0x37800000
	v_lshlrev_b32_e32 v3, 21, v3
	v_and_b32_e32 v2, 0x80000000, v2
	v_lshl_add_u32 v8, v9, 23, v8
	v_or3_b32 v2, v2, v8, v3
	v_trunc_f32_e32 v2, v2
	s_mov_b32 s20, 0x2f800000
	v_mul_f32_e64 v3, |v2|, s20
	v_floor_f32_e32 v3, v3
	s_mov_b32 s20, 0xcf800000
	v_fma_f32 v3, v3, s20, |v2|
	v_cvt_u32_f32_e32 v3, v3
	v_ashrrev_i32_e32 v2, 31, v2
	v_xor_b32_e32 v3, v3, v2
	v_sub_u32_e32 v2, v3, v2
.LBB142_1807:
	s_or_b64 exec, exec, s[16:17]
	s_mov_b64 s[16:17], 0
	s_branch .LBB142_1813
.LBB142_1808:
	s_mov_b64 s[16:17], -1
                                        ; implicit-def: $vgpr2
	s_branch .LBB142_1819
.LBB142_1809:
	s_andn2_saveexec_b64 s[20:21], s[20:21]
	s_cbranch_execz .LBB142_1794
.LBB142_1810:
	v_cmp_ne_u16_e32 vcc, 0, v3
	s_andn2_b64 s[22:23], s[22:23], exec
	s_and_b64 s[26:27], vcc, exec
	s_or_b64 s[22:23], s[22:23], s[26:27]
	s_or_b64 exec, exec, s[20:21]
	v_mov_b32_e32 v2, 0
	s_and_saveexec_b64 s[20:21], s[22:23]
	s_cbranch_execnz .LBB142_1795
	s_branch .LBB142_1796
.LBB142_1811:
	s_mov_b64 s[16:17], -1
                                        ; implicit-def: $vgpr2
	s_branch .LBB142_1816
.LBB142_1812:
	s_mov_b64 s[16:17], -1
                                        ; implicit-def: $vgpr2
.LBB142_1813:
	s_and_b64 vcc, exec, s[16:17]
	s_cbranch_vccz .LBB142_1815
; %bb.1814:
	global_load_ubyte v2, v[4:5], off
	s_mov_b32 s16, 0x7f800000
	s_brev_b32 s17, 1
	s_mov_b32 s20, 0x2f800000
	s_waitcnt vmcnt(0)
	v_lshlrev_b32_e32 v2, 24, v2
	v_and_b32_e32 v3, 0x7f000000, v2
	v_ffbh_u32_e32 v8, v3
	v_min_u32_e32 v8, 32, v8
	v_sub_u32_e64 v8, v8, 4 clamp
	v_lshlrev_b32_e32 v10, v8, v3
	v_lshlrev_b32_e32 v8, 23, v8
	v_lshrrev_b32_e32 v10, 4, v10
	v_add_u32_e32 v9, 0x1000000, v3
	v_sub_u32_e32 v8, v10, v8
	v_ashrrev_i32_e32 v9, 8, v9
	v_add_u32_e32 v8, 0x3c000000, v8
	v_and_or_b32 v8, v9, s16, v8
	v_cmp_ne_u32_e32 vcc, 0, v3
	v_cndmask_b32_e32 v3, 0, v8, vcc
	v_and_or_b32 v2, v2, s17, v3
	v_trunc_f32_e32 v2, v2
	v_mul_f32_e64 v3, |v2|, s20
	v_floor_f32_e32 v3, v3
	s_mov_b32 s16, 0xcf800000
	v_fma_f32 v3, v3, s16, |v2|
	v_cvt_u32_f32_e32 v3, v3
	v_ashrrev_i32_e32 v2, 31, v2
	v_xor_b32_e32 v3, v3, v2
	v_sub_u32_e32 v2, v3, v2
.LBB142_1815:
	s_mov_b64 s[16:17], 0
.LBB142_1816:
	s_andn2_b64 vcc, exec, s[16:17]
	s_cbranch_vccnz .LBB142_1818
; %bb.1817:
	global_load_ubyte v2, v[4:5], off
	s_movk_i32 s16, 0x7f00
	s_brev_b32 s17, 16
	s_brev_b32 s20, 1
	s_mov_b32 s21, 0x2f800000
	s_waitcnt vmcnt(0)
	v_lshlrev_b16_e32 v3, 8, v2
	v_lshlrev_b32_e32 v2, 25, v2
	v_lshrrev_b32_e32 v8, 4, v2
	v_and_or_b32 v9, v3, s16, 0.5
	v_or_b32_e32 v8, 0x70000000, v8
	v_add_f32_e32 v9, -0.5, v9
	v_mul_f32_e32 v8, 0x7800000, v8
	v_cmp_gt_u32_e32 vcc, s17, v2
	v_bfe_i32 v3, v3, 0, 16
	v_cndmask_b32_e32 v2, v8, v9, vcc
	v_and_or_b32 v2, v3, s20, v2
	v_trunc_f32_e32 v2, v2
	v_mul_f32_e64 v3, |v2|, s21
	v_floor_f32_e32 v3, v3
	s_mov_b32 s16, 0xcf800000
	v_fma_f32 v3, v3, s16, |v2|
	v_cvt_u32_f32_e32 v3, v3
	v_ashrrev_i32_e32 v2, 31, v2
	v_xor_b32_e32 v3, v3, v2
	v_sub_u32_e32 v2, v3, v2
.LBB142_1818:
	s_mov_b64 s[16:17], 0
	s_mov_b64 s[20:21], -1
.LBB142_1819:
	s_andn2_b64 vcc, exec, s[16:17]
	s_mov_b64 s[16:17], 0
	s_cbranch_vccnz .LBB142_1830
; %bb.1820:
	s_cmp_gt_i32 s15, 14
	s_cbranch_scc0 .LBB142_1823
; %bb.1821:
	s_cmp_eq_u32 s15, 15
	s_cbranch_scc0 .LBB142_1826
; %bb.1822:
	global_load_ushort v2, v[4:5], off
	s_mov_b32 s0, 0x2f800000
	s_mov_b32 s1, 0xcf800000
	s_mov_b64 s[20:21], -1
	s_waitcnt vmcnt(0)
	v_lshlrev_b32_e32 v2, 16, v2
	v_trunc_f32_e32 v2, v2
	v_mul_f32_e64 v3, |v2|, s0
	v_floor_f32_e32 v3, v3
	v_fma_f32 v3, v3, s1, |v2|
	v_cvt_u32_f32_e32 v3, v3
	v_ashrrev_i32_e32 v2, 31, v2
	s_mov_b64 s[0:1], 0
	v_xor_b32_e32 v3, v3, v2
	v_sub_u32_e32 v2, v3, v2
	s_branch .LBB142_1827
.LBB142_1823:
	s_mov_b64 s[22:23], -1
                                        ; implicit-def: $vgpr2
	s_branch .LBB142_1828
.LBB142_1824:
	s_andn2_saveexec_b64 s[16:17], s[16:17]
	s_cbranch_execz .LBB142_1805
.LBB142_1825:
	v_cmp_ne_u16_e32 vcc, 0, v3
	s_andn2_b64 s[20:21], s[20:21], exec
	s_and_b64 s[22:23], vcc, exec
	s_or_b64 s[20:21], s[20:21], s[22:23]
	s_or_b64 exec, exec, s[16:17]
	v_mov_b32_e32 v2, 0
	s_and_saveexec_b64 s[16:17], s[20:21]
	s_cbranch_execnz .LBB142_1806
	s_branch .LBB142_1807
.LBB142_1826:
	s_mov_b64 s[0:1], -1
                                        ; implicit-def: $vgpr2
.LBB142_1827:
	s_mov_b64 s[22:23], 0
.LBB142_1828:
	s_and_b64 vcc, exec, s[22:23]
	s_cbranch_vccz .LBB142_1830
; %bb.1829:
	s_cmp_lg_u32 s15, 11
	s_mov_b64 s[16:17], -1
	s_cselect_b64 s[0:1], -1, 0
.LBB142_1830:
	s_and_b64 vcc, exec, s[0:1]
	s_cbranch_vccnz .LBB142_1893
; %bb.1831:
	s_andn2_b64 vcc, exec, s[16:17]
	s_cbranch_vccnz .LBB142_1833
.LBB142_1832:
	global_load_ubyte v2, v[4:5], off
	s_mov_b64 s[20:21], -1
	s_waitcnt vmcnt(0)
	v_cmp_ne_u16_e32 vcc, 0, v2
	v_cndmask_b32_e64 v2, 0, 1, vcc
.LBB142_1833:
	s_branch .LBB142_1765
.LBB142_1834:
	s_and_b32 s15, 0xffff, s24
	s_cmp_lt_i32 s15, 5
	s_cbranch_scc1 .LBB142_1839
; %bb.1835:
	s_cmp_lt_i32 s15, 8
	s_cbranch_scc1 .LBB142_1840
; %bb.1836:
	;; [unrolled: 3-line block ×3, first 2 shown]
	s_cmp_gt_i32 s15, 9
	s_cbranch_scc0 .LBB142_1842
; %bb.1838:
	global_load_dwordx2 v[2:3], v[4:5], off
	s_movk_i32 s0, 0xffe0
	s_waitcnt vmcnt(0)
	v_trunc_f64_e32 v[2:3], v[2:3]
	v_ldexp_f64 v[8:9], v[2:3], s0
	s_mov_b32 s0, 0
	s_mov_b32 s1, 0xc1f00000
	v_floor_f64_e32 v[8:9], v[8:9]
	v_fma_f64 v[2:3], v[8:9], s[0:1], v[2:3]
	s_mov_b64 s[0:1], 0
	v_cvt_u32_f64_e32 v2, v[2:3]
	s_branch .LBB142_1843
.LBB142_1839:
	s_mov_b64 s[0:1], -1
                                        ; implicit-def: $vgpr2
	s_branch .LBB142_1861
.LBB142_1840:
	s_mov_b64 s[0:1], -1
                                        ; implicit-def: $vgpr2
	s_branch .LBB142_1849
.LBB142_1841:
	s_mov_b64 s[0:1], -1
                                        ; implicit-def: $vgpr2
	s_branch .LBB142_1846
.LBB142_1842:
	s_mov_b64 s[0:1], -1
                                        ; implicit-def: $vgpr2
.LBB142_1843:
	s_andn2_b64 vcc, exec, s[0:1]
	s_cbranch_vccnz .LBB142_1845
; %bb.1844:
	global_load_dword v2, v[4:5], off
	s_mov_b32 s0, 0x2f800000
	s_waitcnt vmcnt(0)
	v_trunc_f32_e32 v2, v2
	v_mul_f32_e64 v3, |v2|, s0
	v_floor_f32_e32 v3, v3
	s_mov_b32 s0, 0xcf800000
	v_fma_f32 v3, v3, s0, |v2|
	v_cvt_u32_f32_e32 v3, v3
	v_ashrrev_i32_e32 v2, 31, v2
	v_xor_b32_e32 v3, v3, v2
	v_sub_u32_e32 v2, v3, v2
.LBB142_1845:
	s_mov_b64 s[0:1], 0
.LBB142_1846:
	s_andn2_b64 vcc, exec, s[0:1]
	s_cbranch_vccnz .LBB142_1848
; %bb.1847:
	global_load_dword v2, v[4:5], off
	s_waitcnt vmcnt(0)
	v_cvt_f32_f16_e32 v2, v2
	v_cvt_i32_f32_e32 v2, v2
.LBB142_1848:
	s_mov_b64 s[0:1], 0
.LBB142_1849:
	s_andn2_b64 vcc, exec, s[0:1]
	s_cbranch_vccnz .LBB142_1860
; %bb.1850:
	s_cmp_lt_i32 s15, 6
	s_cbranch_scc1 .LBB142_1853
; %bb.1851:
	s_cmp_gt_i32 s15, 6
	s_cbranch_scc0 .LBB142_1854
; %bb.1852:
	global_load_dwordx2 v[2:3], v[4:5], off
	s_movk_i32 s0, 0xffe0
	s_waitcnt vmcnt(0)
	v_trunc_f64_e32 v[2:3], v[2:3]
	v_ldexp_f64 v[8:9], v[2:3], s0
	s_mov_b32 s0, 0
	s_mov_b32 s1, 0xc1f00000
	v_floor_f64_e32 v[8:9], v[8:9]
	v_fma_f64 v[2:3], v[8:9], s[0:1], v[2:3]
	s_mov_b64 s[0:1], 0
	v_cvt_u32_f64_e32 v2, v[2:3]
	s_branch .LBB142_1855
.LBB142_1853:
	s_mov_b64 s[0:1], -1
                                        ; implicit-def: $vgpr2
	s_branch .LBB142_1858
.LBB142_1854:
	s_mov_b64 s[0:1], -1
                                        ; implicit-def: $vgpr2
.LBB142_1855:
	s_andn2_b64 vcc, exec, s[0:1]
	s_cbranch_vccnz .LBB142_1857
; %bb.1856:
	global_load_dword v2, v[4:5], off
	s_mov_b32 s0, 0x2f800000
	s_waitcnt vmcnt(0)
	v_trunc_f32_e32 v2, v2
	v_mul_f32_e64 v3, |v2|, s0
	v_floor_f32_e32 v3, v3
	s_mov_b32 s0, 0xcf800000
	v_fma_f32 v3, v3, s0, |v2|
	v_cvt_u32_f32_e32 v3, v3
	v_ashrrev_i32_e32 v2, 31, v2
	v_xor_b32_e32 v3, v3, v2
	v_sub_u32_e32 v2, v3, v2
.LBB142_1857:
	s_mov_b64 s[0:1], 0
.LBB142_1858:
	s_andn2_b64 vcc, exec, s[0:1]
	s_cbranch_vccnz .LBB142_1860
; %bb.1859:
	global_load_ushort v2, v[4:5], off
	s_waitcnt vmcnt(0)
	v_cvt_f32_f16_e32 v2, v2
	v_cvt_i32_f32_e32 v2, v2
.LBB142_1860:
	s_mov_b64 s[0:1], 0
.LBB142_1861:
	s_andn2_b64 vcc, exec, s[0:1]
	s_cbranch_vccnz .LBB142_1881
; %bb.1862:
	s_cmp_lt_i32 s15, 2
	s_cbranch_scc1 .LBB142_1866
; %bb.1863:
	s_cmp_lt_i32 s15, 3
	s_cbranch_scc1 .LBB142_1867
; %bb.1864:
	s_cmp_gt_i32 s15, 3
	s_cbranch_scc0 .LBB142_1868
; %bb.1865:
	global_load_dwordx2 v[2:3], v[4:5], off
	s_mov_b64 s[0:1], 0
	s_branch .LBB142_1869
.LBB142_1866:
	s_mov_b64 s[0:1], -1
                                        ; implicit-def: $vgpr2
	s_branch .LBB142_1875
.LBB142_1867:
	s_mov_b64 s[0:1], -1
                                        ; implicit-def: $vgpr2
	s_branch .LBB142_1872
.LBB142_1868:
	s_mov_b64 s[0:1], -1
                                        ; implicit-def: $vgpr2
.LBB142_1869:
	s_andn2_b64 vcc, exec, s[0:1]
	s_cbranch_vccnz .LBB142_1871
; %bb.1870:
	global_load_dword v2, v[4:5], off
.LBB142_1871:
	s_mov_b64 s[0:1], 0
.LBB142_1872:
	s_andn2_b64 vcc, exec, s[0:1]
	s_cbranch_vccnz .LBB142_1874
; %bb.1873:
	global_load_ushort v2, v[4:5], off
.LBB142_1874:
	s_mov_b64 s[0:1], 0
.LBB142_1875:
	s_andn2_b64 vcc, exec, s[0:1]
	s_cbranch_vccnz .LBB142_1881
; %bb.1876:
	s_cmp_gt_i32 s15, 0
	s_cbranch_scc0 .LBB142_1878
; %bb.1877:
	global_load_ubyte v2, v[4:5], off
	s_mov_b64 s[0:1], 0
	s_branch .LBB142_1879
.LBB142_1878:
	s_mov_b64 s[0:1], -1
                                        ; implicit-def: $vgpr2
.LBB142_1879:
	s_andn2_b64 vcc, exec, s[0:1]
	s_cbranch_vccnz .LBB142_1881
; %bb.1880:
	global_load_ubyte v2, v[4:5], off
.LBB142_1881:
.LBB142_1882:
	s_lshl_b32 s22, s14, 7
	v_add_u32_e32 v8, s22, v6
	s_waitcnt vmcnt(0)
	v_ashrrev_i32_e32 v3, 31, v8
	v_mov_b32_e32 v4, s3
	v_add_co_u32_e32 v5, vcc, s2, v8
	s_cmp_lt_i32 s25, 11
	v_addc_co_u32_e32 v6, vcc, v4, v3, vcc
	s_cbranch_scc1 .LBB142_1889
; %bb.1883:
	s_and_b32 s23, 0xffff, s25
	s_cmp_gt_i32 s23, 25
	s_mov_b64 s[14:15], 0
	s_cbranch_scc0 .LBB142_1890
; %bb.1884:
	s_cmp_gt_i32 s23, 28
	s_cbranch_scc0 .LBB142_1891
; %bb.1885:
	s_cmp_gt_i32 s23, 43
	;; [unrolled: 3-line block ×3, first 2 shown]
	s_cbranch_scc0 .LBB142_1894
; %bb.1887:
	s_cmp_eq_u32 s23, 46
	s_mov_b64 s[20:21], 0
	s_cbranch_scc0 .LBB142_1895
; %bb.1888:
	global_load_dword v3, v[5:6], off
	s_mov_b32 s0, 0x2f800000
	s_mov_b32 s1, 0xcf800000
	s_mov_b64 s[16:17], -1
	s_waitcnt vmcnt(0)
	v_lshlrev_b32_e32 v3, 16, v3
	v_trunc_f32_e32 v3, v3
	v_mul_f32_e64 v4, |v3|, s0
	v_floor_f32_e32 v4, v4
	v_fma_f32 v4, v4, s1, |v3|
	v_cvt_u32_f32_e32 v4, v4
	v_ashrrev_i32_e32 v3, 31, v3
	s_mov_b64 s[0:1], 0
	v_xor_b32_e32 v4, v4, v3
	v_sub_u32_e32 v3, v4, v3
	s_branch .LBB142_1896
.LBB142_1889:
	s_mov_b64 s[0:1], -1
	s_mov_b64 s[16:17], 0
                                        ; implicit-def: $vgpr3
	s_branch .LBB142_1958
.LBB142_1890:
	s_mov_b64 s[20:21], -1
	s_mov_b64 s[16:17], 0
	s_mov_b64 s[0:1], 0
                                        ; implicit-def: $vgpr3
	s_branch .LBB142_1923
.LBB142_1891:
	s_mov_b64 s[20:21], -1
	s_mov_b64 s[16:17], 0
	s_mov_b64 s[0:1], 0
                                        ; implicit-def: $vgpr3
	s_branch .LBB142_1906
.LBB142_1892:
	s_mov_b64 s[20:21], -1
	s_mov_b64 s[16:17], 0
	s_mov_b64 s[0:1], 0
                                        ; implicit-def: $vgpr3
	s_branch .LBB142_1901
.LBB142_1893:
	s_trap 2
	s_or_b64 s[18:19], s[18:19], exec
	s_cbranch_execz .LBB142_1832
	s_branch .LBB142_1833
.LBB142_1894:
	s_mov_b64 s[20:21], -1
	s_mov_b64 s[16:17], 0
	s_mov_b64 s[0:1], 0
                                        ; implicit-def: $vgpr3
	s_branch .LBB142_1896
.LBB142_1895:
	s_mov_b64 s[0:1], -1
                                        ; implicit-def: $vgpr3
	s_mov_b64 s[16:17], 0
.LBB142_1896:
	s_and_b64 vcc, exec, s[20:21]
	s_cbranch_vccz .LBB142_1900
; %bb.1897:
	s_cmp_eq_u32 s23, 44
	s_cbranch_scc0 .LBB142_1899
; %bb.1898:
	global_load_ubyte v3, v[5:6], off
	s_mov_b32 s0, 0x2f800000
	s_mov_b32 s1, 0xcf800000
	s_mov_b64 s[16:17], -1
	s_waitcnt vmcnt(0)
	v_lshlrev_b32_e32 v4, 23, v3
	v_trunc_f32_e32 v4, v4
	v_mul_f32_e64 v9, |v4|, s0
	v_floor_f32_e32 v9, v9
	v_fma_f32 v9, v9, s1, |v4|
	v_cvt_u32_f32_e32 v9, v9
	v_ashrrev_i32_e32 v4, 31, v4
	v_cmp_ne_u32_e32 vcc, 0, v3
	s_mov_b64 s[0:1], 0
	v_xor_b32_e32 v9, v9, v4
	v_sub_u32_e32 v4, v9, v4
	v_cndmask_b32_e32 v3, 0, v4, vcc
	s_branch .LBB142_1900
.LBB142_1899:
	s_mov_b64 s[0:1], -1
                                        ; implicit-def: $vgpr3
.LBB142_1900:
	s_mov_b64 s[20:21], 0
.LBB142_1901:
	s_and_b64 vcc, exec, s[20:21]
	s_cbranch_vccz .LBB142_1905
; %bb.1902:
	s_cmp_eq_u32 s23, 29
	s_cbranch_scc0 .LBB142_1904
; %bb.1903:
	global_load_dwordx2 v[3:4], v[5:6], off
	s_mov_b64 s[0:1], 0
	s_mov_b64 s[16:17], -1
	s_branch .LBB142_1905
.LBB142_1904:
	s_mov_b64 s[0:1], -1
                                        ; implicit-def: $vgpr3
.LBB142_1905:
	s_mov_b64 s[20:21], 0
.LBB142_1906:
	s_and_b64 vcc, exec, s[20:21]
	s_cbranch_vccz .LBB142_1922
; %bb.1907:
	s_cmp_lt_i32 s23, 27
	s_cbranch_scc1 .LBB142_1910
; %bb.1908:
	s_cmp_gt_i32 s23, 27
	s_cbranch_scc0 .LBB142_1911
; %bb.1909:
	global_load_dword v3, v[5:6], off
	s_mov_b64 s[16:17], 0
	s_branch .LBB142_1912
.LBB142_1910:
	s_mov_b64 s[16:17], -1
                                        ; implicit-def: $vgpr3
	s_branch .LBB142_1915
.LBB142_1911:
	s_mov_b64 s[16:17], -1
                                        ; implicit-def: $vgpr3
.LBB142_1912:
	s_andn2_b64 vcc, exec, s[16:17]
	s_cbranch_vccnz .LBB142_1914
; %bb.1913:
	global_load_ushort v3, v[5:6], off
.LBB142_1914:
	s_mov_b64 s[16:17], 0
.LBB142_1915:
	s_andn2_b64 vcc, exec, s[16:17]
	s_cbranch_vccnz .LBB142_1921
; %bb.1916:
	global_load_ubyte v4, v[5:6], off
	s_movk_i32 s16, 0x7f
	s_mov_b64 s[20:21], 0
	s_waitcnt vmcnt(0)
	v_cmp_lt_i16_e32 vcc, s16, v4
	s_and_saveexec_b64 s[16:17], vcc
	s_xor_b64 s[16:17], exec, s[16:17]
	s_cbranch_execz .LBB142_1933
; %bb.1917:
	s_movk_i32 s20, 0x80
	v_cmp_ne_u16_e32 vcc, s20, v4
	s_and_b64 s[20:21], vcc, exec
	s_andn2_saveexec_b64 s[16:17], s[16:17]
	s_cbranch_execnz .LBB142_1934
.LBB142_1918:
	s_or_b64 exec, exec, s[16:17]
	v_mov_b32_e32 v3, 0
	s_and_saveexec_b64 s[16:17], s[20:21]
	s_cbranch_execz .LBB142_1920
.LBB142_1919:
	v_lshlrev_b32_e32 v3, 24, v4
	v_and_b32_e32 v4, 0xffff, v4
	v_and_b32_e32 v9, 7, v4
	v_ffbh_u32_e32 v12, v9
	v_min_u32_e32 v12, 32, v12
	v_subrev_u32_e32 v13, 28, v12
	v_bfe_u32 v10, v4, 3, 4
	v_lshlrev_b32_e32 v4, v13, v4
	v_sub_u32_e32 v12, 29, v12
	v_and_b32_e32 v4, 7, v4
	v_cmp_eq_u32_e32 vcc, 0, v10
	v_cndmask_b32_e32 v10, v10, v12, vcc
	v_cndmask_b32_e32 v4, v9, v4, vcc
	v_mov_b32_e32 v9, 0x3b800000
	v_lshlrev_b32_e32 v4, 20, v4
	v_and_b32_e32 v3, 0x80000000, v3
	v_lshl_add_u32 v9, v10, 23, v9
	v_or3_b32 v3, v3, v9, v4
	v_trunc_f32_e32 v3, v3
	s_mov_b32 s20, 0x2f800000
	v_mul_f32_e64 v4, |v3|, s20
	v_floor_f32_e32 v4, v4
	s_mov_b32 s20, 0xcf800000
	v_fma_f32 v4, v4, s20, |v3|
	v_cvt_u32_f32_e32 v4, v4
	v_ashrrev_i32_e32 v3, 31, v3
	v_xor_b32_e32 v4, v4, v3
	v_sub_u32_e32 v3, v4, v3
.LBB142_1920:
	s_or_b64 exec, exec, s[16:17]
.LBB142_1921:
	s_mov_b64 s[16:17], -1
.LBB142_1922:
	s_mov_b64 s[20:21], 0
.LBB142_1923:
	s_and_b64 vcc, exec, s[20:21]
	s_cbranch_vccz .LBB142_1954
; %bb.1924:
	s_cmp_gt_i32 s23, 22
	s_cbranch_scc0 .LBB142_1932
; %bb.1925:
	s_cmp_lt_i32 s23, 24
	s_cbranch_scc1 .LBB142_1935
; %bb.1926:
	s_cmp_gt_i32 s23, 24
	s_cbranch_scc0 .LBB142_1936
; %bb.1927:
	global_load_ubyte v4, v[5:6], off
	s_movk_i32 s14, 0x7f
	s_mov_b64 s[16:17], 0
	s_waitcnt vmcnt(0)
	v_cmp_lt_i16_e32 vcc, s14, v4
	s_and_saveexec_b64 s[14:15], vcc
	s_xor_b64 s[14:15], exec, s[14:15]
	s_cbranch_execz .LBB142_1948
; %bb.1928:
	s_movk_i32 s16, 0x80
	v_cmp_ne_u16_e32 vcc, s16, v4
	s_and_b64 s[16:17], vcc, exec
	s_andn2_saveexec_b64 s[14:15], s[14:15]
	s_cbranch_execnz .LBB142_1949
.LBB142_1929:
	s_or_b64 exec, exec, s[14:15]
	v_mov_b32_e32 v3, 0
	s_and_saveexec_b64 s[14:15], s[16:17]
	s_cbranch_execz .LBB142_1931
.LBB142_1930:
	v_lshlrev_b32_e32 v3, 24, v4
	v_and_b32_e32 v4, 0xffff, v4
	v_and_b32_e32 v9, 3, v4
	v_ffbh_u32_e32 v12, v9
	v_min_u32_e32 v12, 32, v12
	v_subrev_u32_e32 v13, 29, v12
	v_bfe_u32 v10, v4, 2, 5
	v_lshlrev_b32_e32 v4, v13, v4
	v_sub_u32_e32 v12, 30, v12
	v_and_b32_e32 v4, 3, v4
	v_cmp_eq_u32_e32 vcc, 0, v10
	v_cndmask_b32_e32 v10, v10, v12, vcc
	v_cndmask_b32_e32 v4, v9, v4, vcc
	v_mov_b32_e32 v9, 0x37800000
	v_lshlrev_b32_e32 v4, 21, v4
	v_and_b32_e32 v3, 0x80000000, v3
	v_lshl_add_u32 v9, v10, 23, v9
	v_or3_b32 v3, v3, v9, v4
	v_trunc_f32_e32 v3, v3
	s_mov_b32 s16, 0x2f800000
	v_mul_f32_e64 v4, |v3|, s16
	v_floor_f32_e32 v4, v4
	s_mov_b32 s16, 0xcf800000
	v_fma_f32 v4, v4, s16, |v3|
	v_cvt_u32_f32_e32 v4, v4
	v_ashrrev_i32_e32 v3, 31, v3
	v_xor_b32_e32 v4, v4, v3
	v_sub_u32_e32 v3, v4, v3
.LBB142_1931:
	s_or_b64 exec, exec, s[14:15]
	s_mov_b64 s[14:15], 0
	s_branch .LBB142_1937
.LBB142_1932:
	s_mov_b64 s[14:15], -1
                                        ; implicit-def: $vgpr3
	s_branch .LBB142_1943
.LBB142_1933:
	s_andn2_saveexec_b64 s[16:17], s[16:17]
	s_cbranch_execz .LBB142_1918
.LBB142_1934:
	v_cmp_ne_u16_e32 vcc, 0, v4
	s_andn2_b64 s[20:21], s[20:21], exec
	s_and_b64 s[26:27], vcc, exec
	s_or_b64 s[20:21], s[20:21], s[26:27]
	s_or_b64 exec, exec, s[16:17]
	v_mov_b32_e32 v3, 0
	s_and_saveexec_b64 s[16:17], s[20:21]
	s_cbranch_execnz .LBB142_1919
	s_branch .LBB142_1920
.LBB142_1935:
	s_mov_b64 s[14:15], -1
                                        ; implicit-def: $vgpr3
	s_branch .LBB142_1940
.LBB142_1936:
	s_mov_b64 s[14:15], -1
                                        ; implicit-def: $vgpr3
.LBB142_1937:
	s_and_b64 vcc, exec, s[14:15]
	s_cbranch_vccz .LBB142_1939
; %bb.1938:
	global_load_ubyte v3, v[5:6], off
	s_mov_b32 s14, 0x7f800000
	s_brev_b32 s15, 1
	s_mov_b32 s16, 0x2f800000
	s_waitcnt vmcnt(0)
	v_lshlrev_b32_e32 v3, 24, v3
	v_and_b32_e32 v4, 0x7f000000, v3
	v_ffbh_u32_e32 v9, v4
	v_min_u32_e32 v9, 32, v9
	v_sub_u32_e64 v9, v9, 4 clamp
	v_lshlrev_b32_e32 v12, v9, v4
	v_lshlrev_b32_e32 v9, 23, v9
	v_lshrrev_b32_e32 v12, 4, v12
	v_add_u32_e32 v10, 0x1000000, v4
	v_sub_u32_e32 v9, v12, v9
	v_ashrrev_i32_e32 v10, 8, v10
	v_add_u32_e32 v9, 0x3c000000, v9
	v_and_or_b32 v9, v10, s14, v9
	v_cmp_ne_u32_e32 vcc, 0, v4
	v_cndmask_b32_e32 v4, 0, v9, vcc
	v_and_or_b32 v3, v3, s15, v4
	v_trunc_f32_e32 v3, v3
	v_mul_f32_e64 v4, |v3|, s16
	v_floor_f32_e32 v4, v4
	s_mov_b32 s14, 0xcf800000
	v_fma_f32 v4, v4, s14, |v3|
	v_cvt_u32_f32_e32 v4, v4
	v_ashrrev_i32_e32 v3, 31, v3
	v_xor_b32_e32 v4, v4, v3
	v_sub_u32_e32 v3, v4, v3
.LBB142_1939:
	s_mov_b64 s[14:15], 0
.LBB142_1940:
	s_andn2_b64 vcc, exec, s[14:15]
	s_cbranch_vccnz .LBB142_1942
; %bb.1941:
	global_load_ubyte v3, v[5:6], off
	s_movk_i32 s14, 0x7f00
	s_brev_b32 s15, 16
	s_brev_b32 s16, 1
	s_mov_b32 s17, 0x2f800000
	s_waitcnt vmcnt(0)
	v_lshlrev_b16_e32 v4, 8, v3
	v_lshlrev_b32_e32 v3, 25, v3
	v_lshrrev_b32_e32 v9, 4, v3
	v_and_or_b32 v10, v4, s14, 0.5
	v_or_b32_e32 v9, 0x70000000, v9
	v_add_f32_e32 v10, -0.5, v10
	v_mul_f32_e32 v9, 0x7800000, v9
	v_cmp_gt_u32_e32 vcc, s15, v3
	v_bfe_i32 v4, v4, 0, 16
	v_cndmask_b32_e32 v3, v9, v10, vcc
	v_and_or_b32 v3, v4, s16, v3
	v_trunc_f32_e32 v3, v3
	v_mul_f32_e64 v4, |v3|, s17
	v_floor_f32_e32 v4, v4
	s_mov_b32 s14, 0xcf800000
	v_fma_f32 v4, v4, s14, |v3|
	v_cvt_u32_f32_e32 v4, v4
	v_ashrrev_i32_e32 v3, 31, v3
	v_xor_b32_e32 v4, v4, v3
	v_sub_u32_e32 v3, v4, v3
.LBB142_1942:
	s_mov_b64 s[14:15], 0
	s_mov_b64 s[16:17], -1
.LBB142_1943:
	s_andn2_b64 vcc, exec, s[14:15]
	s_mov_b64 s[14:15], 0
	s_cbranch_vccnz .LBB142_1954
; %bb.1944:
	s_cmp_gt_i32 s23, 14
	s_cbranch_scc0 .LBB142_1947
; %bb.1945:
	s_cmp_eq_u32 s23, 15
	s_cbranch_scc0 .LBB142_1950
; %bb.1946:
	global_load_ushort v3, v[5:6], off
	s_mov_b32 s0, 0x2f800000
	s_mov_b32 s1, 0xcf800000
	s_mov_b64 s[16:17], -1
	s_waitcnt vmcnt(0)
	v_lshlrev_b32_e32 v3, 16, v3
	v_trunc_f32_e32 v3, v3
	v_mul_f32_e64 v4, |v3|, s0
	v_floor_f32_e32 v4, v4
	v_fma_f32 v4, v4, s1, |v3|
	v_cvt_u32_f32_e32 v4, v4
	v_ashrrev_i32_e32 v3, 31, v3
	s_mov_b64 s[0:1], 0
	v_xor_b32_e32 v4, v4, v3
	v_sub_u32_e32 v3, v4, v3
	s_branch .LBB142_1951
.LBB142_1947:
	s_mov_b64 s[20:21], -1
                                        ; implicit-def: $vgpr3
	s_branch .LBB142_1952
.LBB142_1948:
	s_andn2_saveexec_b64 s[14:15], s[14:15]
	s_cbranch_execz .LBB142_1929
.LBB142_1949:
	v_cmp_ne_u16_e32 vcc, 0, v4
	s_andn2_b64 s[16:17], s[16:17], exec
	s_and_b64 s[20:21], vcc, exec
	s_or_b64 s[16:17], s[16:17], s[20:21]
	s_or_b64 exec, exec, s[14:15]
	v_mov_b32_e32 v3, 0
	s_and_saveexec_b64 s[14:15], s[16:17]
	s_cbranch_execnz .LBB142_1930
	s_branch .LBB142_1931
.LBB142_1950:
	s_mov_b64 s[0:1], -1
                                        ; implicit-def: $vgpr3
.LBB142_1951:
	s_mov_b64 s[20:21], 0
.LBB142_1952:
	s_and_b64 vcc, exec, s[20:21]
	s_cbranch_vccz .LBB142_1954
; %bb.1953:
	s_cmp_lg_u32 s23, 11
	s_mov_b64 s[14:15], -1
	s_cselect_b64 s[0:1], -1, 0
.LBB142_1954:
	s_and_b64 vcc, exec, s[0:1]
	s_cbranch_vccnz .LBB142_2019
; %bb.1955:
	s_andn2_b64 vcc, exec, s[14:15]
	s_cbranch_vccnz .LBB142_1957
.LBB142_1956:
	global_load_ubyte v3, v[5:6], off
	s_mov_b64 s[16:17], -1
	s_waitcnt vmcnt(0)
	v_cmp_ne_u16_e32 vcc, 0, v3
	v_cndmask_b32_e64 v3, 0, 1, vcc
.LBB142_1957:
	s_mov_b64 s[0:1], 0
.LBB142_1958:
	s_and_b64 vcc, exec, s[0:1]
	s_cbranch_vccz .LBB142_2007
; %bb.1959:
	s_and_b32 s14, 0xffff, s25
	s_cmp_lt_i32 s14, 5
	s_cbranch_scc1 .LBB142_1964
; %bb.1960:
	s_cmp_lt_i32 s14, 8
	s_cbranch_scc1 .LBB142_1965
; %bb.1961:
	;; [unrolled: 3-line block ×3, first 2 shown]
	s_cmp_gt_i32 s14, 9
	s_cbranch_scc0 .LBB142_1967
; %bb.1963:
	global_load_dwordx2 v[3:4], v[5:6], off
	s_movk_i32 s0, 0xffe0
	s_waitcnt vmcnt(0)
	v_trunc_f64_e32 v[3:4], v[3:4]
	v_ldexp_f64 v[9:10], v[3:4], s0
	s_mov_b32 s0, 0
	s_mov_b32 s1, 0xc1f00000
	v_floor_f64_e32 v[9:10], v[9:10]
	v_fma_f64 v[3:4], v[9:10], s[0:1], v[3:4]
	s_mov_b64 s[0:1], 0
	v_cvt_u32_f64_e32 v3, v[3:4]
	s_branch .LBB142_1968
.LBB142_1964:
	s_mov_b64 s[0:1], -1
                                        ; implicit-def: $vgpr3
	s_branch .LBB142_1986
.LBB142_1965:
	s_mov_b64 s[0:1], -1
                                        ; implicit-def: $vgpr3
	s_branch .LBB142_1974
.LBB142_1966:
	s_mov_b64 s[0:1], -1
                                        ; implicit-def: $vgpr3
	s_branch .LBB142_1971
.LBB142_1967:
	s_mov_b64 s[0:1], -1
                                        ; implicit-def: $vgpr3
.LBB142_1968:
	s_andn2_b64 vcc, exec, s[0:1]
	s_cbranch_vccnz .LBB142_1970
; %bb.1969:
	global_load_dword v3, v[5:6], off
	s_mov_b32 s0, 0x2f800000
	s_waitcnt vmcnt(0)
	v_trunc_f32_e32 v3, v3
	v_mul_f32_e64 v4, |v3|, s0
	v_floor_f32_e32 v4, v4
	s_mov_b32 s0, 0xcf800000
	v_fma_f32 v4, v4, s0, |v3|
	v_cvt_u32_f32_e32 v4, v4
	v_ashrrev_i32_e32 v3, 31, v3
	v_xor_b32_e32 v4, v4, v3
	v_sub_u32_e32 v3, v4, v3
.LBB142_1970:
	s_mov_b64 s[0:1], 0
.LBB142_1971:
	s_andn2_b64 vcc, exec, s[0:1]
	s_cbranch_vccnz .LBB142_1973
; %bb.1972:
	global_load_dword v3, v[5:6], off
	s_waitcnt vmcnt(0)
	v_cvt_f32_f16_e32 v3, v3
	v_cvt_i32_f32_e32 v3, v3
.LBB142_1973:
	s_mov_b64 s[0:1], 0
.LBB142_1974:
	s_andn2_b64 vcc, exec, s[0:1]
	s_cbranch_vccnz .LBB142_1985
; %bb.1975:
	s_cmp_lt_i32 s14, 6
	s_cbranch_scc1 .LBB142_1978
; %bb.1976:
	s_cmp_gt_i32 s14, 6
	s_cbranch_scc0 .LBB142_1979
; %bb.1977:
	global_load_dwordx2 v[3:4], v[5:6], off
	s_movk_i32 s0, 0xffe0
	s_waitcnt vmcnt(0)
	v_trunc_f64_e32 v[3:4], v[3:4]
	v_ldexp_f64 v[9:10], v[3:4], s0
	s_mov_b32 s0, 0
	s_mov_b32 s1, 0xc1f00000
	v_floor_f64_e32 v[9:10], v[9:10]
	v_fma_f64 v[3:4], v[9:10], s[0:1], v[3:4]
	s_mov_b64 s[0:1], 0
	v_cvt_u32_f64_e32 v3, v[3:4]
	s_branch .LBB142_1980
.LBB142_1978:
	s_mov_b64 s[0:1], -1
                                        ; implicit-def: $vgpr3
	s_branch .LBB142_1983
.LBB142_1979:
	s_mov_b64 s[0:1], -1
                                        ; implicit-def: $vgpr3
.LBB142_1980:
	s_andn2_b64 vcc, exec, s[0:1]
	s_cbranch_vccnz .LBB142_1982
; %bb.1981:
	global_load_dword v3, v[5:6], off
	s_mov_b32 s0, 0x2f800000
	s_waitcnt vmcnt(0)
	v_trunc_f32_e32 v3, v3
	v_mul_f32_e64 v4, |v3|, s0
	v_floor_f32_e32 v4, v4
	s_mov_b32 s0, 0xcf800000
	v_fma_f32 v4, v4, s0, |v3|
	v_cvt_u32_f32_e32 v4, v4
	v_ashrrev_i32_e32 v3, 31, v3
	v_xor_b32_e32 v4, v4, v3
	v_sub_u32_e32 v3, v4, v3
.LBB142_1982:
	s_mov_b64 s[0:1], 0
.LBB142_1983:
	s_andn2_b64 vcc, exec, s[0:1]
	s_cbranch_vccnz .LBB142_1985
; %bb.1984:
	global_load_ushort v3, v[5:6], off
	s_waitcnt vmcnt(0)
	v_cvt_f32_f16_e32 v3, v3
	v_cvt_i32_f32_e32 v3, v3
.LBB142_1985:
	s_mov_b64 s[0:1], 0
.LBB142_1986:
	s_andn2_b64 vcc, exec, s[0:1]
	s_cbranch_vccnz .LBB142_2006
; %bb.1987:
	s_cmp_lt_i32 s14, 2
	s_cbranch_scc1 .LBB142_1991
; %bb.1988:
	s_cmp_lt_i32 s14, 3
	s_cbranch_scc1 .LBB142_1992
; %bb.1989:
	s_cmp_gt_i32 s14, 3
	s_cbranch_scc0 .LBB142_1993
; %bb.1990:
	global_load_dwordx2 v[3:4], v[5:6], off
	s_mov_b64 s[0:1], 0
	s_branch .LBB142_1994
.LBB142_1991:
	s_mov_b64 s[0:1], -1
                                        ; implicit-def: $vgpr3
	s_branch .LBB142_2000
.LBB142_1992:
	s_mov_b64 s[0:1], -1
                                        ; implicit-def: $vgpr3
	s_branch .LBB142_1997
.LBB142_1993:
	s_mov_b64 s[0:1], -1
                                        ; implicit-def: $vgpr3
.LBB142_1994:
	s_andn2_b64 vcc, exec, s[0:1]
	s_cbranch_vccnz .LBB142_1996
; %bb.1995:
	global_load_dword v3, v[5:6], off
.LBB142_1996:
	s_mov_b64 s[0:1], 0
.LBB142_1997:
	s_andn2_b64 vcc, exec, s[0:1]
	s_cbranch_vccnz .LBB142_1999
; %bb.1998:
	global_load_ushort v3, v[5:6], off
.LBB142_1999:
	s_mov_b64 s[0:1], 0
.LBB142_2000:
	s_andn2_b64 vcc, exec, s[0:1]
	s_cbranch_vccnz .LBB142_2006
; %bb.2001:
	s_cmp_gt_i32 s14, 0
	s_cbranch_scc0 .LBB142_2003
; %bb.2002:
	global_load_ubyte v3, v[5:6], off
	s_mov_b64 s[0:1], 0
	s_branch .LBB142_2004
.LBB142_2003:
	s_mov_b64 s[0:1], -1
                                        ; implicit-def: $vgpr3
.LBB142_2004:
	s_andn2_b64 vcc, exec, s[0:1]
	s_cbranch_vccnz .LBB142_2006
; %bb.2005:
	global_load_ubyte v3, v[5:6], off
.LBB142_2006:
	s_mov_b64 s[16:17], -1
.LBB142_2007:
	s_andn2_b64 vcc, exec, s[16:17]
	s_cbranch_vccnz .LBB142_2947
; %bb.2008:
	v_add_u32_e32 v9, s13, v7
	s_waitcnt vmcnt(0)
	v_ashrrev_i32_e32 v4, 31, v9
	v_mov_b32_e32 v5, s11
	v_add_co_u32_e32 v6, vcc, s10, v9
	s_cmp_lt_i32 s24, 11
	v_addc_co_u32_e32 v7, vcc, v5, v4, vcc
	s_cbranch_scc1 .LBB142_2015
; %bb.2009:
	s_and_b32 s23, 0xffff, s24
	s_cmp_gt_i32 s23, 25
	s_mov_b64 s[14:15], 0
	s_cbranch_scc0 .LBB142_2016
; %bb.2010:
	s_cmp_gt_i32 s23, 28
	s_cbranch_scc0 .LBB142_2017
; %bb.2011:
	s_cmp_gt_i32 s23, 43
	;; [unrolled: 3-line block ×3, first 2 shown]
	s_cbranch_scc0 .LBB142_2020
; %bb.2013:
	s_cmp_eq_u32 s23, 46
	s_mov_b64 s[20:21], 0
	s_cbranch_scc0 .LBB142_2021
; %bb.2014:
	global_load_dword v4, v[6:7], off
	s_mov_b32 s0, 0x2f800000
	s_mov_b32 s1, 0xcf800000
	s_mov_b64 s[16:17], -1
	s_waitcnt vmcnt(0)
	v_lshlrev_b32_e32 v4, 16, v4
	v_trunc_f32_e32 v4, v4
	v_mul_f32_e64 v5, |v4|, s0
	v_floor_f32_e32 v5, v5
	v_fma_f32 v5, v5, s1, |v4|
	v_cvt_u32_f32_e32 v5, v5
	v_ashrrev_i32_e32 v4, 31, v4
	s_mov_b64 s[0:1], 0
	v_xor_b32_e32 v5, v5, v4
	v_sub_u32_e32 v4, v5, v4
	s_branch .LBB142_2022
.LBB142_2015:
	s_mov_b64 s[0:1], -1
	s_mov_b64 s[16:17], 0
                                        ; implicit-def: $vgpr4
	s_branch .LBB142_2084
.LBB142_2016:
	s_mov_b64 s[20:21], -1
	s_mov_b64 s[16:17], 0
	s_mov_b64 s[0:1], 0
                                        ; implicit-def: $vgpr4
	s_branch .LBB142_2049
.LBB142_2017:
	s_mov_b64 s[20:21], -1
	s_mov_b64 s[16:17], 0
	s_mov_b64 s[0:1], 0
                                        ; implicit-def: $vgpr4
	s_branch .LBB142_2032
.LBB142_2018:
	s_mov_b64 s[20:21], -1
	s_mov_b64 s[16:17], 0
	s_mov_b64 s[0:1], 0
                                        ; implicit-def: $vgpr4
	s_branch .LBB142_2027
.LBB142_2019:
	s_trap 2
	s_or_b64 s[18:19], s[18:19], exec
	s_cbranch_execz .LBB142_1956
	s_branch .LBB142_1957
.LBB142_2020:
	s_mov_b64 s[20:21], -1
	s_mov_b64 s[16:17], 0
	s_mov_b64 s[0:1], 0
                                        ; implicit-def: $vgpr4
	s_branch .LBB142_2022
.LBB142_2021:
	s_mov_b64 s[0:1], -1
                                        ; implicit-def: $vgpr4
	s_mov_b64 s[16:17], 0
.LBB142_2022:
	s_and_b64 vcc, exec, s[20:21]
	s_cbranch_vccz .LBB142_2026
; %bb.2023:
	s_cmp_eq_u32 s23, 44
	s_cbranch_scc0 .LBB142_2025
; %bb.2024:
	global_load_ubyte v4, v[6:7], off
	s_mov_b32 s0, 0x2f800000
	s_mov_b32 s1, 0xcf800000
	s_mov_b64 s[16:17], -1
	s_waitcnt vmcnt(0)
	v_lshlrev_b32_e32 v5, 23, v4
	v_trunc_f32_e32 v5, v5
	v_mul_f32_e64 v10, |v5|, s0
	v_floor_f32_e32 v10, v10
	v_fma_f32 v10, v10, s1, |v5|
	v_cvt_u32_f32_e32 v10, v10
	v_ashrrev_i32_e32 v5, 31, v5
	v_cmp_ne_u32_e32 vcc, 0, v4
	s_mov_b64 s[0:1], 0
	v_xor_b32_e32 v10, v10, v5
	v_sub_u32_e32 v5, v10, v5
	v_cndmask_b32_e32 v4, 0, v5, vcc
	s_branch .LBB142_2026
.LBB142_2025:
	s_mov_b64 s[0:1], -1
                                        ; implicit-def: $vgpr4
.LBB142_2026:
	s_mov_b64 s[20:21], 0
.LBB142_2027:
	s_and_b64 vcc, exec, s[20:21]
	s_cbranch_vccz .LBB142_2031
; %bb.2028:
	s_cmp_eq_u32 s23, 29
	s_cbranch_scc0 .LBB142_2030
; %bb.2029:
	global_load_dwordx2 v[4:5], v[6:7], off
	s_mov_b64 s[0:1], 0
	s_mov_b64 s[16:17], -1
	s_branch .LBB142_2031
.LBB142_2030:
	s_mov_b64 s[0:1], -1
                                        ; implicit-def: $vgpr4
.LBB142_2031:
	s_mov_b64 s[20:21], 0
.LBB142_2032:
	s_and_b64 vcc, exec, s[20:21]
	s_cbranch_vccz .LBB142_2048
; %bb.2033:
	s_cmp_lt_i32 s23, 27
	s_cbranch_scc1 .LBB142_2036
; %bb.2034:
	s_cmp_gt_i32 s23, 27
	s_cbranch_scc0 .LBB142_2037
; %bb.2035:
	global_load_dword v4, v[6:7], off
	s_mov_b64 s[16:17], 0
	s_branch .LBB142_2038
.LBB142_2036:
	s_mov_b64 s[16:17], -1
                                        ; implicit-def: $vgpr4
	s_branch .LBB142_2041
.LBB142_2037:
	s_mov_b64 s[16:17], -1
                                        ; implicit-def: $vgpr4
.LBB142_2038:
	s_andn2_b64 vcc, exec, s[16:17]
	s_cbranch_vccnz .LBB142_2040
; %bb.2039:
	global_load_ushort v4, v[6:7], off
.LBB142_2040:
	s_mov_b64 s[16:17], 0
.LBB142_2041:
	s_andn2_b64 vcc, exec, s[16:17]
	s_cbranch_vccnz .LBB142_2047
; %bb.2042:
	global_load_ubyte v5, v[6:7], off
	s_movk_i32 s16, 0x7f
	s_mov_b64 s[20:21], 0
	s_waitcnt vmcnt(0)
	v_cmp_lt_i16_e32 vcc, s16, v5
	s_and_saveexec_b64 s[16:17], vcc
	s_xor_b64 s[16:17], exec, s[16:17]
	s_cbranch_execz .LBB142_2059
; %bb.2043:
	s_movk_i32 s20, 0x80
	v_cmp_ne_u16_e32 vcc, s20, v5
	s_and_b64 s[20:21], vcc, exec
	s_andn2_saveexec_b64 s[16:17], s[16:17]
	s_cbranch_execnz .LBB142_2060
.LBB142_2044:
	s_or_b64 exec, exec, s[16:17]
	v_mov_b32_e32 v4, 0
	s_and_saveexec_b64 s[16:17], s[20:21]
	s_cbranch_execz .LBB142_2046
.LBB142_2045:
	v_lshlrev_b32_e32 v4, 24, v5
	v_and_b32_e32 v5, 0xffff, v5
	v_and_b32_e32 v10, 7, v5
	v_ffbh_u32_e32 v13, v10
	v_min_u32_e32 v13, 32, v13
	v_subrev_u32_e32 v14, 28, v13
	v_bfe_u32 v12, v5, 3, 4
	v_lshlrev_b32_e32 v5, v14, v5
	v_sub_u32_e32 v13, 29, v13
	v_and_b32_e32 v5, 7, v5
	v_cmp_eq_u32_e32 vcc, 0, v12
	v_cndmask_b32_e32 v12, v12, v13, vcc
	v_cndmask_b32_e32 v5, v10, v5, vcc
	v_mov_b32_e32 v10, 0x3b800000
	v_lshlrev_b32_e32 v5, 20, v5
	v_and_b32_e32 v4, 0x80000000, v4
	v_lshl_add_u32 v10, v12, 23, v10
	v_or3_b32 v4, v4, v10, v5
	v_trunc_f32_e32 v4, v4
	s_mov_b32 s20, 0x2f800000
	v_mul_f32_e64 v5, |v4|, s20
	v_floor_f32_e32 v5, v5
	s_mov_b32 s20, 0xcf800000
	v_fma_f32 v5, v5, s20, |v4|
	v_cvt_u32_f32_e32 v5, v5
	v_ashrrev_i32_e32 v4, 31, v4
	v_xor_b32_e32 v5, v5, v4
	v_sub_u32_e32 v4, v5, v4
.LBB142_2046:
	s_or_b64 exec, exec, s[16:17]
.LBB142_2047:
	s_mov_b64 s[16:17], -1
.LBB142_2048:
	s_mov_b64 s[20:21], 0
.LBB142_2049:
	s_and_b64 vcc, exec, s[20:21]
	s_cbranch_vccz .LBB142_2080
; %bb.2050:
	s_cmp_gt_i32 s23, 22
	s_cbranch_scc0 .LBB142_2058
; %bb.2051:
	s_cmp_lt_i32 s23, 24
	s_cbranch_scc1 .LBB142_2061
; %bb.2052:
	s_cmp_gt_i32 s23, 24
	s_cbranch_scc0 .LBB142_2062
; %bb.2053:
	global_load_ubyte v5, v[6:7], off
	s_movk_i32 s14, 0x7f
	s_mov_b64 s[16:17], 0
	s_waitcnt vmcnt(0)
	v_cmp_lt_i16_e32 vcc, s14, v5
	s_and_saveexec_b64 s[14:15], vcc
	s_xor_b64 s[14:15], exec, s[14:15]
	s_cbranch_execz .LBB142_2074
; %bb.2054:
	s_movk_i32 s16, 0x80
	v_cmp_ne_u16_e32 vcc, s16, v5
	s_and_b64 s[16:17], vcc, exec
	s_andn2_saveexec_b64 s[14:15], s[14:15]
	s_cbranch_execnz .LBB142_2075
.LBB142_2055:
	s_or_b64 exec, exec, s[14:15]
	v_mov_b32_e32 v4, 0
	s_and_saveexec_b64 s[14:15], s[16:17]
	s_cbranch_execz .LBB142_2057
.LBB142_2056:
	v_lshlrev_b32_e32 v4, 24, v5
	v_and_b32_e32 v5, 0xffff, v5
	v_and_b32_e32 v10, 3, v5
	v_ffbh_u32_e32 v13, v10
	v_min_u32_e32 v13, 32, v13
	v_subrev_u32_e32 v14, 29, v13
	v_bfe_u32 v12, v5, 2, 5
	v_lshlrev_b32_e32 v5, v14, v5
	v_sub_u32_e32 v13, 30, v13
	v_and_b32_e32 v5, 3, v5
	v_cmp_eq_u32_e32 vcc, 0, v12
	v_cndmask_b32_e32 v12, v12, v13, vcc
	v_cndmask_b32_e32 v5, v10, v5, vcc
	v_mov_b32_e32 v10, 0x37800000
	v_lshlrev_b32_e32 v5, 21, v5
	v_and_b32_e32 v4, 0x80000000, v4
	v_lshl_add_u32 v10, v12, 23, v10
	v_or3_b32 v4, v4, v10, v5
	v_trunc_f32_e32 v4, v4
	s_mov_b32 s16, 0x2f800000
	v_mul_f32_e64 v5, |v4|, s16
	v_floor_f32_e32 v5, v5
	s_mov_b32 s16, 0xcf800000
	v_fma_f32 v5, v5, s16, |v4|
	v_cvt_u32_f32_e32 v5, v5
	v_ashrrev_i32_e32 v4, 31, v4
	v_xor_b32_e32 v5, v5, v4
	v_sub_u32_e32 v4, v5, v4
.LBB142_2057:
	s_or_b64 exec, exec, s[14:15]
	s_mov_b64 s[14:15], 0
	s_branch .LBB142_2063
.LBB142_2058:
	s_mov_b64 s[14:15], -1
                                        ; implicit-def: $vgpr4
	s_branch .LBB142_2069
.LBB142_2059:
	s_andn2_saveexec_b64 s[16:17], s[16:17]
	s_cbranch_execz .LBB142_2044
.LBB142_2060:
	v_cmp_ne_u16_e32 vcc, 0, v5
	s_andn2_b64 s[20:21], s[20:21], exec
	s_and_b64 s[26:27], vcc, exec
	s_or_b64 s[20:21], s[20:21], s[26:27]
	s_or_b64 exec, exec, s[16:17]
	v_mov_b32_e32 v4, 0
	s_and_saveexec_b64 s[16:17], s[20:21]
	s_cbranch_execnz .LBB142_2045
	s_branch .LBB142_2046
.LBB142_2061:
	s_mov_b64 s[14:15], -1
                                        ; implicit-def: $vgpr4
	s_branch .LBB142_2066
.LBB142_2062:
	s_mov_b64 s[14:15], -1
                                        ; implicit-def: $vgpr4
.LBB142_2063:
	s_and_b64 vcc, exec, s[14:15]
	s_cbranch_vccz .LBB142_2065
; %bb.2064:
	global_load_ubyte v4, v[6:7], off
	s_mov_b32 s14, 0x7f800000
	s_brev_b32 s15, 1
	s_mov_b32 s16, 0x2f800000
	s_waitcnt vmcnt(0)
	v_lshlrev_b32_e32 v4, 24, v4
	v_and_b32_e32 v5, 0x7f000000, v4
	v_ffbh_u32_e32 v10, v5
	v_min_u32_e32 v10, 32, v10
	v_sub_u32_e64 v10, v10, 4 clamp
	v_lshlrev_b32_e32 v13, v10, v5
	v_lshlrev_b32_e32 v10, 23, v10
	v_lshrrev_b32_e32 v13, 4, v13
	v_add_u32_e32 v12, 0x1000000, v5
	v_sub_u32_e32 v10, v13, v10
	v_ashrrev_i32_e32 v12, 8, v12
	v_add_u32_e32 v10, 0x3c000000, v10
	v_and_or_b32 v10, v12, s14, v10
	v_cmp_ne_u32_e32 vcc, 0, v5
	v_cndmask_b32_e32 v5, 0, v10, vcc
	v_and_or_b32 v4, v4, s15, v5
	v_trunc_f32_e32 v4, v4
	v_mul_f32_e64 v5, |v4|, s16
	v_floor_f32_e32 v5, v5
	s_mov_b32 s14, 0xcf800000
	v_fma_f32 v5, v5, s14, |v4|
	v_cvt_u32_f32_e32 v5, v5
	v_ashrrev_i32_e32 v4, 31, v4
	v_xor_b32_e32 v5, v5, v4
	v_sub_u32_e32 v4, v5, v4
.LBB142_2065:
	s_mov_b64 s[14:15], 0
.LBB142_2066:
	s_andn2_b64 vcc, exec, s[14:15]
	s_cbranch_vccnz .LBB142_2068
; %bb.2067:
	global_load_ubyte v4, v[6:7], off
	s_movk_i32 s14, 0x7f00
	s_brev_b32 s15, 16
	s_brev_b32 s16, 1
	s_mov_b32 s17, 0x2f800000
	s_waitcnt vmcnt(0)
	v_lshlrev_b16_e32 v5, 8, v4
	v_lshlrev_b32_e32 v4, 25, v4
	v_lshrrev_b32_e32 v10, 4, v4
	v_and_or_b32 v12, v5, s14, 0.5
	v_or_b32_e32 v10, 0x70000000, v10
	v_add_f32_e32 v12, -0.5, v12
	v_mul_f32_e32 v10, 0x7800000, v10
	v_cmp_gt_u32_e32 vcc, s15, v4
	v_bfe_i32 v5, v5, 0, 16
	v_cndmask_b32_e32 v4, v10, v12, vcc
	v_and_or_b32 v4, v5, s16, v4
	v_trunc_f32_e32 v4, v4
	v_mul_f32_e64 v5, |v4|, s17
	v_floor_f32_e32 v5, v5
	s_mov_b32 s14, 0xcf800000
	v_fma_f32 v5, v5, s14, |v4|
	v_cvt_u32_f32_e32 v5, v5
	v_ashrrev_i32_e32 v4, 31, v4
	v_xor_b32_e32 v5, v5, v4
	v_sub_u32_e32 v4, v5, v4
.LBB142_2068:
	s_mov_b64 s[14:15], 0
	s_mov_b64 s[16:17], -1
.LBB142_2069:
	s_andn2_b64 vcc, exec, s[14:15]
	s_mov_b64 s[14:15], 0
	s_cbranch_vccnz .LBB142_2080
; %bb.2070:
	s_cmp_gt_i32 s23, 14
	s_cbranch_scc0 .LBB142_2073
; %bb.2071:
	s_cmp_eq_u32 s23, 15
	s_cbranch_scc0 .LBB142_2076
; %bb.2072:
	global_load_ushort v4, v[6:7], off
	s_mov_b32 s0, 0x2f800000
	s_mov_b32 s1, 0xcf800000
	s_mov_b64 s[16:17], -1
	s_waitcnt vmcnt(0)
	v_lshlrev_b32_e32 v4, 16, v4
	v_trunc_f32_e32 v4, v4
	v_mul_f32_e64 v5, |v4|, s0
	v_floor_f32_e32 v5, v5
	v_fma_f32 v5, v5, s1, |v4|
	v_cvt_u32_f32_e32 v5, v5
	v_ashrrev_i32_e32 v4, 31, v4
	s_mov_b64 s[0:1], 0
	v_xor_b32_e32 v5, v5, v4
	v_sub_u32_e32 v4, v5, v4
	s_branch .LBB142_2077
.LBB142_2073:
	s_mov_b64 s[20:21], -1
                                        ; implicit-def: $vgpr4
	s_branch .LBB142_2078
.LBB142_2074:
	s_andn2_saveexec_b64 s[14:15], s[14:15]
	s_cbranch_execz .LBB142_2055
.LBB142_2075:
	v_cmp_ne_u16_e32 vcc, 0, v5
	s_andn2_b64 s[16:17], s[16:17], exec
	s_and_b64 s[20:21], vcc, exec
	s_or_b64 s[16:17], s[16:17], s[20:21]
	s_or_b64 exec, exec, s[14:15]
	v_mov_b32_e32 v4, 0
	s_and_saveexec_b64 s[14:15], s[16:17]
	s_cbranch_execnz .LBB142_2056
	s_branch .LBB142_2057
.LBB142_2076:
	s_mov_b64 s[0:1], -1
                                        ; implicit-def: $vgpr4
.LBB142_2077:
	s_mov_b64 s[20:21], 0
.LBB142_2078:
	s_and_b64 vcc, exec, s[20:21]
	s_cbranch_vccz .LBB142_2080
; %bb.2079:
	s_cmp_lg_u32 s23, 11
	s_mov_b64 s[14:15], -1
	s_cselect_b64 s[0:1], -1, 0
.LBB142_2080:
	s_and_b64 vcc, exec, s[0:1]
	s_cbranch_vccnz .LBB142_2145
; %bb.2081:
	s_andn2_b64 vcc, exec, s[14:15]
	s_cbranch_vccnz .LBB142_2083
.LBB142_2082:
	global_load_ubyte v4, v[6:7], off
	s_mov_b64 s[16:17], -1
	s_waitcnt vmcnt(0)
	v_cmp_ne_u16_e32 vcc, 0, v4
	v_cndmask_b32_e64 v4, 0, 1, vcc
.LBB142_2083:
	s_mov_b64 s[0:1], 0
.LBB142_2084:
	s_and_b64 vcc, exec, s[0:1]
	s_cbranch_vccz .LBB142_2133
; %bb.2085:
	s_and_b32 s14, 0xffff, s24
	s_cmp_lt_i32 s14, 5
	s_cbranch_scc1 .LBB142_2090
; %bb.2086:
	s_cmp_lt_i32 s14, 8
	s_cbranch_scc1 .LBB142_2091
; %bb.2087:
	;; [unrolled: 3-line block ×3, first 2 shown]
	s_cmp_gt_i32 s14, 9
	s_cbranch_scc0 .LBB142_2093
; %bb.2089:
	global_load_dwordx2 v[4:5], v[6:7], off
	s_movk_i32 s0, 0xffe0
	s_waitcnt vmcnt(0)
	v_trunc_f64_e32 v[4:5], v[4:5]
	v_ldexp_f64 v[12:13], v[4:5], s0
	s_mov_b32 s0, 0
	s_mov_b32 s1, 0xc1f00000
	v_floor_f64_e32 v[12:13], v[12:13]
	v_fma_f64 v[4:5], v[12:13], s[0:1], v[4:5]
	s_mov_b64 s[0:1], 0
	v_cvt_u32_f64_e32 v4, v[4:5]
	s_branch .LBB142_2094
.LBB142_2090:
	s_mov_b64 s[0:1], -1
                                        ; implicit-def: $vgpr4
	s_branch .LBB142_2112
.LBB142_2091:
	s_mov_b64 s[0:1], -1
                                        ; implicit-def: $vgpr4
	s_branch .LBB142_2100
.LBB142_2092:
	s_mov_b64 s[0:1], -1
                                        ; implicit-def: $vgpr4
	s_branch .LBB142_2097
.LBB142_2093:
	s_mov_b64 s[0:1], -1
                                        ; implicit-def: $vgpr4
.LBB142_2094:
	s_andn2_b64 vcc, exec, s[0:1]
	s_cbranch_vccnz .LBB142_2096
; %bb.2095:
	global_load_dword v4, v[6:7], off
	s_mov_b32 s0, 0x2f800000
	s_waitcnt vmcnt(0)
	v_trunc_f32_e32 v4, v4
	v_mul_f32_e64 v5, |v4|, s0
	v_floor_f32_e32 v5, v5
	s_mov_b32 s0, 0xcf800000
	v_fma_f32 v5, v5, s0, |v4|
	v_cvt_u32_f32_e32 v5, v5
	v_ashrrev_i32_e32 v4, 31, v4
	v_xor_b32_e32 v5, v5, v4
	v_sub_u32_e32 v4, v5, v4
.LBB142_2096:
	s_mov_b64 s[0:1], 0
.LBB142_2097:
	s_andn2_b64 vcc, exec, s[0:1]
	s_cbranch_vccnz .LBB142_2099
; %bb.2098:
	global_load_dword v4, v[6:7], off
	s_waitcnt vmcnt(0)
	v_cvt_f32_f16_e32 v4, v4
	v_cvt_i32_f32_e32 v4, v4
.LBB142_2099:
	s_mov_b64 s[0:1], 0
.LBB142_2100:
	s_andn2_b64 vcc, exec, s[0:1]
	s_cbranch_vccnz .LBB142_2111
; %bb.2101:
	s_cmp_lt_i32 s14, 6
	s_cbranch_scc1 .LBB142_2104
; %bb.2102:
	s_cmp_gt_i32 s14, 6
	s_cbranch_scc0 .LBB142_2105
; %bb.2103:
	global_load_dwordx2 v[4:5], v[6:7], off
	s_movk_i32 s0, 0xffe0
	s_waitcnt vmcnt(0)
	v_trunc_f64_e32 v[4:5], v[4:5]
	v_ldexp_f64 v[12:13], v[4:5], s0
	s_mov_b32 s0, 0
	s_mov_b32 s1, 0xc1f00000
	v_floor_f64_e32 v[12:13], v[12:13]
	v_fma_f64 v[4:5], v[12:13], s[0:1], v[4:5]
	s_mov_b64 s[0:1], 0
	v_cvt_u32_f64_e32 v4, v[4:5]
	s_branch .LBB142_2106
.LBB142_2104:
	s_mov_b64 s[0:1], -1
                                        ; implicit-def: $vgpr4
	s_branch .LBB142_2109
.LBB142_2105:
	s_mov_b64 s[0:1], -1
                                        ; implicit-def: $vgpr4
.LBB142_2106:
	s_andn2_b64 vcc, exec, s[0:1]
	s_cbranch_vccnz .LBB142_2108
; %bb.2107:
	global_load_dword v4, v[6:7], off
	s_mov_b32 s0, 0x2f800000
	s_waitcnt vmcnt(0)
	v_trunc_f32_e32 v4, v4
	v_mul_f32_e64 v5, |v4|, s0
	v_floor_f32_e32 v5, v5
	s_mov_b32 s0, 0xcf800000
	v_fma_f32 v5, v5, s0, |v4|
	v_cvt_u32_f32_e32 v5, v5
	v_ashrrev_i32_e32 v4, 31, v4
	v_xor_b32_e32 v5, v5, v4
	v_sub_u32_e32 v4, v5, v4
.LBB142_2108:
	s_mov_b64 s[0:1], 0
.LBB142_2109:
	s_andn2_b64 vcc, exec, s[0:1]
	s_cbranch_vccnz .LBB142_2111
; %bb.2110:
	global_load_ushort v4, v[6:7], off
	s_waitcnt vmcnt(0)
	v_cvt_f32_f16_e32 v4, v4
	v_cvt_i32_f32_e32 v4, v4
.LBB142_2111:
	s_mov_b64 s[0:1], 0
.LBB142_2112:
	s_andn2_b64 vcc, exec, s[0:1]
	s_cbranch_vccnz .LBB142_2132
; %bb.2113:
	s_cmp_lt_i32 s14, 2
	s_cbranch_scc1 .LBB142_2117
; %bb.2114:
	s_cmp_lt_i32 s14, 3
	s_cbranch_scc1 .LBB142_2118
; %bb.2115:
	s_cmp_gt_i32 s14, 3
	s_cbranch_scc0 .LBB142_2119
; %bb.2116:
	global_load_dwordx2 v[4:5], v[6:7], off
	s_mov_b64 s[0:1], 0
	s_branch .LBB142_2120
.LBB142_2117:
	s_mov_b64 s[0:1], -1
                                        ; implicit-def: $vgpr4
	s_branch .LBB142_2126
.LBB142_2118:
	s_mov_b64 s[0:1], -1
                                        ; implicit-def: $vgpr4
	s_branch .LBB142_2123
.LBB142_2119:
	s_mov_b64 s[0:1], -1
                                        ; implicit-def: $vgpr4
.LBB142_2120:
	s_andn2_b64 vcc, exec, s[0:1]
	s_cbranch_vccnz .LBB142_2122
; %bb.2121:
	global_load_dword v4, v[6:7], off
.LBB142_2122:
	s_mov_b64 s[0:1], 0
.LBB142_2123:
	s_andn2_b64 vcc, exec, s[0:1]
	s_cbranch_vccnz .LBB142_2125
; %bb.2124:
	global_load_ushort v4, v[6:7], off
.LBB142_2125:
	s_mov_b64 s[0:1], 0
.LBB142_2126:
	s_andn2_b64 vcc, exec, s[0:1]
	s_cbranch_vccnz .LBB142_2132
; %bb.2127:
	s_cmp_gt_i32 s14, 0
	s_cbranch_scc0 .LBB142_2129
; %bb.2128:
	global_load_ubyte v4, v[6:7], off
	s_mov_b64 s[0:1], 0
	s_branch .LBB142_2130
.LBB142_2129:
	s_mov_b64 s[0:1], -1
                                        ; implicit-def: $vgpr4
.LBB142_2130:
	s_andn2_b64 vcc, exec, s[0:1]
	s_cbranch_vccnz .LBB142_2132
; %bb.2131:
	global_load_ubyte v4, v[6:7], off
.LBB142_2132:
	s_mov_b64 s[16:17], -1
.LBB142_2133:
	s_andn2_b64 vcc, exec, s[16:17]
	s_cbranch_vccnz .LBB142_2947
; %bb.2134:
	v_add_u32_e32 v10, s22, v8
	s_waitcnt vmcnt(0)
	v_ashrrev_i32_e32 v5, 31, v10
	v_mov_b32_e32 v6, s3
	v_add_co_u32_e32 v7, vcc, s2, v10
	s_cmp_lt_i32 s25, 11
	v_addc_co_u32_e32 v8, vcc, v6, v5, vcc
	s_cbranch_scc1 .LBB142_2141
; %bb.2135:
	s_and_b32 s23, 0xffff, s25
	s_cmp_gt_i32 s23, 25
	s_mov_b64 s[14:15], 0
	s_cbranch_scc0 .LBB142_2142
; %bb.2136:
	s_cmp_gt_i32 s23, 28
	s_cbranch_scc0 .LBB142_2143
; %bb.2137:
	s_cmp_gt_i32 s23, 43
	;; [unrolled: 3-line block ×3, first 2 shown]
	s_cbranch_scc0 .LBB142_2146
; %bb.2139:
	s_cmp_eq_u32 s23, 46
	s_mov_b64 s[20:21], 0
	s_cbranch_scc0 .LBB142_2149
; %bb.2140:
	global_load_dword v5, v[7:8], off
	s_mov_b32 s0, 0x2f800000
	s_mov_b32 s1, 0xcf800000
	s_mov_b64 s[16:17], -1
	s_waitcnt vmcnt(0)
	v_lshlrev_b32_e32 v5, 16, v5
	v_trunc_f32_e32 v5, v5
	v_mul_f32_e64 v6, |v5|, s0
	v_floor_f32_e32 v6, v6
	v_fma_f32 v6, v6, s1, |v5|
	v_cvt_u32_f32_e32 v6, v6
	v_ashrrev_i32_e32 v5, 31, v5
	s_mov_b64 s[0:1], 0
	v_xor_b32_e32 v6, v6, v5
	v_sub_u32_e32 v5, v6, v5
	s_branch .LBB142_2150
.LBB142_2141:
	s_mov_b64 s[0:1], -1
	s_mov_b64 s[16:17], 0
                                        ; implicit-def: $vgpr5
	s_branch .LBB142_2212
.LBB142_2142:
	s_mov_b64 s[20:21], -1
	s_mov_b64 s[16:17], 0
	s_mov_b64 s[0:1], 0
                                        ; implicit-def: $vgpr5
	s_branch .LBB142_2177
.LBB142_2143:
	s_mov_b64 s[20:21], -1
	s_mov_b64 s[16:17], 0
	s_mov_b64 s[0:1], 0
                                        ; implicit-def: $vgpr5
	s_branch .LBB142_2160
.LBB142_2144:
	s_mov_b64 s[20:21], -1
	s_mov_b64 s[16:17], 0
	s_mov_b64 s[0:1], 0
                                        ; implicit-def: $vgpr5
	s_branch .LBB142_2155
.LBB142_2145:
	s_trap 2
	s_or_b64 s[18:19], s[18:19], exec
	s_cbranch_execz .LBB142_2082
	s_branch .LBB142_2083
.LBB142_2146:
	s_mov_b64 s[20:21], -1
	s_mov_b64 s[16:17], 0
	s_mov_b64 s[0:1], 0
                                        ; implicit-def: $vgpr5
	s_branch .LBB142_2150
.LBB142_2147:
	s_andn2_saveexec_b64 s[44:45], s[44:45]
	s_cbranch_execz .LBB142_1061
.LBB142_2148:
	v_add_f32_e32 v3, 0x42800000, v4
	v_and_b32_e32 v3, 0xff, v3
	v_cmp_ne_u32_e32 vcc, 0, v3
	s_andn2_b64 s[42:43], s[42:43], exec
	s_and_b64 s[50:51], vcc, exec
	s_or_b64 s[42:43], s[42:43], s[50:51]
	s_or_b64 exec, exec, s[44:45]
	v_mov_b32_e32 v5, 0
	s_and_saveexec_b64 s[44:45], s[42:43]
	s_cbranch_execnz .LBB142_1062
	s_branch .LBB142_1063
.LBB142_2149:
	s_mov_b64 s[0:1], -1
                                        ; implicit-def: $vgpr5
	s_mov_b64 s[16:17], 0
.LBB142_2150:
	s_and_b64 vcc, exec, s[20:21]
	s_cbranch_vccz .LBB142_2154
; %bb.2151:
	s_cmp_eq_u32 s23, 44
	s_cbranch_scc0 .LBB142_2153
; %bb.2152:
	global_load_ubyte v5, v[7:8], off
	s_mov_b32 s0, 0x2f800000
	s_mov_b32 s1, 0xcf800000
	s_mov_b64 s[16:17], -1
	s_waitcnt vmcnt(0)
	v_lshlrev_b32_e32 v6, 23, v5
	v_trunc_f32_e32 v6, v6
	v_mul_f32_e64 v12, |v6|, s0
	v_floor_f32_e32 v12, v12
	v_fma_f32 v12, v12, s1, |v6|
	v_cvt_u32_f32_e32 v12, v12
	v_ashrrev_i32_e32 v6, 31, v6
	v_cmp_ne_u32_e32 vcc, 0, v5
	s_mov_b64 s[0:1], 0
	v_xor_b32_e32 v12, v12, v6
	v_sub_u32_e32 v6, v12, v6
	v_cndmask_b32_e32 v5, 0, v6, vcc
	s_branch .LBB142_2154
.LBB142_2153:
	s_mov_b64 s[0:1], -1
                                        ; implicit-def: $vgpr5
.LBB142_2154:
	s_mov_b64 s[20:21], 0
.LBB142_2155:
	s_and_b64 vcc, exec, s[20:21]
	s_cbranch_vccz .LBB142_2159
; %bb.2156:
	s_cmp_eq_u32 s23, 29
	s_cbranch_scc0 .LBB142_2158
; %bb.2157:
	global_load_dwordx2 v[5:6], v[7:8], off
	s_mov_b64 s[0:1], 0
	s_mov_b64 s[16:17], -1
	s_branch .LBB142_2159
.LBB142_2158:
	s_mov_b64 s[0:1], -1
                                        ; implicit-def: $vgpr5
.LBB142_2159:
	s_mov_b64 s[20:21], 0
.LBB142_2160:
	s_and_b64 vcc, exec, s[20:21]
	s_cbranch_vccz .LBB142_2176
; %bb.2161:
	s_cmp_lt_i32 s23, 27
	s_cbranch_scc1 .LBB142_2164
; %bb.2162:
	s_cmp_gt_i32 s23, 27
	s_cbranch_scc0 .LBB142_2165
; %bb.2163:
	global_load_dword v5, v[7:8], off
	s_mov_b64 s[16:17], 0
	s_branch .LBB142_2166
.LBB142_2164:
	s_mov_b64 s[16:17], -1
                                        ; implicit-def: $vgpr5
	s_branch .LBB142_2169
.LBB142_2165:
	s_mov_b64 s[16:17], -1
                                        ; implicit-def: $vgpr5
.LBB142_2166:
	s_andn2_b64 vcc, exec, s[16:17]
	s_cbranch_vccnz .LBB142_2168
; %bb.2167:
	global_load_ushort v5, v[7:8], off
.LBB142_2168:
	s_mov_b64 s[16:17], 0
.LBB142_2169:
	s_andn2_b64 vcc, exec, s[16:17]
	s_cbranch_vccnz .LBB142_2175
; %bb.2170:
	global_load_ubyte v6, v[7:8], off
	s_movk_i32 s16, 0x7f
	s_mov_b64 s[20:21], 0
	s_waitcnt vmcnt(0)
	v_cmp_lt_i16_e32 vcc, s16, v6
	s_and_saveexec_b64 s[16:17], vcc
	s_xor_b64 s[16:17], exec, s[16:17]
	s_cbranch_execz .LBB142_2187
; %bb.2171:
	s_movk_i32 s20, 0x80
	v_cmp_ne_u16_e32 vcc, s20, v6
	s_and_b64 s[20:21], vcc, exec
	s_andn2_saveexec_b64 s[16:17], s[16:17]
	s_cbranch_execnz .LBB142_2188
.LBB142_2172:
	s_or_b64 exec, exec, s[16:17]
	v_mov_b32_e32 v5, 0
	s_and_saveexec_b64 s[16:17], s[20:21]
	s_cbranch_execz .LBB142_2174
.LBB142_2173:
	v_lshlrev_b32_e32 v5, 24, v6
	v_and_b32_e32 v6, 0xffff, v6
	v_and_b32_e32 v12, 7, v6
	v_ffbh_u32_e32 v14, v12
	v_min_u32_e32 v14, 32, v14
	v_subrev_u32_e32 v15, 28, v14
	v_bfe_u32 v13, v6, 3, 4
	v_lshlrev_b32_e32 v6, v15, v6
	v_sub_u32_e32 v14, 29, v14
	v_and_b32_e32 v6, 7, v6
	v_cmp_eq_u32_e32 vcc, 0, v13
	v_cndmask_b32_e32 v13, v13, v14, vcc
	v_cndmask_b32_e32 v6, v12, v6, vcc
	v_mov_b32_e32 v12, 0x3b800000
	v_lshlrev_b32_e32 v6, 20, v6
	v_and_b32_e32 v5, 0x80000000, v5
	v_lshl_add_u32 v12, v13, 23, v12
	v_or3_b32 v5, v5, v12, v6
	v_trunc_f32_e32 v5, v5
	s_mov_b32 s20, 0x2f800000
	v_mul_f32_e64 v6, |v5|, s20
	v_floor_f32_e32 v6, v6
	s_mov_b32 s20, 0xcf800000
	v_fma_f32 v6, v6, s20, |v5|
	v_cvt_u32_f32_e32 v6, v6
	v_ashrrev_i32_e32 v5, 31, v5
	v_xor_b32_e32 v6, v6, v5
	v_sub_u32_e32 v5, v6, v5
.LBB142_2174:
	s_or_b64 exec, exec, s[16:17]
.LBB142_2175:
	s_mov_b64 s[16:17], -1
.LBB142_2176:
	s_mov_b64 s[20:21], 0
.LBB142_2177:
	s_and_b64 vcc, exec, s[20:21]
	s_cbranch_vccz .LBB142_2208
; %bb.2178:
	s_cmp_gt_i32 s23, 22
	s_cbranch_scc0 .LBB142_2186
; %bb.2179:
	s_cmp_lt_i32 s23, 24
	s_cbranch_scc1 .LBB142_2189
; %bb.2180:
	s_cmp_gt_i32 s23, 24
	s_cbranch_scc0 .LBB142_2190
; %bb.2181:
	global_load_ubyte v6, v[7:8], off
	s_movk_i32 s14, 0x7f
	s_mov_b64 s[16:17], 0
	s_waitcnt vmcnt(0)
	v_cmp_lt_i16_e32 vcc, s14, v6
	s_and_saveexec_b64 s[14:15], vcc
	s_xor_b64 s[14:15], exec, s[14:15]
	s_cbranch_execz .LBB142_2202
; %bb.2182:
	s_movk_i32 s16, 0x80
	v_cmp_ne_u16_e32 vcc, s16, v6
	s_and_b64 s[16:17], vcc, exec
	s_andn2_saveexec_b64 s[14:15], s[14:15]
	s_cbranch_execnz .LBB142_2203
.LBB142_2183:
	s_or_b64 exec, exec, s[14:15]
	v_mov_b32_e32 v5, 0
	s_and_saveexec_b64 s[14:15], s[16:17]
	s_cbranch_execz .LBB142_2185
.LBB142_2184:
	v_lshlrev_b32_e32 v5, 24, v6
	v_and_b32_e32 v6, 0xffff, v6
	v_and_b32_e32 v12, 3, v6
	v_ffbh_u32_e32 v14, v12
	v_min_u32_e32 v14, 32, v14
	v_subrev_u32_e32 v15, 29, v14
	v_bfe_u32 v13, v6, 2, 5
	v_lshlrev_b32_e32 v6, v15, v6
	v_sub_u32_e32 v14, 30, v14
	v_and_b32_e32 v6, 3, v6
	v_cmp_eq_u32_e32 vcc, 0, v13
	v_cndmask_b32_e32 v13, v13, v14, vcc
	v_cndmask_b32_e32 v6, v12, v6, vcc
	v_mov_b32_e32 v12, 0x37800000
	v_lshlrev_b32_e32 v6, 21, v6
	v_and_b32_e32 v5, 0x80000000, v5
	v_lshl_add_u32 v12, v13, 23, v12
	v_or3_b32 v5, v5, v12, v6
	v_trunc_f32_e32 v5, v5
	s_mov_b32 s16, 0x2f800000
	v_mul_f32_e64 v6, |v5|, s16
	v_floor_f32_e32 v6, v6
	s_mov_b32 s16, 0xcf800000
	v_fma_f32 v6, v6, s16, |v5|
	v_cvt_u32_f32_e32 v6, v6
	v_ashrrev_i32_e32 v5, 31, v5
	v_xor_b32_e32 v6, v6, v5
	v_sub_u32_e32 v5, v6, v5
.LBB142_2185:
	s_or_b64 exec, exec, s[14:15]
	s_mov_b64 s[14:15], 0
	s_branch .LBB142_2191
.LBB142_2186:
	s_mov_b64 s[14:15], -1
                                        ; implicit-def: $vgpr5
	s_branch .LBB142_2197
.LBB142_2187:
	s_andn2_saveexec_b64 s[16:17], s[16:17]
	s_cbranch_execz .LBB142_2172
.LBB142_2188:
	v_cmp_ne_u16_e32 vcc, 0, v6
	s_andn2_b64 s[20:21], s[20:21], exec
	s_and_b64 s[26:27], vcc, exec
	s_or_b64 s[20:21], s[20:21], s[26:27]
	s_or_b64 exec, exec, s[16:17]
	v_mov_b32_e32 v5, 0
	s_and_saveexec_b64 s[16:17], s[20:21]
	s_cbranch_execnz .LBB142_2173
	s_branch .LBB142_2174
.LBB142_2189:
	s_mov_b64 s[14:15], -1
                                        ; implicit-def: $vgpr5
	s_branch .LBB142_2194
.LBB142_2190:
	s_mov_b64 s[14:15], -1
                                        ; implicit-def: $vgpr5
.LBB142_2191:
	s_and_b64 vcc, exec, s[14:15]
	s_cbranch_vccz .LBB142_2193
; %bb.2192:
	global_load_ubyte v5, v[7:8], off
	s_mov_b32 s14, 0x7f800000
	s_brev_b32 s15, 1
	s_mov_b32 s16, 0x2f800000
	s_waitcnt vmcnt(0)
	v_lshlrev_b32_e32 v5, 24, v5
	v_and_b32_e32 v6, 0x7f000000, v5
	v_ffbh_u32_e32 v12, v6
	v_min_u32_e32 v12, 32, v12
	v_sub_u32_e64 v12, v12, 4 clamp
	v_lshlrev_b32_e32 v14, v12, v6
	v_lshlrev_b32_e32 v12, 23, v12
	v_lshrrev_b32_e32 v14, 4, v14
	v_add_u32_e32 v13, 0x1000000, v6
	v_sub_u32_e32 v12, v14, v12
	v_ashrrev_i32_e32 v13, 8, v13
	v_add_u32_e32 v12, 0x3c000000, v12
	v_and_or_b32 v12, v13, s14, v12
	v_cmp_ne_u32_e32 vcc, 0, v6
	v_cndmask_b32_e32 v6, 0, v12, vcc
	v_and_or_b32 v5, v5, s15, v6
	v_trunc_f32_e32 v5, v5
	v_mul_f32_e64 v6, |v5|, s16
	v_floor_f32_e32 v6, v6
	s_mov_b32 s14, 0xcf800000
	v_fma_f32 v6, v6, s14, |v5|
	v_cvt_u32_f32_e32 v6, v6
	v_ashrrev_i32_e32 v5, 31, v5
	v_xor_b32_e32 v6, v6, v5
	v_sub_u32_e32 v5, v6, v5
.LBB142_2193:
	s_mov_b64 s[14:15], 0
.LBB142_2194:
	s_andn2_b64 vcc, exec, s[14:15]
	s_cbranch_vccnz .LBB142_2196
; %bb.2195:
	global_load_ubyte v5, v[7:8], off
	s_movk_i32 s14, 0x7f00
	s_brev_b32 s15, 16
	s_brev_b32 s16, 1
	s_mov_b32 s17, 0x2f800000
	s_waitcnt vmcnt(0)
	v_lshlrev_b16_e32 v6, 8, v5
	v_lshlrev_b32_e32 v5, 25, v5
	v_lshrrev_b32_e32 v12, 4, v5
	v_and_or_b32 v13, v6, s14, 0.5
	v_or_b32_e32 v12, 0x70000000, v12
	v_add_f32_e32 v13, -0.5, v13
	v_mul_f32_e32 v12, 0x7800000, v12
	v_cmp_gt_u32_e32 vcc, s15, v5
	v_bfe_i32 v6, v6, 0, 16
	v_cndmask_b32_e32 v5, v12, v13, vcc
	v_and_or_b32 v5, v6, s16, v5
	v_trunc_f32_e32 v5, v5
	v_mul_f32_e64 v6, |v5|, s17
	v_floor_f32_e32 v6, v6
	s_mov_b32 s14, 0xcf800000
	v_fma_f32 v6, v6, s14, |v5|
	v_cvt_u32_f32_e32 v6, v6
	v_ashrrev_i32_e32 v5, 31, v5
	v_xor_b32_e32 v6, v6, v5
	v_sub_u32_e32 v5, v6, v5
.LBB142_2196:
	s_mov_b64 s[14:15], 0
	s_mov_b64 s[16:17], -1
.LBB142_2197:
	s_andn2_b64 vcc, exec, s[14:15]
	s_mov_b64 s[14:15], 0
	s_cbranch_vccnz .LBB142_2208
; %bb.2198:
	s_cmp_gt_i32 s23, 14
	s_cbranch_scc0 .LBB142_2201
; %bb.2199:
	s_cmp_eq_u32 s23, 15
	s_cbranch_scc0 .LBB142_2204
; %bb.2200:
	global_load_ushort v5, v[7:8], off
	s_mov_b32 s0, 0x2f800000
	s_mov_b32 s1, 0xcf800000
	s_mov_b64 s[16:17], -1
	s_waitcnt vmcnt(0)
	v_lshlrev_b32_e32 v5, 16, v5
	v_trunc_f32_e32 v5, v5
	v_mul_f32_e64 v6, |v5|, s0
	v_floor_f32_e32 v6, v6
	v_fma_f32 v6, v6, s1, |v5|
	v_cvt_u32_f32_e32 v6, v6
	v_ashrrev_i32_e32 v5, 31, v5
	s_mov_b64 s[0:1], 0
	v_xor_b32_e32 v6, v6, v5
	v_sub_u32_e32 v5, v6, v5
	s_branch .LBB142_2205
.LBB142_2201:
	s_mov_b64 s[20:21], -1
                                        ; implicit-def: $vgpr5
	s_branch .LBB142_2206
.LBB142_2202:
	s_andn2_saveexec_b64 s[14:15], s[14:15]
	s_cbranch_execz .LBB142_2183
.LBB142_2203:
	v_cmp_ne_u16_e32 vcc, 0, v6
	s_andn2_b64 s[16:17], s[16:17], exec
	s_and_b64 s[20:21], vcc, exec
	s_or_b64 s[16:17], s[16:17], s[20:21]
	s_or_b64 exec, exec, s[14:15]
	v_mov_b32_e32 v5, 0
	s_and_saveexec_b64 s[14:15], s[16:17]
	s_cbranch_execnz .LBB142_2184
	s_branch .LBB142_2185
.LBB142_2204:
	s_mov_b64 s[0:1], -1
                                        ; implicit-def: $vgpr5
.LBB142_2205:
	s_mov_b64 s[20:21], 0
.LBB142_2206:
	s_and_b64 vcc, exec, s[20:21]
	s_cbranch_vccz .LBB142_2208
; %bb.2207:
	s_cmp_lg_u32 s23, 11
	s_mov_b64 s[14:15], -1
	s_cselect_b64 s[0:1], -1, 0
.LBB142_2208:
	s_and_b64 vcc, exec, s[0:1]
	s_cbranch_vccnz .LBB142_2273
; %bb.2209:
	s_andn2_b64 vcc, exec, s[14:15]
	s_cbranch_vccnz .LBB142_2211
.LBB142_2210:
	global_load_ubyte v5, v[7:8], off
	s_mov_b64 s[16:17], -1
	s_waitcnt vmcnt(0)
	v_cmp_ne_u16_e32 vcc, 0, v5
	v_cndmask_b32_e64 v5, 0, 1, vcc
.LBB142_2211:
	s_mov_b64 s[0:1], 0
.LBB142_2212:
	s_and_b64 vcc, exec, s[0:1]
	s_cbranch_vccz .LBB142_2261
; %bb.2213:
	s_and_b32 s14, 0xffff, s25
	s_cmp_lt_i32 s14, 5
	s_cbranch_scc1 .LBB142_2218
; %bb.2214:
	s_cmp_lt_i32 s14, 8
	s_cbranch_scc1 .LBB142_2219
; %bb.2215:
	;; [unrolled: 3-line block ×3, first 2 shown]
	s_cmp_gt_i32 s14, 9
	s_cbranch_scc0 .LBB142_2221
; %bb.2217:
	global_load_dwordx2 v[5:6], v[7:8], off
	s_movk_i32 s0, 0xffe0
	s_waitcnt vmcnt(0)
	v_trunc_f64_e32 v[5:6], v[5:6]
	v_ldexp_f64 v[12:13], v[5:6], s0
	s_mov_b32 s0, 0
	s_mov_b32 s1, 0xc1f00000
	v_floor_f64_e32 v[12:13], v[12:13]
	v_fma_f64 v[5:6], v[12:13], s[0:1], v[5:6]
	s_mov_b64 s[0:1], 0
	v_cvt_u32_f64_e32 v5, v[5:6]
	s_branch .LBB142_2222
.LBB142_2218:
	s_mov_b64 s[0:1], -1
                                        ; implicit-def: $vgpr5
	s_branch .LBB142_2240
.LBB142_2219:
	s_mov_b64 s[0:1], -1
                                        ; implicit-def: $vgpr5
	s_branch .LBB142_2228
.LBB142_2220:
	s_mov_b64 s[0:1], -1
                                        ; implicit-def: $vgpr5
	s_branch .LBB142_2225
.LBB142_2221:
	s_mov_b64 s[0:1], -1
                                        ; implicit-def: $vgpr5
.LBB142_2222:
	s_andn2_b64 vcc, exec, s[0:1]
	s_cbranch_vccnz .LBB142_2224
; %bb.2223:
	global_load_dword v5, v[7:8], off
	s_mov_b32 s0, 0x2f800000
	s_waitcnt vmcnt(0)
	v_trunc_f32_e32 v5, v5
	v_mul_f32_e64 v6, |v5|, s0
	v_floor_f32_e32 v6, v6
	s_mov_b32 s0, 0xcf800000
	v_fma_f32 v6, v6, s0, |v5|
	v_cvt_u32_f32_e32 v6, v6
	v_ashrrev_i32_e32 v5, 31, v5
	v_xor_b32_e32 v6, v6, v5
	v_sub_u32_e32 v5, v6, v5
.LBB142_2224:
	s_mov_b64 s[0:1], 0
.LBB142_2225:
	s_andn2_b64 vcc, exec, s[0:1]
	s_cbranch_vccnz .LBB142_2227
; %bb.2226:
	global_load_dword v5, v[7:8], off
	s_waitcnt vmcnt(0)
	v_cvt_f32_f16_e32 v5, v5
	v_cvt_i32_f32_e32 v5, v5
.LBB142_2227:
	s_mov_b64 s[0:1], 0
.LBB142_2228:
	s_andn2_b64 vcc, exec, s[0:1]
	s_cbranch_vccnz .LBB142_2239
; %bb.2229:
	s_cmp_lt_i32 s14, 6
	s_cbranch_scc1 .LBB142_2232
; %bb.2230:
	s_cmp_gt_i32 s14, 6
	s_cbranch_scc0 .LBB142_2233
; %bb.2231:
	global_load_dwordx2 v[5:6], v[7:8], off
	s_movk_i32 s0, 0xffe0
	s_waitcnt vmcnt(0)
	v_trunc_f64_e32 v[5:6], v[5:6]
	v_ldexp_f64 v[12:13], v[5:6], s0
	s_mov_b32 s0, 0
	s_mov_b32 s1, 0xc1f00000
	v_floor_f64_e32 v[12:13], v[12:13]
	v_fma_f64 v[5:6], v[12:13], s[0:1], v[5:6]
	s_mov_b64 s[0:1], 0
	v_cvt_u32_f64_e32 v5, v[5:6]
	s_branch .LBB142_2234
.LBB142_2232:
	s_mov_b64 s[0:1], -1
                                        ; implicit-def: $vgpr5
	s_branch .LBB142_2237
.LBB142_2233:
	s_mov_b64 s[0:1], -1
                                        ; implicit-def: $vgpr5
.LBB142_2234:
	s_andn2_b64 vcc, exec, s[0:1]
	s_cbranch_vccnz .LBB142_2236
; %bb.2235:
	global_load_dword v5, v[7:8], off
	s_mov_b32 s0, 0x2f800000
	s_waitcnt vmcnt(0)
	v_trunc_f32_e32 v5, v5
	v_mul_f32_e64 v6, |v5|, s0
	v_floor_f32_e32 v6, v6
	s_mov_b32 s0, 0xcf800000
	v_fma_f32 v6, v6, s0, |v5|
	v_cvt_u32_f32_e32 v6, v6
	v_ashrrev_i32_e32 v5, 31, v5
	v_xor_b32_e32 v6, v6, v5
	v_sub_u32_e32 v5, v6, v5
.LBB142_2236:
	s_mov_b64 s[0:1], 0
.LBB142_2237:
	s_andn2_b64 vcc, exec, s[0:1]
	s_cbranch_vccnz .LBB142_2239
; %bb.2238:
	global_load_ushort v5, v[7:8], off
	s_waitcnt vmcnt(0)
	v_cvt_f32_f16_e32 v5, v5
	v_cvt_i32_f32_e32 v5, v5
.LBB142_2239:
	s_mov_b64 s[0:1], 0
.LBB142_2240:
	s_andn2_b64 vcc, exec, s[0:1]
	s_cbranch_vccnz .LBB142_2260
; %bb.2241:
	s_cmp_lt_i32 s14, 2
	s_cbranch_scc1 .LBB142_2245
; %bb.2242:
	s_cmp_lt_i32 s14, 3
	s_cbranch_scc1 .LBB142_2246
; %bb.2243:
	s_cmp_gt_i32 s14, 3
	s_cbranch_scc0 .LBB142_2247
; %bb.2244:
	global_load_dwordx2 v[5:6], v[7:8], off
	s_mov_b64 s[0:1], 0
	s_branch .LBB142_2248
.LBB142_2245:
	s_mov_b64 s[0:1], -1
                                        ; implicit-def: $vgpr5
	s_branch .LBB142_2254
.LBB142_2246:
	s_mov_b64 s[0:1], -1
                                        ; implicit-def: $vgpr5
	s_branch .LBB142_2251
.LBB142_2247:
	s_mov_b64 s[0:1], -1
                                        ; implicit-def: $vgpr5
.LBB142_2248:
	s_andn2_b64 vcc, exec, s[0:1]
	s_cbranch_vccnz .LBB142_2250
; %bb.2249:
	global_load_dword v5, v[7:8], off
.LBB142_2250:
	s_mov_b64 s[0:1], 0
.LBB142_2251:
	s_andn2_b64 vcc, exec, s[0:1]
	s_cbranch_vccnz .LBB142_2253
; %bb.2252:
	global_load_ushort v5, v[7:8], off
.LBB142_2253:
	s_mov_b64 s[0:1], 0
.LBB142_2254:
	s_andn2_b64 vcc, exec, s[0:1]
	s_cbranch_vccnz .LBB142_2260
; %bb.2255:
	s_cmp_gt_i32 s14, 0
	s_cbranch_scc0 .LBB142_2257
; %bb.2256:
	global_load_ubyte v5, v[7:8], off
	s_mov_b64 s[0:1], 0
	s_branch .LBB142_2258
.LBB142_2257:
	s_mov_b64 s[0:1], -1
                                        ; implicit-def: $vgpr5
.LBB142_2258:
	s_andn2_b64 vcc, exec, s[0:1]
	s_cbranch_vccnz .LBB142_2260
; %bb.2259:
	global_load_ubyte v5, v[7:8], off
.LBB142_2260:
	s_mov_b64 s[16:17], -1
.LBB142_2261:
	s_andn2_b64 vcc, exec, s[16:17]
	s_cbranch_vccnz .LBB142_2947
; %bb.2262:
	s_waitcnt vmcnt(0)
	v_add_u32_e32 v6, s13, v9
	v_ashrrev_i32_e32 v7, 31, v6
	v_mov_b32_e32 v9, s11
	v_add_co_u32_e32 v8, vcc, s10, v6
	s_cmp_lt_i32 s24, 11
	v_addc_co_u32_e32 v9, vcc, v9, v7, vcc
	s_cbranch_scc1 .LBB142_2269
; %bb.2263:
	s_and_b32 s13, 0xffff, s24
	s_cmp_gt_i32 s13, 25
	s_mov_b64 s[10:11], 0
	s_cbranch_scc0 .LBB142_2270
; %bb.2264:
	s_cmp_gt_i32 s13, 28
	s_cbranch_scc0 .LBB142_2271
; %bb.2265:
	s_cmp_gt_i32 s13, 43
	;; [unrolled: 3-line block ×3, first 2 shown]
	s_cbranch_scc0 .LBB142_2274
; %bb.2267:
	s_cmp_eq_u32 s13, 46
	s_mov_b64 s[16:17], 0
	s_cbranch_scc0 .LBB142_2275
; %bb.2268:
	global_load_dword v6, v[8:9], off
	s_mov_b32 s0, 0x2f800000
	s_mov_b32 s1, 0xcf800000
	s_mov_b64 s[14:15], -1
	s_waitcnt vmcnt(0)
	v_lshlrev_b32_e32 v6, 16, v6
	v_trunc_f32_e32 v6, v6
	v_mul_f32_e64 v7, |v6|, s0
	v_floor_f32_e32 v7, v7
	v_fma_f32 v7, v7, s1, |v6|
	v_cvt_u32_f32_e32 v7, v7
	v_ashrrev_i32_e32 v6, 31, v6
	s_mov_b64 s[0:1], 0
	v_xor_b32_e32 v7, v7, v6
	v_sub_u32_e32 v6, v7, v6
	s_branch .LBB142_2276
.LBB142_2269:
	s_mov_b64 s[0:1], -1
	s_mov_b64 s[14:15], 0
                                        ; implicit-def: $vgpr6
	s_branch .LBB142_2338
.LBB142_2270:
	s_mov_b64 s[16:17], -1
	s_mov_b64 s[14:15], 0
	s_mov_b64 s[0:1], 0
                                        ; implicit-def: $vgpr6
	s_branch .LBB142_2303
.LBB142_2271:
	s_mov_b64 s[16:17], -1
	s_mov_b64 s[14:15], 0
	s_mov_b64 s[0:1], 0
                                        ; implicit-def: $vgpr6
	s_branch .LBB142_2286
.LBB142_2272:
	s_mov_b64 s[16:17], -1
	s_mov_b64 s[14:15], 0
	s_mov_b64 s[0:1], 0
                                        ; implicit-def: $vgpr6
	s_branch .LBB142_2281
.LBB142_2273:
	s_trap 2
	s_or_b64 s[18:19], s[18:19], exec
	s_cbranch_execz .LBB142_2210
	s_branch .LBB142_2211
.LBB142_2274:
	s_mov_b64 s[16:17], -1
	s_mov_b64 s[14:15], 0
	s_mov_b64 s[0:1], 0
                                        ; implicit-def: $vgpr6
	s_branch .LBB142_2276
.LBB142_2275:
	s_mov_b64 s[0:1], -1
                                        ; implicit-def: $vgpr6
	s_mov_b64 s[14:15], 0
.LBB142_2276:
	s_and_b64 vcc, exec, s[16:17]
	s_cbranch_vccz .LBB142_2280
; %bb.2277:
	s_cmp_eq_u32 s13, 44
	s_cbranch_scc0 .LBB142_2279
; %bb.2278:
	global_load_ubyte v6, v[8:9], off
	s_mov_b32 s0, 0x2f800000
	s_mov_b32 s1, 0xcf800000
	s_mov_b64 s[14:15], -1
	s_waitcnt vmcnt(0)
	v_lshlrev_b32_e32 v7, 23, v6
	v_trunc_f32_e32 v7, v7
	v_mul_f32_e64 v12, |v7|, s0
	v_floor_f32_e32 v12, v12
	v_fma_f32 v12, v12, s1, |v7|
	v_cvt_u32_f32_e32 v12, v12
	v_ashrrev_i32_e32 v7, 31, v7
	v_cmp_ne_u32_e32 vcc, 0, v6
	s_mov_b64 s[0:1], 0
	v_xor_b32_e32 v12, v12, v7
	v_sub_u32_e32 v7, v12, v7
	v_cndmask_b32_e32 v6, 0, v7, vcc
	s_branch .LBB142_2280
.LBB142_2279:
	s_mov_b64 s[0:1], -1
                                        ; implicit-def: $vgpr6
.LBB142_2280:
	s_mov_b64 s[16:17], 0
.LBB142_2281:
	s_and_b64 vcc, exec, s[16:17]
	s_cbranch_vccz .LBB142_2285
; %bb.2282:
	s_cmp_eq_u32 s13, 29
	s_cbranch_scc0 .LBB142_2284
; %bb.2283:
	global_load_dwordx2 v[6:7], v[8:9], off
	s_mov_b64 s[0:1], 0
	s_mov_b64 s[14:15], -1
	s_branch .LBB142_2285
.LBB142_2284:
	s_mov_b64 s[0:1], -1
                                        ; implicit-def: $vgpr6
.LBB142_2285:
	s_mov_b64 s[16:17], 0
.LBB142_2286:
	s_and_b64 vcc, exec, s[16:17]
	s_cbranch_vccz .LBB142_2302
; %bb.2287:
	s_cmp_lt_i32 s13, 27
	s_cbranch_scc1 .LBB142_2290
; %bb.2288:
	s_cmp_gt_i32 s13, 27
	s_cbranch_scc0 .LBB142_2291
; %bb.2289:
	global_load_dword v6, v[8:9], off
	s_mov_b64 s[14:15], 0
	s_branch .LBB142_2292
.LBB142_2290:
	s_mov_b64 s[14:15], -1
                                        ; implicit-def: $vgpr6
	s_branch .LBB142_2295
.LBB142_2291:
	s_mov_b64 s[14:15], -1
                                        ; implicit-def: $vgpr6
.LBB142_2292:
	s_andn2_b64 vcc, exec, s[14:15]
	s_cbranch_vccnz .LBB142_2294
; %bb.2293:
	global_load_ushort v6, v[8:9], off
.LBB142_2294:
	s_mov_b64 s[14:15], 0
.LBB142_2295:
	s_andn2_b64 vcc, exec, s[14:15]
	s_cbranch_vccnz .LBB142_2301
; %bb.2296:
	global_load_ubyte v7, v[8:9], off
	s_movk_i32 s14, 0x7f
	s_mov_b64 s[16:17], 0
	s_waitcnt vmcnt(0)
	v_cmp_lt_i16_e32 vcc, s14, v7
	s_and_saveexec_b64 s[14:15], vcc
	s_xor_b64 s[14:15], exec, s[14:15]
	s_cbranch_execz .LBB142_2313
; %bb.2297:
	s_movk_i32 s16, 0x80
	v_cmp_ne_u16_e32 vcc, s16, v7
	s_and_b64 s[16:17], vcc, exec
	s_andn2_saveexec_b64 s[14:15], s[14:15]
	s_cbranch_execnz .LBB142_2314
.LBB142_2298:
	s_or_b64 exec, exec, s[14:15]
	v_mov_b32_e32 v6, 0
	s_and_saveexec_b64 s[14:15], s[16:17]
	s_cbranch_execz .LBB142_2300
.LBB142_2299:
	v_lshlrev_b32_e32 v6, 24, v7
	v_and_b32_e32 v7, 0xffff, v7
	v_and_b32_e32 v12, 7, v7
	v_ffbh_u32_e32 v14, v12
	v_min_u32_e32 v14, 32, v14
	v_subrev_u32_e32 v15, 28, v14
	v_bfe_u32 v13, v7, 3, 4
	v_lshlrev_b32_e32 v7, v15, v7
	v_sub_u32_e32 v14, 29, v14
	v_and_b32_e32 v7, 7, v7
	v_cmp_eq_u32_e32 vcc, 0, v13
	v_cndmask_b32_e32 v13, v13, v14, vcc
	v_cndmask_b32_e32 v7, v12, v7, vcc
	v_mov_b32_e32 v12, 0x3b800000
	v_lshlrev_b32_e32 v7, 20, v7
	v_and_b32_e32 v6, 0x80000000, v6
	v_lshl_add_u32 v12, v13, 23, v12
	v_or3_b32 v6, v6, v12, v7
	v_trunc_f32_e32 v6, v6
	s_mov_b32 s16, 0x2f800000
	v_mul_f32_e64 v7, |v6|, s16
	v_floor_f32_e32 v7, v7
	s_mov_b32 s16, 0xcf800000
	v_fma_f32 v7, v7, s16, |v6|
	v_cvt_u32_f32_e32 v7, v7
	v_ashrrev_i32_e32 v6, 31, v6
	v_xor_b32_e32 v7, v7, v6
	v_sub_u32_e32 v6, v7, v6
.LBB142_2300:
	s_or_b64 exec, exec, s[14:15]
.LBB142_2301:
	s_mov_b64 s[14:15], -1
.LBB142_2302:
	s_mov_b64 s[16:17], 0
.LBB142_2303:
	s_and_b64 vcc, exec, s[16:17]
	s_cbranch_vccz .LBB142_2334
; %bb.2304:
	s_cmp_gt_i32 s13, 22
	s_cbranch_scc0 .LBB142_2312
; %bb.2305:
	s_cmp_lt_i32 s13, 24
	s_cbranch_scc1 .LBB142_2315
; %bb.2306:
	s_cmp_gt_i32 s13, 24
	s_cbranch_scc0 .LBB142_2316
; %bb.2307:
	global_load_ubyte v7, v[8:9], off
	s_movk_i32 s10, 0x7f
	s_mov_b64 s[14:15], 0
	s_waitcnt vmcnt(0)
	v_cmp_lt_i16_e32 vcc, s10, v7
	s_and_saveexec_b64 s[10:11], vcc
	s_xor_b64 s[10:11], exec, s[10:11]
	s_cbranch_execz .LBB142_2328
; %bb.2308:
	s_movk_i32 s14, 0x80
	v_cmp_ne_u16_e32 vcc, s14, v7
	s_and_b64 s[14:15], vcc, exec
	s_andn2_saveexec_b64 s[10:11], s[10:11]
	s_cbranch_execnz .LBB142_2329
.LBB142_2309:
	s_or_b64 exec, exec, s[10:11]
	v_mov_b32_e32 v6, 0
	s_and_saveexec_b64 s[10:11], s[14:15]
	s_cbranch_execz .LBB142_2311
.LBB142_2310:
	v_lshlrev_b32_e32 v6, 24, v7
	v_and_b32_e32 v7, 0xffff, v7
	v_and_b32_e32 v12, 3, v7
	v_ffbh_u32_e32 v14, v12
	v_min_u32_e32 v14, 32, v14
	v_subrev_u32_e32 v15, 29, v14
	v_bfe_u32 v13, v7, 2, 5
	v_lshlrev_b32_e32 v7, v15, v7
	v_sub_u32_e32 v14, 30, v14
	v_and_b32_e32 v7, 3, v7
	v_cmp_eq_u32_e32 vcc, 0, v13
	v_cndmask_b32_e32 v13, v13, v14, vcc
	v_cndmask_b32_e32 v7, v12, v7, vcc
	v_mov_b32_e32 v12, 0x37800000
	v_lshlrev_b32_e32 v7, 21, v7
	v_and_b32_e32 v6, 0x80000000, v6
	v_lshl_add_u32 v12, v13, 23, v12
	v_or3_b32 v6, v6, v12, v7
	v_trunc_f32_e32 v6, v6
	s_mov_b32 s14, 0x2f800000
	v_mul_f32_e64 v7, |v6|, s14
	v_floor_f32_e32 v7, v7
	s_mov_b32 s14, 0xcf800000
	v_fma_f32 v7, v7, s14, |v6|
	v_cvt_u32_f32_e32 v7, v7
	v_ashrrev_i32_e32 v6, 31, v6
	v_xor_b32_e32 v7, v7, v6
	v_sub_u32_e32 v6, v7, v6
.LBB142_2311:
	s_or_b64 exec, exec, s[10:11]
	s_mov_b64 s[10:11], 0
	s_branch .LBB142_2317
.LBB142_2312:
	s_mov_b64 s[10:11], -1
                                        ; implicit-def: $vgpr6
	s_branch .LBB142_2323
.LBB142_2313:
	s_andn2_saveexec_b64 s[14:15], s[14:15]
	s_cbranch_execz .LBB142_2298
.LBB142_2314:
	v_cmp_ne_u16_e32 vcc, 0, v7
	s_andn2_b64 s[16:17], s[16:17], exec
	s_and_b64 s[20:21], vcc, exec
	s_or_b64 s[16:17], s[16:17], s[20:21]
	s_or_b64 exec, exec, s[14:15]
	v_mov_b32_e32 v6, 0
	s_and_saveexec_b64 s[14:15], s[16:17]
	s_cbranch_execnz .LBB142_2299
	s_branch .LBB142_2300
.LBB142_2315:
	s_mov_b64 s[10:11], -1
                                        ; implicit-def: $vgpr6
	s_branch .LBB142_2320
.LBB142_2316:
	s_mov_b64 s[10:11], -1
                                        ; implicit-def: $vgpr6
.LBB142_2317:
	s_and_b64 vcc, exec, s[10:11]
	s_cbranch_vccz .LBB142_2319
; %bb.2318:
	global_load_ubyte v6, v[8:9], off
	s_mov_b32 s10, 0x7f800000
	s_brev_b32 s11, 1
	s_mov_b32 s14, 0x2f800000
	s_waitcnt vmcnt(0)
	v_lshlrev_b32_e32 v6, 24, v6
	v_and_b32_e32 v7, 0x7f000000, v6
	v_ffbh_u32_e32 v12, v7
	v_min_u32_e32 v12, 32, v12
	v_sub_u32_e64 v12, v12, 4 clamp
	v_lshlrev_b32_e32 v14, v12, v7
	v_lshlrev_b32_e32 v12, 23, v12
	v_lshrrev_b32_e32 v14, 4, v14
	v_add_u32_e32 v13, 0x1000000, v7
	v_sub_u32_e32 v12, v14, v12
	v_ashrrev_i32_e32 v13, 8, v13
	v_add_u32_e32 v12, 0x3c000000, v12
	v_and_or_b32 v12, v13, s10, v12
	v_cmp_ne_u32_e32 vcc, 0, v7
	v_cndmask_b32_e32 v7, 0, v12, vcc
	v_and_or_b32 v6, v6, s11, v7
	v_trunc_f32_e32 v6, v6
	v_mul_f32_e64 v7, |v6|, s14
	v_floor_f32_e32 v7, v7
	s_mov_b32 s10, 0xcf800000
	v_fma_f32 v7, v7, s10, |v6|
	v_cvt_u32_f32_e32 v7, v7
	v_ashrrev_i32_e32 v6, 31, v6
	v_xor_b32_e32 v7, v7, v6
	v_sub_u32_e32 v6, v7, v6
.LBB142_2319:
	s_mov_b64 s[10:11], 0
.LBB142_2320:
	s_andn2_b64 vcc, exec, s[10:11]
	s_cbranch_vccnz .LBB142_2322
; %bb.2321:
	global_load_ubyte v6, v[8:9], off
	s_movk_i32 s10, 0x7f00
	s_brev_b32 s11, 16
	s_brev_b32 s14, 1
	s_mov_b32 s15, 0x2f800000
	s_waitcnt vmcnt(0)
	v_lshlrev_b16_e32 v7, 8, v6
	v_lshlrev_b32_e32 v6, 25, v6
	v_lshrrev_b32_e32 v12, 4, v6
	v_and_or_b32 v13, v7, s10, 0.5
	v_or_b32_e32 v12, 0x70000000, v12
	v_add_f32_e32 v13, -0.5, v13
	v_mul_f32_e32 v12, 0x7800000, v12
	v_cmp_gt_u32_e32 vcc, s11, v6
	v_bfe_i32 v7, v7, 0, 16
	v_cndmask_b32_e32 v6, v12, v13, vcc
	v_and_or_b32 v6, v7, s14, v6
	v_trunc_f32_e32 v6, v6
	v_mul_f32_e64 v7, |v6|, s15
	v_floor_f32_e32 v7, v7
	s_mov_b32 s10, 0xcf800000
	v_fma_f32 v7, v7, s10, |v6|
	v_cvt_u32_f32_e32 v7, v7
	v_ashrrev_i32_e32 v6, 31, v6
	v_xor_b32_e32 v7, v7, v6
	v_sub_u32_e32 v6, v7, v6
.LBB142_2322:
	s_mov_b64 s[10:11], 0
	s_mov_b64 s[14:15], -1
.LBB142_2323:
	s_andn2_b64 vcc, exec, s[10:11]
	s_mov_b64 s[10:11], 0
	s_cbranch_vccnz .LBB142_2334
; %bb.2324:
	s_cmp_gt_i32 s13, 14
	s_cbranch_scc0 .LBB142_2327
; %bb.2325:
	s_cmp_eq_u32 s13, 15
	s_cbranch_scc0 .LBB142_2330
; %bb.2326:
	global_load_ushort v6, v[8:9], off
	s_mov_b32 s0, 0x2f800000
	s_mov_b32 s1, 0xcf800000
	s_mov_b64 s[14:15], -1
	s_waitcnt vmcnt(0)
	v_lshlrev_b32_e32 v6, 16, v6
	v_trunc_f32_e32 v6, v6
	v_mul_f32_e64 v7, |v6|, s0
	v_floor_f32_e32 v7, v7
	v_fma_f32 v7, v7, s1, |v6|
	v_cvt_u32_f32_e32 v7, v7
	v_ashrrev_i32_e32 v6, 31, v6
	s_mov_b64 s[0:1], 0
	v_xor_b32_e32 v7, v7, v6
	v_sub_u32_e32 v6, v7, v6
	s_branch .LBB142_2331
.LBB142_2327:
	s_mov_b64 s[16:17], -1
                                        ; implicit-def: $vgpr6
	s_branch .LBB142_2332
.LBB142_2328:
	s_andn2_saveexec_b64 s[10:11], s[10:11]
	s_cbranch_execz .LBB142_2309
.LBB142_2329:
	v_cmp_ne_u16_e32 vcc, 0, v7
	s_andn2_b64 s[14:15], s[14:15], exec
	s_and_b64 s[16:17], vcc, exec
	s_or_b64 s[14:15], s[14:15], s[16:17]
	s_or_b64 exec, exec, s[10:11]
	v_mov_b32_e32 v6, 0
	s_and_saveexec_b64 s[10:11], s[14:15]
	s_cbranch_execnz .LBB142_2310
	s_branch .LBB142_2311
.LBB142_2330:
	s_mov_b64 s[0:1], -1
                                        ; implicit-def: $vgpr6
.LBB142_2331:
	s_mov_b64 s[16:17], 0
.LBB142_2332:
	s_and_b64 vcc, exec, s[16:17]
	s_cbranch_vccz .LBB142_2334
; %bb.2333:
	s_cmp_lg_u32 s13, 11
	s_mov_b64 s[10:11], -1
	s_cselect_b64 s[0:1], -1, 0
.LBB142_2334:
	s_and_b64 vcc, exec, s[0:1]
	s_cbranch_vccnz .LBB142_2399
; %bb.2335:
	s_andn2_b64 vcc, exec, s[10:11]
	s_cbranch_vccnz .LBB142_2337
.LBB142_2336:
	global_load_ubyte v6, v[8:9], off
	s_mov_b64 s[14:15], -1
	s_waitcnt vmcnt(0)
	v_cmp_ne_u16_e32 vcc, 0, v6
	v_cndmask_b32_e64 v6, 0, 1, vcc
.LBB142_2337:
	s_mov_b64 s[0:1], 0
.LBB142_2338:
	s_and_b64 vcc, exec, s[0:1]
	s_cbranch_vccz .LBB142_2387
; %bb.2339:
	s_and_b32 s10, 0xffff, s24
	s_cmp_lt_i32 s10, 5
	s_cbranch_scc1 .LBB142_2344
; %bb.2340:
	s_cmp_lt_i32 s10, 8
	s_cbranch_scc1 .LBB142_2345
; %bb.2341:
	;; [unrolled: 3-line block ×3, first 2 shown]
	s_cmp_gt_i32 s10, 9
	s_cbranch_scc0 .LBB142_2347
; %bb.2343:
	global_load_dwordx2 v[6:7], v[8:9], off
	s_movk_i32 s0, 0xffe0
	s_waitcnt vmcnt(0)
	v_trunc_f64_e32 v[6:7], v[6:7]
	v_ldexp_f64 v[12:13], v[6:7], s0
	s_mov_b32 s0, 0
	s_mov_b32 s1, 0xc1f00000
	v_floor_f64_e32 v[12:13], v[12:13]
	v_fma_f64 v[6:7], v[12:13], s[0:1], v[6:7]
	s_mov_b64 s[0:1], 0
	v_cvt_u32_f64_e32 v6, v[6:7]
	s_branch .LBB142_2348
.LBB142_2344:
	s_mov_b64 s[0:1], -1
                                        ; implicit-def: $vgpr6
	s_branch .LBB142_2366
.LBB142_2345:
	s_mov_b64 s[0:1], -1
                                        ; implicit-def: $vgpr6
	s_branch .LBB142_2354
.LBB142_2346:
	s_mov_b64 s[0:1], -1
                                        ; implicit-def: $vgpr6
	s_branch .LBB142_2351
.LBB142_2347:
	s_mov_b64 s[0:1], -1
                                        ; implicit-def: $vgpr6
.LBB142_2348:
	s_andn2_b64 vcc, exec, s[0:1]
	s_cbranch_vccnz .LBB142_2350
; %bb.2349:
	global_load_dword v6, v[8:9], off
	s_mov_b32 s0, 0x2f800000
	s_waitcnt vmcnt(0)
	v_trunc_f32_e32 v6, v6
	v_mul_f32_e64 v7, |v6|, s0
	v_floor_f32_e32 v7, v7
	s_mov_b32 s0, 0xcf800000
	v_fma_f32 v7, v7, s0, |v6|
	v_cvt_u32_f32_e32 v7, v7
	v_ashrrev_i32_e32 v6, 31, v6
	v_xor_b32_e32 v7, v7, v6
	v_sub_u32_e32 v6, v7, v6
.LBB142_2350:
	s_mov_b64 s[0:1], 0
.LBB142_2351:
	s_andn2_b64 vcc, exec, s[0:1]
	s_cbranch_vccnz .LBB142_2353
; %bb.2352:
	global_load_dword v6, v[8:9], off
	s_waitcnt vmcnt(0)
	v_cvt_f32_f16_e32 v6, v6
	v_cvt_i32_f32_e32 v6, v6
.LBB142_2353:
	s_mov_b64 s[0:1], 0
.LBB142_2354:
	s_andn2_b64 vcc, exec, s[0:1]
	s_cbranch_vccnz .LBB142_2365
; %bb.2355:
	s_cmp_lt_i32 s10, 6
	s_cbranch_scc1 .LBB142_2358
; %bb.2356:
	s_cmp_gt_i32 s10, 6
	s_cbranch_scc0 .LBB142_2359
; %bb.2357:
	global_load_dwordx2 v[6:7], v[8:9], off
	s_movk_i32 s0, 0xffe0
	s_waitcnt vmcnt(0)
	v_trunc_f64_e32 v[6:7], v[6:7]
	v_ldexp_f64 v[12:13], v[6:7], s0
	s_mov_b32 s0, 0
	s_mov_b32 s1, 0xc1f00000
	v_floor_f64_e32 v[12:13], v[12:13]
	v_fma_f64 v[6:7], v[12:13], s[0:1], v[6:7]
	s_mov_b64 s[0:1], 0
	v_cvt_u32_f64_e32 v6, v[6:7]
	s_branch .LBB142_2360
.LBB142_2358:
	s_mov_b64 s[0:1], -1
                                        ; implicit-def: $vgpr6
	s_branch .LBB142_2363
.LBB142_2359:
	s_mov_b64 s[0:1], -1
                                        ; implicit-def: $vgpr6
.LBB142_2360:
	s_andn2_b64 vcc, exec, s[0:1]
	s_cbranch_vccnz .LBB142_2362
; %bb.2361:
	global_load_dword v6, v[8:9], off
	s_mov_b32 s0, 0x2f800000
	s_waitcnt vmcnt(0)
	v_trunc_f32_e32 v6, v6
	v_mul_f32_e64 v7, |v6|, s0
	v_floor_f32_e32 v7, v7
	s_mov_b32 s0, 0xcf800000
	v_fma_f32 v7, v7, s0, |v6|
	v_cvt_u32_f32_e32 v7, v7
	v_ashrrev_i32_e32 v6, 31, v6
	v_xor_b32_e32 v7, v7, v6
	v_sub_u32_e32 v6, v7, v6
.LBB142_2362:
	s_mov_b64 s[0:1], 0
.LBB142_2363:
	s_andn2_b64 vcc, exec, s[0:1]
	s_cbranch_vccnz .LBB142_2365
; %bb.2364:
	global_load_ushort v6, v[8:9], off
	s_waitcnt vmcnt(0)
	v_cvt_f32_f16_e32 v6, v6
	v_cvt_i32_f32_e32 v6, v6
.LBB142_2365:
	s_mov_b64 s[0:1], 0
.LBB142_2366:
	s_andn2_b64 vcc, exec, s[0:1]
	s_cbranch_vccnz .LBB142_2386
; %bb.2367:
	s_cmp_lt_i32 s10, 2
	s_cbranch_scc1 .LBB142_2371
; %bb.2368:
	s_cmp_lt_i32 s10, 3
	s_cbranch_scc1 .LBB142_2372
; %bb.2369:
	s_cmp_gt_i32 s10, 3
	s_cbranch_scc0 .LBB142_2373
; %bb.2370:
	global_load_dwordx2 v[6:7], v[8:9], off
	s_mov_b64 s[0:1], 0
	s_branch .LBB142_2374
.LBB142_2371:
	s_mov_b64 s[0:1], -1
                                        ; implicit-def: $vgpr6
	s_branch .LBB142_2380
.LBB142_2372:
	s_mov_b64 s[0:1], -1
                                        ; implicit-def: $vgpr6
	s_branch .LBB142_2377
.LBB142_2373:
	s_mov_b64 s[0:1], -1
                                        ; implicit-def: $vgpr6
.LBB142_2374:
	s_andn2_b64 vcc, exec, s[0:1]
	s_cbranch_vccnz .LBB142_2376
; %bb.2375:
	global_load_dword v6, v[8:9], off
.LBB142_2376:
	s_mov_b64 s[0:1], 0
.LBB142_2377:
	s_andn2_b64 vcc, exec, s[0:1]
	s_cbranch_vccnz .LBB142_2379
; %bb.2378:
	global_load_ushort v6, v[8:9], off
.LBB142_2379:
	s_mov_b64 s[0:1], 0
.LBB142_2380:
	s_andn2_b64 vcc, exec, s[0:1]
	s_cbranch_vccnz .LBB142_2386
; %bb.2381:
	s_cmp_gt_i32 s10, 0
	s_cbranch_scc0 .LBB142_2383
; %bb.2382:
	global_load_ubyte v6, v[8:9], off
	s_mov_b64 s[0:1], 0
	s_branch .LBB142_2384
.LBB142_2383:
	s_mov_b64 s[0:1], -1
                                        ; implicit-def: $vgpr6
.LBB142_2384:
	s_andn2_b64 vcc, exec, s[0:1]
	s_cbranch_vccnz .LBB142_2386
; %bb.2385:
	global_load_ubyte v6, v[8:9], off
.LBB142_2386:
	s_mov_b64 s[14:15], -1
.LBB142_2387:
	s_andn2_b64 vcc, exec, s[14:15]
	s_cbranch_vccnz .LBB142_2947
; %bb.2388:
	s_waitcnt vmcnt(0)
	v_add_u32_e32 v7, s22, v10
	v_ashrrev_i32_e32 v8, 31, v7
	v_mov_b32_e32 v10, s3
	v_add_co_u32_e32 v9, vcc, s2, v7
	s_cmp_lt_i32 s25, 11
	v_addc_co_u32_e32 v10, vcc, v10, v8, vcc
	s_cbranch_scc1 .LBB142_2395
; %bb.2389:
	s_and_b32 s13, 0xffff, s25
	s_cmp_gt_i32 s13, 25
	s_mov_b64 s[2:3], 0
	s_cbranch_scc0 .LBB142_2396
; %bb.2390:
	s_cmp_gt_i32 s13, 28
	s_cbranch_scc0 .LBB142_2397
; %bb.2391:
	s_cmp_gt_i32 s13, 43
	;; [unrolled: 3-line block ×3, first 2 shown]
	s_cbranch_scc0 .LBB142_2400
; %bb.2393:
	s_cmp_eq_u32 s13, 46
	s_mov_b64 s[14:15], 0
	s_cbranch_scc0 .LBB142_2401
; %bb.2394:
	global_load_dword v7, v[9:10], off
	s_mov_b32 s0, 0x2f800000
	s_mov_b32 s1, 0xcf800000
	s_mov_b64 s[10:11], -1
	s_waitcnt vmcnt(0)
	v_lshlrev_b32_e32 v7, 16, v7
	v_trunc_f32_e32 v7, v7
	v_mul_f32_e64 v8, |v7|, s0
	v_floor_f32_e32 v8, v8
	v_fma_f32 v8, v8, s1, |v7|
	v_cvt_u32_f32_e32 v8, v8
	v_ashrrev_i32_e32 v7, 31, v7
	s_mov_b64 s[0:1], 0
	v_xor_b32_e32 v8, v8, v7
	v_sub_u32_e32 v7, v8, v7
	s_branch .LBB142_2402
.LBB142_2395:
	s_mov_b64 s[0:1], -1
	s_mov_b64 s[10:11], 0
                                        ; implicit-def: $vgpr7
	s_branch .LBB142_2464
.LBB142_2396:
	s_mov_b64 s[14:15], -1
	s_mov_b64 s[10:11], 0
	s_mov_b64 s[0:1], 0
                                        ; implicit-def: $vgpr7
	s_branch .LBB142_2429
.LBB142_2397:
	s_mov_b64 s[14:15], -1
	s_mov_b64 s[10:11], 0
	s_mov_b64 s[0:1], 0
                                        ; implicit-def: $vgpr7
	s_branch .LBB142_2412
.LBB142_2398:
	s_mov_b64 s[14:15], -1
	s_mov_b64 s[10:11], 0
	s_mov_b64 s[0:1], 0
                                        ; implicit-def: $vgpr7
	s_branch .LBB142_2407
.LBB142_2399:
	s_trap 2
	s_or_b64 s[18:19], s[18:19], exec
	s_cbranch_execz .LBB142_2336
	s_branch .LBB142_2337
.LBB142_2400:
	s_mov_b64 s[14:15], -1
	s_mov_b64 s[10:11], 0
	s_mov_b64 s[0:1], 0
                                        ; implicit-def: $vgpr7
	s_branch .LBB142_2402
.LBB142_2401:
	s_mov_b64 s[0:1], -1
                                        ; implicit-def: $vgpr7
	s_mov_b64 s[10:11], 0
.LBB142_2402:
	s_and_b64 vcc, exec, s[14:15]
	s_cbranch_vccz .LBB142_2406
; %bb.2403:
	s_cmp_eq_u32 s13, 44
	s_cbranch_scc0 .LBB142_2405
; %bb.2404:
	global_load_ubyte v7, v[9:10], off
	s_mov_b32 s0, 0x2f800000
	s_mov_b32 s1, 0xcf800000
	s_mov_b64 s[10:11], -1
	s_waitcnt vmcnt(0)
	v_lshlrev_b32_e32 v8, 23, v7
	v_trunc_f32_e32 v8, v8
	v_mul_f32_e64 v12, |v8|, s0
	v_floor_f32_e32 v12, v12
	v_fma_f32 v12, v12, s1, |v8|
	v_cvt_u32_f32_e32 v12, v12
	v_ashrrev_i32_e32 v8, 31, v8
	v_cmp_ne_u32_e32 vcc, 0, v7
	s_mov_b64 s[0:1], 0
	v_xor_b32_e32 v12, v12, v8
	v_sub_u32_e32 v8, v12, v8
	v_cndmask_b32_e32 v7, 0, v8, vcc
	s_branch .LBB142_2406
.LBB142_2405:
	s_mov_b64 s[0:1], -1
                                        ; implicit-def: $vgpr7
.LBB142_2406:
	s_mov_b64 s[14:15], 0
.LBB142_2407:
	s_and_b64 vcc, exec, s[14:15]
	s_cbranch_vccz .LBB142_2411
; %bb.2408:
	s_cmp_eq_u32 s13, 29
	s_cbranch_scc0 .LBB142_2410
; %bb.2409:
	global_load_dwordx2 v[7:8], v[9:10], off
	s_mov_b64 s[0:1], 0
	s_mov_b64 s[10:11], -1
	s_branch .LBB142_2411
.LBB142_2410:
	s_mov_b64 s[0:1], -1
                                        ; implicit-def: $vgpr7
.LBB142_2411:
	s_mov_b64 s[14:15], 0
.LBB142_2412:
	s_and_b64 vcc, exec, s[14:15]
	s_cbranch_vccz .LBB142_2428
; %bb.2413:
	s_cmp_lt_i32 s13, 27
	s_cbranch_scc1 .LBB142_2416
; %bb.2414:
	s_cmp_gt_i32 s13, 27
	s_cbranch_scc0 .LBB142_2417
; %bb.2415:
	global_load_dword v7, v[9:10], off
	s_mov_b64 s[10:11], 0
	s_branch .LBB142_2418
.LBB142_2416:
	s_mov_b64 s[10:11], -1
                                        ; implicit-def: $vgpr7
	s_branch .LBB142_2421
.LBB142_2417:
	s_mov_b64 s[10:11], -1
                                        ; implicit-def: $vgpr7
.LBB142_2418:
	s_andn2_b64 vcc, exec, s[10:11]
	s_cbranch_vccnz .LBB142_2420
; %bb.2419:
	global_load_ushort v7, v[9:10], off
.LBB142_2420:
	s_mov_b64 s[10:11], 0
.LBB142_2421:
	s_andn2_b64 vcc, exec, s[10:11]
	s_cbranch_vccnz .LBB142_2427
; %bb.2422:
	global_load_ubyte v8, v[9:10], off
	s_movk_i32 s10, 0x7f
	s_mov_b64 s[14:15], 0
	s_waitcnt vmcnt(0)
	v_cmp_lt_i16_e32 vcc, s10, v8
	s_and_saveexec_b64 s[10:11], vcc
	s_xor_b64 s[10:11], exec, s[10:11]
	s_cbranch_execz .LBB142_2439
; %bb.2423:
	s_movk_i32 s14, 0x80
	v_cmp_ne_u16_e32 vcc, s14, v8
	s_and_b64 s[14:15], vcc, exec
	s_andn2_saveexec_b64 s[10:11], s[10:11]
	s_cbranch_execnz .LBB142_2440
.LBB142_2424:
	s_or_b64 exec, exec, s[10:11]
	v_mov_b32_e32 v7, 0
	s_and_saveexec_b64 s[10:11], s[14:15]
	s_cbranch_execz .LBB142_2426
.LBB142_2425:
	v_lshlrev_b32_e32 v7, 24, v8
	v_and_b32_e32 v8, 0xffff, v8
	v_and_b32_e32 v12, 7, v8
	v_ffbh_u32_e32 v14, v12
	v_min_u32_e32 v14, 32, v14
	v_subrev_u32_e32 v15, 28, v14
	v_bfe_u32 v13, v8, 3, 4
	v_lshlrev_b32_e32 v8, v15, v8
	v_sub_u32_e32 v14, 29, v14
	v_and_b32_e32 v8, 7, v8
	v_cmp_eq_u32_e32 vcc, 0, v13
	v_cndmask_b32_e32 v13, v13, v14, vcc
	v_cndmask_b32_e32 v8, v12, v8, vcc
	v_mov_b32_e32 v12, 0x3b800000
	v_lshlrev_b32_e32 v8, 20, v8
	v_and_b32_e32 v7, 0x80000000, v7
	v_lshl_add_u32 v12, v13, 23, v12
	v_or3_b32 v7, v7, v12, v8
	v_trunc_f32_e32 v7, v7
	s_mov_b32 s14, 0x2f800000
	v_mul_f32_e64 v8, |v7|, s14
	v_floor_f32_e32 v8, v8
	s_mov_b32 s14, 0xcf800000
	v_fma_f32 v8, v8, s14, |v7|
	v_cvt_u32_f32_e32 v8, v8
	v_ashrrev_i32_e32 v7, 31, v7
	v_xor_b32_e32 v8, v8, v7
	v_sub_u32_e32 v7, v8, v7
.LBB142_2426:
	s_or_b64 exec, exec, s[10:11]
.LBB142_2427:
	s_mov_b64 s[10:11], -1
.LBB142_2428:
	s_mov_b64 s[14:15], 0
.LBB142_2429:
	s_and_b64 vcc, exec, s[14:15]
	s_cbranch_vccz .LBB142_2460
; %bb.2430:
	s_cmp_gt_i32 s13, 22
	s_cbranch_scc0 .LBB142_2438
; %bb.2431:
	s_cmp_lt_i32 s13, 24
	s_cbranch_scc1 .LBB142_2441
; %bb.2432:
	s_cmp_gt_i32 s13, 24
	s_cbranch_scc0 .LBB142_2442
; %bb.2433:
	global_load_ubyte v8, v[9:10], off
	s_movk_i32 s2, 0x7f
	s_mov_b64 s[10:11], 0
	s_waitcnt vmcnt(0)
	v_cmp_lt_i16_e32 vcc, s2, v8
	s_and_saveexec_b64 s[2:3], vcc
	s_xor_b64 s[2:3], exec, s[2:3]
	s_cbranch_execz .LBB142_2454
; %bb.2434:
	s_movk_i32 s10, 0x80
	v_cmp_ne_u16_e32 vcc, s10, v8
	s_and_b64 s[10:11], vcc, exec
	s_andn2_saveexec_b64 s[2:3], s[2:3]
	s_cbranch_execnz .LBB142_2455
.LBB142_2435:
	s_or_b64 exec, exec, s[2:3]
	v_mov_b32_e32 v7, 0
	s_and_saveexec_b64 s[2:3], s[10:11]
	s_cbranch_execz .LBB142_2437
.LBB142_2436:
	v_lshlrev_b32_e32 v7, 24, v8
	v_and_b32_e32 v8, 0xffff, v8
	v_and_b32_e32 v12, 3, v8
	v_ffbh_u32_e32 v14, v12
	v_min_u32_e32 v14, 32, v14
	v_subrev_u32_e32 v15, 29, v14
	v_bfe_u32 v13, v8, 2, 5
	v_lshlrev_b32_e32 v8, v15, v8
	v_sub_u32_e32 v14, 30, v14
	v_and_b32_e32 v8, 3, v8
	v_cmp_eq_u32_e32 vcc, 0, v13
	v_cndmask_b32_e32 v13, v13, v14, vcc
	v_cndmask_b32_e32 v8, v12, v8, vcc
	v_mov_b32_e32 v12, 0x37800000
	v_lshlrev_b32_e32 v8, 21, v8
	v_and_b32_e32 v7, 0x80000000, v7
	v_lshl_add_u32 v12, v13, 23, v12
	v_or3_b32 v7, v7, v12, v8
	v_trunc_f32_e32 v7, v7
	s_mov_b32 s10, 0x2f800000
	v_mul_f32_e64 v8, |v7|, s10
	v_floor_f32_e32 v8, v8
	s_mov_b32 s10, 0xcf800000
	v_fma_f32 v8, v8, s10, |v7|
	v_cvt_u32_f32_e32 v8, v8
	v_ashrrev_i32_e32 v7, 31, v7
	v_xor_b32_e32 v8, v8, v7
	v_sub_u32_e32 v7, v8, v7
.LBB142_2437:
	s_or_b64 exec, exec, s[2:3]
	s_mov_b64 s[2:3], 0
	s_branch .LBB142_2443
.LBB142_2438:
	s_mov_b64 s[2:3], -1
                                        ; implicit-def: $vgpr7
	s_branch .LBB142_2449
.LBB142_2439:
	s_andn2_saveexec_b64 s[10:11], s[10:11]
	s_cbranch_execz .LBB142_2424
.LBB142_2440:
	v_cmp_ne_u16_e32 vcc, 0, v8
	s_andn2_b64 s[14:15], s[14:15], exec
	s_and_b64 s[16:17], vcc, exec
	s_or_b64 s[14:15], s[14:15], s[16:17]
	s_or_b64 exec, exec, s[10:11]
	v_mov_b32_e32 v7, 0
	s_and_saveexec_b64 s[10:11], s[14:15]
	s_cbranch_execnz .LBB142_2425
	s_branch .LBB142_2426
.LBB142_2441:
	s_mov_b64 s[2:3], -1
                                        ; implicit-def: $vgpr7
	s_branch .LBB142_2446
.LBB142_2442:
	s_mov_b64 s[2:3], -1
                                        ; implicit-def: $vgpr7
.LBB142_2443:
	s_and_b64 vcc, exec, s[2:3]
	s_cbranch_vccz .LBB142_2445
; %bb.2444:
	global_load_ubyte v7, v[9:10], off
	s_mov_b32 s2, 0x7f800000
	s_brev_b32 s3, 1
	s_mov_b32 s10, 0x2f800000
	s_waitcnt vmcnt(0)
	v_lshlrev_b32_e32 v7, 24, v7
	v_and_b32_e32 v8, 0x7f000000, v7
	v_ffbh_u32_e32 v12, v8
	v_min_u32_e32 v12, 32, v12
	v_sub_u32_e64 v12, v12, 4 clamp
	v_lshlrev_b32_e32 v14, v12, v8
	v_lshlrev_b32_e32 v12, 23, v12
	v_lshrrev_b32_e32 v14, 4, v14
	v_add_u32_e32 v13, 0x1000000, v8
	v_sub_u32_e32 v12, v14, v12
	v_ashrrev_i32_e32 v13, 8, v13
	v_add_u32_e32 v12, 0x3c000000, v12
	v_and_or_b32 v12, v13, s2, v12
	v_cmp_ne_u32_e32 vcc, 0, v8
	v_cndmask_b32_e32 v8, 0, v12, vcc
	v_and_or_b32 v7, v7, s3, v8
	v_trunc_f32_e32 v7, v7
	v_mul_f32_e64 v8, |v7|, s10
	v_floor_f32_e32 v8, v8
	s_mov_b32 s2, 0xcf800000
	v_fma_f32 v8, v8, s2, |v7|
	v_cvt_u32_f32_e32 v8, v8
	v_ashrrev_i32_e32 v7, 31, v7
	v_xor_b32_e32 v8, v8, v7
	v_sub_u32_e32 v7, v8, v7
.LBB142_2445:
	s_mov_b64 s[2:3], 0
.LBB142_2446:
	s_andn2_b64 vcc, exec, s[2:3]
	s_cbranch_vccnz .LBB142_2448
; %bb.2447:
	global_load_ubyte v7, v[9:10], off
	s_movk_i32 s2, 0x7f00
	s_brev_b32 s3, 16
	s_brev_b32 s10, 1
	s_mov_b32 s11, 0x2f800000
	s_waitcnt vmcnt(0)
	v_lshlrev_b16_e32 v8, 8, v7
	v_lshlrev_b32_e32 v7, 25, v7
	v_lshrrev_b32_e32 v12, 4, v7
	v_and_or_b32 v13, v8, s2, 0.5
	v_or_b32_e32 v12, 0x70000000, v12
	v_add_f32_e32 v13, -0.5, v13
	v_mul_f32_e32 v12, 0x7800000, v12
	v_cmp_gt_u32_e32 vcc, s3, v7
	v_bfe_i32 v8, v8, 0, 16
	v_cndmask_b32_e32 v7, v12, v13, vcc
	v_and_or_b32 v7, v8, s10, v7
	v_trunc_f32_e32 v7, v7
	v_mul_f32_e64 v8, |v7|, s11
	v_floor_f32_e32 v8, v8
	s_mov_b32 s2, 0xcf800000
	v_fma_f32 v8, v8, s2, |v7|
	v_cvt_u32_f32_e32 v8, v8
	v_ashrrev_i32_e32 v7, 31, v7
	v_xor_b32_e32 v8, v8, v7
	v_sub_u32_e32 v7, v8, v7
.LBB142_2448:
	s_mov_b64 s[2:3], 0
	s_mov_b64 s[10:11], -1
.LBB142_2449:
	s_andn2_b64 vcc, exec, s[2:3]
	s_mov_b64 s[2:3], 0
	s_cbranch_vccnz .LBB142_2460
; %bb.2450:
	s_cmp_gt_i32 s13, 14
	s_cbranch_scc0 .LBB142_2453
; %bb.2451:
	s_cmp_eq_u32 s13, 15
	s_cbranch_scc0 .LBB142_2456
; %bb.2452:
	global_load_ushort v7, v[9:10], off
	s_mov_b32 s0, 0x2f800000
	s_mov_b32 s1, 0xcf800000
	s_mov_b64 s[10:11], -1
	s_waitcnt vmcnt(0)
	v_lshlrev_b32_e32 v7, 16, v7
	v_trunc_f32_e32 v7, v7
	v_mul_f32_e64 v8, |v7|, s0
	v_floor_f32_e32 v8, v8
	v_fma_f32 v8, v8, s1, |v7|
	v_cvt_u32_f32_e32 v8, v8
	v_ashrrev_i32_e32 v7, 31, v7
	s_mov_b64 s[0:1], 0
	v_xor_b32_e32 v8, v8, v7
	v_sub_u32_e32 v7, v8, v7
	s_branch .LBB142_2457
.LBB142_2453:
	s_mov_b64 s[14:15], -1
                                        ; implicit-def: $vgpr7
	s_branch .LBB142_2458
.LBB142_2454:
	s_andn2_saveexec_b64 s[2:3], s[2:3]
	s_cbranch_execz .LBB142_2435
.LBB142_2455:
	v_cmp_ne_u16_e32 vcc, 0, v8
	s_andn2_b64 s[10:11], s[10:11], exec
	s_and_b64 s[14:15], vcc, exec
	s_or_b64 s[10:11], s[10:11], s[14:15]
	s_or_b64 exec, exec, s[2:3]
	v_mov_b32_e32 v7, 0
	s_and_saveexec_b64 s[2:3], s[10:11]
	s_cbranch_execnz .LBB142_2436
	s_branch .LBB142_2437
.LBB142_2456:
	s_mov_b64 s[0:1], -1
                                        ; implicit-def: $vgpr7
.LBB142_2457:
	s_mov_b64 s[14:15], 0
.LBB142_2458:
	s_and_b64 vcc, exec, s[14:15]
	s_cbranch_vccz .LBB142_2460
; %bb.2459:
	s_cmp_lg_u32 s13, 11
	s_mov_b64 s[2:3], -1
	s_cselect_b64 s[0:1], -1, 0
.LBB142_2460:
	s_and_b64 vcc, exec, s[0:1]
	s_cbranch_vccnz .LBB142_2993
; %bb.2461:
	s_andn2_b64 vcc, exec, s[2:3]
	s_cbranch_vccnz .LBB142_2463
.LBB142_2462:
	global_load_ubyte v7, v[9:10], off
	s_mov_b64 s[10:11], -1
	s_waitcnt vmcnt(0)
	v_cmp_ne_u16_e32 vcc, 0, v7
	v_cndmask_b32_e64 v7, 0, 1, vcc
.LBB142_2463:
	s_mov_b64 s[0:1], 0
.LBB142_2464:
	s_and_b64 vcc, exec, s[0:1]
	s_cbranch_vccz .LBB142_2513
; %bb.2465:
	s_and_b32 s2, 0xffff, s25
	s_cmp_lt_i32 s2, 5
	s_cbranch_scc1 .LBB142_2470
; %bb.2466:
	s_cmp_lt_i32 s2, 8
	s_cbranch_scc1 .LBB142_2471
; %bb.2467:
	;; [unrolled: 3-line block ×3, first 2 shown]
	s_cmp_gt_i32 s2, 9
	s_cbranch_scc0 .LBB142_2473
; %bb.2469:
	global_load_dwordx2 v[7:8], v[9:10], off
	s_movk_i32 s0, 0xffe0
	s_waitcnt vmcnt(0)
	v_trunc_f64_e32 v[7:8], v[7:8]
	v_ldexp_f64 v[12:13], v[7:8], s0
	s_mov_b32 s0, 0
	s_mov_b32 s1, 0xc1f00000
	v_floor_f64_e32 v[12:13], v[12:13]
	v_fma_f64 v[7:8], v[12:13], s[0:1], v[7:8]
	s_mov_b64 s[0:1], 0
	v_cvt_u32_f64_e32 v7, v[7:8]
	s_branch .LBB142_2474
.LBB142_2470:
	s_mov_b64 s[0:1], -1
                                        ; implicit-def: $vgpr7
	s_branch .LBB142_2492
.LBB142_2471:
	s_mov_b64 s[0:1], -1
                                        ; implicit-def: $vgpr7
	s_branch .LBB142_2480
.LBB142_2472:
	s_mov_b64 s[0:1], -1
                                        ; implicit-def: $vgpr7
	s_branch .LBB142_2477
.LBB142_2473:
	s_mov_b64 s[0:1], -1
                                        ; implicit-def: $vgpr7
.LBB142_2474:
	s_andn2_b64 vcc, exec, s[0:1]
	s_cbranch_vccnz .LBB142_2476
; %bb.2475:
	global_load_dword v7, v[9:10], off
	s_mov_b32 s0, 0x2f800000
	s_waitcnt vmcnt(0)
	v_trunc_f32_e32 v7, v7
	v_mul_f32_e64 v8, |v7|, s0
	v_floor_f32_e32 v8, v8
	s_mov_b32 s0, 0xcf800000
	v_fma_f32 v8, v8, s0, |v7|
	v_cvt_u32_f32_e32 v8, v8
	v_ashrrev_i32_e32 v7, 31, v7
	v_xor_b32_e32 v8, v8, v7
	v_sub_u32_e32 v7, v8, v7
.LBB142_2476:
	s_mov_b64 s[0:1], 0
.LBB142_2477:
	s_andn2_b64 vcc, exec, s[0:1]
	s_cbranch_vccnz .LBB142_2479
; %bb.2478:
	global_load_dword v7, v[9:10], off
	s_waitcnt vmcnt(0)
	v_cvt_f32_f16_e32 v7, v7
	v_cvt_i32_f32_e32 v7, v7
.LBB142_2479:
	s_mov_b64 s[0:1], 0
.LBB142_2480:
	s_andn2_b64 vcc, exec, s[0:1]
	s_cbranch_vccnz .LBB142_2491
; %bb.2481:
	s_cmp_lt_i32 s2, 6
	s_cbranch_scc1 .LBB142_2484
; %bb.2482:
	s_cmp_gt_i32 s2, 6
	s_cbranch_scc0 .LBB142_2485
; %bb.2483:
	global_load_dwordx2 v[7:8], v[9:10], off
	s_movk_i32 s0, 0xffe0
	s_waitcnt vmcnt(0)
	v_trunc_f64_e32 v[7:8], v[7:8]
	v_ldexp_f64 v[12:13], v[7:8], s0
	s_mov_b32 s0, 0
	s_mov_b32 s1, 0xc1f00000
	v_floor_f64_e32 v[12:13], v[12:13]
	v_fma_f64 v[7:8], v[12:13], s[0:1], v[7:8]
	s_mov_b64 s[0:1], 0
	v_cvt_u32_f64_e32 v7, v[7:8]
	s_branch .LBB142_2486
.LBB142_2484:
	s_mov_b64 s[0:1], -1
                                        ; implicit-def: $vgpr7
	s_branch .LBB142_2489
.LBB142_2485:
	s_mov_b64 s[0:1], -1
                                        ; implicit-def: $vgpr7
.LBB142_2486:
	s_andn2_b64 vcc, exec, s[0:1]
	s_cbranch_vccnz .LBB142_2488
; %bb.2487:
	global_load_dword v7, v[9:10], off
	s_mov_b32 s0, 0x2f800000
	s_waitcnt vmcnt(0)
	v_trunc_f32_e32 v7, v7
	v_mul_f32_e64 v8, |v7|, s0
	v_floor_f32_e32 v8, v8
	s_mov_b32 s0, 0xcf800000
	v_fma_f32 v8, v8, s0, |v7|
	v_cvt_u32_f32_e32 v8, v8
	v_ashrrev_i32_e32 v7, 31, v7
	v_xor_b32_e32 v8, v8, v7
	v_sub_u32_e32 v7, v8, v7
.LBB142_2488:
	s_mov_b64 s[0:1], 0
.LBB142_2489:
	s_andn2_b64 vcc, exec, s[0:1]
	s_cbranch_vccnz .LBB142_2491
; %bb.2490:
	global_load_ushort v7, v[9:10], off
	s_waitcnt vmcnt(0)
	v_cvt_f32_f16_e32 v7, v7
	v_cvt_i32_f32_e32 v7, v7
.LBB142_2491:
	s_mov_b64 s[0:1], 0
.LBB142_2492:
	s_andn2_b64 vcc, exec, s[0:1]
	s_cbranch_vccnz .LBB142_2512
; %bb.2493:
	s_cmp_lt_i32 s2, 2
	s_cbranch_scc1 .LBB142_2497
; %bb.2494:
	s_cmp_lt_i32 s2, 3
	s_cbranch_scc1 .LBB142_2498
; %bb.2495:
	s_cmp_gt_i32 s2, 3
	s_cbranch_scc0 .LBB142_2499
; %bb.2496:
	global_load_dwordx2 v[7:8], v[9:10], off
	s_mov_b64 s[0:1], 0
	s_branch .LBB142_2500
.LBB142_2497:
	s_mov_b64 s[0:1], -1
                                        ; implicit-def: $vgpr7
	s_branch .LBB142_2506
.LBB142_2498:
	s_mov_b64 s[0:1], -1
                                        ; implicit-def: $vgpr7
	s_branch .LBB142_2503
.LBB142_2499:
	s_mov_b64 s[0:1], -1
                                        ; implicit-def: $vgpr7
.LBB142_2500:
	s_andn2_b64 vcc, exec, s[0:1]
	s_cbranch_vccnz .LBB142_2502
; %bb.2501:
	global_load_dword v7, v[9:10], off
.LBB142_2502:
	s_mov_b64 s[0:1], 0
.LBB142_2503:
	s_andn2_b64 vcc, exec, s[0:1]
	s_cbranch_vccnz .LBB142_2505
; %bb.2504:
	global_load_ushort v7, v[9:10], off
.LBB142_2505:
	s_mov_b64 s[0:1], 0
.LBB142_2506:
	s_andn2_b64 vcc, exec, s[0:1]
	s_cbranch_vccnz .LBB142_2512
; %bb.2507:
	s_cmp_gt_i32 s2, 0
	s_cbranch_scc0 .LBB142_2509
; %bb.2508:
	global_load_ubyte v7, v[9:10], off
	s_mov_b64 s[0:1], 0
	s_branch .LBB142_2510
.LBB142_2509:
	s_mov_b64 s[0:1], -1
                                        ; implicit-def: $vgpr7
.LBB142_2510:
	s_andn2_b64 vcc, exec, s[0:1]
	s_cbranch_vccnz .LBB142_2512
; %bb.2511:
	global_load_ubyte v7, v[9:10], off
.LBB142_2512:
	s_mov_b64 s[10:11], -1
.LBB142_2513:
	s_andn2_b64 vcc, exec, s[10:11]
	s_cbranch_vccnz .LBB142_2947
; %bb.2514:
	s_waitcnt vmcnt(0)
	v_mul_lo_u32 v8, s12, v11
	v_mov_b32_e32 v9, 8
	v_lshrrev_b16_sdwa v0, v1, v0 dst_sel:DWORD dst_unused:UNUSED_PAD src0_sel:BYTE_0 src1_sel:BYTE_0
	v_cmp_lt_u16_sdwa vcc, v1, v9 src0_sel:BYTE_0 src1_sel:DWORD
	v_cndmask_b32_e32 v9, 0, v0, vcc
	v_ashrrev_i32_e32 v1, 31, v8
	v_mov_b32_e32 v10, s9
	s_and_b32 s20, s33, 0xff
	v_add_co_u32_e32 v0, vcc, s8, v8
	s_cmp_lt_i32 s20, 11
	v_addc_co_u32_e32 v1, vcc, v10, v1, vcc
	s_cbranch_scc1 .LBB142_2592
; %bb.2515:
	s_and_b32 s13, 0xffff, s20
	s_mov_b64 s[14:15], -1
	s_mov_b64 s[2:3], 0
	s_cmp_gt_i32 s13, 25
	s_mov_b64 s[10:11], 0
	s_mov_b64 s[0:1], 0
	s_cbranch_scc0 .LBB142_2548
; %bb.2516:
	s_cmp_gt_i32 s13, 28
	s_cbranch_scc0 .LBB142_2531
; %bb.2517:
	s_cmp_gt_i32 s13, 43
	;; [unrolled: 3-line block ×3, first 2 shown]
	s_cbranch_scc0 .LBB142_2521
; %bb.2519:
	s_mov_b64 s[0:1], -1
	s_mov_b64 s[14:15], 0
	s_cmp_eq_u32 s13, 46
	s_cbranch_scc0 .LBB142_2521
; %bb.2520:
	v_cvt_f32_ubyte0_e32 v10, v9
	v_bfe_u32 v11, v10, 16, 1
	s_movk_i32 s0, 0x7fff
	v_add3_u32 v10, v10, v11, s0
	v_lshrrev_b32_e32 v10, 16, v10
	global_store_dword v[0:1], v10, off
	s_mov_b64 s[0:1], 0
	s_mov_b64 s[10:11], -1
.LBB142_2521:
	s_and_b64 vcc, exec, s[14:15]
	s_cbranch_vccz .LBB142_2526
; %bb.2522:
	s_cmp_eq_u32 s13, 44
	s_mov_b64 s[0:1], -1
	s_cbranch_scc0 .LBB142_2526
; %bb.2523:
	v_cvt_f32_ubyte0_e32 v11, v9
	v_lshrrev_b32_e32 v10, 23, v11
	s_movk_i32 s0, 0xff
	v_cmp_ne_u32_e32 vcc, s0, v10
	v_mov_b32_e32 v12, 0xff
	s_and_saveexec_b64 s[10:11], vcc
; %bb.2524:
	s_mov_b32 s0, 0x3fffff
	v_and_b32_e32 v12, 0x400000, v11
	v_and_or_b32 v11, v11, s0, v10
	v_cmp_ne_u32_e32 vcc, 0, v12
	v_cmp_ne_u32_e64 s[0:1], 0, v11
	s_and_b64 s[0:1], vcc, s[0:1]
	v_cndmask_b32_e64 v11, 0, 1, s[0:1]
	v_add_u32_e32 v12, v10, v11
; %bb.2525:
	s_or_b64 exec, exec, s[10:11]
	s_mov_b64 s[0:1], 0
	s_mov_b64 s[10:11], -1
	global_store_byte v[0:1], v12, off
.LBB142_2526:
	s_mov_b64 s[14:15], 0
.LBB142_2527:
	s_and_b64 vcc, exec, s[14:15]
	s_cbranch_vccz .LBB142_2530
; %bb.2528:
	s_cmp_eq_u32 s13, 29
	s_mov_b64 s[0:1], -1
	s_cbranch_scc0 .LBB142_2530
; %bb.2529:
	s_mov_b32 s0, 0
	v_and_b32_e32 v10, 0xffff, v9
	v_mov_b32_e32 v11, s0
	global_store_dwordx2 v[0:1], v[10:11], off
	s_mov_b64 s[0:1], 0
	s_mov_b64 s[10:11], -1
.LBB142_2530:
	s_mov_b64 s[14:15], 0
.LBB142_2531:
	s_and_b64 vcc, exec, s[14:15]
	s_cbranch_vccz .LBB142_2547
; %bb.2532:
	s_cmp_lt_i32 s13, 27
	s_mov_b64 s[10:11], -1
	s_cbranch_scc1 .LBB142_2538
; %bb.2533:
	s_cmp_gt_i32 s13, 27
	s_cbranch_scc0 .LBB142_2535
; %bb.2534:
	v_and_b32_e32 v10, 0xffff, v9
	s_mov_b64 s[10:11], 0
	global_store_dword v[0:1], v10, off
.LBB142_2535:
	s_andn2_b64 vcc, exec, s[10:11]
	s_cbranch_vccnz .LBB142_2537
; %bb.2536:
	global_store_short v[0:1], v9, off
.LBB142_2537:
	s_mov_b64 s[10:11], 0
.LBB142_2538:
	s_andn2_b64 vcc, exec, s[10:11]
	s_cbranch_vccnz .LBB142_2546
; %bb.2539:
	v_cvt_f32_ubyte0_e32 v11, v9
	s_mov_b32 s10, 0x43800000
	v_cmp_gt_u32_e32 vcc, s10, v11
	v_mov_b32_e32 v12, 0x80
	s_and_saveexec_b64 s[10:11], vcc
	s_cbranch_execz .LBB142_2545
; %bb.2540:
	s_mov_b32 s14, 0x3bffffff
	v_cmp_lt_u32_e32 vcc, s14, v11
	s_mov_b64 s[14:15], 0
                                        ; implicit-def: $vgpr10
	s_and_saveexec_b64 s[16:17], vcc
	s_xor_b64 s[16:17], exec, s[16:17]
	s_cbranch_execz .LBB142_2994
; %bb.2541:
	v_bfe_u32 v10, v11, 20, 1
	s_mov_b32 s21, 0x487ffff
	v_add3_u32 v10, v11, v10, s21
	s_mov_b64 s[14:15], exec
	v_lshrrev_b32_e32 v10, 20, v10
                                        ; implicit-def: $vgpr11
	s_andn2_saveexec_b64 s[16:17], s[16:17]
	s_cbranch_execnz .LBB142_2995
.LBB142_2542:
	s_or_b64 exec, exec, s[16:17]
	v_mov_b32_e32 v12, 0
	s_and_saveexec_b64 s[16:17], s[14:15]
.LBB142_2543:
	v_mov_b32_e32 v12, v10
.LBB142_2544:
	s_or_b64 exec, exec, s[16:17]
.LBB142_2545:
	s_or_b64 exec, exec, s[10:11]
	global_store_byte v[0:1], v12, off
.LBB142_2546:
	s_mov_b64 s[10:11], -1
.LBB142_2547:
	s_mov_b64 s[14:15], 0
.LBB142_2548:
	s_and_b64 vcc, exec, s[14:15]
	s_cbranch_vccz .LBB142_2588
; %bb.2549:
	s_cmp_gt_i32 s13, 22
	s_mov_b64 s[2:3], -1
	s_cbranch_scc0 .LBB142_2581
; %bb.2550:
	s_cmp_lt_i32 s13, 24
	s_cbranch_scc1 .LBB142_2570
; %bb.2551:
	s_cmp_gt_i32 s13, 24
	s_cbranch_scc0 .LBB142_2559
; %bb.2552:
	v_cvt_f32_ubyte0_e32 v11, v9
	s_mov_b32 s2, 0x47800000
	v_cmp_gt_u32_e32 vcc, s2, v11
	v_mov_b32_e32 v12, 0x80
	s_and_saveexec_b64 s[2:3], vcc
	s_cbranch_execz .LBB142_2558
; %bb.2553:
	s_mov_b32 s10, 0x37ffffff
	v_cmp_lt_u32_e32 vcc, s10, v11
	s_mov_b64 s[10:11], 0
                                        ; implicit-def: $vgpr10
	s_and_saveexec_b64 s[14:15], vcc
	s_xor_b64 s[14:15], exec, s[14:15]
	s_cbranch_execz .LBB142_2997
; %bb.2554:
	v_bfe_u32 v10, v11, 21, 1
	s_mov_b32 s16, 0x88fffff
	v_add3_u32 v10, v11, v10, s16
	s_mov_b64 s[10:11], exec
	v_lshrrev_b32_e32 v10, 21, v10
                                        ; implicit-def: $vgpr11
	s_andn2_saveexec_b64 s[14:15], s[14:15]
	s_cbranch_execnz .LBB142_2998
.LBB142_2555:
	s_or_b64 exec, exec, s[14:15]
	v_mov_b32_e32 v12, 0
	s_and_saveexec_b64 s[14:15], s[10:11]
.LBB142_2556:
	v_mov_b32_e32 v12, v10
.LBB142_2557:
	s_or_b64 exec, exec, s[14:15]
.LBB142_2558:
	s_or_b64 exec, exec, s[2:3]
	s_mov_b64 s[2:3], 0
	global_store_byte v[0:1], v12, off
.LBB142_2559:
	s_and_b64 vcc, exec, s[2:3]
	s_cbranch_vccz .LBB142_2569
; %bb.2560:
	v_cvt_f32_ubyte0_e32 v10, v9
	s_mov_b32 s2, 0x43f00000
	v_cmp_gt_u32_e32 vcc, s2, v10
                                        ; implicit-def: $vgpr11
	s_and_saveexec_b64 s[2:3], vcc
	s_xor_b64 s[2:3], exec, s[2:3]
	s_cbranch_execz .LBB142_2566
; %bb.2561:
	s_mov_b32 s10, 0x3c7fffff
	v_cmp_lt_u32_e32 vcc, s10, v10
                                        ; implicit-def: $vgpr11
	s_and_saveexec_b64 s[10:11], vcc
	s_xor_b64 s[10:11], exec, s[10:11]
; %bb.2562:
	v_bfe_u32 v11, v10, 20, 1
	s_mov_b32 s14, 0x407ffff
	v_add3_u32 v10, v10, v11, s14
	v_lshrrev_b32_e32 v11, 20, v10
	v_and_b32_e32 v10, 0xff00000, v10
	s_mov_b32 s14, 0x7f00000
	v_mov_b32_e32 v12, 0x7e
	v_cmp_ne_u32_e32 vcc, s14, v10
	v_cndmask_b32_e32 v11, v12, v11, vcc
                                        ; implicit-def: $vgpr10
; %bb.2563:
	s_andn2_saveexec_b64 s[10:11], s[10:11]
; %bb.2564:
	v_add_f32_e32 v11, 0x46800000, v10
; %bb.2565:
	s_or_b64 exec, exec, s[10:11]
                                        ; implicit-def: $vgpr10
.LBB142_2566:
	s_andn2_saveexec_b64 s[2:3], s[2:3]
; %bb.2567:
	s_mov_b32 s10, 0x7f800000
	v_mov_b32_e32 v11, 0x7e
	v_mov_b32_e32 v12, 0x7f
	v_cmp_lt_u32_e32 vcc, s10, v10
	v_cndmask_b32_e32 v11, v11, v12, vcc
; %bb.2568:
	s_or_b64 exec, exec, s[2:3]
	global_store_byte v[0:1], v11, off
.LBB142_2569:
	s_mov_b64 s[2:3], 0
.LBB142_2570:
	s_andn2_b64 vcc, exec, s[2:3]
	s_cbranch_vccnz .LBB142_2580
; %bb.2571:
	v_cvt_f32_ubyte0_e32 v10, v9
	s_mov_b32 s2, 0x47800000
	v_cmp_gt_u32_e32 vcc, s2, v10
                                        ; implicit-def: $vgpr11
	s_and_saveexec_b64 s[2:3], vcc
	s_xor_b64 s[2:3], exec, s[2:3]
	s_cbranch_execz .LBB142_2577
; %bb.2572:
	s_mov_b32 s10, 0x387fffff
	v_cmp_lt_u32_e32 vcc, s10, v10
                                        ; implicit-def: $vgpr11
	s_and_saveexec_b64 s[10:11], vcc
	s_xor_b64 s[10:11], exec, s[10:11]
; %bb.2573:
	v_bfe_u32 v11, v10, 21, 1
	s_mov_b32 s14, 0x80fffff
	v_add3_u32 v10, v10, v11, s14
	v_lshrrev_b32_e32 v11, 21, v10
                                        ; implicit-def: $vgpr10
; %bb.2574:
	s_andn2_saveexec_b64 s[10:11], s[10:11]
; %bb.2575:
	v_add_f32_e32 v11, 0x43000000, v10
; %bb.2576:
	s_or_b64 exec, exec, s[10:11]
                                        ; implicit-def: $vgpr10
.LBB142_2577:
	s_andn2_saveexec_b64 s[2:3], s[2:3]
; %bb.2578:
	s_mov_b32 s10, 0x7f800000
	v_mov_b32_e32 v11, 0x7c
	v_mov_b32_e32 v12, 0x7f
	v_cmp_lt_u32_e32 vcc, s10, v10
	v_cndmask_b32_e32 v11, v11, v12, vcc
; %bb.2579:
	s_or_b64 exec, exec, s[2:3]
	global_store_byte v[0:1], v11, off
.LBB142_2580:
	s_mov_b64 s[2:3], 0
	s_mov_b64 s[10:11], -1
.LBB142_2581:
	s_andn2_b64 vcc, exec, s[2:3]
	s_mov_b64 s[2:3], 0
	s_cbranch_vccnz .LBB142_2588
; %bb.2582:
	s_cmp_gt_i32 s13, 14
	s_mov_b64 s[14:15], -1
	s_cbranch_scc0 .LBB142_2586
; %bb.2583:
	s_cmp_eq_u32 s13, 15
	s_mov_b64 s[0:1], -1
	s_cbranch_scc0 .LBB142_2585
; %bb.2584:
	v_cvt_f32_ubyte0_e32 v10, v9
	v_bfe_u32 v11, v10, 16, 1
	s_movk_i32 s0, 0x7fff
	v_add3_u32 v10, v10, v11, s0
	global_store_short_d16_hi v[0:1], v10, off
	s_mov_b64 s[0:1], 0
	s_mov_b64 s[10:11], -1
.LBB142_2585:
	s_mov_b64 s[14:15], 0
.LBB142_2586:
	s_and_b64 vcc, exec, s[14:15]
	s_cbranch_vccz .LBB142_2588
; %bb.2587:
	s_cmp_lg_u32 s13, 11
	s_mov_b64 s[2:3], -1
	s_cselect_b64 s[0:1], -1, 0
.LBB142_2588:
	s_and_b64 vcc, exec, s[0:1]
	s_cbranch_vccnz .LBB142_2996
; %bb.2589:
	s_andn2_b64 vcc, exec, s[2:3]
	s_cbranch_vccnz .LBB142_2591
.LBB142_2590:
	v_cmp_ne_u16_e32 vcc, 0, v9
	v_cndmask_b32_e64 v10, 0, 1, vcc
	s_mov_b64 s[10:11], -1
	global_store_byte v[0:1], v10, off
.LBB142_2591:
	s_mov_b64 s[0:1], 0
	s_branch .LBB142_2593
.LBB142_2592:
	s_mov_b64 s[0:1], -1
	s_mov_b64 s[10:11], 0
.LBB142_2593:
	s_and_b64 vcc, exec, s[0:1]
	s_cbranch_vccz .LBB142_2632
; %bb.2594:
	s_and_b32 s2, 0xffff, s20
	s_cmp_lt_i32 s2, 5
	s_mov_b64 s[0:1], -1
	s_cbranch_scc1 .LBB142_2615
; %bb.2595:
	s_cmp_lt_i32 s2, 8
	s_cbranch_scc1 .LBB142_2605
; %bb.2596:
	s_cmp_lt_i32 s2, 9
	s_cbranch_scc1 .LBB142_2602
; %bb.2597:
	s_cmp_gt_i32 s2, 9
	s_cbranch_scc0 .LBB142_2599
; %bb.2598:
	v_and_b32_e32 v10, 0xffff, v9
	v_cvt_f64_u32_e32 v[10:11], v10
	v_mov_b32_e32 v12, 0
	v_mov_b32_e32 v13, v12
	s_mov_b64 s[0:1], 0
	global_store_dwordx4 v[0:1], v[10:13], off
.LBB142_2599:
	s_andn2_b64 vcc, exec, s[0:1]
	s_cbranch_vccnz .LBB142_2601
; %bb.2600:
	v_cvt_f32_ubyte0_e32 v10, v9
	v_mov_b32_e32 v11, 0
	global_store_dwordx2 v[0:1], v[10:11], off
.LBB142_2601:
	s_mov_b64 s[0:1], 0
.LBB142_2602:
	s_andn2_b64 vcc, exec, s[0:1]
	s_cbranch_vccnz .LBB142_2604
; %bb.2603:
	v_cvt_f16_u16_e32 v10, v9
	global_store_dword v[0:1], v10, off
.LBB142_2604:
	s_mov_b64 s[0:1], 0
.LBB142_2605:
	s_andn2_b64 vcc, exec, s[0:1]
	s_cbranch_vccnz .LBB142_2614
; %bb.2606:
	s_cmp_lt_i32 s2, 6
	s_mov_b64 s[0:1], -1
	s_cbranch_scc1 .LBB142_2612
; %bb.2607:
	s_cmp_gt_i32 s2, 6
	s_cbranch_scc0 .LBB142_2609
; %bb.2608:
	v_and_b32_e32 v10, 0xffff, v9
	v_cvt_f64_u32_e32 v[10:11], v10
	s_mov_b64 s[0:1], 0
	global_store_dwordx2 v[0:1], v[10:11], off
.LBB142_2609:
	s_andn2_b64 vcc, exec, s[0:1]
	s_cbranch_vccnz .LBB142_2611
; %bb.2610:
	v_cvt_f32_ubyte0_e32 v10, v9
	global_store_dword v[0:1], v10, off
.LBB142_2611:
	s_mov_b64 s[0:1], 0
.LBB142_2612:
	s_andn2_b64 vcc, exec, s[0:1]
	s_cbranch_vccnz .LBB142_2614
; %bb.2613:
	v_cvt_f16_u16_e32 v10, v9
	global_store_short v[0:1], v10, off
.LBB142_2614:
	s_mov_b64 s[0:1], 0
.LBB142_2615:
	s_andn2_b64 vcc, exec, s[0:1]
	s_cbranch_vccnz .LBB142_2631
; %bb.2616:
	s_cmp_lt_i32 s2, 2
	s_mov_b64 s[0:1], -1
	s_cbranch_scc1 .LBB142_2626
; %bb.2617:
	s_cmp_lt_i32 s2, 3
	s_cbranch_scc1 .LBB142_2623
; %bb.2618:
	s_cmp_gt_i32 s2, 3
	s_cbranch_scc0 .LBB142_2620
; %bb.2619:
	s_mov_b32 s0, 0
	v_and_b32_e32 v10, 0xffff, v9
	v_mov_b32_e32 v11, s0
	global_store_dwordx2 v[0:1], v[10:11], off
	s_mov_b64 s[0:1], 0
.LBB142_2620:
	s_andn2_b64 vcc, exec, s[0:1]
	s_cbranch_vccnz .LBB142_2622
; %bb.2621:
	v_and_b32_e32 v10, 0xffff, v9
	global_store_dword v[0:1], v10, off
.LBB142_2622:
	s_mov_b64 s[0:1], 0
.LBB142_2623:
	s_andn2_b64 vcc, exec, s[0:1]
	s_cbranch_vccnz .LBB142_2625
; %bb.2624:
	global_store_short v[0:1], v9, off
.LBB142_2625:
	s_mov_b64 s[0:1], 0
.LBB142_2626:
	s_andn2_b64 vcc, exec, s[0:1]
	s_cbranch_vccnz .LBB142_2631
; %bb.2627:
	s_cmp_gt_i32 s2, 0
	s_mov_b64 s[0:1], -1
	s_cbranch_scc0 .LBB142_2629
; %bb.2628:
	global_store_byte v[0:1], v9, off
	s_mov_b64 s[0:1], 0
.LBB142_2629:
	s_andn2_b64 vcc, exec, s[0:1]
	s_cbranch_vccnz .LBB142_2631
; %bb.2630:
	global_store_byte v[0:1], v9, off
.LBB142_2631:
	s_mov_b64 s[10:11], -1
.LBB142_2632:
	s_andn2_b64 vcc, exec, s[10:11]
	s_cbranch_vccnz .LBB142_2947
; %bb.2633:
	v_mov_b32_e32 v1, 8
	s_lshl_b32 s16, s12, 7
	v_lshrrev_b16_sdwa v0, v3, v2 dst_sel:DWORD dst_unused:UNUSED_PAD src0_sel:BYTE_0 src1_sel:BYTE_0
	v_cmp_lt_u16_sdwa vcc, v3, v1 src0_sel:BYTE_0 src1_sel:DWORD
	v_add_u32_e32 v2, s16, v8
	v_cndmask_b32_e32 v3, 0, v0, vcc
	v_ashrrev_i32_e32 v1, 31, v2
	v_mov_b32_e32 v8, s9
	v_add_co_u32_e32 v0, vcc, s8, v2
	s_cmp_lt_i32 s20, 11
	v_addc_co_u32_e32 v1, vcc, v8, v1, vcc
	s_cbranch_scc1 .LBB142_2711
; %bb.2634:
	s_and_b32 s17, 0xffff, s20
	s_mov_b64 s[12:13], -1
	s_mov_b64 s[2:3], 0
	s_cmp_gt_i32 s17, 25
	s_mov_b64 s[10:11], 0
	s_mov_b64 s[0:1], 0
	s_cbranch_scc0 .LBB142_2667
; %bb.2635:
	s_cmp_gt_i32 s17, 28
	s_cbranch_scc0 .LBB142_2650
; %bb.2636:
	s_cmp_gt_i32 s17, 43
	;; [unrolled: 3-line block ×3, first 2 shown]
	s_cbranch_scc0 .LBB142_2640
; %bb.2638:
	s_mov_b64 s[0:1], -1
	s_mov_b64 s[12:13], 0
	s_cmp_eq_u32 s17, 46
	s_cbranch_scc0 .LBB142_2640
; %bb.2639:
	v_cvt_f32_ubyte0_e32 v8, v3
	v_bfe_u32 v9, v8, 16, 1
	s_movk_i32 s0, 0x7fff
	v_add3_u32 v8, v8, v9, s0
	v_lshrrev_b32_e32 v8, 16, v8
	global_store_dword v[0:1], v8, off
	s_mov_b64 s[0:1], 0
	s_mov_b64 s[10:11], -1
.LBB142_2640:
	s_and_b64 vcc, exec, s[12:13]
	s_cbranch_vccz .LBB142_2645
; %bb.2641:
	s_cmp_eq_u32 s17, 44
	s_mov_b64 s[0:1], -1
	s_cbranch_scc0 .LBB142_2645
; %bb.2642:
	v_cvt_f32_ubyte0_e32 v9, v3
	v_lshrrev_b32_e32 v8, 23, v9
	s_movk_i32 s0, 0xff
	v_cmp_ne_u32_e32 vcc, s0, v8
	v_mov_b32_e32 v10, 0xff
	s_and_saveexec_b64 s[10:11], vcc
; %bb.2643:
	s_mov_b32 s0, 0x3fffff
	v_and_b32_e32 v10, 0x400000, v9
	v_and_or_b32 v9, v9, s0, v8
	v_cmp_ne_u32_e32 vcc, 0, v10
	v_cmp_ne_u32_e64 s[0:1], 0, v9
	s_and_b64 s[0:1], vcc, s[0:1]
	v_cndmask_b32_e64 v9, 0, 1, s[0:1]
	v_add_u32_e32 v10, v8, v9
; %bb.2644:
	s_or_b64 exec, exec, s[10:11]
	s_mov_b64 s[0:1], 0
	s_mov_b64 s[10:11], -1
	global_store_byte v[0:1], v10, off
.LBB142_2645:
	s_mov_b64 s[12:13], 0
.LBB142_2646:
	s_and_b64 vcc, exec, s[12:13]
	s_cbranch_vccz .LBB142_2649
; %bb.2647:
	s_cmp_eq_u32 s17, 29
	s_mov_b64 s[0:1], -1
	s_cbranch_scc0 .LBB142_2649
; %bb.2648:
	s_mov_b32 s0, 0
	v_and_b32_e32 v8, 0xffff, v3
	v_mov_b32_e32 v9, s0
	global_store_dwordx2 v[0:1], v[8:9], off
	s_mov_b64 s[0:1], 0
	s_mov_b64 s[10:11], -1
.LBB142_2649:
	s_mov_b64 s[12:13], 0
.LBB142_2650:
	s_and_b64 vcc, exec, s[12:13]
	s_cbranch_vccz .LBB142_2666
; %bb.2651:
	s_cmp_lt_i32 s17, 27
	s_mov_b64 s[10:11], -1
	s_cbranch_scc1 .LBB142_2657
; %bb.2652:
	s_cmp_gt_i32 s17, 27
	s_cbranch_scc0 .LBB142_2654
; %bb.2653:
	v_and_b32_e32 v8, 0xffff, v3
	s_mov_b64 s[10:11], 0
	global_store_dword v[0:1], v8, off
.LBB142_2654:
	s_andn2_b64 vcc, exec, s[10:11]
	s_cbranch_vccnz .LBB142_2656
; %bb.2655:
	global_store_short v[0:1], v3, off
.LBB142_2656:
	s_mov_b64 s[10:11], 0
.LBB142_2657:
	s_andn2_b64 vcc, exec, s[10:11]
	s_cbranch_vccnz .LBB142_2665
; %bb.2658:
	v_cvt_f32_ubyte0_e32 v9, v3
	s_mov_b32 s10, 0x43800000
	v_cmp_gt_u32_e32 vcc, s10, v9
	v_mov_b32_e32 v10, 0x80
	s_and_saveexec_b64 s[10:11], vcc
	s_cbranch_execz .LBB142_2664
; %bb.2659:
	s_mov_b32 s12, 0x3bffffff
	v_cmp_lt_u32_e32 vcc, s12, v9
	s_mov_b64 s[12:13], 0
                                        ; implicit-def: $vgpr8
	s_and_saveexec_b64 s[14:15], vcc
	s_xor_b64 s[14:15], exec, s[14:15]
	s_cbranch_execz .LBB142_2999
; %bb.2660:
	v_bfe_u32 v8, v9, 20, 1
	s_mov_b32 s21, 0x487ffff
	v_add3_u32 v8, v9, v8, s21
	s_mov_b64 s[12:13], exec
	v_lshrrev_b32_e32 v8, 20, v8
                                        ; implicit-def: $vgpr9
	s_andn2_saveexec_b64 s[14:15], s[14:15]
	s_cbranch_execnz .LBB142_3000
.LBB142_2661:
	s_or_b64 exec, exec, s[14:15]
	v_mov_b32_e32 v10, 0
	s_and_saveexec_b64 s[14:15], s[12:13]
.LBB142_2662:
	v_mov_b32_e32 v10, v8
.LBB142_2663:
	s_or_b64 exec, exec, s[14:15]
.LBB142_2664:
	s_or_b64 exec, exec, s[10:11]
	global_store_byte v[0:1], v10, off
.LBB142_2665:
	s_mov_b64 s[10:11], -1
.LBB142_2666:
	s_mov_b64 s[12:13], 0
.LBB142_2667:
	s_and_b64 vcc, exec, s[12:13]
	s_cbranch_vccz .LBB142_2707
; %bb.2668:
	s_cmp_gt_i32 s17, 22
	s_mov_b64 s[2:3], -1
	s_cbranch_scc0 .LBB142_2700
; %bb.2669:
	s_cmp_lt_i32 s17, 24
	s_cbranch_scc1 .LBB142_2689
; %bb.2670:
	s_cmp_gt_i32 s17, 24
	s_cbranch_scc0 .LBB142_2678
; %bb.2671:
	v_cvt_f32_ubyte0_e32 v9, v3
	s_mov_b32 s2, 0x47800000
	v_cmp_gt_u32_e32 vcc, s2, v9
	v_mov_b32_e32 v10, 0x80
	s_and_saveexec_b64 s[2:3], vcc
	s_cbranch_execz .LBB142_2677
; %bb.2672:
	s_mov_b32 s10, 0x37ffffff
	v_cmp_lt_u32_e32 vcc, s10, v9
	s_mov_b64 s[10:11], 0
                                        ; implicit-def: $vgpr8
	s_and_saveexec_b64 s[12:13], vcc
	s_xor_b64 s[12:13], exec, s[12:13]
	s_cbranch_execz .LBB142_3002
; %bb.2673:
	v_bfe_u32 v8, v9, 21, 1
	s_mov_b32 s14, 0x88fffff
	v_add3_u32 v8, v9, v8, s14
	s_mov_b64 s[10:11], exec
	v_lshrrev_b32_e32 v8, 21, v8
                                        ; implicit-def: $vgpr9
	s_andn2_saveexec_b64 s[12:13], s[12:13]
	s_cbranch_execnz .LBB142_3003
.LBB142_2674:
	s_or_b64 exec, exec, s[12:13]
	v_mov_b32_e32 v10, 0
	s_and_saveexec_b64 s[12:13], s[10:11]
.LBB142_2675:
	v_mov_b32_e32 v10, v8
.LBB142_2676:
	s_or_b64 exec, exec, s[12:13]
.LBB142_2677:
	s_or_b64 exec, exec, s[2:3]
	s_mov_b64 s[2:3], 0
	global_store_byte v[0:1], v10, off
.LBB142_2678:
	s_and_b64 vcc, exec, s[2:3]
	s_cbranch_vccz .LBB142_2688
; %bb.2679:
	v_cvt_f32_ubyte0_e32 v8, v3
	s_mov_b32 s2, 0x43f00000
	v_cmp_gt_u32_e32 vcc, s2, v8
                                        ; implicit-def: $vgpr9
	s_and_saveexec_b64 s[2:3], vcc
	s_xor_b64 s[2:3], exec, s[2:3]
	s_cbranch_execz .LBB142_2685
; %bb.2680:
	s_mov_b32 s10, 0x3c7fffff
	v_cmp_lt_u32_e32 vcc, s10, v8
                                        ; implicit-def: $vgpr9
	s_and_saveexec_b64 s[10:11], vcc
	s_xor_b64 s[10:11], exec, s[10:11]
; %bb.2681:
	v_bfe_u32 v9, v8, 20, 1
	s_mov_b32 s12, 0x407ffff
	v_add3_u32 v8, v8, v9, s12
	v_lshrrev_b32_e32 v9, 20, v8
	v_and_b32_e32 v8, 0xff00000, v8
	s_mov_b32 s12, 0x7f00000
	v_mov_b32_e32 v10, 0x7e
	v_cmp_ne_u32_e32 vcc, s12, v8
	v_cndmask_b32_e32 v9, v10, v9, vcc
                                        ; implicit-def: $vgpr8
; %bb.2682:
	s_andn2_saveexec_b64 s[10:11], s[10:11]
; %bb.2683:
	v_add_f32_e32 v9, 0x46800000, v8
; %bb.2684:
	s_or_b64 exec, exec, s[10:11]
                                        ; implicit-def: $vgpr8
.LBB142_2685:
	s_andn2_saveexec_b64 s[2:3], s[2:3]
; %bb.2686:
	s_mov_b32 s10, 0x7f800000
	v_mov_b32_e32 v9, 0x7e
	v_mov_b32_e32 v10, 0x7f
	v_cmp_lt_u32_e32 vcc, s10, v8
	v_cndmask_b32_e32 v9, v9, v10, vcc
; %bb.2687:
	s_or_b64 exec, exec, s[2:3]
	global_store_byte v[0:1], v9, off
.LBB142_2688:
	s_mov_b64 s[2:3], 0
.LBB142_2689:
	s_andn2_b64 vcc, exec, s[2:3]
	s_cbranch_vccnz .LBB142_2699
; %bb.2690:
	v_cvt_f32_ubyte0_e32 v8, v3
	s_mov_b32 s2, 0x47800000
	v_cmp_gt_u32_e32 vcc, s2, v8
                                        ; implicit-def: $vgpr9
	s_and_saveexec_b64 s[2:3], vcc
	s_xor_b64 s[2:3], exec, s[2:3]
	s_cbranch_execz .LBB142_2696
; %bb.2691:
	s_mov_b32 s10, 0x387fffff
	v_cmp_lt_u32_e32 vcc, s10, v8
                                        ; implicit-def: $vgpr9
	s_and_saveexec_b64 s[10:11], vcc
	s_xor_b64 s[10:11], exec, s[10:11]
; %bb.2692:
	v_bfe_u32 v9, v8, 21, 1
	s_mov_b32 s12, 0x80fffff
	v_add3_u32 v8, v8, v9, s12
	v_lshrrev_b32_e32 v9, 21, v8
                                        ; implicit-def: $vgpr8
; %bb.2693:
	s_andn2_saveexec_b64 s[10:11], s[10:11]
; %bb.2694:
	v_add_f32_e32 v9, 0x43000000, v8
; %bb.2695:
	s_or_b64 exec, exec, s[10:11]
                                        ; implicit-def: $vgpr8
.LBB142_2696:
	s_andn2_saveexec_b64 s[2:3], s[2:3]
; %bb.2697:
	s_mov_b32 s10, 0x7f800000
	v_mov_b32_e32 v9, 0x7c
	v_mov_b32_e32 v10, 0x7f
	v_cmp_lt_u32_e32 vcc, s10, v8
	v_cndmask_b32_e32 v9, v9, v10, vcc
; %bb.2698:
	s_or_b64 exec, exec, s[2:3]
	global_store_byte v[0:1], v9, off
.LBB142_2699:
	s_mov_b64 s[2:3], 0
	s_mov_b64 s[10:11], -1
.LBB142_2700:
	s_andn2_b64 vcc, exec, s[2:3]
	s_mov_b64 s[2:3], 0
	s_cbranch_vccnz .LBB142_2707
; %bb.2701:
	s_cmp_gt_i32 s17, 14
	s_mov_b64 s[12:13], -1
	s_cbranch_scc0 .LBB142_2705
; %bb.2702:
	s_cmp_eq_u32 s17, 15
	s_mov_b64 s[0:1], -1
	s_cbranch_scc0 .LBB142_2704
; %bb.2703:
	v_cvt_f32_ubyte0_e32 v8, v3
	v_bfe_u32 v9, v8, 16, 1
	s_movk_i32 s0, 0x7fff
	v_add3_u32 v8, v8, v9, s0
	global_store_short_d16_hi v[0:1], v8, off
	s_mov_b64 s[0:1], 0
	s_mov_b64 s[10:11], -1
.LBB142_2704:
	s_mov_b64 s[12:13], 0
.LBB142_2705:
	s_and_b64 vcc, exec, s[12:13]
	s_cbranch_vccz .LBB142_2707
; %bb.2706:
	s_cmp_lg_u32 s17, 11
	s_mov_b64 s[2:3], -1
	s_cselect_b64 s[0:1], -1, 0
.LBB142_2707:
	s_and_b64 vcc, exec, s[0:1]
	s_cbranch_vccnz .LBB142_3001
; %bb.2708:
	s_andn2_b64 vcc, exec, s[2:3]
	s_cbranch_vccnz .LBB142_2710
.LBB142_2709:
	v_cmp_ne_u16_e32 vcc, 0, v3
	v_cndmask_b32_e64 v8, 0, 1, vcc
	s_mov_b64 s[10:11], -1
	global_store_byte v[0:1], v8, off
.LBB142_2710:
	s_mov_b64 s[0:1], 0
	s_branch .LBB142_2712
.LBB142_2711:
	s_mov_b64 s[0:1], -1
	s_mov_b64 s[10:11], 0
.LBB142_2712:
	s_and_b64 vcc, exec, s[0:1]
	s_cbranch_vccz .LBB142_2751
; %bb.2713:
	s_and_b32 s2, 0xffff, s20
	s_cmp_lt_i32 s2, 5
	s_mov_b64 s[0:1], -1
	s_cbranch_scc1 .LBB142_2734
; %bb.2714:
	s_cmp_lt_i32 s2, 8
	s_cbranch_scc1 .LBB142_2724
; %bb.2715:
	s_cmp_lt_i32 s2, 9
	s_cbranch_scc1 .LBB142_2721
; %bb.2716:
	s_cmp_gt_i32 s2, 9
	s_cbranch_scc0 .LBB142_2718
; %bb.2717:
	v_and_b32_e32 v8, 0xffff, v3
	v_cvt_f64_u32_e32 v[8:9], v8
	v_mov_b32_e32 v10, 0
	v_mov_b32_e32 v11, v10
	s_mov_b64 s[0:1], 0
	global_store_dwordx4 v[0:1], v[8:11], off
.LBB142_2718:
	s_andn2_b64 vcc, exec, s[0:1]
	s_cbranch_vccnz .LBB142_2720
; %bb.2719:
	v_cvt_f32_ubyte0_e32 v8, v3
	v_mov_b32_e32 v9, 0
	global_store_dwordx2 v[0:1], v[8:9], off
.LBB142_2720:
	s_mov_b64 s[0:1], 0
.LBB142_2721:
	s_andn2_b64 vcc, exec, s[0:1]
	s_cbranch_vccnz .LBB142_2723
; %bb.2722:
	v_cvt_f16_u16_e32 v8, v3
	global_store_dword v[0:1], v8, off
.LBB142_2723:
	s_mov_b64 s[0:1], 0
.LBB142_2724:
	s_andn2_b64 vcc, exec, s[0:1]
	s_cbranch_vccnz .LBB142_2733
; %bb.2725:
	s_cmp_lt_i32 s2, 6
	s_mov_b64 s[0:1], -1
	s_cbranch_scc1 .LBB142_2731
; %bb.2726:
	s_cmp_gt_i32 s2, 6
	s_cbranch_scc0 .LBB142_2728
; %bb.2727:
	v_and_b32_e32 v8, 0xffff, v3
	v_cvt_f64_u32_e32 v[8:9], v8
	s_mov_b64 s[0:1], 0
	global_store_dwordx2 v[0:1], v[8:9], off
.LBB142_2728:
	s_andn2_b64 vcc, exec, s[0:1]
	s_cbranch_vccnz .LBB142_2730
; %bb.2729:
	v_cvt_f32_ubyte0_e32 v8, v3
	global_store_dword v[0:1], v8, off
.LBB142_2730:
	s_mov_b64 s[0:1], 0
.LBB142_2731:
	s_andn2_b64 vcc, exec, s[0:1]
	s_cbranch_vccnz .LBB142_2733
; %bb.2732:
	v_cvt_f16_u16_e32 v8, v3
	global_store_short v[0:1], v8, off
.LBB142_2733:
	s_mov_b64 s[0:1], 0
.LBB142_2734:
	s_andn2_b64 vcc, exec, s[0:1]
	s_cbranch_vccnz .LBB142_2750
; %bb.2735:
	s_cmp_lt_i32 s2, 2
	s_mov_b64 s[0:1], -1
	s_cbranch_scc1 .LBB142_2745
; %bb.2736:
	s_cmp_lt_i32 s2, 3
	s_cbranch_scc1 .LBB142_2742
; %bb.2737:
	s_cmp_gt_i32 s2, 3
	s_cbranch_scc0 .LBB142_2739
; %bb.2738:
	s_mov_b32 s0, 0
	v_and_b32_e32 v8, 0xffff, v3
	v_mov_b32_e32 v9, s0
	global_store_dwordx2 v[0:1], v[8:9], off
	s_mov_b64 s[0:1], 0
.LBB142_2739:
	s_andn2_b64 vcc, exec, s[0:1]
	s_cbranch_vccnz .LBB142_2741
; %bb.2740:
	v_and_b32_e32 v8, 0xffff, v3
	global_store_dword v[0:1], v8, off
.LBB142_2741:
	s_mov_b64 s[0:1], 0
.LBB142_2742:
	s_andn2_b64 vcc, exec, s[0:1]
	s_cbranch_vccnz .LBB142_2744
; %bb.2743:
	global_store_short v[0:1], v3, off
.LBB142_2744:
	s_mov_b64 s[0:1], 0
.LBB142_2745:
	s_andn2_b64 vcc, exec, s[0:1]
	s_cbranch_vccnz .LBB142_2750
; %bb.2746:
	s_cmp_gt_i32 s2, 0
	s_mov_b64 s[0:1], -1
	s_cbranch_scc0 .LBB142_2748
; %bb.2747:
	global_store_byte v[0:1], v3, off
	s_mov_b64 s[0:1], 0
.LBB142_2748:
	s_andn2_b64 vcc, exec, s[0:1]
	s_cbranch_vccnz .LBB142_2750
; %bb.2749:
	global_store_byte v[0:1], v3, off
.LBB142_2750:
	s_mov_b64 s[10:11], -1
.LBB142_2751:
	s_andn2_b64 vcc, exec, s[10:11]
	s_cbranch_vccnz .LBB142_2947
; %bb.2752:
	v_mov_b32_e32 v1, 8
	v_lshrrev_b16_sdwa v0, v5, v4 dst_sel:DWORD dst_unused:UNUSED_PAD src0_sel:BYTE_0 src1_sel:BYTE_0
	v_cmp_lt_u16_sdwa vcc, v5, v1 src0_sel:BYTE_0 src1_sel:DWORD
	v_add_u32_e32 v3, s16, v2
	v_cndmask_b32_e32 v4, 0, v0, vcc
	v_ashrrev_i32_e32 v1, 31, v3
	v_mov_b32_e32 v2, s9
	v_add_co_u32_e32 v0, vcc, s8, v3
	s_cmp_lt_i32 s20, 11
	v_addc_co_u32_e32 v1, vcc, v2, v1, vcc
	s_cbranch_scc1 .LBB142_2830
; %bb.2753:
	s_and_b32 s17, 0xffff, s20
	s_mov_b64 s[12:13], -1
	s_mov_b64 s[2:3], 0
	s_cmp_gt_i32 s17, 25
	s_mov_b64 s[10:11], 0
	s_mov_b64 s[0:1], 0
	s_cbranch_scc0 .LBB142_2786
; %bb.2754:
	s_cmp_gt_i32 s17, 28
	s_cbranch_scc0 .LBB142_2769
; %bb.2755:
	s_cmp_gt_i32 s17, 43
	;; [unrolled: 3-line block ×3, first 2 shown]
	s_cbranch_scc0 .LBB142_2759
; %bb.2757:
	s_mov_b64 s[0:1], -1
	s_mov_b64 s[12:13], 0
	s_cmp_eq_u32 s17, 46
	s_cbranch_scc0 .LBB142_2759
; %bb.2758:
	v_cvt_f32_ubyte0_e32 v2, v4
	v_bfe_u32 v5, v2, 16, 1
	s_movk_i32 s0, 0x7fff
	v_add3_u32 v2, v2, v5, s0
	v_lshrrev_b32_e32 v2, 16, v2
	global_store_dword v[0:1], v2, off
	s_mov_b64 s[0:1], 0
	s_mov_b64 s[10:11], -1
.LBB142_2759:
	s_and_b64 vcc, exec, s[12:13]
	s_cbranch_vccz .LBB142_2764
; %bb.2760:
	s_cmp_eq_u32 s17, 44
	s_mov_b64 s[0:1], -1
	s_cbranch_scc0 .LBB142_2764
; %bb.2761:
	v_cvt_f32_ubyte0_e32 v5, v4
	v_lshrrev_b32_e32 v2, 23, v5
	s_movk_i32 s0, 0xff
	v_cmp_ne_u32_e32 vcc, s0, v2
	v_mov_b32_e32 v8, 0xff
	s_and_saveexec_b64 s[10:11], vcc
; %bb.2762:
	s_mov_b32 s0, 0x3fffff
	v_and_b32_e32 v8, 0x400000, v5
	v_and_or_b32 v5, v5, s0, v2
	v_cmp_ne_u32_e32 vcc, 0, v8
	v_cmp_ne_u32_e64 s[0:1], 0, v5
	s_and_b64 s[0:1], vcc, s[0:1]
	v_cndmask_b32_e64 v5, 0, 1, s[0:1]
	v_add_u32_e32 v8, v2, v5
; %bb.2763:
	s_or_b64 exec, exec, s[10:11]
	s_mov_b64 s[0:1], 0
	s_mov_b64 s[10:11], -1
	global_store_byte v[0:1], v8, off
.LBB142_2764:
	s_mov_b64 s[12:13], 0
.LBB142_2765:
	s_and_b64 vcc, exec, s[12:13]
	s_cbranch_vccz .LBB142_2768
; %bb.2766:
	s_cmp_eq_u32 s17, 29
	s_mov_b64 s[0:1], -1
	s_cbranch_scc0 .LBB142_2768
; %bb.2767:
	s_mov_b32 s0, 0
	v_and_b32_e32 v8, 0xffff, v4
	v_mov_b32_e32 v9, s0
	global_store_dwordx2 v[0:1], v[8:9], off
	s_mov_b64 s[0:1], 0
	s_mov_b64 s[10:11], -1
.LBB142_2768:
	s_mov_b64 s[12:13], 0
.LBB142_2769:
	s_and_b64 vcc, exec, s[12:13]
	s_cbranch_vccz .LBB142_2785
; %bb.2770:
	s_cmp_lt_i32 s17, 27
	s_mov_b64 s[10:11], -1
	s_cbranch_scc1 .LBB142_2776
; %bb.2771:
	s_cmp_gt_i32 s17, 27
	s_cbranch_scc0 .LBB142_2773
; %bb.2772:
	v_and_b32_e32 v2, 0xffff, v4
	s_mov_b64 s[10:11], 0
	global_store_dword v[0:1], v2, off
.LBB142_2773:
	s_andn2_b64 vcc, exec, s[10:11]
	s_cbranch_vccnz .LBB142_2775
; %bb.2774:
	global_store_short v[0:1], v4, off
.LBB142_2775:
	s_mov_b64 s[10:11], 0
.LBB142_2776:
	s_andn2_b64 vcc, exec, s[10:11]
	s_cbranch_vccnz .LBB142_2784
; %bb.2777:
	v_cvt_f32_ubyte0_e32 v5, v4
	s_mov_b32 s10, 0x43800000
	v_cmp_gt_u32_e32 vcc, s10, v5
	v_mov_b32_e32 v8, 0x80
	s_and_saveexec_b64 s[10:11], vcc
	s_cbranch_execz .LBB142_2783
; %bb.2778:
	s_mov_b32 s12, 0x3bffffff
	v_cmp_lt_u32_e32 vcc, s12, v5
	s_mov_b64 s[12:13], 0
                                        ; implicit-def: $vgpr2
	s_and_saveexec_b64 s[14:15], vcc
	s_xor_b64 s[14:15], exec, s[14:15]
	s_cbranch_execz .LBB142_3004
; %bb.2779:
	v_bfe_u32 v2, v5, 20, 1
	s_mov_b32 s21, 0x487ffff
	v_add3_u32 v2, v5, v2, s21
	s_mov_b64 s[12:13], exec
	v_lshrrev_b32_e32 v2, 20, v2
                                        ; implicit-def: $vgpr5
	s_andn2_saveexec_b64 s[14:15], s[14:15]
	s_cbranch_execnz .LBB142_3005
.LBB142_2780:
	s_or_b64 exec, exec, s[14:15]
	v_mov_b32_e32 v8, 0
	s_and_saveexec_b64 s[14:15], s[12:13]
.LBB142_2781:
	v_mov_b32_e32 v8, v2
.LBB142_2782:
	s_or_b64 exec, exec, s[14:15]
.LBB142_2783:
	s_or_b64 exec, exec, s[10:11]
	global_store_byte v[0:1], v8, off
.LBB142_2784:
	s_mov_b64 s[10:11], -1
.LBB142_2785:
	s_mov_b64 s[12:13], 0
.LBB142_2786:
	s_and_b64 vcc, exec, s[12:13]
	s_cbranch_vccz .LBB142_2826
; %bb.2787:
	s_cmp_gt_i32 s17, 22
	s_mov_b64 s[2:3], -1
	s_cbranch_scc0 .LBB142_2819
; %bb.2788:
	s_cmp_lt_i32 s17, 24
	s_cbranch_scc1 .LBB142_2808
; %bb.2789:
	s_cmp_gt_i32 s17, 24
	s_cbranch_scc0 .LBB142_2797
; %bb.2790:
	v_cvt_f32_ubyte0_e32 v5, v4
	s_mov_b32 s2, 0x47800000
	v_cmp_gt_u32_e32 vcc, s2, v5
	v_mov_b32_e32 v8, 0x80
	s_and_saveexec_b64 s[2:3], vcc
	s_cbranch_execz .LBB142_2796
; %bb.2791:
	s_mov_b32 s10, 0x37ffffff
	v_cmp_lt_u32_e32 vcc, s10, v5
	s_mov_b64 s[10:11], 0
                                        ; implicit-def: $vgpr2
	s_and_saveexec_b64 s[12:13], vcc
	s_xor_b64 s[12:13], exec, s[12:13]
	s_cbranch_execz .LBB142_3007
; %bb.2792:
	v_bfe_u32 v2, v5, 21, 1
	s_mov_b32 s14, 0x88fffff
	v_add3_u32 v2, v5, v2, s14
	s_mov_b64 s[10:11], exec
	v_lshrrev_b32_e32 v2, 21, v2
                                        ; implicit-def: $vgpr5
	s_andn2_saveexec_b64 s[12:13], s[12:13]
	s_cbranch_execnz .LBB142_3008
.LBB142_2793:
	s_or_b64 exec, exec, s[12:13]
	v_mov_b32_e32 v8, 0
	s_and_saveexec_b64 s[12:13], s[10:11]
.LBB142_2794:
	v_mov_b32_e32 v8, v2
.LBB142_2795:
	s_or_b64 exec, exec, s[12:13]
.LBB142_2796:
	s_or_b64 exec, exec, s[2:3]
	s_mov_b64 s[2:3], 0
	global_store_byte v[0:1], v8, off
.LBB142_2797:
	s_and_b64 vcc, exec, s[2:3]
	s_cbranch_vccz .LBB142_2807
; %bb.2798:
	v_cvt_f32_ubyte0_e32 v2, v4
	s_mov_b32 s2, 0x43f00000
	v_cmp_gt_u32_e32 vcc, s2, v2
                                        ; implicit-def: $vgpr5
	s_and_saveexec_b64 s[2:3], vcc
	s_xor_b64 s[2:3], exec, s[2:3]
	s_cbranch_execz .LBB142_2804
; %bb.2799:
	s_mov_b32 s10, 0x3c7fffff
	v_cmp_lt_u32_e32 vcc, s10, v2
                                        ; implicit-def: $vgpr5
	s_and_saveexec_b64 s[10:11], vcc
	s_xor_b64 s[10:11], exec, s[10:11]
; %bb.2800:
	v_bfe_u32 v5, v2, 20, 1
	s_mov_b32 s12, 0x407ffff
	v_add3_u32 v2, v2, v5, s12
	v_lshrrev_b32_e32 v5, 20, v2
	v_and_b32_e32 v2, 0xff00000, v2
	s_mov_b32 s12, 0x7f00000
	v_mov_b32_e32 v8, 0x7e
	v_cmp_ne_u32_e32 vcc, s12, v2
	v_cndmask_b32_e32 v5, v8, v5, vcc
                                        ; implicit-def: $vgpr2
; %bb.2801:
	s_andn2_saveexec_b64 s[10:11], s[10:11]
; %bb.2802:
	v_add_f32_e32 v5, 0x46800000, v2
; %bb.2803:
	s_or_b64 exec, exec, s[10:11]
                                        ; implicit-def: $vgpr2
.LBB142_2804:
	s_andn2_saveexec_b64 s[2:3], s[2:3]
; %bb.2805:
	s_mov_b32 s10, 0x7f800000
	v_mov_b32_e32 v5, 0x7e
	v_mov_b32_e32 v8, 0x7f
	v_cmp_lt_u32_e32 vcc, s10, v2
	v_cndmask_b32_e32 v5, v5, v8, vcc
; %bb.2806:
	s_or_b64 exec, exec, s[2:3]
	global_store_byte v[0:1], v5, off
.LBB142_2807:
	s_mov_b64 s[2:3], 0
.LBB142_2808:
	s_andn2_b64 vcc, exec, s[2:3]
	s_cbranch_vccnz .LBB142_2818
; %bb.2809:
	v_cvt_f32_ubyte0_e32 v2, v4
	s_mov_b32 s2, 0x47800000
	v_cmp_gt_u32_e32 vcc, s2, v2
                                        ; implicit-def: $vgpr5
	s_and_saveexec_b64 s[2:3], vcc
	s_xor_b64 s[2:3], exec, s[2:3]
	s_cbranch_execz .LBB142_2815
; %bb.2810:
	s_mov_b32 s10, 0x387fffff
	v_cmp_lt_u32_e32 vcc, s10, v2
                                        ; implicit-def: $vgpr5
	s_and_saveexec_b64 s[10:11], vcc
	s_xor_b64 s[10:11], exec, s[10:11]
; %bb.2811:
	v_bfe_u32 v5, v2, 21, 1
	s_mov_b32 s12, 0x80fffff
	v_add3_u32 v2, v2, v5, s12
	v_lshrrev_b32_e32 v5, 21, v2
                                        ; implicit-def: $vgpr2
; %bb.2812:
	s_andn2_saveexec_b64 s[10:11], s[10:11]
; %bb.2813:
	v_add_f32_e32 v5, 0x43000000, v2
; %bb.2814:
	s_or_b64 exec, exec, s[10:11]
                                        ; implicit-def: $vgpr2
.LBB142_2815:
	s_andn2_saveexec_b64 s[2:3], s[2:3]
; %bb.2816:
	s_mov_b32 s10, 0x7f800000
	v_mov_b32_e32 v5, 0x7c
	v_mov_b32_e32 v8, 0x7f
	v_cmp_lt_u32_e32 vcc, s10, v2
	v_cndmask_b32_e32 v5, v5, v8, vcc
; %bb.2817:
	s_or_b64 exec, exec, s[2:3]
	global_store_byte v[0:1], v5, off
.LBB142_2818:
	s_mov_b64 s[2:3], 0
	s_mov_b64 s[10:11], -1
.LBB142_2819:
	s_andn2_b64 vcc, exec, s[2:3]
	s_mov_b64 s[2:3], 0
	s_cbranch_vccnz .LBB142_2826
; %bb.2820:
	s_cmp_gt_i32 s17, 14
	s_mov_b64 s[12:13], -1
	s_cbranch_scc0 .LBB142_2824
; %bb.2821:
	s_cmp_eq_u32 s17, 15
	s_mov_b64 s[0:1], -1
	s_cbranch_scc0 .LBB142_2823
; %bb.2822:
	v_cvt_f32_ubyte0_e32 v2, v4
	v_bfe_u32 v5, v2, 16, 1
	s_movk_i32 s0, 0x7fff
	v_add3_u32 v2, v2, v5, s0
	global_store_short_d16_hi v[0:1], v2, off
	s_mov_b64 s[0:1], 0
	s_mov_b64 s[10:11], -1
.LBB142_2823:
	s_mov_b64 s[12:13], 0
.LBB142_2824:
	s_and_b64 vcc, exec, s[12:13]
	s_cbranch_vccz .LBB142_2826
; %bb.2825:
	s_cmp_lg_u32 s17, 11
	s_mov_b64 s[2:3], -1
	s_cselect_b64 s[0:1], -1, 0
.LBB142_2826:
	s_and_b64 vcc, exec, s[0:1]
	s_cbranch_vccnz .LBB142_3006
; %bb.2827:
	s_andn2_b64 vcc, exec, s[2:3]
	s_cbranch_vccnz .LBB142_2829
.LBB142_2828:
	v_cmp_ne_u16_e32 vcc, 0, v4
	v_cndmask_b32_e64 v2, 0, 1, vcc
	s_mov_b64 s[10:11], -1
	global_store_byte v[0:1], v2, off
.LBB142_2829:
	s_mov_b64 s[0:1], 0
	s_branch .LBB142_2831
.LBB142_2830:
	s_mov_b64 s[0:1], -1
	s_mov_b64 s[10:11], 0
.LBB142_2831:
	s_and_b64 vcc, exec, s[0:1]
	s_cbranch_vccz .LBB142_2870
; %bb.2832:
	s_and_b32 s2, 0xffff, s20
	s_cmp_lt_i32 s2, 5
	s_mov_b64 s[0:1], -1
	s_cbranch_scc1 .LBB142_2853
; %bb.2833:
	s_cmp_lt_i32 s2, 8
	s_cbranch_scc1 .LBB142_2843
; %bb.2834:
	s_cmp_lt_i32 s2, 9
	s_cbranch_scc1 .LBB142_2840
; %bb.2835:
	s_cmp_gt_i32 s2, 9
	s_cbranch_scc0 .LBB142_2837
; %bb.2836:
	v_and_b32_e32 v2, 0xffff, v4
	v_cvt_f64_u32_e32 v[8:9], v2
	v_mov_b32_e32 v10, 0
	v_mov_b32_e32 v11, v10
	s_mov_b64 s[0:1], 0
	global_store_dwordx4 v[0:1], v[8:11], off
.LBB142_2837:
	s_andn2_b64 vcc, exec, s[0:1]
	s_cbranch_vccnz .LBB142_2839
; %bb.2838:
	v_cvt_f32_ubyte0_e32 v8, v4
	v_mov_b32_e32 v9, 0
	global_store_dwordx2 v[0:1], v[8:9], off
.LBB142_2839:
	s_mov_b64 s[0:1], 0
.LBB142_2840:
	s_andn2_b64 vcc, exec, s[0:1]
	s_cbranch_vccnz .LBB142_2842
; %bb.2841:
	v_cvt_f16_u16_e32 v2, v4
	global_store_dword v[0:1], v2, off
.LBB142_2842:
	s_mov_b64 s[0:1], 0
.LBB142_2843:
	s_andn2_b64 vcc, exec, s[0:1]
	s_cbranch_vccnz .LBB142_2852
; %bb.2844:
	s_cmp_lt_i32 s2, 6
	s_mov_b64 s[0:1], -1
	s_cbranch_scc1 .LBB142_2850
; %bb.2845:
	s_cmp_gt_i32 s2, 6
	s_cbranch_scc0 .LBB142_2847
; %bb.2846:
	v_and_b32_e32 v2, 0xffff, v4
	v_cvt_f64_u32_e32 v[8:9], v2
	s_mov_b64 s[0:1], 0
	global_store_dwordx2 v[0:1], v[8:9], off
.LBB142_2847:
	s_andn2_b64 vcc, exec, s[0:1]
	s_cbranch_vccnz .LBB142_2849
; %bb.2848:
	v_cvt_f32_ubyte0_e32 v2, v4
	global_store_dword v[0:1], v2, off
.LBB142_2849:
	s_mov_b64 s[0:1], 0
.LBB142_2850:
	s_andn2_b64 vcc, exec, s[0:1]
	s_cbranch_vccnz .LBB142_2852
; %bb.2851:
	v_cvt_f16_u16_e32 v2, v4
	global_store_short v[0:1], v2, off
.LBB142_2852:
	s_mov_b64 s[0:1], 0
.LBB142_2853:
	s_andn2_b64 vcc, exec, s[0:1]
	s_cbranch_vccnz .LBB142_2869
; %bb.2854:
	s_cmp_lt_i32 s2, 2
	s_mov_b64 s[0:1], -1
	s_cbranch_scc1 .LBB142_2864
; %bb.2855:
	s_cmp_lt_i32 s2, 3
	s_cbranch_scc1 .LBB142_2861
; %bb.2856:
	s_cmp_gt_i32 s2, 3
	s_cbranch_scc0 .LBB142_2858
; %bb.2857:
	s_mov_b32 s0, 0
	v_and_b32_e32 v8, 0xffff, v4
	v_mov_b32_e32 v9, s0
	global_store_dwordx2 v[0:1], v[8:9], off
	s_mov_b64 s[0:1], 0
.LBB142_2858:
	s_andn2_b64 vcc, exec, s[0:1]
	s_cbranch_vccnz .LBB142_2860
; %bb.2859:
	v_and_b32_e32 v2, 0xffff, v4
	global_store_dword v[0:1], v2, off
.LBB142_2860:
	s_mov_b64 s[0:1], 0
.LBB142_2861:
	s_andn2_b64 vcc, exec, s[0:1]
	s_cbranch_vccnz .LBB142_2863
; %bb.2862:
	global_store_short v[0:1], v4, off
.LBB142_2863:
	s_mov_b64 s[0:1], 0
.LBB142_2864:
	s_andn2_b64 vcc, exec, s[0:1]
	s_cbranch_vccnz .LBB142_2869
; %bb.2865:
	s_cmp_gt_i32 s2, 0
	s_mov_b64 s[0:1], -1
	s_cbranch_scc0 .LBB142_2867
; %bb.2866:
	global_store_byte v[0:1], v4, off
	s_mov_b64 s[0:1], 0
.LBB142_2867:
	s_andn2_b64 vcc, exec, s[0:1]
	s_cbranch_vccnz .LBB142_2869
; %bb.2868:
	global_store_byte v[0:1], v4, off
.LBB142_2869:
	s_mov_b64 s[10:11], -1
.LBB142_2870:
	s_andn2_b64 vcc, exec, s[10:11]
	s_cbranch_vccnz .LBB142_2947
; %bb.2871:
	v_mov_b32_e32 v1, 8
	v_lshrrev_b16_sdwa v0, v7, v6 dst_sel:DWORD dst_unused:UNUSED_PAD src0_sel:BYTE_0 src1_sel:BYTE_0
	v_cmp_lt_u16_sdwa vcc, v7, v1 src0_sel:BYTE_0 src1_sel:DWORD
	v_cndmask_b32_e32 v2, 0, v0, vcc
	v_add_u32_e32 v0, s16, v3
	v_ashrrev_i32_e32 v1, 31, v0
	v_mov_b32_e32 v3, s9
	v_add_co_u32_e32 v0, vcc, s8, v0
	s_cmp_lt_i32 s20, 11
	v_addc_co_u32_e32 v1, vcc, v3, v1, vcc
	s_cbranch_scc1 .LBB142_2992
; %bb.2872:
	s_and_b32 s14, 0xffff, s20
	s_mov_b64 s[8:9], -1
	s_mov_b64 s[2:3], 0
	s_cmp_gt_i32 s14, 25
	s_mov_b64 s[0:1], 0
	s_cbranch_scc0 .LBB142_2905
; %bb.2873:
	s_cmp_gt_i32 s14, 28
	s_cbranch_scc0 .LBB142_2889
; %bb.2874:
	s_cmp_gt_i32 s14, 43
	;; [unrolled: 3-line block ×3, first 2 shown]
	s_cbranch_scc0 .LBB142_2879
; %bb.2876:
	s_cmp_eq_u32 s14, 46
	s_mov_b64 s[0:1], -1
	s_cbranch_scc0 .LBB142_2878
; %bb.2877:
	v_cvt_f32_ubyte0_e32 v3, v2
	v_bfe_u32 v4, v3, 16, 1
	s_movk_i32 s0, 0x7fff
	v_add3_u32 v3, v3, v4, s0
	v_lshrrev_b32_e32 v3, 16, v3
	global_store_dword v[0:1], v3, off
	s_mov_b64 s[0:1], 0
.LBB142_2878:
	s_mov_b64 s[8:9], 0
.LBB142_2879:
	s_and_b64 vcc, exec, s[8:9]
	s_cbranch_vccz .LBB142_2884
; %bb.2880:
	s_cmp_eq_u32 s14, 44
	s_mov_b64 s[0:1], -1
	s_cbranch_scc0 .LBB142_2884
; %bb.2881:
	v_cvt_f32_ubyte0_e32 v4, v2
	v_lshrrev_b32_e32 v3, 23, v4
	s_movk_i32 s0, 0xff
	v_cmp_ne_u32_e32 vcc, s0, v3
	v_mov_b32_e32 v5, 0xff
	s_and_saveexec_b64 s[8:9], vcc
; %bb.2882:
	s_mov_b32 s0, 0x3fffff
	v_and_b32_e32 v5, 0x400000, v4
	v_and_or_b32 v4, v4, s0, v3
	v_cmp_ne_u32_e32 vcc, 0, v5
	v_cmp_ne_u32_e64 s[0:1], 0, v4
	s_and_b64 s[0:1], vcc, s[0:1]
	v_cndmask_b32_e64 v4, 0, 1, s[0:1]
	v_add_u32_e32 v5, v3, v4
; %bb.2883:
	s_or_b64 exec, exec, s[8:9]
	s_mov_b64 s[0:1], 0
	global_store_byte v[0:1], v5, off
.LBB142_2884:
	s_mov_b64 s[8:9], 0
.LBB142_2885:
	s_and_b64 vcc, exec, s[8:9]
	s_cbranch_vccz .LBB142_2888
; %bb.2886:
	s_cmp_eq_u32 s14, 29
	s_mov_b64 s[0:1], -1
	s_cbranch_scc0 .LBB142_2888
; %bb.2887:
	s_mov_b32 s0, 0
	v_and_b32_e32 v3, 0xffff, v2
	v_mov_b32_e32 v4, s0
	global_store_dwordx2 v[0:1], v[3:4], off
	s_mov_b64 s[0:1], 0
.LBB142_2888:
	s_mov_b64 s[8:9], 0
.LBB142_2889:
	s_and_b64 vcc, exec, s[8:9]
	s_cbranch_vccz .LBB142_2904
; %bb.2890:
	s_cmp_lt_i32 s14, 27
	s_mov_b64 s[8:9], -1
	s_cbranch_scc1 .LBB142_2896
; %bb.2891:
	s_cmp_gt_i32 s14, 27
	s_cbranch_scc0 .LBB142_2893
; %bb.2892:
	v_and_b32_e32 v3, 0xffff, v2
	global_store_dword v[0:1], v3, off
	s_mov_b64 s[8:9], 0
.LBB142_2893:
	s_andn2_b64 vcc, exec, s[8:9]
	s_cbranch_vccnz .LBB142_2895
; %bb.2894:
	global_store_short v[0:1], v2, off
.LBB142_2895:
	s_mov_b64 s[8:9], 0
.LBB142_2896:
	s_andn2_b64 vcc, exec, s[8:9]
	s_cbranch_vccnz .LBB142_2904
; %bb.2897:
	v_cvt_f32_ubyte0_e32 v4, v2
	s_mov_b32 s8, 0x43800000
	v_cmp_gt_u32_e32 vcc, s8, v4
	v_mov_b32_e32 v5, 0x80
	s_and_saveexec_b64 s[8:9], vcc
	s_cbranch_execz .LBB142_2903
; %bb.2898:
	s_mov_b32 s10, 0x3bffffff
	v_cmp_lt_u32_e32 vcc, s10, v4
	s_mov_b64 s[10:11], 0
                                        ; implicit-def: $vgpr3
	s_and_saveexec_b64 s[12:13], vcc
	s_xor_b64 s[12:13], exec, s[12:13]
	s_cbranch_execz .LBB142_3009
; %bb.2899:
	v_bfe_u32 v3, v4, 20, 1
	s_mov_b32 s15, 0x487ffff
	v_add3_u32 v3, v4, v3, s15
	s_mov_b64 s[10:11], exec
	v_lshrrev_b32_e32 v3, 20, v3
                                        ; implicit-def: $vgpr4
	s_andn2_saveexec_b64 s[12:13], s[12:13]
	s_cbranch_execnz .LBB142_3010
.LBB142_2900:
	s_or_b64 exec, exec, s[12:13]
	v_mov_b32_e32 v5, 0
	s_and_saveexec_b64 s[12:13], s[10:11]
.LBB142_2901:
	v_mov_b32_e32 v5, v3
.LBB142_2902:
	s_or_b64 exec, exec, s[12:13]
.LBB142_2903:
	s_or_b64 exec, exec, s[8:9]
	global_store_byte v[0:1], v5, off
.LBB142_2904:
	s_mov_b64 s[8:9], 0
.LBB142_2905:
	s_and_b64 vcc, exec, s[8:9]
	s_cbranch_vccz .LBB142_2945
; %bb.2906:
	s_cmp_gt_i32 s14, 22
	s_mov_b64 s[2:3], -1
	s_cbranch_scc0 .LBB142_2938
; %bb.2907:
	s_cmp_lt_i32 s14, 24
	s_cbranch_scc1 .LBB142_2927
; %bb.2908:
	s_cmp_gt_i32 s14, 24
	s_cbranch_scc0 .LBB142_2916
; %bb.2909:
	v_cvt_f32_ubyte0_e32 v4, v2
	s_mov_b32 s2, 0x47800000
	v_cmp_gt_u32_e32 vcc, s2, v4
	v_mov_b32_e32 v5, 0x80
	s_and_saveexec_b64 s[2:3], vcc
	s_cbranch_execz .LBB142_2915
; %bb.2910:
	s_mov_b32 s8, 0x37ffffff
	v_cmp_lt_u32_e32 vcc, s8, v4
	s_mov_b64 s[8:9], 0
                                        ; implicit-def: $vgpr3
	s_and_saveexec_b64 s[10:11], vcc
	s_xor_b64 s[10:11], exec, s[10:11]
	s_cbranch_execz .LBB142_3012
; %bb.2911:
	v_bfe_u32 v3, v4, 21, 1
	s_mov_b32 s12, 0x88fffff
	v_add3_u32 v3, v4, v3, s12
	s_mov_b64 s[8:9], exec
	v_lshrrev_b32_e32 v3, 21, v3
                                        ; implicit-def: $vgpr4
	s_andn2_saveexec_b64 s[10:11], s[10:11]
	s_cbranch_execnz .LBB142_3013
.LBB142_2912:
	s_or_b64 exec, exec, s[10:11]
	v_mov_b32_e32 v5, 0
	s_and_saveexec_b64 s[10:11], s[8:9]
.LBB142_2913:
	v_mov_b32_e32 v5, v3
.LBB142_2914:
	s_or_b64 exec, exec, s[10:11]
.LBB142_2915:
	s_or_b64 exec, exec, s[2:3]
	s_mov_b64 s[2:3], 0
	global_store_byte v[0:1], v5, off
.LBB142_2916:
	s_and_b64 vcc, exec, s[2:3]
	s_cbranch_vccz .LBB142_2926
; %bb.2917:
	v_cvt_f32_ubyte0_e32 v3, v2
	s_mov_b32 s2, 0x43f00000
	v_cmp_gt_u32_e32 vcc, s2, v3
                                        ; implicit-def: $vgpr4
	s_and_saveexec_b64 s[2:3], vcc
	s_xor_b64 s[2:3], exec, s[2:3]
	s_cbranch_execz .LBB142_2923
; %bb.2918:
	s_mov_b32 s8, 0x3c7fffff
	v_cmp_lt_u32_e32 vcc, s8, v3
                                        ; implicit-def: $vgpr4
	s_and_saveexec_b64 s[8:9], vcc
	s_xor_b64 s[8:9], exec, s[8:9]
; %bb.2919:
	v_bfe_u32 v4, v3, 20, 1
	s_mov_b32 s10, 0x407ffff
	v_add3_u32 v3, v3, v4, s10
	v_lshrrev_b32_e32 v4, 20, v3
	v_and_b32_e32 v3, 0xff00000, v3
	s_mov_b32 s10, 0x7f00000
	v_mov_b32_e32 v5, 0x7e
	v_cmp_ne_u32_e32 vcc, s10, v3
	v_cndmask_b32_e32 v4, v5, v4, vcc
                                        ; implicit-def: $vgpr3
; %bb.2920:
	s_andn2_saveexec_b64 s[8:9], s[8:9]
; %bb.2921:
	v_add_f32_e32 v4, 0x46800000, v3
; %bb.2922:
	s_or_b64 exec, exec, s[8:9]
                                        ; implicit-def: $vgpr3
.LBB142_2923:
	s_andn2_saveexec_b64 s[2:3], s[2:3]
; %bb.2924:
	s_mov_b32 s8, 0x7f800000
	v_mov_b32_e32 v4, 0x7e
	v_mov_b32_e32 v5, 0x7f
	v_cmp_lt_u32_e32 vcc, s8, v3
	v_cndmask_b32_e32 v4, v4, v5, vcc
; %bb.2925:
	s_or_b64 exec, exec, s[2:3]
	global_store_byte v[0:1], v4, off
.LBB142_2926:
	s_mov_b64 s[2:3], 0
.LBB142_2927:
	s_andn2_b64 vcc, exec, s[2:3]
	s_cbranch_vccnz .LBB142_2937
; %bb.2928:
	v_cvt_f32_ubyte0_e32 v3, v2
	s_mov_b32 s2, 0x47800000
	v_cmp_gt_u32_e32 vcc, s2, v3
                                        ; implicit-def: $vgpr4
	s_and_saveexec_b64 s[2:3], vcc
	s_xor_b64 s[2:3], exec, s[2:3]
	s_cbranch_execz .LBB142_2934
; %bb.2929:
	s_mov_b32 s8, 0x387fffff
	v_cmp_lt_u32_e32 vcc, s8, v3
                                        ; implicit-def: $vgpr4
	s_and_saveexec_b64 s[8:9], vcc
	s_xor_b64 s[8:9], exec, s[8:9]
; %bb.2930:
	v_bfe_u32 v4, v3, 21, 1
	s_mov_b32 s10, 0x80fffff
	v_add3_u32 v3, v3, v4, s10
	v_lshrrev_b32_e32 v4, 21, v3
                                        ; implicit-def: $vgpr3
; %bb.2931:
	s_andn2_saveexec_b64 s[8:9], s[8:9]
; %bb.2932:
	v_add_f32_e32 v4, 0x43000000, v3
; %bb.2933:
	s_or_b64 exec, exec, s[8:9]
                                        ; implicit-def: $vgpr3
.LBB142_2934:
	s_andn2_saveexec_b64 s[2:3], s[2:3]
; %bb.2935:
	s_mov_b32 s8, 0x7f800000
	v_mov_b32_e32 v4, 0x7c
	v_mov_b32_e32 v5, 0x7f
	v_cmp_lt_u32_e32 vcc, s8, v3
	v_cndmask_b32_e32 v4, v4, v5, vcc
; %bb.2936:
	s_or_b64 exec, exec, s[2:3]
	global_store_byte v[0:1], v4, off
.LBB142_2937:
	s_mov_b64 s[2:3], 0
.LBB142_2938:
	s_andn2_b64 vcc, exec, s[2:3]
	s_mov_b64 s[2:3], 0
	s_cbranch_vccnz .LBB142_2945
; %bb.2939:
	s_cmp_gt_i32 s14, 14
	s_mov_b64 s[8:9], -1
	s_cbranch_scc0 .LBB142_2943
; %bb.2940:
	s_cmp_eq_u32 s14, 15
	s_mov_b64 s[0:1], -1
	s_cbranch_scc0 .LBB142_2942
; %bb.2941:
	v_cvt_f32_ubyte0_e32 v3, v2
	v_bfe_u32 v4, v3, 16, 1
	s_movk_i32 s0, 0x7fff
	v_add3_u32 v3, v3, v4, s0
	global_store_short_d16_hi v[0:1], v3, off
	s_mov_b64 s[0:1], 0
.LBB142_2942:
	s_mov_b64 s[8:9], 0
.LBB142_2943:
	s_and_b64 vcc, exec, s[8:9]
	s_cbranch_vccz .LBB142_2945
; %bb.2944:
	s_cmp_lg_u32 s14, 11
	s_mov_b64 s[2:3], -1
	s_cselect_b64 s[0:1], -1, 0
.LBB142_2945:
	s_and_b64 vcc, exec, s[0:1]
	s_cbranch_vccnz .LBB142_3011
.LBB142_2946:
	s_mov_b64 s[0:1], 0
	s_branch .LBB142_2948
.LBB142_2947:
	s_mov_b64 s[0:1], 0
	s_mov_b64 s[2:3], 0
                                        ; implicit-def: $sgpr20
                                        ; implicit-def: $vgpr0_vgpr1
                                        ; implicit-def: $vgpr2
.LBB142_2948:
	s_and_b64 s[16:17], s[2:3], exec
	s_andn2_b64 s[2:3], s[6:7], exec
	s_and_b64 s[6:7], s[18:19], exec
	s_and_b64 s[0:1], s[0:1], exec
	s_or_b64 s[6:7], s[2:3], s[6:7]
.LBB142_2949:
	s_or_b64 exec, exec, s[4:5]
	s_and_saveexec_b64 s[2:3], s[6:7]
	s_cbranch_execz .LBB142_2952
; %bb.2950:
	; divergent unreachable
	s_or_b64 exec, exec, s[2:3]
	s_and_saveexec_b64 s[2:3], s[16:17]
	s_xor_b64 s[2:3], exec, s[2:3]
	s_cbranch_execnz .LBB142_2953
.LBB142_2951:
	s_or_b64 exec, exec, s[2:3]
	s_and_saveexec_b64 s[2:3], s[0:1]
	s_cbranch_execnz .LBB142_2954
	s_branch .LBB142_2991
.LBB142_2952:
	s_or_b64 exec, exec, s[2:3]
	s_and_saveexec_b64 s[2:3], s[16:17]
	s_xor_b64 s[2:3], exec, s[2:3]
	s_cbranch_execz .LBB142_2951
.LBB142_2953:
	s_waitcnt vmcnt(0)
	v_mov_b32_e32 v3, 0
	v_cmp_ne_u16_sdwa s[4:5], v2, v3 src0_sel:BYTE_0 src1_sel:DWORD
	v_cndmask_b32_e64 v3, 0, 1, s[4:5]
	global_store_byte v[0:1], v3, off
	s_or_b64 exec, exec, s[2:3]
	s_and_saveexec_b64 s[2:3], s[0:1]
	s_cbranch_execz .LBB142_2991
.LBB142_2954:
	s_sext_i32_i16 s2, s20
	s_cmp_lt_i32 s2, 5
	s_mov_b64 s[0:1], -1
	s_cbranch_scc1 .LBB142_2975
; %bb.2955:
	s_cmp_lt_i32 s2, 8
	s_cbranch_scc1 .LBB142_2965
; %bb.2956:
	s_cmp_lt_i32 s2, 9
	s_cbranch_scc1 .LBB142_2962
; %bb.2957:
	s_cmp_gt_i32 s2, 9
	s_cbranch_scc0 .LBB142_2959
; %bb.2958:
	s_mov_b32 s0, 0xffff
	s_waitcnt vmcnt(0)
	v_and_b32_sdwa v3, s0, v2 dst_sel:DWORD dst_unused:UNUSED_PAD src0_sel:DWORD src1_sel:BYTE_0
	v_cvt_f64_u32_e32 v[3:4], v3
	v_mov_b32_e32 v5, 0
	v_mov_b32_e32 v6, v5
	s_mov_b64 s[0:1], 0
	global_store_dwordx4 v[0:1], v[3:6], off
.LBB142_2959:
	s_andn2_b64 vcc, exec, s[0:1]
	s_cbranch_vccnz .LBB142_2961
; %bb.2960:
	s_waitcnt vmcnt(0)
	v_cvt_f32_ubyte0_e32 v3, v2
	v_mov_b32_e32 v4, 0
	global_store_dwordx2 v[0:1], v[3:4], off
.LBB142_2961:
	s_mov_b64 s[0:1], 0
.LBB142_2962:
	s_andn2_b64 vcc, exec, s[0:1]
	s_cbranch_vccnz .LBB142_2964
; %bb.2963:
	s_waitcnt vmcnt(0)
	v_cvt_f16_u16_sdwa v3, v2 dst_sel:DWORD dst_unused:UNUSED_PAD src0_sel:BYTE_0
	global_store_dword v[0:1], v3, off
.LBB142_2964:
	s_mov_b64 s[0:1], 0
.LBB142_2965:
	s_andn2_b64 vcc, exec, s[0:1]
	s_cbranch_vccnz .LBB142_2974
; %bb.2966:
	s_sext_i32_i16 s2, s20
	s_cmp_lt_i32 s2, 6
	s_mov_b64 s[0:1], -1
	s_cbranch_scc1 .LBB142_2972
; %bb.2967:
	s_cmp_gt_i32 s2, 6
	s_cbranch_scc0 .LBB142_2969
; %bb.2968:
	s_mov_b32 s0, 0xffff
	s_waitcnt vmcnt(0)
	v_and_b32_sdwa v3, s0, v2 dst_sel:DWORD dst_unused:UNUSED_PAD src0_sel:DWORD src1_sel:BYTE_0
	v_cvt_f64_u32_e32 v[3:4], v3
	s_mov_b64 s[0:1], 0
	global_store_dwordx2 v[0:1], v[3:4], off
.LBB142_2969:
	s_andn2_b64 vcc, exec, s[0:1]
	s_cbranch_vccnz .LBB142_2971
; %bb.2970:
	s_waitcnt vmcnt(0)
	v_cvt_f32_ubyte0_e32 v3, v2
	global_store_dword v[0:1], v3, off
.LBB142_2971:
	s_mov_b64 s[0:1], 0
.LBB142_2972:
	s_andn2_b64 vcc, exec, s[0:1]
	s_cbranch_vccnz .LBB142_2974
; %bb.2973:
	s_waitcnt vmcnt(0)
	v_cvt_f16_u16_sdwa v3, v2 dst_sel:DWORD dst_unused:UNUSED_PAD src0_sel:BYTE_0
	global_store_short v[0:1], v3, off
.LBB142_2974:
	s_mov_b64 s[0:1], 0
.LBB142_2975:
	s_andn2_b64 vcc, exec, s[0:1]
	s_cbranch_vccnz .LBB142_2991
; %bb.2976:
	s_sext_i32_i16 s2, s20
	s_cmp_lt_i32 s2, 2
	s_mov_b64 s[0:1], -1
	s_cbranch_scc1 .LBB142_2986
; %bb.2977:
	s_cmp_lt_i32 s2, 3
	s_cbranch_scc1 .LBB142_2983
; %bb.2978:
	s_cmp_gt_i32 s2, 3
	s_cbranch_scc0 .LBB142_2980
; %bb.2979:
	s_waitcnt vmcnt(0)
	v_and_b32_e32 v3, 0xff, v2
	v_mov_b32_e32 v4, 0
	global_store_dwordx2 v[0:1], v[3:4], off
	s_mov_b64 s[0:1], 0
.LBB142_2980:
	s_andn2_b64 vcc, exec, s[0:1]
	s_cbranch_vccnz .LBB142_2982
; %bb.2981:
	s_waitcnt vmcnt(0)
	v_and_b32_e32 v3, 0xff, v2
	global_store_dword v[0:1], v3, off
.LBB142_2982:
	s_mov_b64 s[0:1], 0
.LBB142_2983:
	s_andn2_b64 vcc, exec, s[0:1]
	s_cbranch_vccnz .LBB142_2985
; %bb.2984:
	s_waitcnt vmcnt(0)
	v_and_b32_e32 v3, 0xff, v2
	global_store_short v[0:1], v3, off
.LBB142_2985:
	s_mov_b64 s[0:1], 0
.LBB142_2986:
	s_andn2_b64 vcc, exec, s[0:1]
	s_cbranch_vccnz .LBB142_2991
; %bb.2987:
	s_sext_i32_i16 s0, s20
	s_cmp_gt_i32 s0, 0
	s_mov_b64 s[0:1], -1
	s_cbranch_scc0 .LBB142_2989
; %bb.2988:
	s_waitcnt vmcnt(0)
	global_store_byte v[0:1], v2, off
	s_mov_b64 s[0:1], 0
.LBB142_2989:
	s_andn2_b64 vcc, exec, s[0:1]
	s_cbranch_vccnz .LBB142_2991
; %bb.2990:
	s_waitcnt vmcnt(0)
	global_store_byte v[0:1], v2, off
	s_endpgm
.LBB142_2991:
	s_endpgm
.LBB142_2992:
	s_mov_b64 s[2:3], 0
	s_mov_b64 s[0:1], -1
	s_branch .LBB142_2948
.LBB142_2993:
	s_trap 2
	s_or_b64 s[18:19], s[18:19], exec
	s_cbranch_execz .LBB142_2462
	s_branch .LBB142_2463
.LBB142_2994:
	s_andn2_saveexec_b64 s[16:17], s[16:17]
	s_cbranch_execz .LBB142_2542
.LBB142_2995:
	v_add_f32_e32 v10, 0x46000000, v11
	v_and_b32_e32 v10, 0xff, v10
	v_cmp_ne_u32_e32 vcc, 0, v10
	s_andn2_b64 s[14:15], s[14:15], exec
	s_and_b64 s[22:23], vcc, exec
	s_or_b64 s[14:15], s[14:15], s[22:23]
	s_or_b64 exec, exec, s[16:17]
	v_mov_b32_e32 v12, 0
	s_and_saveexec_b64 s[16:17], s[14:15]
	s_cbranch_execnz .LBB142_2543
	s_branch .LBB142_2544
.LBB142_2996:
	s_trap 2
	s_or_b64 s[18:19], s[18:19], exec
	s_cbranch_execz .LBB142_2590
	s_branch .LBB142_2591
.LBB142_2997:
	s_andn2_saveexec_b64 s[14:15], s[14:15]
	s_cbranch_execz .LBB142_2555
.LBB142_2998:
	v_add_f32_e32 v10, 0x42800000, v11
	v_and_b32_e32 v10, 0xff, v10
	v_cmp_ne_u32_e32 vcc, 0, v10
	s_andn2_b64 s[10:11], s[10:11], exec
	s_and_b64 s[16:17], vcc, exec
	s_or_b64 s[10:11], s[10:11], s[16:17]
	s_or_b64 exec, exec, s[14:15]
	v_mov_b32_e32 v12, 0
	s_and_saveexec_b64 s[14:15], s[10:11]
	s_cbranch_execnz .LBB142_2556
	s_branch .LBB142_2557
.LBB142_2999:
	s_andn2_saveexec_b64 s[14:15], s[14:15]
	s_cbranch_execz .LBB142_2661
.LBB142_3000:
	v_add_f32_e32 v8, 0x46000000, v9
	v_and_b32_e32 v8, 0xff, v8
	v_cmp_ne_u32_e32 vcc, 0, v8
	s_andn2_b64 s[12:13], s[12:13], exec
	s_and_b64 s[22:23], vcc, exec
	s_or_b64 s[12:13], s[12:13], s[22:23]
	s_or_b64 exec, exec, s[14:15]
	v_mov_b32_e32 v10, 0
	s_and_saveexec_b64 s[14:15], s[12:13]
	s_cbranch_execnz .LBB142_2662
	s_branch .LBB142_2663
.LBB142_3001:
	s_trap 2
	s_or_b64 s[18:19], s[18:19], exec
	s_cbranch_execz .LBB142_2709
	s_branch .LBB142_2710
.LBB142_3002:
	s_andn2_saveexec_b64 s[12:13], s[12:13]
	s_cbranch_execz .LBB142_2674
.LBB142_3003:
	v_add_f32_e32 v8, 0x42800000, v9
	v_and_b32_e32 v8, 0xff, v8
	v_cmp_ne_u32_e32 vcc, 0, v8
	s_andn2_b64 s[10:11], s[10:11], exec
	s_and_b64 s[14:15], vcc, exec
	s_or_b64 s[10:11], s[10:11], s[14:15]
	s_or_b64 exec, exec, s[12:13]
	v_mov_b32_e32 v10, 0
	s_and_saveexec_b64 s[12:13], s[10:11]
	s_cbranch_execnz .LBB142_2675
	s_branch .LBB142_2676
.LBB142_3004:
	s_andn2_saveexec_b64 s[14:15], s[14:15]
	s_cbranch_execz .LBB142_2780
.LBB142_3005:
	v_add_f32_e32 v2, 0x46000000, v5
	v_and_b32_e32 v2, 0xff, v2
	v_cmp_ne_u32_e32 vcc, 0, v2
	s_andn2_b64 s[12:13], s[12:13], exec
	s_and_b64 s[22:23], vcc, exec
	s_or_b64 s[12:13], s[12:13], s[22:23]
	s_or_b64 exec, exec, s[14:15]
	v_mov_b32_e32 v8, 0
	s_and_saveexec_b64 s[14:15], s[12:13]
	s_cbranch_execnz .LBB142_2781
	s_branch .LBB142_2782
.LBB142_3006:
	s_trap 2
	s_or_b64 s[18:19], s[18:19], exec
	s_cbranch_execz .LBB142_2828
	s_branch .LBB142_2829
.LBB142_3007:
	s_andn2_saveexec_b64 s[12:13], s[12:13]
	s_cbranch_execz .LBB142_2793
.LBB142_3008:
	v_add_f32_e32 v2, 0x42800000, v5
	v_and_b32_e32 v2, 0xff, v2
	v_cmp_ne_u32_e32 vcc, 0, v2
	s_andn2_b64 s[10:11], s[10:11], exec
	s_and_b64 s[14:15], vcc, exec
	s_or_b64 s[10:11], s[10:11], s[14:15]
	s_or_b64 exec, exec, s[12:13]
	v_mov_b32_e32 v8, 0
	s_and_saveexec_b64 s[12:13], s[10:11]
	s_cbranch_execnz .LBB142_2794
	s_branch .LBB142_2795
.LBB142_3009:
	s_andn2_saveexec_b64 s[12:13], s[12:13]
	s_cbranch_execz .LBB142_2900
.LBB142_3010:
	v_add_f32_e32 v3, 0x46000000, v4
	v_and_b32_e32 v3, 0xff, v3
	v_cmp_ne_u32_e32 vcc, 0, v3
	s_andn2_b64 s[10:11], s[10:11], exec
	s_and_b64 s[16:17], vcc, exec
	s_or_b64 s[10:11], s[10:11], s[16:17]
	s_or_b64 exec, exec, s[12:13]
	v_mov_b32_e32 v5, 0
	s_and_saveexec_b64 s[12:13], s[10:11]
	s_cbranch_execnz .LBB142_2901
	s_branch .LBB142_2902
.LBB142_3011:
	s_mov_b64 s[2:3], 0
	s_or_b64 s[18:19], s[18:19], exec
	s_trap 2
	s_branch .LBB142_2946
.LBB142_3012:
	s_andn2_saveexec_b64 s[10:11], s[10:11]
	s_cbranch_execz .LBB142_2912
.LBB142_3013:
	v_add_f32_e32 v3, 0x42800000, v4
	v_and_b32_e32 v3, 0xff, v3
	v_cmp_ne_u32_e32 vcc, 0, v3
	s_andn2_b64 s[8:9], s[8:9], exec
	s_and_b64 s[12:13], vcc, exec
	s_or_b64 s[8:9], s[8:9], s[12:13]
	s_or_b64 exec, exec, s[10:11]
	v_mov_b32_e32 v5, 0
	s_and_saveexec_b64 s[10:11], s[8:9]
	s_cbranch_execnz .LBB142_2913
	s_branch .LBB142_2914
	.section	.rodata,"a",@progbits
	.p2align	6, 0x0
	.amdhsa_kernel _ZN2at6native32elementwise_kernel_manual_unrollILi128ELi4EZNS0_15gpu_kernel_implINS0_13BinaryFunctorIhhhZZZNS0_18rshift_kernel_cudaERNS_18TensorIteratorBaseEENKUlvE_clEvENKUlvE_clEvEUlhhE_EEEEvS5_RKT_EUlibE_EEviT1_
		.amdhsa_group_segment_fixed_size 0
		.amdhsa_private_segment_fixed_size 0
		.amdhsa_kernarg_size 48
		.amdhsa_user_sgpr_count 6
		.amdhsa_user_sgpr_private_segment_buffer 1
		.amdhsa_user_sgpr_dispatch_ptr 0
		.amdhsa_user_sgpr_queue_ptr 0
		.amdhsa_user_sgpr_kernarg_segment_ptr 1
		.amdhsa_user_sgpr_dispatch_id 0
		.amdhsa_user_sgpr_flat_scratch_init 0
		.amdhsa_user_sgpr_private_segment_size 0
		.amdhsa_uses_dynamic_stack 0
		.amdhsa_system_sgpr_private_segment_wavefront_offset 0
		.amdhsa_system_sgpr_workgroup_id_x 1
		.amdhsa_system_sgpr_workgroup_id_y 0
		.amdhsa_system_sgpr_workgroup_id_z 0
		.amdhsa_system_sgpr_workgroup_info 0
		.amdhsa_system_vgpr_workitem_id 0
		.amdhsa_next_free_vgpr 16
		.amdhsa_next_free_sgpr 56
		.amdhsa_reserve_vcc 1
		.amdhsa_reserve_flat_scratch 0
		.amdhsa_float_round_mode_32 0
		.amdhsa_float_round_mode_16_64 0
		.amdhsa_float_denorm_mode_32 3
		.amdhsa_float_denorm_mode_16_64 3
		.amdhsa_dx10_clamp 1
		.amdhsa_ieee_mode 1
		.amdhsa_fp16_overflow 0
		.amdhsa_exception_fp_ieee_invalid_op 0
		.amdhsa_exception_fp_denorm_src 0
		.amdhsa_exception_fp_ieee_div_zero 0
		.amdhsa_exception_fp_ieee_overflow 0
		.amdhsa_exception_fp_ieee_underflow 0
		.amdhsa_exception_fp_ieee_inexact 0
		.amdhsa_exception_int_div_zero 0
	.end_amdhsa_kernel
	.section	.text._ZN2at6native32elementwise_kernel_manual_unrollILi128ELi4EZNS0_15gpu_kernel_implINS0_13BinaryFunctorIhhhZZZNS0_18rshift_kernel_cudaERNS_18TensorIteratorBaseEENKUlvE_clEvENKUlvE_clEvEUlhhE_EEEEvS5_RKT_EUlibE_EEviT1_,"axG",@progbits,_ZN2at6native32elementwise_kernel_manual_unrollILi128ELi4EZNS0_15gpu_kernel_implINS0_13BinaryFunctorIhhhZZZNS0_18rshift_kernel_cudaERNS_18TensorIteratorBaseEENKUlvE_clEvENKUlvE_clEvEUlhhE_EEEEvS5_RKT_EUlibE_EEviT1_,comdat
.Lfunc_end142:
	.size	_ZN2at6native32elementwise_kernel_manual_unrollILi128ELi4EZNS0_15gpu_kernel_implINS0_13BinaryFunctorIhhhZZZNS0_18rshift_kernel_cudaERNS_18TensorIteratorBaseEENKUlvE_clEvENKUlvE_clEvEUlhhE_EEEEvS5_RKT_EUlibE_EEviT1_, .Lfunc_end142-_ZN2at6native32elementwise_kernel_manual_unrollILi128ELi4EZNS0_15gpu_kernel_implINS0_13BinaryFunctorIhhhZZZNS0_18rshift_kernel_cudaERNS_18TensorIteratorBaseEENKUlvE_clEvENKUlvE_clEvEUlhhE_EEEEvS5_RKT_EUlibE_EEviT1_
                                        ; -- End function
	.set _ZN2at6native32elementwise_kernel_manual_unrollILi128ELi4EZNS0_15gpu_kernel_implINS0_13BinaryFunctorIhhhZZZNS0_18rshift_kernel_cudaERNS_18TensorIteratorBaseEENKUlvE_clEvENKUlvE_clEvEUlhhE_EEEEvS5_RKT_EUlibE_EEviT1_.num_vgpr, 16
	.set _ZN2at6native32elementwise_kernel_manual_unrollILi128ELi4EZNS0_15gpu_kernel_implINS0_13BinaryFunctorIhhhZZZNS0_18rshift_kernel_cudaERNS_18TensorIteratorBaseEENKUlvE_clEvENKUlvE_clEvEUlhhE_EEEEvS5_RKT_EUlibE_EEviT1_.num_agpr, 0
	.set _ZN2at6native32elementwise_kernel_manual_unrollILi128ELi4EZNS0_15gpu_kernel_implINS0_13BinaryFunctorIhhhZZZNS0_18rshift_kernel_cudaERNS_18TensorIteratorBaseEENKUlvE_clEvENKUlvE_clEvEUlhhE_EEEEvS5_RKT_EUlibE_EEviT1_.numbered_sgpr, 56
	.set _ZN2at6native32elementwise_kernel_manual_unrollILi128ELi4EZNS0_15gpu_kernel_implINS0_13BinaryFunctorIhhhZZZNS0_18rshift_kernel_cudaERNS_18TensorIteratorBaseEENKUlvE_clEvENKUlvE_clEvEUlhhE_EEEEvS5_RKT_EUlibE_EEviT1_.num_named_barrier, 0
	.set _ZN2at6native32elementwise_kernel_manual_unrollILi128ELi4EZNS0_15gpu_kernel_implINS0_13BinaryFunctorIhhhZZZNS0_18rshift_kernel_cudaERNS_18TensorIteratorBaseEENKUlvE_clEvENKUlvE_clEvEUlhhE_EEEEvS5_RKT_EUlibE_EEviT1_.private_seg_size, 0
	.set _ZN2at6native32elementwise_kernel_manual_unrollILi128ELi4EZNS0_15gpu_kernel_implINS0_13BinaryFunctorIhhhZZZNS0_18rshift_kernel_cudaERNS_18TensorIteratorBaseEENKUlvE_clEvENKUlvE_clEvEUlhhE_EEEEvS5_RKT_EUlibE_EEviT1_.uses_vcc, 1
	.set _ZN2at6native32elementwise_kernel_manual_unrollILi128ELi4EZNS0_15gpu_kernel_implINS0_13BinaryFunctorIhhhZZZNS0_18rshift_kernel_cudaERNS_18TensorIteratorBaseEENKUlvE_clEvENKUlvE_clEvEUlhhE_EEEEvS5_RKT_EUlibE_EEviT1_.uses_flat_scratch, 0
	.set _ZN2at6native32elementwise_kernel_manual_unrollILi128ELi4EZNS0_15gpu_kernel_implINS0_13BinaryFunctorIhhhZZZNS0_18rshift_kernel_cudaERNS_18TensorIteratorBaseEENKUlvE_clEvENKUlvE_clEvEUlhhE_EEEEvS5_RKT_EUlibE_EEviT1_.has_dyn_sized_stack, 0
	.set _ZN2at6native32elementwise_kernel_manual_unrollILi128ELi4EZNS0_15gpu_kernel_implINS0_13BinaryFunctorIhhhZZZNS0_18rshift_kernel_cudaERNS_18TensorIteratorBaseEENKUlvE_clEvENKUlvE_clEvEUlhhE_EEEEvS5_RKT_EUlibE_EEviT1_.has_recursion, 0
	.set _ZN2at6native32elementwise_kernel_manual_unrollILi128ELi4EZNS0_15gpu_kernel_implINS0_13BinaryFunctorIhhhZZZNS0_18rshift_kernel_cudaERNS_18TensorIteratorBaseEENKUlvE_clEvENKUlvE_clEvEUlhhE_EEEEvS5_RKT_EUlibE_EEviT1_.has_indirect_call, 0
	.section	.AMDGPU.csdata,"",@progbits
; Kernel info:
; codeLenInByte = 52036
; TotalNumSgprs: 60
; NumVgprs: 16
; ScratchSize: 0
; MemoryBound: 1
; FloatMode: 240
; IeeeMode: 1
; LDSByteSize: 0 bytes/workgroup (compile time only)
; SGPRBlocks: 7
; VGPRBlocks: 3
; NumSGPRsForWavesPerEU: 60
; NumVGPRsForWavesPerEU: 16
; Occupancy: 10
; WaveLimiterHint : 0
; COMPUTE_PGM_RSRC2:SCRATCH_EN: 0
; COMPUTE_PGM_RSRC2:USER_SGPR: 6
; COMPUTE_PGM_RSRC2:TRAP_HANDLER: 0
; COMPUTE_PGM_RSRC2:TGID_X_EN: 1
; COMPUTE_PGM_RSRC2:TGID_Y_EN: 0
; COMPUTE_PGM_RSRC2:TGID_Z_EN: 0
; COMPUTE_PGM_RSRC2:TIDIG_COMP_CNT: 0
	.section	.text._ZN2at6native32elementwise_kernel_manual_unrollILi128ELi4EZNS0_15gpu_kernel_implINS0_13BinaryFunctorIhhhZZZNS0_18rshift_kernel_cudaERNS_18TensorIteratorBaseEENKUlvE_clEvENKUlvE_clEvEUlhhE_EEEEvS5_RKT_EUlibE0_EEviT1_,"axG",@progbits,_ZN2at6native32elementwise_kernel_manual_unrollILi128ELi4EZNS0_15gpu_kernel_implINS0_13BinaryFunctorIhhhZZZNS0_18rshift_kernel_cudaERNS_18TensorIteratorBaseEENKUlvE_clEvENKUlvE_clEvEUlhhE_EEEEvS5_RKT_EUlibE0_EEviT1_,comdat
	.globl	_ZN2at6native32elementwise_kernel_manual_unrollILi128ELi4EZNS0_15gpu_kernel_implINS0_13BinaryFunctorIhhhZZZNS0_18rshift_kernel_cudaERNS_18TensorIteratorBaseEENKUlvE_clEvENKUlvE_clEvEUlhhE_EEEEvS5_RKT_EUlibE0_EEviT1_ ; -- Begin function _ZN2at6native32elementwise_kernel_manual_unrollILi128ELi4EZNS0_15gpu_kernel_implINS0_13BinaryFunctorIhhhZZZNS0_18rshift_kernel_cudaERNS_18TensorIteratorBaseEENKUlvE_clEvENKUlvE_clEvEUlhhE_EEEEvS5_RKT_EUlibE0_EEviT1_
	.p2align	8
	.type	_ZN2at6native32elementwise_kernel_manual_unrollILi128ELi4EZNS0_15gpu_kernel_implINS0_13BinaryFunctorIhhhZZZNS0_18rshift_kernel_cudaERNS_18TensorIteratorBaseEENKUlvE_clEvENKUlvE_clEvEUlhhE_EEEEvS5_RKT_EUlibE0_EEviT1_,@function
_ZN2at6native32elementwise_kernel_manual_unrollILi128ELi4EZNS0_15gpu_kernel_implINS0_13BinaryFunctorIhhhZZZNS0_18rshift_kernel_cudaERNS_18TensorIteratorBaseEENKUlvE_clEvENKUlvE_clEvEUlhhE_EEEEvS5_RKT_EUlibE0_EEviT1_: ; @_ZN2at6native32elementwise_kernel_manual_unrollILi128ELi4EZNS0_15gpu_kernel_implINS0_13BinaryFunctorIhhhZZZNS0_18rshift_kernel_cudaERNS_18TensorIteratorBaseEENKUlvE_clEvENKUlvE_clEvEUlhhE_EEEEvS5_RKT_EUlibE0_EEviT1_
; %bb.0:
	s_load_dword s66, s[4:5], 0x0
	s_load_dword s33, s[4:5], 0x8
	s_add_u32 s2, s4, 8
	s_addc_u32 s3, s5, 0
	v_lshl_or_b32 v10, s6, 9, v0
	v_or_b32_e32 v20, 0x180, v10
	s_waitcnt lgkmcnt(0)
	s_add_i32 s68, s33, -1
	s_cmp_gt_u32 s68, 1
	v_cmp_le_i32_e32 vcc, s66, v20
	s_cselect_b64 s[20:21], -1, 0
	s_mov_b64 s[6:7], 0
	s_mov_b64 s[12:13], 0
	s_and_saveexec_b64 s[0:1], vcc
	s_xor_b64 s[22:23], exec, s[0:1]
	s_cbranch_execz .LBB143_1557
; %bb.1:
	v_mov_b32_e32 v0, 0
	global_load_ushort v1, v0, s[2:3] offset:417
	global_load_sbyte v2, v0, s[2:3] offset:419
	s_load_dwordx4 s[16:19], s[2:3], 0x4
	s_load_dwordx2 s[28:29], s[2:3], 0x14
	s_load_dwordx4 s[12:15], s[2:3], 0xc4
	s_load_dwordx2 s[26:27], s[2:3], 0xd4
	s_load_dwordx2 s[24:25], s[2:3], 0x198
	s_load_dwordx4 s[8:11], s[2:3], 0x188
	s_cmp_lg_u32 s33, 0
	s_cselect_b64 s[34:35], -1, 0
	s_min_u32 s72, s68, 15
	s_cmp_gt_u32 s33, 1
	v_cmp_gt_i32_e32 vcc, s66, v10
	s_mov_b64 s[0:1], -1
	s_mov_b64 s[46:47], 0
	s_mov_b64 s[40:41], 0
	;; [unrolled: 1-line block ×3, first 2 shown]
	s_cselect_b64 s[30:31], -1, 0
	s_mov_b64 s[36:37], 0
	s_waitcnt vmcnt(1)
	v_readfirstlane_b32 s69, v1
	s_waitcnt vmcnt(0)
	v_readfirstlane_b32 s70, v2
	s_lshr_b32 s71, s69, 8
	s_and_saveexec_b64 s[42:43], vcc
	s_cbranch_execz .LBB143_386
; %bb.2:
	s_andn2_b64 vcc, exec, s[20:21]
	s_cbranch_vccnz .LBB143_8
; %bb.3:
	s_andn2_b64 vcc, exec, s[34:35]
	s_cbranch_vccnz .LBB143_9
; %bb.4:
	s_add_i32 s0, s72, 1
	s_and_b32 s36, s0, 30
	s_add_u32 s0, s2, 0xffffffe8
	s_addc_u32 s1, s3, -1
	v_mov_b32_e32 v3, 0
	v_mov_b32_e32 v5, 0
	v_mov_b32_e32 v0, 0
	v_mov_b32_e32 v1, v10
.LBB143_5:                              ; =>This Inner Loop Header: Depth=1
	s_load_dwordx4 s[48:51], s[0:1], 0x1c
	s_load_dwordx2 s[38:39], s[0:1], 0x2c
	s_load_dwordx2 s[40:41], s[0:1], 0xec
	s_load_dwordx4 s[52:55], s[0:1], 0xdc
	s_add_u32 s0, s0, 24
	s_waitcnt lgkmcnt(0)
	v_mul_hi_u32 v2, s49, v1
	s_addc_u32 s1, s1, 0
	s_add_i32 s36, s36, -2
	s_cmp_lg_u32 s36, 0
	v_add_u32_e32 v2, v1, v2
	v_lshrrev_b32_e32 v2, s50, v2
	v_mul_lo_u32 v4, v2, s48
	v_mul_hi_u32 v6, s38, v2
	v_sub_u32_e32 v4, v1, v4
	v_add_u32_e32 v1, v2, v6
	v_lshrrev_b32_e32 v1, s39, v1
	v_mul_lo_u32 v8, v1, s51
	v_mul_lo_u32 v6, v4, s52
	;; [unrolled: 1-line block ×4, first 2 shown]
	v_sub_u32_e32 v2, v2, v8
	v_mul_lo_u32 v8, v2, s55
	v_mul_lo_u32 v9, v2, s40
	;; [unrolled: 1-line block ×3, first 2 shown]
	v_add3_u32 v0, v6, v0, v8
	v_add3_u32 v5, v7, v5, v9
	;; [unrolled: 1-line block ×3, first 2 shown]
	s_cbranch_scc1 .LBB143_5
; %bb.6:
	s_bitcmp1_b32 s72, 0
	s_cselect_b64 s[36:37], -1, 0
	s_and_b64 vcc, exec, s[36:37]
	s_cbranch_vccnz .LBB143_10
; %bb.7:
	s_load_dwordx2 s[36:37], s[0:1], 0x1c
	s_load_dword s40, s[0:1], 0x24
	s_load_dwordx2 s[38:39], s[0:1], 0xdc
	s_waitcnt lgkmcnt(0)
	v_mul_hi_u32 v2, s37, v1
	v_add_u32_e32 v2, v1, v2
	v_lshrrev_b32_e32 v2, s40, v2
	v_mul_lo_u32 v2, v2, s36
	s_load_dword s36, s[0:1], 0xe4
	v_sub_u32_e32 v2, v1, v2
	v_mad_u64_u32 v[0:1], s[0:1], v2, s38, v[0:1]
	v_mad_u64_u32 v[5:6], s[0:1], v2, s39, v[5:6]
	s_waitcnt lgkmcnt(0)
	v_mad_u64_u32 v[3:4], s[0:1], v2, s36, v[3:4]
	s_cbranch_execz .LBB143_11
	s_branch .LBB143_13
.LBB143_8:
                                        ; implicit-def: $vgpr0
                                        ; implicit-def: $vgpr5
                                        ; implicit-def: $vgpr3
	s_andn2_b64 vcc, exec, s[0:1]
	s_cbranch_vccz .LBB143_11
	s_branch .LBB143_13
.LBB143_9:
	v_mov_b32_e32 v0, 0
	v_mov_b32_e32 v5, 0
	;; [unrolled: 1-line block ×3, first 2 shown]
.LBB143_10:
	s_cbranch_execnz .LBB143_13
.LBB143_11:
	s_waitcnt lgkmcnt(0)
	v_mul_hi_u32 v0, s17, v10
	s_andn2_b64 vcc, exec, s[30:31]
	v_add_u32_e32 v0, v10, v0
	v_lshrrev_b32_e32 v1, s18, v0
	v_mul_lo_u32 v0, v1, s16
	v_sub_u32_e32 v2, v10, v0
	v_mul_lo_u32 v0, v2, s12
	v_mul_lo_u32 v5, v2, s13
	;; [unrolled: 1-line block ×3, first 2 shown]
	s_cbranch_vccnz .LBB143_13
; %bb.12:
	v_mul_hi_u32 v2, s28, v1
	v_add_u32_e32 v2, v1, v2
	v_lshrrev_b32_e32 v2, s29, v2
	v_mul_lo_u32 v2, v2, s19
	v_sub_u32_e32 v2, v1, v2
	v_mad_u64_u32 v[0:1], s[0:1], v2, s15, v[0:1]
	v_mad_u64_u32 v[5:6], s[0:1], v2, s26, v[5:6]
	;; [unrolled: 1-line block ×3, first 2 shown]
.LBB143_13:
	s_waitcnt lgkmcnt(0)
	v_mov_b32_e32 v1, s11
	s_and_b32 s38, s71, 0xff
	v_add_co_u32_e32 v4, vcc, s10, v5
	s_cmp_lt_i32 s38, 11
	v_addc_co_u32_e32 v5, vcc, 0, v1, vcc
	s_cbranch_scc1 .LBB143_20
; %bb.14:
	s_and_b32 s39, 0xffff, s38
	s_cmp_gt_i32 s39, 25
	s_cbranch_scc0 .LBB143_29
; %bb.15:
	s_cmp_gt_i32 s39, 28
	s_cbranch_scc0 .LBB143_39
; %bb.16:
	;; [unrolled: 3-line block ×4, first 2 shown]
	s_cmp_eq_u32 s39, 46
	s_mov_b64 s[36:37], 0
	s_cbranch_scc0 .LBB143_48
; %bb.19:
	global_load_dword v1, v[4:5], off
	s_mov_b32 s0, 0x2f800000
	s_mov_b32 s1, 0xcf800000
	s_mov_b64 s[40:41], 0
	s_waitcnt vmcnt(0)
	v_lshlrev_b32_e32 v1, 16, v1
	v_trunc_f32_e32 v1, v1
	v_mul_f32_e64 v2, |v1|, s0
	v_floor_f32_e32 v2, v2
	v_fma_f32 v2, v2, s1, |v1|
	v_cvt_u32_f32_e32 v2, v2
	v_ashrrev_i32_e32 v1, 31, v1
	s_mov_b64 s[0:1], -1
	v_xor_b32_e32 v2, v2, v1
	v_sub_u32_e32 v1, v2, v1
	s_branch .LBB143_50
.LBB143_20:
	s_mov_b64 s[40:41], 0
                                        ; implicit-def: $vgpr1
	s_mov_b64 s[0:1], 0
	s_cbranch_execnz .LBB143_112
.LBB143_21:
	s_andn2_b64 vcc, exec, s[0:1]
	s_cbranch_vccnz .LBB143_159
.LBB143_22:
	v_mov_b32_e32 v4, s25
	s_and_b32 s44, s70, 0xff
	s_waitcnt vmcnt(0)
	v_add_co_u32_e32 v2, vcc, s24, v3
	s_cmp_lt_i32 s44, 11
	v_addc_co_u32_e32 v3, vcc, 0, v4, vcc
	s_cbranch_scc1 .LBB143_30
; %bb.23:
	s_and_b32 s45, 0xffff, s44
	s_cmp_gt_i32 s45, 25
	s_cbranch_scc0 .LBB143_40
; %bb.24:
	s_cmp_gt_i32 s45, 28
	s_cbranch_scc0 .LBB143_43
; %bb.25:
	;; [unrolled: 3-line block ×4, first 2 shown]
	s_cmp_eq_u32 s45, 46
	s_mov_b64 s[36:37], 0
	s_cbranch_scc0 .LBB143_160
; %bb.28:
	global_load_dword v4, v[2:3], off
	s_mov_b32 s0, 0x2f800000
	s_mov_b32 s1, 0xcf800000
	s_mov_b64 s[38:39], 0
	s_waitcnt vmcnt(0)
	v_lshlrev_b32_e32 v4, 16, v4
	v_trunc_f32_e32 v4, v4
	v_mul_f32_e64 v5, |v4|, s0
	v_floor_f32_e32 v5, v5
	v_fma_f32 v5, v5, s1, |v4|
	v_cvt_u32_f32_e32 v5, v5
	v_ashrrev_i32_e32 v4, 31, v4
	s_mov_b64 s[0:1], -1
	v_xor_b32_e32 v5, v5, v4
	v_sub_u32_e32 v4, v5, v4
	s_branch .LBB143_162
.LBB143_29:
	s_mov_b64 s[40:41], 0
	s_mov_b64 s[0:1], 0
                                        ; implicit-def: $vgpr1
	s_cbranch_execnz .LBB143_79
	s_branch .LBB143_111
.LBB143_30:
	s_mov_b64 s[38:39], 0
                                        ; implicit-def: $vgpr4
	s_mov_b64 s[0:1], 0
	s_cbranch_execnz .LBB143_335
.LBB143_31:
	s_andn2_b64 vcc, exec, s[0:1]
	s_cbranch_vccnz .LBB143_383
.LBB143_32:
	v_mov_b32_e32 v2, 8
	s_waitcnt vmcnt(0)
	v_lshrrev_b16_sdwa v1, v4, v1 dst_sel:DWORD dst_unused:UNUSED_PAD src0_sel:BYTE_0 src1_sel:BYTE_0
	v_cmp_lt_u16_sdwa vcc, v4, v2 src0_sel:BYTE_0 src1_sel:DWORD
	v_cndmask_b32_e32 v2, 0, v1, vcc
	v_mov_b32_e32 v1, s9
	s_and_b32 s50, s69, 0xff
	v_add_co_u32_e32 v0, vcc, s8, v0
	s_cmp_lt_i32 s50, 11
	v_addc_co_u32_e32 v1, vcc, 0, v1, vcc
	s_cbranch_scc1 .LBB143_41
; %bb.33:
	s_and_b32 s51, 0xffff, s50
	s_cmp_gt_i32 s51, 25
	s_cbranch_scc0 .LBB143_44
; %bb.34:
	s_cmp_gt_i32 s51, 28
	s_cbranch_scc0 .LBB143_47
; %bb.35:
	s_cmp_gt_i32 s51, 43
	s_cbranch_scc0 .LBB143_54
; %bb.36:
	s_cmp_gt_i32 s51, 45
	s_cbranch_scc0 .LBB143_165
; %bb.37:
	s_mov_b64 s[44:45], 0
	s_mov_b64 s[0:1], -1
	s_cmp_eq_u32 s51, 46
	s_mov_b64 s[36:37], 0
	s_cbranch_scc0 .LBB143_166
; %bb.38:
	v_cvt_f32_ubyte0_e32 v3, v2
	v_bfe_u32 v4, v3, 16, 1
	s_movk_i32 s0, 0x7fff
	v_add3_u32 v3, v3, v4, s0
	v_lshrrev_b32_e32 v3, 16, v3
	global_store_dword v[0:1], v3, off
	s_mov_b64 s[36:37], -1
	s_mov_b64 s[0:1], 0
	s_branch .LBB143_166
.LBB143_39:
	s_mov_b64 s[36:37], -1
	s_mov_b64 s[40:41], 0
	s_mov_b64 s[0:1], 0
                                        ; implicit-def: $vgpr1
	s_branch .LBB143_62
.LBB143_40:
	s_mov_b64 s[36:37], -1
	s_mov_b64 s[38:39], 0
	s_mov_b64 s[0:1], 0
                                        ; implicit-def: $vgpr4
	s_branch .LBB143_301
.LBB143_41:
	s_mov_b64 s[44:45], -1
	s_mov_b64 s[0:1], 0
	s_mov_b64 s[36:37], 0
	s_branch .LBB143_235
.LBB143_42:
	s_mov_b64 s[36:37], -1
	s_mov_b64 s[40:41], 0
	s_mov_b64 s[0:1], 0
                                        ; implicit-def: $vgpr1
	s_branch .LBB143_57
.LBB143_43:
	s_mov_b64 s[36:37], -1
	s_mov_b64 s[38:39], 0
	s_mov_b64 s[0:1], 0
                                        ; implicit-def: $vgpr4
	s_branch .LBB143_284
.LBB143_44:
	s_mov_b64 s[44:45], -1
	s_mov_b64 s[0:1], 0
	s_mov_b64 s[36:37], 0
	s_branch .LBB143_193
.LBB143_45:
	s_mov_b64 s[36:37], -1
	s_mov_b64 s[40:41], 0
	s_branch .LBB143_49
.LBB143_46:
	s_mov_b64 s[36:37], -1
	s_mov_b64 s[38:39], 0
	s_mov_b64 s[0:1], 0
                                        ; implicit-def: $vgpr4
	s_branch .LBB143_279
.LBB143_47:
	s_mov_b64 s[44:45], -1
	s_mov_b64 s[0:1], 0
	s_mov_b64 s[36:37], 0
	s_branch .LBB143_176
.LBB143_48:
	s_mov_b64 s[40:41], -1
.LBB143_49:
	s_mov_b64 s[0:1], 0
                                        ; implicit-def: $vgpr1
.LBB143_50:
	s_and_b64 vcc, exec, s[36:37]
	s_cbranch_vccz .LBB143_56
; %bb.51:
	s_cmp_eq_u32 s39, 44
	s_cbranch_scc0 .LBB143_55
; %bb.52:
	global_load_ubyte v1, v[4:5], off
	s_mov_b32 s0, 0x2f800000
	s_mov_b32 s1, 0xcf800000
	s_mov_b64 s[40:41], 0
	s_waitcnt vmcnt(0)
	v_lshlrev_b32_e32 v2, 23, v1
	v_trunc_f32_e32 v2, v2
	v_mul_f32_e64 v6, |v2|, s0
	v_floor_f32_e32 v6, v6
	v_fma_f32 v6, v6, s1, |v2|
	v_cvt_u32_f32_e32 v6, v6
	v_ashrrev_i32_e32 v2, 31, v2
	v_cmp_ne_u32_e32 vcc, 0, v1
	s_mov_b64 s[0:1], -1
	v_xor_b32_e32 v6, v6, v2
	v_sub_u32_e32 v2, v6, v2
	v_cndmask_b32_e32 v1, 0, v2, vcc
	s_branch .LBB143_56
.LBB143_53:
	s_mov_b64 s[36:37], -1
	s_mov_b64 s[38:39], 0
	s_branch .LBB143_161
.LBB143_54:
	s_mov_b64 s[44:45], -1
	s_mov_b64 s[0:1], 0
	s_mov_b64 s[36:37], 0
	s_branch .LBB143_172
.LBB143_55:
	s_mov_b64 s[40:41], -1
                                        ; implicit-def: $vgpr1
.LBB143_56:
	s_mov_b64 s[36:37], 0
.LBB143_57:
	s_and_b64 vcc, exec, s[36:37]
	s_cbranch_vccz .LBB143_61
; %bb.58:
	s_cmp_eq_u32 s39, 29
	s_cbranch_scc0 .LBB143_60
; %bb.59:
	global_load_dwordx2 v[1:2], v[4:5], off
	s_mov_b64 s[0:1], -1
	s_mov_b64 s[40:41], 0
	s_branch .LBB143_61
.LBB143_60:
	s_mov_b64 s[40:41], -1
                                        ; implicit-def: $vgpr1
.LBB143_61:
	s_mov_b64 s[36:37], 0
.LBB143_62:
	s_and_b64 vcc, exec, s[36:37]
	s_cbranch_vccz .LBB143_78
; %bb.63:
	s_cmp_lt_i32 s39, 27
	s_cbranch_scc1 .LBB143_66
; %bb.64:
	s_cmp_gt_i32 s39, 27
	s_cbranch_scc0 .LBB143_67
; %bb.65:
	global_load_dword v1, v[4:5], off
	s_mov_b64 s[0:1], 0
	s_branch .LBB143_68
.LBB143_66:
	s_mov_b64 s[0:1], -1
                                        ; implicit-def: $vgpr1
	s_branch .LBB143_71
.LBB143_67:
	s_mov_b64 s[0:1], -1
                                        ; implicit-def: $vgpr1
.LBB143_68:
	s_andn2_b64 vcc, exec, s[0:1]
	s_cbranch_vccnz .LBB143_70
; %bb.69:
	global_load_ushort v1, v[4:5], off
.LBB143_70:
	s_mov_b64 s[0:1], 0
.LBB143_71:
	s_andn2_b64 vcc, exec, s[0:1]
	s_cbranch_vccnz .LBB143_77
; %bb.72:
	global_load_ubyte v2, v[4:5], off
	s_movk_i32 s0, 0x7f
	s_mov_b64 s[36:37], 0
	s_waitcnt vmcnt(0)
	v_cmp_lt_i16_e32 vcc, s0, v2
	s_and_saveexec_b64 s[0:1], vcc
	s_xor_b64 s[0:1], exec, s[0:1]
	s_cbranch_execz .LBB143_88
; %bb.73:
	s_movk_i32 s36, 0x80
	v_cmp_ne_u16_e32 vcc, s36, v2
	s_and_b64 s[36:37], vcc, exec
	s_andn2_saveexec_b64 s[0:1], s[0:1]
	s_cbranch_execnz .LBB143_89
.LBB143_74:
	s_or_b64 exec, exec, s[0:1]
	v_mov_b32_e32 v1, 0
	s_and_saveexec_b64 s[0:1], s[36:37]
	s_cbranch_execz .LBB143_76
.LBB143_75:
	v_lshlrev_b32_e32 v1, 24, v2
	v_and_b32_e32 v2, 0xffff, v2
	v_and_b32_e32 v6, 7, v2
	v_ffbh_u32_e32 v8, v6
	v_min_u32_e32 v8, 32, v8
	v_subrev_u32_e32 v9, 28, v8
	v_bfe_u32 v7, v2, 3, 4
	v_lshlrev_b32_e32 v2, v9, v2
	v_sub_u32_e32 v8, 29, v8
	v_and_b32_e32 v2, 7, v2
	v_cmp_eq_u32_e32 vcc, 0, v7
	v_cndmask_b32_e32 v7, v7, v8, vcc
	v_cndmask_b32_e32 v2, v6, v2, vcc
	v_mov_b32_e32 v6, 0x3b800000
	v_lshlrev_b32_e32 v2, 20, v2
	v_and_b32_e32 v1, 0x80000000, v1
	v_lshl_add_u32 v6, v7, 23, v6
	v_or3_b32 v1, v1, v6, v2
	v_trunc_f32_e32 v1, v1
	s_mov_b32 s36, 0x2f800000
	v_mul_f32_e64 v2, |v1|, s36
	v_floor_f32_e32 v2, v2
	s_mov_b32 s36, 0xcf800000
	v_fma_f32 v2, v2, s36, |v1|
	v_cvt_u32_f32_e32 v2, v2
	v_ashrrev_i32_e32 v1, 31, v1
	v_xor_b32_e32 v2, v2, v1
	v_sub_u32_e32 v1, v2, v1
.LBB143_76:
	s_or_b64 exec, exec, s[0:1]
.LBB143_77:
	s_mov_b64 s[0:1], -1
.LBB143_78:
	s_branch .LBB143_111
.LBB143_79:
	s_cmp_gt_i32 s39, 22
	s_cbranch_scc0 .LBB143_87
; %bb.80:
	s_cmp_lt_i32 s39, 24
	s_cbranch_scc1 .LBB143_90
; %bb.81:
	s_cmp_gt_i32 s39, 24
	s_cbranch_scc0 .LBB143_91
; %bb.82:
	global_load_ubyte v2, v[4:5], off
	s_movk_i32 s0, 0x7f
	s_mov_b64 s[36:37], 0
	s_waitcnt vmcnt(0)
	v_cmp_lt_i16_e32 vcc, s0, v2
	s_and_saveexec_b64 s[0:1], vcc
	s_xor_b64 s[0:1], exec, s[0:1]
	s_cbranch_execz .LBB143_103
; %bb.83:
	s_movk_i32 s36, 0x80
	v_cmp_ne_u16_e32 vcc, s36, v2
	s_and_b64 s[36:37], vcc, exec
	s_andn2_saveexec_b64 s[0:1], s[0:1]
	s_cbranch_execnz .LBB143_104
.LBB143_84:
	s_or_b64 exec, exec, s[0:1]
	v_mov_b32_e32 v1, 0
	s_and_saveexec_b64 s[0:1], s[36:37]
	s_cbranch_execz .LBB143_86
.LBB143_85:
	v_lshlrev_b32_e32 v1, 24, v2
	v_and_b32_e32 v2, 0xffff, v2
	v_and_b32_e32 v6, 3, v2
	v_ffbh_u32_e32 v8, v6
	v_min_u32_e32 v8, 32, v8
	v_subrev_u32_e32 v9, 29, v8
	v_bfe_u32 v7, v2, 2, 5
	v_lshlrev_b32_e32 v2, v9, v2
	v_sub_u32_e32 v8, 30, v8
	v_and_b32_e32 v2, 3, v2
	v_cmp_eq_u32_e32 vcc, 0, v7
	v_cndmask_b32_e32 v7, v7, v8, vcc
	v_cndmask_b32_e32 v2, v6, v2, vcc
	v_mov_b32_e32 v6, 0x37800000
	v_lshlrev_b32_e32 v2, 21, v2
	v_and_b32_e32 v1, 0x80000000, v1
	v_lshl_add_u32 v6, v7, 23, v6
	v_or3_b32 v1, v1, v6, v2
	v_trunc_f32_e32 v1, v1
	s_mov_b32 s36, 0x2f800000
	v_mul_f32_e64 v2, |v1|, s36
	v_floor_f32_e32 v2, v2
	s_mov_b32 s36, 0xcf800000
	v_fma_f32 v2, v2, s36, |v1|
	v_cvt_u32_f32_e32 v2, v2
	v_ashrrev_i32_e32 v1, 31, v1
	v_xor_b32_e32 v2, v2, v1
	v_sub_u32_e32 v1, v2, v1
.LBB143_86:
	s_or_b64 exec, exec, s[0:1]
	s_mov_b64 s[0:1], 0
	s_branch .LBB143_92
.LBB143_87:
	s_mov_b64 s[36:37], -1
                                        ; implicit-def: $vgpr1
	s_branch .LBB143_98
.LBB143_88:
	s_andn2_saveexec_b64 s[0:1], s[0:1]
	s_cbranch_execz .LBB143_74
.LBB143_89:
	v_cmp_ne_u16_e32 vcc, 0, v2
	s_andn2_b64 s[36:37], s[36:37], exec
	s_and_b64 s[44:45], vcc, exec
	s_or_b64 s[36:37], s[36:37], s[44:45]
	s_or_b64 exec, exec, s[0:1]
	v_mov_b32_e32 v1, 0
	s_and_saveexec_b64 s[0:1], s[36:37]
	s_cbranch_execnz .LBB143_75
	s_branch .LBB143_76
.LBB143_90:
	s_mov_b64 s[0:1], -1
                                        ; implicit-def: $vgpr1
	s_branch .LBB143_95
.LBB143_91:
	s_mov_b64 s[0:1], -1
                                        ; implicit-def: $vgpr1
.LBB143_92:
	s_and_b64 vcc, exec, s[0:1]
	s_cbranch_vccz .LBB143_94
; %bb.93:
	global_load_ubyte v1, v[4:5], off
	s_mov_b32 s0, 0x7f800000
	s_brev_b32 s1, 1
	s_mov_b32 s36, 0x2f800000
	s_waitcnt vmcnt(0)
	v_lshlrev_b32_e32 v1, 24, v1
	v_and_b32_e32 v2, 0x7f000000, v1
	v_ffbh_u32_e32 v6, v2
	v_min_u32_e32 v6, 32, v6
	v_sub_u32_e64 v6, v6, 4 clamp
	v_lshlrev_b32_e32 v8, v6, v2
	v_lshlrev_b32_e32 v6, 23, v6
	v_lshrrev_b32_e32 v8, 4, v8
	v_add_u32_e32 v7, 0x1000000, v2
	v_sub_u32_e32 v6, v8, v6
	v_ashrrev_i32_e32 v7, 8, v7
	v_add_u32_e32 v6, 0x3c000000, v6
	v_and_or_b32 v6, v7, s0, v6
	v_cmp_ne_u32_e32 vcc, 0, v2
	v_cndmask_b32_e32 v2, 0, v6, vcc
	v_and_or_b32 v1, v1, s1, v2
	v_trunc_f32_e32 v1, v1
	v_mul_f32_e64 v2, |v1|, s36
	v_floor_f32_e32 v2, v2
	s_mov_b32 s0, 0xcf800000
	v_fma_f32 v2, v2, s0, |v1|
	v_cvt_u32_f32_e32 v2, v2
	v_ashrrev_i32_e32 v1, 31, v1
	v_xor_b32_e32 v2, v2, v1
	v_sub_u32_e32 v1, v2, v1
.LBB143_94:
	s_mov_b64 s[0:1], 0
.LBB143_95:
	s_andn2_b64 vcc, exec, s[0:1]
	s_cbranch_vccnz .LBB143_97
; %bb.96:
	global_load_ubyte v1, v[4:5], off
	s_movk_i32 s0, 0x7f00
	s_brev_b32 s1, 16
	s_brev_b32 s36, 1
	s_mov_b32 s37, 0x2f800000
	s_waitcnt vmcnt(0)
	v_lshlrev_b16_e32 v2, 8, v1
	v_lshlrev_b32_e32 v1, 25, v1
	v_lshrrev_b32_e32 v6, 4, v1
	v_and_or_b32 v7, v2, s0, 0.5
	v_or_b32_e32 v6, 0x70000000, v6
	v_add_f32_e32 v7, -0.5, v7
	v_mul_f32_e32 v6, 0x7800000, v6
	v_cmp_gt_u32_e32 vcc, s1, v1
	v_bfe_i32 v2, v2, 0, 16
	v_cndmask_b32_e32 v1, v6, v7, vcc
	v_and_or_b32 v1, v2, s36, v1
	v_trunc_f32_e32 v1, v1
	v_mul_f32_e64 v2, |v1|, s37
	v_floor_f32_e32 v2, v2
	s_mov_b32 s0, 0xcf800000
	v_fma_f32 v2, v2, s0, |v1|
	v_cvt_u32_f32_e32 v2, v2
	v_ashrrev_i32_e32 v1, 31, v1
	v_xor_b32_e32 v2, v2, v1
	v_sub_u32_e32 v1, v2, v1
.LBB143_97:
	s_mov_b64 s[36:37], 0
	s_mov_b64 s[0:1], -1
.LBB143_98:
	s_andn2_b64 vcc, exec, s[36:37]
	s_cbranch_vccnz .LBB143_111
; %bb.99:
	s_cmp_gt_i32 s39, 14
	s_cbranch_scc0 .LBB143_102
; %bb.100:
	s_cmp_eq_u32 s39, 15
	s_cbranch_scc0 .LBB143_105
; %bb.101:
	global_load_ushort v1, v[4:5], off
	s_mov_b32 s0, 0x2f800000
	s_mov_b32 s1, 0xcf800000
	s_mov_b64 s[40:41], 0
	s_waitcnt vmcnt(0)
	v_lshlrev_b32_e32 v1, 16, v1
	v_trunc_f32_e32 v1, v1
	v_mul_f32_e64 v2, |v1|, s0
	v_floor_f32_e32 v2, v2
	v_fma_f32 v2, v2, s1, |v1|
	v_cvt_u32_f32_e32 v2, v2
	v_ashrrev_i32_e32 v1, 31, v1
	s_mov_b64 s[0:1], -1
	v_xor_b32_e32 v2, v2, v1
	v_sub_u32_e32 v1, v2, v1
	s_branch .LBB143_106
.LBB143_102:
	s_mov_b64 s[36:37], -1
                                        ; implicit-def: $vgpr1
	s_branch .LBB143_107
.LBB143_103:
	s_andn2_saveexec_b64 s[0:1], s[0:1]
	s_cbranch_execz .LBB143_84
.LBB143_104:
	v_cmp_ne_u16_e32 vcc, 0, v2
	s_andn2_b64 s[36:37], s[36:37], exec
	s_and_b64 s[44:45], vcc, exec
	s_or_b64 s[36:37], s[36:37], s[44:45]
	s_or_b64 exec, exec, s[0:1]
	v_mov_b32_e32 v1, 0
	s_and_saveexec_b64 s[0:1], s[36:37]
	s_cbranch_execnz .LBB143_85
	s_branch .LBB143_86
.LBB143_105:
	s_mov_b64 s[40:41], -1
                                        ; implicit-def: $vgpr1
.LBB143_106:
	s_mov_b64 s[36:37], 0
.LBB143_107:
	s_and_b64 vcc, exec, s[36:37]
	s_cbranch_vccz .LBB143_111
; %bb.108:
	s_cmp_eq_u32 s39, 11
	s_cbranch_scc0 .LBB143_110
; %bb.109:
	global_load_ubyte v1, v[4:5], off
	s_mov_b64 s[0:1], -1
	s_mov_b64 s[40:41], 0
	s_waitcnt vmcnt(0)
	v_cmp_ne_u16_e32 vcc, 0, v1
	v_cndmask_b32_e64 v1, 0, 1, vcc
	s_branch .LBB143_111
.LBB143_110:
	s_mov_b64 s[40:41], -1
                                        ; implicit-def: $vgpr1
.LBB143_111:
	s_branch .LBB143_21
.LBB143_112:
	s_and_b32 s36, 0xffff, s38
	s_cmp_lt_i32 s36, 5
	s_cbranch_scc1 .LBB143_117
; %bb.113:
	s_cmp_lt_i32 s36, 8
	s_cbranch_scc1 .LBB143_118
; %bb.114:
	;; [unrolled: 3-line block ×3, first 2 shown]
	s_cmp_gt_i32 s36, 9
	s_cbranch_scc0 .LBB143_120
; %bb.116:
	global_load_dwordx2 v[1:2], v[4:5], off
	s_movk_i32 s0, 0xffe0
	s_waitcnt vmcnt(0)
	v_trunc_f64_e32 v[1:2], v[1:2]
	v_ldexp_f64 v[6:7], v[1:2], s0
	s_mov_b32 s0, 0
	s_mov_b32 s1, 0xc1f00000
	v_floor_f64_e32 v[6:7], v[6:7]
	v_fma_f64 v[1:2], v[6:7], s[0:1], v[1:2]
	s_mov_b64 s[0:1], 0
	v_cvt_u32_f64_e32 v1, v[1:2]
	s_branch .LBB143_121
.LBB143_117:
                                        ; implicit-def: $vgpr1
	s_branch .LBB143_139
.LBB143_118:
	s_mov_b64 s[0:1], -1
                                        ; implicit-def: $vgpr1
	s_branch .LBB143_127
.LBB143_119:
	s_mov_b64 s[0:1], -1
                                        ; implicit-def: $vgpr1
	s_branch .LBB143_124
.LBB143_120:
	s_mov_b64 s[0:1], -1
                                        ; implicit-def: $vgpr1
.LBB143_121:
	s_andn2_b64 vcc, exec, s[0:1]
	s_cbranch_vccnz .LBB143_123
; %bb.122:
	global_load_dword v1, v[4:5], off
	s_mov_b32 s0, 0x2f800000
	s_waitcnt vmcnt(0)
	v_trunc_f32_e32 v1, v1
	v_mul_f32_e64 v2, |v1|, s0
	v_floor_f32_e32 v2, v2
	s_mov_b32 s0, 0xcf800000
	v_fma_f32 v2, v2, s0, |v1|
	v_cvt_u32_f32_e32 v2, v2
	v_ashrrev_i32_e32 v1, 31, v1
	v_xor_b32_e32 v2, v2, v1
	v_sub_u32_e32 v1, v2, v1
.LBB143_123:
	s_mov_b64 s[0:1], 0
.LBB143_124:
	s_andn2_b64 vcc, exec, s[0:1]
	s_cbranch_vccnz .LBB143_126
; %bb.125:
	global_load_dword v1, v[4:5], off
	s_waitcnt vmcnt(0)
	v_cvt_f32_f16_e32 v1, v1
	v_cvt_i32_f32_e32 v1, v1
.LBB143_126:
	s_mov_b64 s[0:1], 0
.LBB143_127:
	s_andn2_b64 vcc, exec, s[0:1]
	s_cbranch_vccnz .LBB143_138
; %bb.128:
	s_cmp_lt_i32 s36, 6
	s_cbranch_scc1 .LBB143_131
; %bb.129:
	s_cmp_gt_i32 s36, 6
	s_cbranch_scc0 .LBB143_132
; %bb.130:
	global_load_dwordx2 v[1:2], v[4:5], off
	s_movk_i32 s0, 0xffe0
	s_waitcnt vmcnt(0)
	v_trunc_f64_e32 v[1:2], v[1:2]
	v_ldexp_f64 v[6:7], v[1:2], s0
	s_mov_b32 s0, 0
	s_mov_b32 s1, 0xc1f00000
	v_floor_f64_e32 v[6:7], v[6:7]
	v_fma_f64 v[1:2], v[6:7], s[0:1], v[1:2]
	s_mov_b64 s[0:1], 0
	v_cvt_u32_f64_e32 v1, v[1:2]
	s_branch .LBB143_133
.LBB143_131:
	s_mov_b64 s[0:1], -1
                                        ; implicit-def: $vgpr1
	s_branch .LBB143_136
.LBB143_132:
	s_mov_b64 s[0:1], -1
                                        ; implicit-def: $vgpr1
.LBB143_133:
	s_andn2_b64 vcc, exec, s[0:1]
	s_cbranch_vccnz .LBB143_135
; %bb.134:
	global_load_dword v1, v[4:5], off
	s_mov_b32 s0, 0x2f800000
	s_waitcnt vmcnt(0)
	v_trunc_f32_e32 v1, v1
	v_mul_f32_e64 v2, |v1|, s0
	v_floor_f32_e32 v2, v2
	s_mov_b32 s0, 0xcf800000
	v_fma_f32 v2, v2, s0, |v1|
	v_cvt_u32_f32_e32 v2, v2
	v_ashrrev_i32_e32 v1, 31, v1
	v_xor_b32_e32 v2, v2, v1
	v_sub_u32_e32 v1, v2, v1
.LBB143_135:
	s_mov_b64 s[0:1], 0
.LBB143_136:
	s_andn2_b64 vcc, exec, s[0:1]
	s_cbranch_vccnz .LBB143_138
; %bb.137:
	global_load_ushort v1, v[4:5], off
	s_waitcnt vmcnt(0)
	v_cvt_f32_f16_e32 v1, v1
	v_cvt_i32_f32_e32 v1, v1
.LBB143_138:
	s_cbranch_execnz .LBB143_158
.LBB143_139:
	s_cmp_lt_i32 s36, 2
	s_cbranch_scc1 .LBB143_143
; %bb.140:
	s_cmp_lt_i32 s36, 3
	s_cbranch_scc1 .LBB143_144
; %bb.141:
	s_cmp_gt_i32 s36, 3
	s_cbranch_scc0 .LBB143_145
; %bb.142:
	global_load_dwordx2 v[1:2], v[4:5], off
	s_mov_b64 s[0:1], 0
	s_branch .LBB143_146
.LBB143_143:
	s_mov_b64 s[0:1], -1
                                        ; implicit-def: $vgpr1
	s_branch .LBB143_152
.LBB143_144:
	s_mov_b64 s[0:1], -1
                                        ; implicit-def: $vgpr1
	s_branch .LBB143_149
.LBB143_145:
	s_mov_b64 s[0:1], -1
                                        ; implicit-def: $vgpr1
.LBB143_146:
	s_andn2_b64 vcc, exec, s[0:1]
	s_cbranch_vccnz .LBB143_148
; %bb.147:
	global_load_dword v1, v[4:5], off
.LBB143_148:
	s_mov_b64 s[0:1], 0
.LBB143_149:
	s_andn2_b64 vcc, exec, s[0:1]
	s_cbranch_vccnz .LBB143_151
; %bb.150:
	global_load_ushort v1, v[4:5], off
.LBB143_151:
	s_mov_b64 s[0:1], 0
.LBB143_152:
	s_andn2_b64 vcc, exec, s[0:1]
	s_cbranch_vccnz .LBB143_158
; %bb.153:
	s_cmp_gt_i32 s36, 0
	s_cbranch_scc0 .LBB143_155
; %bb.154:
	global_load_ubyte v1, v[4:5], off
	s_mov_b64 s[0:1], 0
	s_branch .LBB143_156
.LBB143_155:
	s_mov_b64 s[0:1], -1
                                        ; implicit-def: $vgpr1
.LBB143_156:
	s_andn2_b64 vcc, exec, s[0:1]
	s_cbranch_vccnz .LBB143_158
; %bb.157:
	global_load_ubyte v1, v[4:5], off
.LBB143_158:
	s_branch .LBB143_22
.LBB143_159:
	s_mov_b64 s[0:1], 0
	s_mov_b64 s[38:39], 0
	s_branch .LBB143_384
.LBB143_160:
	s_mov_b64 s[38:39], -1
.LBB143_161:
	s_mov_b64 s[0:1], 0
                                        ; implicit-def: $vgpr4
.LBB143_162:
	s_and_b64 vcc, exec, s[36:37]
	s_cbranch_vccz .LBB143_278
; %bb.163:
	s_cmp_eq_u32 s45, 44
	s_cbranch_scc0 .LBB143_277
; %bb.164:
	global_load_ubyte v4, v[2:3], off
	s_mov_b32 s0, 0x2f800000
	s_mov_b32 s1, 0xcf800000
	s_mov_b64 s[38:39], 0
	s_waitcnt vmcnt(0)
	v_lshlrev_b32_e32 v5, 23, v4
	v_trunc_f32_e32 v5, v5
	v_mul_f32_e64 v6, |v5|, s0
	v_floor_f32_e32 v6, v6
	v_fma_f32 v6, v6, s1, |v5|
	v_cvt_u32_f32_e32 v6, v6
	v_ashrrev_i32_e32 v5, 31, v5
	v_cmp_ne_u32_e32 vcc, 0, v4
	s_mov_b64 s[0:1], -1
	v_xor_b32_e32 v6, v6, v5
	v_sub_u32_e32 v5, v6, v5
	v_cndmask_b32_e32 v4, 0, v5, vcc
	s_branch .LBB143_278
.LBB143_165:
	s_mov_b64 s[44:45], -1
	s_mov_b64 s[0:1], 0
	s_mov_b64 s[36:37], 0
.LBB143_166:
	s_and_b64 vcc, exec, s[44:45]
	s_cbranch_vccz .LBB143_171
; %bb.167:
	s_cmp_eq_u32 s51, 44
	s_mov_b64 s[0:1], -1
	s_cbranch_scc0 .LBB143_171
; %bb.168:
	v_cvt_f32_ubyte0_e32 v4, v2
	v_lshrrev_b32_e32 v3, 23, v4
	s_movk_i32 s0, 0xff
	v_cmp_ne_u32_e32 vcc, s0, v3
	v_mov_b32_e32 v5, 0xff
	s_and_saveexec_b64 s[36:37], vcc
; %bb.169:
	s_mov_b32 s0, 0x3fffff
	v_and_b32_e32 v5, 0x400000, v4
	v_and_or_b32 v4, v4, s0, v3
	v_cmp_ne_u32_e32 vcc, 0, v5
	v_cmp_ne_u32_e64 s[0:1], 0, v4
	s_and_b64 s[0:1], vcc, s[0:1]
	v_cndmask_b32_e64 v4, 0, 1, s[0:1]
	v_add_u32_e32 v5, v3, v4
; %bb.170:
	s_or_b64 exec, exec, s[36:37]
	s_mov_b64 s[36:37], -1
	s_mov_b64 s[0:1], 0
	global_store_byte v[0:1], v5, off
.LBB143_171:
	s_mov_b64 s[44:45], 0
.LBB143_172:
	s_and_b64 vcc, exec, s[44:45]
	s_cbranch_vccz .LBB143_175
; %bb.173:
	s_cmp_eq_u32 s51, 29
	s_mov_b64 s[0:1], -1
	s_cbranch_scc0 .LBB143_175
; %bb.174:
	s_mov_b32 s0, 0
	v_and_b32_e32 v3, 0xffff, v2
	v_mov_b32_e32 v4, s0
	global_store_dwordx2 v[0:1], v[3:4], off
	s_mov_b64 s[36:37], -1
	s_mov_b64 s[0:1], 0
.LBB143_175:
	s_mov_b64 s[44:45], 0
.LBB143_176:
	s_and_b64 vcc, exec, s[44:45]
	s_cbranch_vccz .LBB143_192
; %bb.177:
	s_cmp_lt_i32 s51, 27
	s_mov_b64 s[36:37], -1
	s_cbranch_scc1 .LBB143_183
; %bb.178:
	s_cmp_gt_i32 s51, 27
	s_cbranch_scc0 .LBB143_180
; %bb.179:
	v_and_b32_e32 v3, 0xffff, v2
	s_mov_b64 s[36:37], 0
	global_store_dword v[0:1], v3, off
.LBB143_180:
	s_andn2_b64 vcc, exec, s[36:37]
	s_cbranch_vccnz .LBB143_182
; %bb.181:
	global_store_short v[0:1], v2, off
.LBB143_182:
	s_mov_b64 s[36:37], 0
.LBB143_183:
	s_andn2_b64 vcc, exec, s[36:37]
	s_cbranch_vccnz .LBB143_191
; %bb.184:
	v_cvt_f32_ubyte0_e32 v4, v2
	s_mov_b32 s36, 0x43800000
	v_cmp_gt_u32_e32 vcc, s36, v4
	v_mov_b32_e32 v5, 0x80
	s_and_saveexec_b64 s[36:37], vcc
	s_cbranch_execz .LBB143_190
; %bb.185:
	s_mov_b32 s44, 0x3bffffff
	v_cmp_lt_u32_e32 vcc, s44, v4
	s_mov_b64 s[44:45], 0
                                        ; implicit-def: $vgpr3
	s_and_saveexec_b64 s[48:49], vcc
	s_xor_b64 s[48:49], exec, s[48:49]
	s_cbranch_execz .LBB143_426
; %bb.186:
	v_bfe_u32 v3, v4, 20, 1
	s_mov_b32 s52, 0x487ffff
	v_add3_u32 v3, v4, v3, s52
	s_mov_b64 s[44:45], exec
	v_lshrrev_b32_e32 v3, 20, v3
                                        ; implicit-def: $vgpr4
	s_andn2_saveexec_b64 s[48:49], s[48:49]
	s_cbranch_execnz .LBB143_427
.LBB143_187:
	s_or_b64 exec, exec, s[48:49]
	v_mov_b32_e32 v5, 0
	s_and_saveexec_b64 s[48:49], s[44:45]
.LBB143_188:
	v_mov_b32_e32 v5, v3
.LBB143_189:
	s_or_b64 exec, exec, s[48:49]
.LBB143_190:
	s_or_b64 exec, exec, s[36:37]
	global_store_byte v[0:1], v5, off
.LBB143_191:
	s_mov_b64 s[36:37], -1
.LBB143_192:
	s_mov_b64 s[44:45], 0
.LBB143_193:
	s_and_b64 vcc, exec, s[44:45]
	s_cbranch_vccz .LBB143_234
; %bb.194:
	s_cmp_gt_i32 s51, 22
	s_mov_b64 s[44:45], -1
	s_cbranch_scc0 .LBB143_226
; %bb.195:
	s_cmp_lt_i32 s51, 24
	s_mov_b64 s[36:37], -1
	s_cbranch_scc1 .LBB143_215
; %bb.196:
	s_cmp_gt_i32 s51, 24
	s_cbranch_scc0 .LBB143_204
; %bb.197:
	v_cvt_f32_ubyte0_e32 v4, v2
	s_mov_b32 s36, 0x47800000
	v_cmp_gt_u32_e32 vcc, s36, v4
	v_mov_b32_e32 v5, 0x80
	s_and_saveexec_b64 s[36:37], vcc
	s_cbranch_execz .LBB143_203
; %bb.198:
	s_mov_b32 s44, 0x37ffffff
	v_cmp_lt_u32_e32 vcc, s44, v4
	s_mov_b64 s[44:45], 0
                                        ; implicit-def: $vgpr3
	s_and_saveexec_b64 s[48:49], vcc
	s_xor_b64 s[48:49], exec, s[48:49]
	s_cbranch_execz .LBB143_541
; %bb.199:
	v_bfe_u32 v3, v4, 21, 1
	s_mov_b32 s52, 0x88fffff
	v_add3_u32 v3, v4, v3, s52
	s_mov_b64 s[44:45], exec
	v_lshrrev_b32_e32 v3, 21, v3
                                        ; implicit-def: $vgpr4
	s_andn2_saveexec_b64 s[48:49], s[48:49]
	s_cbranch_execnz .LBB143_542
.LBB143_200:
	s_or_b64 exec, exec, s[48:49]
	v_mov_b32_e32 v5, 0
	s_and_saveexec_b64 s[48:49], s[44:45]
.LBB143_201:
	v_mov_b32_e32 v5, v3
.LBB143_202:
	s_or_b64 exec, exec, s[48:49]
.LBB143_203:
	s_or_b64 exec, exec, s[36:37]
	s_mov_b64 s[36:37], 0
	global_store_byte v[0:1], v5, off
.LBB143_204:
	s_and_b64 vcc, exec, s[36:37]
	s_cbranch_vccz .LBB143_214
; %bb.205:
	v_cvt_f32_ubyte0_e32 v3, v2
	s_mov_b32 s36, 0x43f00000
	v_cmp_gt_u32_e32 vcc, s36, v3
                                        ; implicit-def: $vgpr4
	s_and_saveexec_b64 s[36:37], vcc
	s_xor_b64 s[36:37], exec, s[36:37]
	s_cbranch_execz .LBB143_211
; %bb.206:
	s_mov_b32 s44, 0x3c7fffff
	v_cmp_lt_u32_e32 vcc, s44, v3
                                        ; implicit-def: $vgpr4
	s_and_saveexec_b64 s[44:45], vcc
	s_xor_b64 s[44:45], exec, s[44:45]
; %bb.207:
	v_bfe_u32 v4, v3, 20, 1
	s_mov_b32 s48, 0x407ffff
	v_add3_u32 v3, v3, v4, s48
	v_lshrrev_b32_e32 v4, 20, v3
	v_and_b32_e32 v3, 0xff00000, v3
	s_mov_b32 s48, 0x7f00000
	v_mov_b32_e32 v5, 0x7e
	v_cmp_ne_u32_e32 vcc, s48, v3
	v_cndmask_b32_e32 v4, v5, v4, vcc
                                        ; implicit-def: $vgpr3
; %bb.208:
	s_andn2_saveexec_b64 s[44:45], s[44:45]
; %bb.209:
	v_add_f32_e32 v4, 0x46800000, v3
; %bb.210:
	s_or_b64 exec, exec, s[44:45]
                                        ; implicit-def: $vgpr3
.LBB143_211:
	s_andn2_saveexec_b64 s[36:37], s[36:37]
; %bb.212:
	s_mov_b32 s44, 0x7f800000
	v_mov_b32_e32 v4, 0x7e
	v_mov_b32_e32 v5, 0x7f
	v_cmp_lt_u32_e32 vcc, s44, v3
	v_cndmask_b32_e32 v4, v4, v5, vcc
; %bb.213:
	s_or_b64 exec, exec, s[36:37]
	global_store_byte v[0:1], v4, off
.LBB143_214:
	s_mov_b64 s[36:37], 0
.LBB143_215:
	s_andn2_b64 vcc, exec, s[36:37]
	s_cbranch_vccnz .LBB143_225
; %bb.216:
	v_cvt_f32_ubyte0_e32 v3, v2
	s_mov_b32 s36, 0x47800000
	v_cmp_gt_u32_e32 vcc, s36, v3
                                        ; implicit-def: $vgpr4
	s_and_saveexec_b64 s[36:37], vcc
	s_xor_b64 s[36:37], exec, s[36:37]
	s_cbranch_execz .LBB143_222
; %bb.217:
	s_mov_b32 s44, 0x387fffff
	v_cmp_lt_u32_e32 vcc, s44, v3
                                        ; implicit-def: $vgpr4
	s_and_saveexec_b64 s[44:45], vcc
	s_xor_b64 s[44:45], exec, s[44:45]
; %bb.218:
	v_bfe_u32 v4, v3, 21, 1
	s_mov_b32 s48, 0x80fffff
	v_add3_u32 v3, v3, v4, s48
	v_lshrrev_b32_e32 v4, 21, v3
                                        ; implicit-def: $vgpr3
; %bb.219:
	s_andn2_saveexec_b64 s[44:45], s[44:45]
; %bb.220:
	v_add_f32_e32 v4, 0x43000000, v3
; %bb.221:
	s_or_b64 exec, exec, s[44:45]
                                        ; implicit-def: $vgpr3
.LBB143_222:
	s_andn2_saveexec_b64 s[36:37], s[36:37]
; %bb.223:
	s_mov_b32 s44, 0x7f800000
	v_mov_b32_e32 v4, 0x7c
	v_mov_b32_e32 v5, 0x7f
	v_cmp_lt_u32_e32 vcc, s44, v3
	v_cndmask_b32_e32 v4, v4, v5, vcc
; %bb.224:
	s_or_b64 exec, exec, s[36:37]
	global_store_byte v[0:1], v4, off
.LBB143_225:
	s_mov_b64 s[44:45], 0
	s_mov_b64 s[36:37], -1
.LBB143_226:
	s_andn2_b64 vcc, exec, s[44:45]
	s_cbranch_vccnz .LBB143_234
; %bb.227:
	s_cmp_gt_i32 s51, 14
	s_mov_b64 s[44:45], -1
	s_cbranch_scc0 .LBB143_231
; %bb.228:
	s_cmp_eq_u32 s51, 15
	s_mov_b64 s[0:1], -1
	s_cbranch_scc0 .LBB143_230
; %bb.229:
	v_cvt_f32_ubyte0_e32 v3, v2
	v_bfe_u32 v4, v3, 16, 1
	s_movk_i32 s0, 0x7fff
	v_add3_u32 v3, v3, v4, s0
	global_store_short_d16_hi v[0:1], v3, off
	s_mov_b64 s[36:37], -1
	s_mov_b64 s[0:1], 0
.LBB143_230:
	s_mov_b64 s[44:45], 0
.LBB143_231:
	s_and_b64 vcc, exec, s[44:45]
	s_cbranch_vccz .LBB143_234
; %bb.232:
	s_cmp_eq_u32 s51, 11
	s_mov_b64 s[0:1], -1
	s_cbranch_scc0 .LBB143_234
; %bb.233:
	v_cmp_ne_u16_e32 vcc, 0, v2
	v_cndmask_b32_e64 v3, 0, 1, vcc
	s_mov_b64 s[36:37], -1
	s_mov_b64 s[0:1], 0
	global_store_byte v[0:1], v3, off
.LBB143_234:
	s_mov_b64 s[44:45], 0
.LBB143_235:
	s_and_b64 vcc, exec, s[44:45]
	s_cbranch_vccz .LBB143_274
; %bb.236:
	s_and_b32 s44, 0xffff, s50
	s_cmp_lt_i32 s44, 5
	s_mov_b64 s[36:37], -1
	s_cbranch_scc1 .LBB143_257
; %bb.237:
	s_cmp_lt_i32 s44, 8
	s_cbranch_scc1 .LBB143_247
; %bb.238:
	s_cmp_lt_i32 s44, 9
	s_cbranch_scc1 .LBB143_244
; %bb.239:
	s_cmp_gt_i32 s44, 9
	s_cbranch_scc0 .LBB143_241
; %bb.240:
	v_and_b32_e32 v3, 0xffff, v2
	v_cvt_f64_u32_e32 v[3:4], v3
	v_mov_b32_e32 v5, 0
	v_mov_b32_e32 v6, v5
	s_mov_b64 s[36:37], 0
	global_store_dwordx4 v[0:1], v[3:6], off
.LBB143_241:
	s_andn2_b64 vcc, exec, s[36:37]
	s_cbranch_vccnz .LBB143_243
; %bb.242:
	v_cvt_f32_ubyte0_e32 v3, v2
	v_mov_b32_e32 v4, 0
	global_store_dwordx2 v[0:1], v[3:4], off
.LBB143_243:
	s_mov_b64 s[36:37], 0
.LBB143_244:
	s_andn2_b64 vcc, exec, s[36:37]
	s_cbranch_vccnz .LBB143_246
; %bb.245:
	v_cvt_f16_u16_e32 v3, v2
	global_store_dword v[0:1], v3, off
.LBB143_246:
	s_mov_b64 s[36:37], 0
.LBB143_247:
	s_andn2_b64 vcc, exec, s[36:37]
	s_cbranch_vccnz .LBB143_256
; %bb.248:
	s_cmp_lt_i32 s44, 6
	s_mov_b64 s[36:37], -1
	s_cbranch_scc1 .LBB143_254
; %bb.249:
	s_cmp_gt_i32 s44, 6
	s_cbranch_scc0 .LBB143_251
; %bb.250:
	v_and_b32_e32 v3, 0xffff, v2
	v_cvt_f64_u32_e32 v[3:4], v3
	s_mov_b64 s[36:37], 0
	global_store_dwordx2 v[0:1], v[3:4], off
.LBB143_251:
	s_andn2_b64 vcc, exec, s[36:37]
	s_cbranch_vccnz .LBB143_253
; %bb.252:
	v_cvt_f32_ubyte0_e32 v3, v2
	global_store_dword v[0:1], v3, off
.LBB143_253:
	s_mov_b64 s[36:37], 0
.LBB143_254:
	s_andn2_b64 vcc, exec, s[36:37]
	s_cbranch_vccnz .LBB143_256
; %bb.255:
	v_cvt_f16_u16_e32 v3, v2
	global_store_short v[0:1], v3, off
.LBB143_256:
	s_mov_b64 s[36:37], 0
.LBB143_257:
	s_andn2_b64 vcc, exec, s[36:37]
	s_cbranch_vccnz .LBB143_273
; %bb.258:
	s_cmp_lt_i32 s44, 2
	s_mov_b64 s[36:37], -1
	s_cbranch_scc1 .LBB143_268
; %bb.259:
	s_cmp_lt_i32 s44, 3
	s_cbranch_scc1 .LBB143_265
; %bb.260:
	s_cmp_gt_i32 s44, 3
	s_cbranch_scc0 .LBB143_262
; %bb.261:
	s_mov_b32 s36, 0
	v_and_b32_e32 v3, 0xffff, v2
	v_mov_b32_e32 v4, s36
	global_store_dwordx2 v[0:1], v[3:4], off
	s_mov_b64 s[36:37], 0
.LBB143_262:
	s_andn2_b64 vcc, exec, s[36:37]
	s_cbranch_vccnz .LBB143_264
; %bb.263:
	v_and_b32_e32 v3, 0xffff, v2
	global_store_dword v[0:1], v3, off
.LBB143_264:
	s_mov_b64 s[36:37], 0
.LBB143_265:
	s_andn2_b64 vcc, exec, s[36:37]
	s_cbranch_vccnz .LBB143_267
; %bb.266:
	global_store_short v[0:1], v2, off
.LBB143_267:
	s_mov_b64 s[36:37], 0
.LBB143_268:
	s_andn2_b64 vcc, exec, s[36:37]
	s_cbranch_vccnz .LBB143_273
; %bb.269:
	s_cmp_gt_i32 s44, 0
	s_mov_b64 s[36:37], -1
	s_cbranch_scc0 .LBB143_271
; %bb.270:
	global_store_byte v[0:1], v2, off
	s_mov_b64 s[36:37], 0
.LBB143_271:
	s_andn2_b64 vcc, exec, s[36:37]
	s_cbranch_vccnz .LBB143_273
; %bb.272:
	global_store_byte v[0:1], v2, off
.LBB143_273:
	s_mov_b64 s[36:37], -1
.LBB143_274:
	s_andn2_b64 vcc, exec, s[36:37]
	s_cbranch_vccnz .LBB143_276
; %bb.275:
	v_add_u32_e32 v10, 0x80, v10
	s_mov_b64 s[44:45], -1
	s_branch .LBB143_385
.LBB143_276:
	s_mov_b64 s[44:45], 0
                                        ; implicit-def: $vgpr10
	s_branch .LBB143_385
.LBB143_277:
	s_mov_b64 s[38:39], -1
                                        ; implicit-def: $vgpr4
.LBB143_278:
	s_mov_b64 s[36:37], 0
.LBB143_279:
	s_and_b64 vcc, exec, s[36:37]
	s_cbranch_vccz .LBB143_283
; %bb.280:
	s_cmp_eq_u32 s45, 29
	s_cbranch_scc0 .LBB143_282
; %bb.281:
	global_load_dwordx2 v[4:5], v[2:3], off
	s_mov_b64 s[0:1], -1
	s_mov_b64 s[38:39], 0
	s_branch .LBB143_283
.LBB143_282:
	s_mov_b64 s[38:39], -1
                                        ; implicit-def: $vgpr4
.LBB143_283:
	s_mov_b64 s[36:37], 0
.LBB143_284:
	s_and_b64 vcc, exec, s[36:37]
	s_cbranch_vccz .LBB143_300
; %bb.285:
	s_cmp_lt_i32 s45, 27
	s_cbranch_scc1 .LBB143_288
; %bb.286:
	s_cmp_gt_i32 s45, 27
	s_cbranch_scc0 .LBB143_289
; %bb.287:
	global_load_dword v4, v[2:3], off
	s_mov_b64 s[0:1], 0
	s_branch .LBB143_290
.LBB143_288:
	s_mov_b64 s[0:1], -1
                                        ; implicit-def: $vgpr4
	s_branch .LBB143_293
.LBB143_289:
	s_mov_b64 s[0:1], -1
                                        ; implicit-def: $vgpr4
.LBB143_290:
	s_andn2_b64 vcc, exec, s[0:1]
	s_cbranch_vccnz .LBB143_292
; %bb.291:
	global_load_ushort v4, v[2:3], off
.LBB143_292:
	s_mov_b64 s[0:1], 0
.LBB143_293:
	s_andn2_b64 vcc, exec, s[0:1]
	s_cbranch_vccnz .LBB143_299
; %bb.294:
	global_load_ubyte v5, v[2:3], off
	s_movk_i32 s0, 0x7f
	s_mov_b64 s[36:37], 0
	s_waitcnt vmcnt(0)
	v_cmp_lt_i16_e32 vcc, s0, v5
	s_and_saveexec_b64 s[0:1], vcc
	s_xor_b64 s[0:1], exec, s[0:1]
	s_cbranch_execz .LBB143_311
; %bb.295:
	s_movk_i32 s36, 0x80
	v_cmp_ne_u16_e32 vcc, s36, v5
	s_and_b64 s[36:37], vcc, exec
	s_andn2_saveexec_b64 s[0:1], s[0:1]
	s_cbranch_execnz .LBB143_312
.LBB143_296:
	s_or_b64 exec, exec, s[0:1]
	v_mov_b32_e32 v4, 0
	s_and_saveexec_b64 s[0:1], s[36:37]
	s_cbranch_execz .LBB143_298
.LBB143_297:
	v_lshlrev_b32_e32 v4, 24, v5
	v_and_b32_e32 v5, 0xffff, v5
	v_and_b32_e32 v6, 7, v5
	v_ffbh_u32_e32 v8, v6
	v_min_u32_e32 v8, 32, v8
	v_subrev_u32_e32 v9, 28, v8
	v_bfe_u32 v7, v5, 3, 4
	v_lshlrev_b32_e32 v5, v9, v5
	v_sub_u32_e32 v8, 29, v8
	v_and_b32_e32 v5, 7, v5
	v_cmp_eq_u32_e32 vcc, 0, v7
	v_cndmask_b32_e32 v7, v7, v8, vcc
	v_cndmask_b32_e32 v5, v6, v5, vcc
	v_mov_b32_e32 v6, 0x3b800000
	v_lshlrev_b32_e32 v5, 20, v5
	v_and_b32_e32 v4, 0x80000000, v4
	v_lshl_add_u32 v6, v7, 23, v6
	v_or3_b32 v4, v4, v6, v5
	v_trunc_f32_e32 v4, v4
	s_mov_b32 s36, 0x2f800000
	v_mul_f32_e64 v5, |v4|, s36
	v_floor_f32_e32 v5, v5
	s_mov_b32 s36, 0xcf800000
	v_fma_f32 v5, v5, s36, |v4|
	v_cvt_u32_f32_e32 v5, v5
	v_ashrrev_i32_e32 v4, 31, v4
	v_xor_b32_e32 v5, v5, v4
	v_sub_u32_e32 v4, v5, v4
.LBB143_298:
	s_or_b64 exec, exec, s[0:1]
.LBB143_299:
	s_mov_b64 s[0:1], -1
.LBB143_300:
	s_mov_b64 s[36:37], 0
.LBB143_301:
	s_and_b64 vcc, exec, s[36:37]
	s_cbranch_vccz .LBB143_334
; %bb.302:
	s_cmp_gt_i32 s45, 22
	s_cbranch_scc0 .LBB143_310
; %bb.303:
	s_cmp_lt_i32 s45, 24
	s_cbranch_scc1 .LBB143_313
; %bb.304:
	s_cmp_gt_i32 s45, 24
	s_cbranch_scc0 .LBB143_314
; %bb.305:
	global_load_ubyte v5, v[2:3], off
	s_movk_i32 s0, 0x7f
	s_mov_b64 s[36:37], 0
	s_waitcnt vmcnt(0)
	v_cmp_lt_i16_e32 vcc, s0, v5
	s_and_saveexec_b64 s[0:1], vcc
	s_xor_b64 s[0:1], exec, s[0:1]
	s_cbranch_execz .LBB143_326
; %bb.306:
	s_movk_i32 s36, 0x80
	v_cmp_ne_u16_e32 vcc, s36, v5
	s_and_b64 s[36:37], vcc, exec
	s_andn2_saveexec_b64 s[0:1], s[0:1]
	s_cbranch_execnz .LBB143_327
.LBB143_307:
	s_or_b64 exec, exec, s[0:1]
	v_mov_b32_e32 v4, 0
	s_and_saveexec_b64 s[0:1], s[36:37]
	s_cbranch_execz .LBB143_309
.LBB143_308:
	v_lshlrev_b32_e32 v4, 24, v5
	v_and_b32_e32 v5, 0xffff, v5
	v_and_b32_e32 v6, 3, v5
	v_ffbh_u32_e32 v8, v6
	v_min_u32_e32 v8, 32, v8
	v_subrev_u32_e32 v9, 29, v8
	v_bfe_u32 v7, v5, 2, 5
	v_lshlrev_b32_e32 v5, v9, v5
	v_sub_u32_e32 v8, 30, v8
	v_and_b32_e32 v5, 3, v5
	v_cmp_eq_u32_e32 vcc, 0, v7
	v_cndmask_b32_e32 v7, v7, v8, vcc
	v_cndmask_b32_e32 v5, v6, v5, vcc
	v_mov_b32_e32 v6, 0x37800000
	v_lshlrev_b32_e32 v5, 21, v5
	v_and_b32_e32 v4, 0x80000000, v4
	v_lshl_add_u32 v6, v7, 23, v6
	v_or3_b32 v4, v4, v6, v5
	v_trunc_f32_e32 v4, v4
	s_mov_b32 s36, 0x2f800000
	v_mul_f32_e64 v5, |v4|, s36
	v_floor_f32_e32 v5, v5
	s_mov_b32 s36, 0xcf800000
	v_fma_f32 v5, v5, s36, |v4|
	v_cvt_u32_f32_e32 v5, v5
	v_ashrrev_i32_e32 v4, 31, v4
	v_xor_b32_e32 v5, v5, v4
	v_sub_u32_e32 v4, v5, v4
.LBB143_309:
	s_or_b64 exec, exec, s[0:1]
	s_mov_b64 s[0:1], 0
	s_branch .LBB143_315
.LBB143_310:
	s_mov_b64 s[36:37], -1
                                        ; implicit-def: $vgpr4
	s_branch .LBB143_321
.LBB143_311:
	s_andn2_saveexec_b64 s[0:1], s[0:1]
	s_cbranch_execz .LBB143_296
.LBB143_312:
	v_cmp_ne_u16_e32 vcc, 0, v5
	s_andn2_b64 s[36:37], s[36:37], exec
	s_and_b64 s[48:49], vcc, exec
	s_or_b64 s[36:37], s[36:37], s[48:49]
	s_or_b64 exec, exec, s[0:1]
	v_mov_b32_e32 v4, 0
	s_and_saveexec_b64 s[0:1], s[36:37]
	s_cbranch_execnz .LBB143_297
	s_branch .LBB143_298
.LBB143_313:
	s_mov_b64 s[0:1], -1
                                        ; implicit-def: $vgpr4
	s_branch .LBB143_318
.LBB143_314:
	s_mov_b64 s[0:1], -1
                                        ; implicit-def: $vgpr4
.LBB143_315:
	s_and_b64 vcc, exec, s[0:1]
	s_cbranch_vccz .LBB143_317
; %bb.316:
	global_load_ubyte v4, v[2:3], off
	s_mov_b32 s0, 0x7f800000
	s_brev_b32 s1, 1
	s_mov_b32 s36, 0x2f800000
	s_waitcnt vmcnt(0)
	v_lshlrev_b32_e32 v4, 24, v4
	v_and_b32_e32 v5, 0x7f000000, v4
	v_ffbh_u32_e32 v6, v5
	v_min_u32_e32 v6, 32, v6
	v_sub_u32_e64 v6, v6, 4 clamp
	v_lshlrev_b32_e32 v8, v6, v5
	v_lshlrev_b32_e32 v6, 23, v6
	v_lshrrev_b32_e32 v8, 4, v8
	v_add_u32_e32 v7, 0x1000000, v5
	v_sub_u32_e32 v6, v8, v6
	v_ashrrev_i32_e32 v7, 8, v7
	v_add_u32_e32 v6, 0x3c000000, v6
	v_and_or_b32 v6, v7, s0, v6
	v_cmp_ne_u32_e32 vcc, 0, v5
	v_cndmask_b32_e32 v5, 0, v6, vcc
	v_and_or_b32 v4, v4, s1, v5
	v_trunc_f32_e32 v4, v4
	v_mul_f32_e64 v5, |v4|, s36
	v_floor_f32_e32 v5, v5
	s_mov_b32 s0, 0xcf800000
	v_fma_f32 v5, v5, s0, |v4|
	v_cvt_u32_f32_e32 v5, v5
	v_ashrrev_i32_e32 v4, 31, v4
	v_xor_b32_e32 v5, v5, v4
	v_sub_u32_e32 v4, v5, v4
.LBB143_317:
	s_mov_b64 s[0:1], 0
.LBB143_318:
	s_andn2_b64 vcc, exec, s[0:1]
	s_cbranch_vccnz .LBB143_320
; %bb.319:
	global_load_ubyte v4, v[2:3], off
	s_movk_i32 s0, 0x7f00
	s_brev_b32 s1, 16
	s_brev_b32 s36, 1
	s_mov_b32 s37, 0x2f800000
	s_waitcnt vmcnt(0)
	v_lshlrev_b16_e32 v5, 8, v4
	v_lshlrev_b32_e32 v4, 25, v4
	v_lshrrev_b32_e32 v6, 4, v4
	v_and_or_b32 v7, v5, s0, 0.5
	v_or_b32_e32 v6, 0x70000000, v6
	v_add_f32_e32 v7, -0.5, v7
	v_mul_f32_e32 v6, 0x7800000, v6
	v_cmp_gt_u32_e32 vcc, s1, v4
	v_bfe_i32 v5, v5, 0, 16
	v_cndmask_b32_e32 v4, v6, v7, vcc
	v_and_or_b32 v4, v5, s36, v4
	v_trunc_f32_e32 v4, v4
	v_mul_f32_e64 v5, |v4|, s37
	v_floor_f32_e32 v5, v5
	s_mov_b32 s0, 0xcf800000
	v_fma_f32 v5, v5, s0, |v4|
	v_cvt_u32_f32_e32 v5, v5
	v_ashrrev_i32_e32 v4, 31, v4
	v_xor_b32_e32 v5, v5, v4
	v_sub_u32_e32 v4, v5, v4
.LBB143_320:
	s_mov_b64 s[36:37], 0
	s_mov_b64 s[0:1], -1
.LBB143_321:
	s_andn2_b64 vcc, exec, s[36:37]
	s_cbranch_vccnz .LBB143_334
; %bb.322:
	s_cmp_gt_i32 s45, 14
	s_cbranch_scc0 .LBB143_325
; %bb.323:
	s_cmp_eq_u32 s45, 15
	s_cbranch_scc0 .LBB143_328
; %bb.324:
	global_load_ushort v4, v[2:3], off
	s_mov_b32 s0, 0x2f800000
	s_mov_b32 s1, 0xcf800000
	s_mov_b64 s[38:39], 0
	s_waitcnt vmcnt(0)
	v_lshlrev_b32_e32 v4, 16, v4
	v_trunc_f32_e32 v4, v4
	v_mul_f32_e64 v5, |v4|, s0
	v_floor_f32_e32 v5, v5
	v_fma_f32 v5, v5, s1, |v4|
	v_cvt_u32_f32_e32 v5, v5
	v_ashrrev_i32_e32 v4, 31, v4
	s_mov_b64 s[0:1], -1
	v_xor_b32_e32 v5, v5, v4
	v_sub_u32_e32 v4, v5, v4
	s_branch .LBB143_329
.LBB143_325:
	s_mov_b64 s[36:37], -1
                                        ; implicit-def: $vgpr4
	s_branch .LBB143_330
.LBB143_326:
	s_andn2_saveexec_b64 s[0:1], s[0:1]
	s_cbranch_execz .LBB143_307
.LBB143_327:
	v_cmp_ne_u16_e32 vcc, 0, v5
	s_andn2_b64 s[36:37], s[36:37], exec
	s_and_b64 s[48:49], vcc, exec
	s_or_b64 s[36:37], s[36:37], s[48:49]
	s_or_b64 exec, exec, s[0:1]
	v_mov_b32_e32 v4, 0
	s_and_saveexec_b64 s[0:1], s[36:37]
	s_cbranch_execnz .LBB143_308
	s_branch .LBB143_309
.LBB143_328:
	s_mov_b64 s[38:39], -1
                                        ; implicit-def: $vgpr4
.LBB143_329:
	s_mov_b64 s[36:37], 0
.LBB143_330:
	s_and_b64 vcc, exec, s[36:37]
	s_cbranch_vccz .LBB143_334
; %bb.331:
	s_cmp_eq_u32 s45, 11
	s_cbranch_scc0 .LBB143_333
; %bb.332:
	global_load_ubyte v4, v[2:3], off
	s_mov_b64 s[0:1], -1
	s_mov_b64 s[38:39], 0
	s_waitcnt vmcnt(0)
	v_cmp_ne_u16_e32 vcc, 0, v4
	v_cndmask_b32_e64 v4, 0, 1, vcc
	s_branch .LBB143_334
.LBB143_333:
	s_mov_b64 s[38:39], -1
                                        ; implicit-def: $vgpr4
.LBB143_334:
	s_branch .LBB143_31
.LBB143_335:
	s_and_b32 s36, 0xffff, s44
	s_cmp_lt_i32 s36, 5
	s_cbranch_scc1 .LBB143_340
; %bb.336:
	s_cmp_lt_i32 s36, 8
	s_cbranch_scc1 .LBB143_341
; %bb.337:
	;; [unrolled: 3-line block ×3, first 2 shown]
	s_cmp_gt_i32 s36, 9
	s_cbranch_scc0 .LBB143_343
; %bb.339:
	global_load_dwordx2 v[4:5], v[2:3], off
	s_movk_i32 s0, 0xffe0
	s_waitcnt vmcnt(0)
	v_trunc_f64_e32 v[4:5], v[4:5]
	v_ldexp_f64 v[6:7], v[4:5], s0
	s_mov_b32 s0, 0
	s_mov_b32 s1, 0xc1f00000
	v_floor_f64_e32 v[6:7], v[6:7]
	v_fma_f64 v[4:5], v[6:7], s[0:1], v[4:5]
	s_mov_b64 s[0:1], 0
	v_cvt_u32_f64_e32 v4, v[4:5]
	s_branch .LBB143_344
.LBB143_340:
	s_mov_b64 s[0:1], -1
                                        ; implicit-def: $vgpr4
	s_branch .LBB143_362
.LBB143_341:
	s_mov_b64 s[0:1], -1
                                        ; implicit-def: $vgpr4
	s_branch .LBB143_350
.LBB143_342:
	s_mov_b64 s[0:1], -1
                                        ; implicit-def: $vgpr4
	s_branch .LBB143_347
.LBB143_343:
	s_mov_b64 s[0:1], -1
                                        ; implicit-def: $vgpr4
.LBB143_344:
	s_andn2_b64 vcc, exec, s[0:1]
	s_cbranch_vccnz .LBB143_346
; %bb.345:
	global_load_dword v4, v[2:3], off
	s_mov_b32 s0, 0x2f800000
	s_waitcnt vmcnt(0)
	v_trunc_f32_e32 v4, v4
	v_mul_f32_e64 v5, |v4|, s0
	v_floor_f32_e32 v5, v5
	s_mov_b32 s0, 0xcf800000
	v_fma_f32 v5, v5, s0, |v4|
	v_cvt_u32_f32_e32 v5, v5
	v_ashrrev_i32_e32 v4, 31, v4
	v_xor_b32_e32 v5, v5, v4
	v_sub_u32_e32 v4, v5, v4
.LBB143_346:
	s_mov_b64 s[0:1], 0
.LBB143_347:
	s_andn2_b64 vcc, exec, s[0:1]
	s_cbranch_vccnz .LBB143_349
; %bb.348:
	global_load_dword v4, v[2:3], off
	s_waitcnt vmcnt(0)
	v_cvt_f32_f16_e32 v4, v4
	v_cvt_i32_f32_e32 v4, v4
.LBB143_349:
	s_mov_b64 s[0:1], 0
.LBB143_350:
	s_andn2_b64 vcc, exec, s[0:1]
	s_cbranch_vccnz .LBB143_361
; %bb.351:
	s_cmp_lt_i32 s36, 6
	s_cbranch_scc1 .LBB143_354
; %bb.352:
	s_cmp_gt_i32 s36, 6
	s_cbranch_scc0 .LBB143_355
; %bb.353:
	global_load_dwordx2 v[4:5], v[2:3], off
	s_movk_i32 s0, 0xffe0
	s_waitcnt vmcnt(0)
	v_trunc_f64_e32 v[4:5], v[4:5]
	v_ldexp_f64 v[6:7], v[4:5], s0
	s_mov_b32 s0, 0
	s_mov_b32 s1, 0xc1f00000
	v_floor_f64_e32 v[6:7], v[6:7]
	v_fma_f64 v[4:5], v[6:7], s[0:1], v[4:5]
	s_mov_b64 s[0:1], 0
	v_cvt_u32_f64_e32 v4, v[4:5]
	s_branch .LBB143_356
.LBB143_354:
	s_mov_b64 s[0:1], -1
                                        ; implicit-def: $vgpr4
	s_branch .LBB143_359
.LBB143_355:
	s_mov_b64 s[0:1], -1
                                        ; implicit-def: $vgpr4
.LBB143_356:
	s_andn2_b64 vcc, exec, s[0:1]
	s_cbranch_vccnz .LBB143_358
; %bb.357:
	global_load_dword v4, v[2:3], off
	s_mov_b32 s0, 0x2f800000
	s_waitcnt vmcnt(0)
	v_trunc_f32_e32 v4, v4
	v_mul_f32_e64 v5, |v4|, s0
	v_floor_f32_e32 v5, v5
	s_mov_b32 s0, 0xcf800000
	v_fma_f32 v5, v5, s0, |v4|
	v_cvt_u32_f32_e32 v5, v5
	v_ashrrev_i32_e32 v4, 31, v4
	v_xor_b32_e32 v5, v5, v4
	v_sub_u32_e32 v4, v5, v4
.LBB143_358:
	s_mov_b64 s[0:1], 0
.LBB143_359:
	s_andn2_b64 vcc, exec, s[0:1]
	s_cbranch_vccnz .LBB143_361
; %bb.360:
	global_load_ushort v4, v[2:3], off
	s_waitcnt vmcnt(0)
	v_cvt_f32_f16_e32 v4, v4
	v_cvt_i32_f32_e32 v4, v4
.LBB143_361:
	s_mov_b64 s[0:1], 0
.LBB143_362:
	s_andn2_b64 vcc, exec, s[0:1]
	s_cbranch_vccnz .LBB143_382
; %bb.363:
	s_cmp_lt_i32 s36, 2
	s_cbranch_scc1 .LBB143_367
; %bb.364:
	s_cmp_lt_i32 s36, 3
	s_cbranch_scc1 .LBB143_368
; %bb.365:
	s_cmp_gt_i32 s36, 3
	s_cbranch_scc0 .LBB143_369
; %bb.366:
	global_load_dwordx2 v[4:5], v[2:3], off
	s_mov_b64 s[0:1], 0
	s_branch .LBB143_370
.LBB143_367:
	s_mov_b64 s[0:1], -1
                                        ; implicit-def: $vgpr4
	s_branch .LBB143_376
.LBB143_368:
	s_mov_b64 s[0:1], -1
                                        ; implicit-def: $vgpr4
	s_branch .LBB143_373
.LBB143_369:
	s_mov_b64 s[0:1], -1
                                        ; implicit-def: $vgpr4
.LBB143_370:
	s_andn2_b64 vcc, exec, s[0:1]
	s_cbranch_vccnz .LBB143_372
; %bb.371:
	global_load_dword v4, v[2:3], off
.LBB143_372:
	s_mov_b64 s[0:1], 0
.LBB143_373:
	s_andn2_b64 vcc, exec, s[0:1]
	s_cbranch_vccnz .LBB143_375
; %bb.374:
	global_load_ushort v4, v[2:3], off
.LBB143_375:
	s_mov_b64 s[0:1], 0
.LBB143_376:
	s_andn2_b64 vcc, exec, s[0:1]
	s_cbranch_vccnz .LBB143_382
; %bb.377:
	s_cmp_gt_i32 s36, 0
	s_cbranch_scc0 .LBB143_379
; %bb.378:
	global_load_ubyte v4, v[2:3], off
	s_mov_b64 s[0:1], 0
	s_branch .LBB143_380
.LBB143_379:
	s_mov_b64 s[0:1], -1
                                        ; implicit-def: $vgpr4
.LBB143_380:
	s_andn2_b64 vcc, exec, s[0:1]
	s_cbranch_vccnz .LBB143_382
; %bb.381:
	global_load_ubyte v4, v[2:3], off
.LBB143_382:
	s_branch .LBB143_32
.LBB143_383:
	s_mov_b64 s[0:1], 0
.LBB143_384:
                                        ; implicit-def: $vgpr10
	s_mov_b64 s[44:45], 0
.LBB143_385:
	s_and_b64 s[36:37], s[0:1], exec
	s_and_b64 s[38:39], s[38:39], exec
	;; [unrolled: 1-line block ×3, first 2 shown]
	s_orn2_b64 s[0:1], s[44:45], exec
.LBB143_386:
	s_or_b64 exec, exec, s[42:43]
	s_mov_b64 s[50:51], 0
	s_mov_b64 s[48:49], 0
                                        ; implicit-def: $sgpr73
                                        ; implicit-def: $vgpr4_vgpr5
                                        ; implicit-def: $vgpr0
                                        ; implicit-def: $vgpr3
                                        ; implicit-def: $vgpr1
	s_and_saveexec_b64 s[42:43], s[0:1]
	s_cbranch_execz .LBB143_394
; %bb.387:
	v_cmp_gt_i32_e32 vcc, s66, v10
	s_mov_b64 s[0:1], -1
	s_mov_b64 s[44:45], s[40:41]
	s_mov_b64 s[46:47], s[38:39]
	;; [unrolled: 1-line block ×3, first 2 shown]
	s_and_saveexec_b64 s[50:51], vcc
	s_cbranch_execz .LBB143_779
; %bb.388:
	s_andn2_b64 vcc, exec, s[20:21]
	s_cbranch_vccnz .LBB143_397
; %bb.389:
	s_andn2_b64 vcc, exec, s[34:35]
	s_cbranch_vccnz .LBB143_398
; %bb.390:
	s_add_i32 s0, s72, 1
	s_and_b32 s44, s0, 30
	s_add_u32 s0, s2, 0xffffffe8
	s_addc_u32 s1, s3, -1
	v_mov_b32_e32 v3, 0
	s_waitcnt vmcnt(0)
	v_mov_b32_e32 v5, 0
	v_mov_b32_e32 v0, 0
	;; [unrolled: 1-line block ×3, first 2 shown]
.LBB143_391:                            ; =>This Inner Loop Header: Depth=1
	s_load_dwordx4 s[52:55], s[0:1], 0x1c
	s_load_dwordx2 s[46:47], s[0:1], 0x2c
	s_load_dwordx2 s[48:49], s[0:1], 0xec
	s_load_dwordx4 s[56:59], s[0:1], 0xdc
	s_add_u32 s0, s0, 24
	s_waitcnt lgkmcnt(0)
	v_mul_hi_u32 v2, s53, v1
	s_addc_u32 s1, s1, 0
	s_add_i32 s44, s44, -2
	s_cmp_eq_u32 s44, 0
	v_add_u32_e32 v2, v1, v2
	v_lshrrev_b32_e32 v2, s54, v2
	v_mul_lo_u32 v4, v2, s52
	v_mul_hi_u32 v6, s46, v2
	v_sub_u32_e32 v4, v1, v4
	v_add_u32_e32 v1, v2, v6
	v_lshrrev_b32_e32 v1, s47, v1
	v_mul_lo_u32 v8, v1, s55
	v_mul_lo_u32 v6, v4, s56
	;; [unrolled: 1-line block ×4, first 2 shown]
	v_sub_u32_e32 v2, v2, v8
	v_mul_lo_u32 v8, v2, s59
	v_mul_lo_u32 v9, v2, s48
	;; [unrolled: 1-line block ×3, first 2 shown]
	v_add3_u32 v0, v6, v0, v8
	v_add3_u32 v5, v7, v5, v9
	;; [unrolled: 1-line block ×3, first 2 shown]
	s_cbranch_scc0 .LBB143_391
; %bb.392:
	s_bitcmp1_b32 s72, 0
	s_cselect_b64 s[44:45], -1, 0
	s_and_b64 vcc, exec, s[44:45]
	s_cbranch_vccnz .LBB143_399
; %bb.393:
	s_load_dwordx2 s[44:45], s[0:1], 0x1c
	s_load_dword s48, s[0:1], 0x24
	s_load_dwordx2 s[46:47], s[0:1], 0xdc
	s_waitcnt lgkmcnt(0)
	v_mul_hi_u32 v2, s45, v1
	v_add_u32_e32 v2, v1, v2
	v_lshrrev_b32_e32 v2, s48, v2
	v_mul_lo_u32 v2, v2, s44
	s_load_dword s44, s[0:1], 0xe4
	v_sub_u32_e32 v2, v1, v2
	v_mad_u64_u32 v[0:1], s[0:1], v2, s46, v[0:1]
	v_mad_u64_u32 v[5:6], s[0:1], v2, s47, v[5:6]
	s_waitcnt lgkmcnt(0)
	v_mad_u64_u32 v[3:4], s[0:1], v2, s44, v[3:4]
	s_branch .LBB143_399
.LBB143_394:
	s_or_b64 exec, exec, s[42:43]
	s_waitcnt lgkmcnt(0)
	s_mov_b64 s[10:11], 0
	s_and_saveexec_b64 s[0:1], s[40:41]
	s_cbranch_execnz .LBB143_1265
.LBB143_395:
	s_or_b64 exec, exec, s[0:1]
	s_and_saveexec_b64 s[0:1], s[46:47]
	s_xor_b64 s[0:1], exec, s[0:1]
	s_cbranch_execz .LBB143_1266
.LBB143_396:
	s_waitcnt vmcnt(0)
	global_load_ubyte v1, v[4:5], off
	s_or_b64 s[48:49], s[48:49], exec
	s_waitcnt vmcnt(0)
	v_cmp_ne_u16_e32 vcc, 0, v1
	v_cndmask_b32_e64 v1, 0, 1, vcc
	s_or_b64 exec, exec, s[0:1]
	s_and_saveexec_b64 s[0:1], s[50:51]
	s_cbranch_execz .LBB143_1312
	s_branch .LBB143_1267
.LBB143_397:
                                        ; implicit-def: $vgpr0
                                        ; implicit-def: $vgpr5
                                        ; implicit-def: $vgpr3
	s_andn2_b64 vcc, exec, s[0:1]
	s_cbranch_vccz .LBB143_400
	s_branch .LBB143_402
.LBB143_398:
	v_mov_b32_e32 v0, 0
	s_waitcnt vmcnt(0)
	v_mov_b32_e32 v5, 0
	v_mov_b32_e32 v3, 0
.LBB143_399:
	s_cbranch_execnz .LBB143_402
.LBB143_400:
	s_waitcnt lgkmcnt(0)
	v_mul_hi_u32 v0, s17, v10
	s_andn2_b64 vcc, exec, s[30:31]
	v_add_u32_e32 v0, v10, v0
	s_waitcnt vmcnt(0)
	v_lshrrev_b32_e32 v1, s18, v0
	v_mul_lo_u32 v0, v1, s16
	v_sub_u32_e32 v2, v10, v0
	v_mul_lo_u32 v0, v2, s12
	v_mul_lo_u32 v5, v2, s13
	;; [unrolled: 1-line block ×3, first 2 shown]
	s_cbranch_vccnz .LBB143_402
; %bb.401:
	v_mul_hi_u32 v2, s28, v1
	v_add_u32_e32 v2, v1, v2
	v_lshrrev_b32_e32 v2, s29, v2
	v_mul_lo_u32 v2, v2, s19
	v_sub_u32_e32 v2, v1, v2
	v_mad_u64_u32 v[0:1], s[0:1], v2, s15, v[0:1]
	v_mad_u64_u32 v[5:6], s[0:1], v2, s26, v[5:6]
	;; [unrolled: 1-line block ×3, first 2 shown]
.LBB143_402:
	s_waitcnt vmcnt(0) lgkmcnt(0)
	v_mov_b32_e32 v1, s11
	s_and_b32 s48, s71, 0xff
	v_add_co_u32_e32 v4, vcc, s10, v5
	s_cmp_lt_i32 s48, 11
	v_addc_co_u32_e32 v5, vcc, 0, v1, vcc
	s_cbranch_scc1 .LBB143_409
; %bb.403:
	s_and_b32 s49, 0xffff, s48
	s_cmp_gt_i32 s49, 25
	s_cbranch_scc0 .LBB143_418
; %bb.404:
	s_cmp_gt_i32 s49, 28
	s_cbranch_scc0 .LBB143_420
; %bb.405:
	s_cmp_gt_i32 s49, 43
	s_cbranch_scc0 .LBB143_422
; %bb.406:
	s_cmp_gt_i32 s49, 45
	s_cbranch_scc0 .LBB143_424
; %bb.407:
	s_cmp_eq_u32 s49, 46
	s_mov_b64 s[46:47], 0
	s_cbranch_scc0 .LBB143_428
; %bb.408:
	global_load_dword v1, v[4:5], off
	s_mov_b32 s0, 0x2f800000
	s_mov_b32 s1, 0xcf800000
	s_mov_b64 s[44:45], 0
	s_waitcnt vmcnt(0)
	v_lshlrev_b32_e32 v1, 16, v1
	v_trunc_f32_e32 v1, v1
	v_mul_f32_e64 v2, |v1|, s0
	v_floor_f32_e32 v2, v2
	v_fma_f32 v2, v2, s1, |v1|
	v_cvt_u32_f32_e32 v2, v2
	v_ashrrev_i32_e32 v1, 31, v1
	s_mov_b64 s[0:1], -1
	v_xor_b32_e32 v2, v2, v1
	v_sub_u32_e32 v1, v2, v1
	s_branch .LBB143_429
.LBB143_409:
	s_mov_b64 s[0:1], 0
                                        ; implicit-def: $vgpr1
	s_mov_b64 s[44:45], s[40:41]
	s_cbranch_execnz .LBB143_491
.LBB143_410:
	s_andn2_b64 vcc, exec, s[0:1]
	s_cbranch_vccnz .LBB143_539
.LBB143_411:
	v_mov_b32_e32 v4, s25
	s_and_b32 s52, s70, 0xff
	s_waitcnt vmcnt(0)
	v_add_co_u32_e32 v2, vcc, s24, v3
	s_cmp_lt_i32 s52, 11
	v_addc_co_u32_e32 v3, vcc, 0, v4, vcc
	s_cbranch_scc1 .LBB143_419
; %bb.412:
	s_and_b32 s53, 0xffff, s52
	s_cmp_gt_i32 s53, 25
	s_cbranch_scc0 .LBB143_421
; %bb.413:
	s_cmp_gt_i32 s53, 28
	s_cbranch_scc0 .LBB143_423
; %bb.414:
	;; [unrolled: 3-line block ×4, first 2 shown]
	s_cmp_eq_u32 s53, 46
	s_mov_b64 s[48:49], 0
	s_cbranch_scc0 .LBB143_543
; %bb.417:
	global_load_dword v4, v[2:3], off
	s_mov_b32 s0, 0x2f800000
	s_mov_b32 s1, 0xcf800000
	s_mov_b64 s[46:47], 0
	s_waitcnt vmcnt(0)
	v_lshlrev_b32_e32 v4, 16, v4
	v_trunc_f32_e32 v4, v4
	v_mul_f32_e64 v5, |v4|, s0
	v_floor_f32_e32 v5, v5
	v_fma_f32 v5, v5, s1, |v4|
	v_cvt_u32_f32_e32 v5, v5
	v_ashrrev_i32_e32 v4, 31, v4
	s_mov_b64 s[0:1], -1
	v_xor_b32_e32 v5, v5, v4
	v_sub_u32_e32 v4, v5, v4
	s_branch .LBB143_544
.LBB143_418:
	s_mov_b64 s[46:47], -1
	s_mov_b64 s[0:1], 0
	s_mov_b64 s[44:45], s[40:41]
                                        ; implicit-def: $vgpr1
	s_branch .LBB143_457
.LBB143_419:
	s_mov_b64 s[48:49], -1
	s_mov_b64 s[0:1], 0
                                        ; implicit-def: $vgpr4
	s_mov_b64 s[46:47], s[38:39]
	s_branch .LBB143_605
.LBB143_420:
	s_mov_b64 s[46:47], -1
	s_mov_b64 s[0:1], 0
	s_mov_b64 s[44:45], s[40:41]
                                        ; implicit-def: $vgpr1
	s_branch .LBB143_440
.LBB143_421:
	s_mov_b64 s[48:49], -1
	s_mov_b64 s[0:1], 0
	s_mov_b64 s[46:47], s[38:39]
                                        ; implicit-def: $vgpr4
	s_branch .LBB143_571
.LBB143_422:
	s_mov_b64 s[46:47], -1
	s_mov_b64 s[0:1], 0
	s_mov_b64 s[44:45], s[40:41]
                                        ; implicit-def: $vgpr1
	s_branch .LBB143_435
.LBB143_423:
	s_mov_b64 s[48:49], -1
	s_mov_b64 s[0:1], 0
	s_mov_b64 s[46:47], s[38:39]
                                        ; implicit-def: $vgpr4
	s_branch .LBB143_554
.LBB143_424:
	s_mov_b64 s[46:47], -1
	s_mov_b64 s[0:1], 0
	s_mov_b64 s[44:45], s[40:41]
                                        ; implicit-def: $vgpr1
	s_branch .LBB143_429
.LBB143_425:
	s_mov_b64 s[48:49], -1
	s_mov_b64 s[0:1], 0
	s_mov_b64 s[46:47], s[38:39]
                                        ; implicit-def: $vgpr4
	s_branch .LBB143_549
.LBB143_426:
	s_andn2_saveexec_b64 s[48:49], s[48:49]
	s_cbranch_execz .LBB143_187
.LBB143_427:
	v_add_f32_e32 v3, 0x46000000, v4
	v_and_b32_e32 v3, 0xff, v3
	v_cmp_ne_u32_e32 vcc, 0, v3
	s_andn2_b64 s[44:45], s[44:45], exec
	s_and_b64 s[52:53], vcc, exec
	s_or_b64 s[44:45], s[44:45], s[52:53]
	s_or_b64 exec, exec, s[48:49]
	v_mov_b32_e32 v5, 0
	s_and_saveexec_b64 s[48:49], s[44:45]
	s_cbranch_execnz .LBB143_188
	s_branch .LBB143_189
.LBB143_428:
	s_mov_b64 s[44:45], -1
                                        ; implicit-def: $vgpr1
	s_mov_b64 s[0:1], 0
.LBB143_429:
	s_and_b64 vcc, exec, s[46:47]
	s_cbranch_vccz .LBB143_434
; %bb.430:
	s_cmp_eq_u32 s49, 44
	s_cbranch_scc0 .LBB143_433
; %bb.431:
	global_load_ubyte v1, v[4:5], off
	s_mov_b32 s0, 0x2f800000
	s_mov_b32 s1, 0xcf800000
	s_mov_b64 s[44:45], 0
	s_waitcnt vmcnt(0)
	v_lshlrev_b32_e32 v2, 23, v1
	v_trunc_f32_e32 v2, v2
	v_mul_f32_e64 v6, |v2|, s0
	v_floor_f32_e32 v6, v6
	v_fma_f32 v6, v6, s1, |v2|
	v_cvt_u32_f32_e32 v6, v6
	v_ashrrev_i32_e32 v2, 31, v2
	v_cmp_ne_u32_e32 vcc, 0, v1
	s_mov_b64 s[0:1], -1
	v_xor_b32_e32 v6, v6, v2
	v_sub_u32_e32 v2, v6, v2
	v_cndmask_b32_e32 v1, 0, v2, vcc
	s_branch .LBB143_434
.LBB143_432:
	s_mov_b64 s[48:49], -1
	s_mov_b64 s[0:1], 0
	s_mov_b64 s[46:47], s[38:39]
                                        ; implicit-def: $vgpr4
	s_branch .LBB143_544
.LBB143_433:
	s_mov_b64 s[44:45], -1
                                        ; implicit-def: $vgpr1
.LBB143_434:
	s_mov_b64 s[46:47], 0
.LBB143_435:
	s_and_b64 vcc, exec, s[46:47]
	s_cbranch_vccz .LBB143_439
; %bb.436:
	s_cmp_eq_u32 s49, 29
	s_cbranch_scc0 .LBB143_438
; %bb.437:
	global_load_dwordx2 v[1:2], v[4:5], off
	s_mov_b64 s[0:1], -1
	s_mov_b64 s[44:45], 0
	s_branch .LBB143_439
.LBB143_438:
	s_mov_b64 s[44:45], -1
                                        ; implicit-def: $vgpr1
.LBB143_439:
	s_mov_b64 s[46:47], 0
.LBB143_440:
	s_and_b64 vcc, exec, s[46:47]
	s_cbranch_vccz .LBB143_456
; %bb.441:
	s_cmp_lt_i32 s49, 27
	s_cbranch_scc1 .LBB143_444
; %bb.442:
	s_cmp_gt_i32 s49, 27
	s_cbranch_scc0 .LBB143_445
; %bb.443:
	global_load_dword v1, v[4:5], off
	s_mov_b64 s[0:1], 0
	s_branch .LBB143_446
.LBB143_444:
	s_mov_b64 s[0:1], -1
                                        ; implicit-def: $vgpr1
	s_branch .LBB143_449
.LBB143_445:
	s_mov_b64 s[0:1], -1
                                        ; implicit-def: $vgpr1
.LBB143_446:
	s_andn2_b64 vcc, exec, s[0:1]
	s_cbranch_vccnz .LBB143_448
; %bb.447:
	global_load_ushort v1, v[4:5], off
.LBB143_448:
	s_mov_b64 s[0:1], 0
.LBB143_449:
	s_andn2_b64 vcc, exec, s[0:1]
	s_cbranch_vccnz .LBB143_455
; %bb.450:
	global_load_ubyte v2, v[4:5], off
	s_movk_i32 s0, 0x7f
	s_mov_b64 s[46:47], 0
	s_waitcnt vmcnt(0)
	v_cmp_lt_i16_e32 vcc, s0, v2
	s_and_saveexec_b64 s[0:1], vcc
	s_xor_b64 s[0:1], exec, s[0:1]
	s_cbranch_execz .LBB143_467
; %bb.451:
	s_movk_i32 s46, 0x80
	v_cmp_ne_u16_e32 vcc, s46, v2
	s_and_b64 s[46:47], vcc, exec
	s_andn2_saveexec_b64 s[0:1], s[0:1]
	s_cbranch_execnz .LBB143_468
.LBB143_452:
	s_or_b64 exec, exec, s[0:1]
	v_mov_b32_e32 v1, 0
	s_and_saveexec_b64 s[0:1], s[46:47]
	s_cbranch_execz .LBB143_454
.LBB143_453:
	v_lshlrev_b32_e32 v1, 24, v2
	v_and_b32_e32 v2, 0xffff, v2
	v_and_b32_e32 v6, 7, v2
	v_ffbh_u32_e32 v8, v6
	v_min_u32_e32 v8, 32, v8
	v_subrev_u32_e32 v9, 28, v8
	v_bfe_u32 v7, v2, 3, 4
	v_lshlrev_b32_e32 v2, v9, v2
	v_sub_u32_e32 v8, 29, v8
	v_and_b32_e32 v2, 7, v2
	v_cmp_eq_u32_e32 vcc, 0, v7
	v_cndmask_b32_e32 v7, v7, v8, vcc
	v_cndmask_b32_e32 v2, v6, v2, vcc
	v_mov_b32_e32 v6, 0x3b800000
	v_lshlrev_b32_e32 v2, 20, v2
	v_and_b32_e32 v1, 0x80000000, v1
	v_lshl_add_u32 v6, v7, 23, v6
	v_or3_b32 v1, v1, v6, v2
	v_trunc_f32_e32 v1, v1
	s_mov_b32 s46, 0x2f800000
	v_mul_f32_e64 v2, |v1|, s46
	v_floor_f32_e32 v2, v2
	s_mov_b32 s46, 0xcf800000
	v_fma_f32 v2, v2, s46, |v1|
	v_cvt_u32_f32_e32 v2, v2
	v_ashrrev_i32_e32 v1, 31, v1
	v_xor_b32_e32 v2, v2, v1
	v_sub_u32_e32 v1, v2, v1
.LBB143_454:
	s_or_b64 exec, exec, s[0:1]
.LBB143_455:
	s_mov_b64 s[0:1], -1
.LBB143_456:
	s_mov_b64 s[46:47], 0
.LBB143_457:
	s_and_b64 vcc, exec, s[46:47]
	s_cbranch_vccz .LBB143_490
; %bb.458:
	s_cmp_gt_i32 s49, 22
	s_cbranch_scc0 .LBB143_466
; %bb.459:
	s_cmp_lt_i32 s49, 24
	s_cbranch_scc1 .LBB143_469
; %bb.460:
	s_cmp_gt_i32 s49, 24
	s_cbranch_scc0 .LBB143_470
; %bb.461:
	global_load_ubyte v2, v[4:5], off
	s_movk_i32 s0, 0x7f
	s_mov_b64 s[46:47], 0
	s_waitcnt vmcnt(0)
	v_cmp_lt_i16_e32 vcc, s0, v2
	s_and_saveexec_b64 s[0:1], vcc
	s_xor_b64 s[0:1], exec, s[0:1]
	s_cbranch_execz .LBB143_482
; %bb.462:
	s_movk_i32 s46, 0x80
	v_cmp_ne_u16_e32 vcc, s46, v2
	s_and_b64 s[46:47], vcc, exec
	s_andn2_saveexec_b64 s[0:1], s[0:1]
	s_cbranch_execnz .LBB143_483
.LBB143_463:
	s_or_b64 exec, exec, s[0:1]
	v_mov_b32_e32 v1, 0
	s_and_saveexec_b64 s[0:1], s[46:47]
	s_cbranch_execz .LBB143_465
.LBB143_464:
	v_lshlrev_b32_e32 v1, 24, v2
	v_and_b32_e32 v2, 0xffff, v2
	v_and_b32_e32 v6, 3, v2
	v_ffbh_u32_e32 v8, v6
	v_min_u32_e32 v8, 32, v8
	v_subrev_u32_e32 v9, 29, v8
	v_bfe_u32 v7, v2, 2, 5
	v_lshlrev_b32_e32 v2, v9, v2
	v_sub_u32_e32 v8, 30, v8
	v_and_b32_e32 v2, 3, v2
	v_cmp_eq_u32_e32 vcc, 0, v7
	v_cndmask_b32_e32 v7, v7, v8, vcc
	v_cndmask_b32_e32 v2, v6, v2, vcc
	v_mov_b32_e32 v6, 0x37800000
	v_lshlrev_b32_e32 v2, 21, v2
	v_and_b32_e32 v1, 0x80000000, v1
	v_lshl_add_u32 v6, v7, 23, v6
	v_or3_b32 v1, v1, v6, v2
	v_trunc_f32_e32 v1, v1
	s_mov_b32 s46, 0x2f800000
	v_mul_f32_e64 v2, |v1|, s46
	v_floor_f32_e32 v2, v2
	s_mov_b32 s46, 0xcf800000
	v_fma_f32 v2, v2, s46, |v1|
	v_cvt_u32_f32_e32 v2, v2
	v_ashrrev_i32_e32 v1, 31, v1
	v_xor_b32_e32 v2, v2, v1
	v_sub_u32_e32 v1, v2, v1
.LBB143_465:
	s_or_b64 exec, exec, s[0:1]
	s_mov_b64 s[0:1], 0
	s_branch .LBB143_471
.LBB143_466:
	s_mov_b64 s[46:47], -1
                                        ; implicit-def: $vgpr1
	s_branch .LBB143_477
.LBB143_467:
	s_andn2_saveexec_b64 s[0:1], s[0:1]
	s_cbranch_execz .LBB143_452
.LBB143_468:
	v_cmp_ne_u16_e32 vcc, 0, v2
	s_andn2_b64 s[46:47], s[46:47], exec
	s_and_b64 s[52:53], vcc, exec
	s_or_b64 s[46:47], s[46:47], s[52:53]
	s_or_b64 exec, exec, s[0:1]
	v_mov_b32_e32 v1, 0
	s_and_saveexec_b64 s[0:1], s[46:47]
	s_cbranch_execnz .LBB143_453
	s_branch .LBB143_454
.LBB143_469:
	s_mov_b64 s[0:1], -1
                                        ; implicit-def: $vgpr1
	s_branch .LBB143_474
.LBB143_470:
	s_mov_b64 s[0:1], -1
                                        ; implicit-def: $vgpr1
.LBB143_471:
	s_and_b64 vcc, exec, s[0:1]
	s_cbranch_vccz .LBB143_473
; %bb.472:
	global_load_ubyte v1, v[4:5], off
	s_mov_b32 s0, 0x7f800000
	s_brev_b32 s1, 1
	s_mov_b32 s46, 0x2f800000
	s_waitcnt vmcnt(0)
	v_lshlrev_b32_e32 v1, 24, v1
	v_and_b32_e32 v2, 0x7f000000, v1
	v_ffbh_u32_e32 v6, v2
	v_min_u32_e32 v6, 32, v6
	v_sub_u32_e64 v6, v6, 4 clamp
	v_lshlrev_b32_e32 v8, v6, v2
	v_lshlrev_b32_e32 v6, 23, v6
	v_lshrrev_b32_e32 v8, 4, v8
	v_add_u32_e32 v7, 0x1000000, v2
	v_sub_u32_e32 v6, v8, v6
	v_ashrrev_i32_e32 v7, 8, v7
	v_add_u32_e32 v6, 0x3c000000, v6
	v_and_or_b32 v6, v7, s0, v6
	v_cmp_ne_u32_e32 vcc, 0, v2
	v_cndmask_b32_e32 v2, 0, v6, vcc
	v_and_or_b32 v1, v1, s1, v2
	v_trunc_f32_e32 v1, v1
	v_mul_f32_e64 v2, |v1|, s46
	v_floor_f32_e32 v2, v2
	s_mov_b32 s0, 0xcf800000
	v_fma_f32 v2, v2, s0, |v1|
	v_cvt_u32_f32_e32 v2, v2
	v_ashrrev_i32_e32 v1, 31, v1
	v_xor_b32_e32 v2, v2, v1
	v_sub_u32_e32 v1, v2, v1
.LBB143_473:
	s_mov_b64 s[0:1], 0
.LBB143_474:
	s_andn2_b64 vcc, exec, s[0:1]
	s_cbranch_vccnz .LBB143_476
; %bb.475:
	global_load_ubyte v1, v[4:5], off
	s_movk_i32 s0, 0x7f00
	s_brev_b32 s1, 16
	s_brev_b32 s46, 1
	s_mov_b32 s47, 0x2f800000
	s_waitcnt vmcnt(0)
	v_lshlrev_b16_e32 v2, 8, v1
	v_lshlrev_b32_e32 v1, 25, v1
	v_lshrrev_b32_e32 v6, 4, v1
	v_and_or_b32 v7, v2, s0, 0.5
	v_or_b32_e32 v6, 0x70000000, v6
	v_add_f32_e32 v7, -0.5, v7
	v_mul_f32_e32 v6, 0x7800000, v6
	v_cmp_gt_u32_e32 vcc, s1, v1
	v_bfe_i32 v2, v2, 0, 16
	v_cndmask_b32_e32 v1, v6, v7, vcc
	v_and_or_b32 v1, v2, s46, v1
	v_trunc_f32_e32 v1, v1
	v_mul_f32_e64 v2, |v1|, s47
	v_floor_f32_e32 v2, v2
	s_mov_b32 s0, 0xcf800000
	v_fma_f32 v2, v2, s0, |v1|
	v_cvt_u32_f32_e32 v2, v2
	v_ashrrev_i32_e32 v1, 31, v1
	v_xor_b32_e32 v2, v2, v1
	v_sub_u32_e32 v1, v2, v1
.LBB143_476:
	s_mov_b64 s[46:47], 0
	s_mov_b64 s[0:1], -1
.LBB143_477:
	s_andn2_b64 vcc, exec, s[46:47]
	s_cbranch_vccnz .LBB143_490
; %bb.478:
	s_cmp_gt_i32 s49, 14
	s_cbranch_scc0 .LBB143_481
; %bb.479:
	s_cmp_eq_u32 s49, 15
	s_cbranch_scc0 .LBB143_484
; %bb.480:
	global_load_ushort v1, v[4:5], off
	s_mov_b32 s0, 0x2f800000
	s_mov_b32 s1, 0xcf800000
	s_mov_b64 s[44:45], 0
	s_waitcnt vmcnt(0)
	v_lshlrev_b32_e32 v1, 16, v1
	v_trunc_f32_e32 v1, v1
	v_mul_f32_e64 v2, |v1|, s0
	v_floor_f32_e32 v2, v2
	v_fma_f32 v2, v2, s1, |v1|
	v_cvt_u32_f32_e32 v2, v2
	v_ashrrev_i32_e32 v1, 31, v1
	s_mov_b64 s[0:1], -1
	v_xor_b32_e32 v2, v2, v1
	v_sub_u32_e32 v1, v2, v1
	s_branch .LBB143_485
.LBB143_481:
	s_mov_b64 s[46:47], -1
                                        ; implicit-def: $vgpr1
	s_branch .LBB143_486
.LBB143_482:
	s_andn2_saveexec_b64 s[0:1], s[0:1]
	s_cbranch_execz .LBB143_463
.LBB143_483:
	v_cmp_ne_u16_e32 vcc, 0, v2
	s_andn2_b64 s[46:47], s[46:47], exec
	s_and_b64 s[52:53], vcc, exec
	s_or_b64 s[46:47], s[46:47], s[52:53]
	s_or_b64 exec, exec, s[0:1]
	v_mov_b32_e32 v1, 0
	s_and_saveexec_b64 s[0:1], s[46:47]
	s_cbranch_execnz .LBB143_464
	s_branch .LBB143_465
.LBB143_484:
	s_mov_b64 s[44:45], -1
                                        ; implicit-def: $vgpr1
.LBB143_485:
	s_mov_b64 s[46:47], 0
.LBB143_486:
	s_and_b64 vcc, exec, s[46:47]
	s_cbranch_vccz .LBB143_490
; %bb.487:
	s_cmp_eq_u32 s49, 11
	s_cbranch_scc0 .LBB143_489
; %bb.488:
	global_load_ubyte v1, v[4:5], off
	s_mov_b64 s[0:1], -1
	s_mov_b64 s[44:45], 0
	s_waitcnt vmcnt(0)
	v_cmp_ne_u16_e32 vcc, 0, v1
	v_cndmask_b32_e64 v1, 0, 1, vcc
	s_branch .LBB143_490
.LBB143_489:
	s_mov_b64 s[44:45], -1
                                        ; implicit-def: $vgpr1
.LBB143_490:
	s_branch .LBB143_410
.LBB143_491:
	s_and_b32 s46, 0xffff, s48
	s_cmp_lt_i32 s46, 5
	s_cbranch_scc1 .LBB143_496
; %bb.492:
	s_cmp_lt_i32 s46, 8
	s_cbranch_scc1 .LBB143_497
; %bb.493:
	;; [unrolled: 3-line block ×3, first 2 shown]
	s_cmp_gt_i32 s46, 9
	s_cbranch_scc0 .LBB143_499
; %bb.495:
	global_load_dwordx2 v[1:2], v[4:5], off
	s_movk_i32 s0, 0xffe0
	s_waitcnt vmcnt(0)
	v_trunc_f64_e32 v[1:2], v[1:2]
	v_ldexp_f64 v[6:7], v[1:2], s0
	s_mov_b32 s0, 0
	s_mov_b32 s1, 0xc1f00000
	v_floor_f64_e32 v[6:7], v[6:7]
	v_fma_f64 v[1:2], v[6:7], s[0:1], v[1:2]
	s_mov_b64 s[0:1], 0
	v_cvt_u32_f64_e32 v1, v[1:2]
	s_branch .LBB143_500
.LBB143_496:
	s_mov_b64 s[0:1], -1
                                        ; implicit-def: $vgpr1
	s_branch .LBB143_518
.LBB143_497:
	s_mov_b64 s[0:1], -1
                                        ; implicit-def: $vgpr1
	s_branch .LBB143_506
.LBB143_498:
	s_mov_b64 s[0:1], -1
                                        ; implicit-def: $vgpr1
	s_branch .LBB143_503
.LBB143_499:
	s_mov_b64 s[0:1], -1
                                        ; implicit-def: $vgpr1
.LBB143_500:
	s_andn2_b64 vcc, exec, s[0:1]
	s_cbranch_vccnz .LBB143_502
; %bb.501:
	global_load_dword v1, v[4:5], off
	s_mov_b32 s0, 0x2f800000
	s_waitcnt vmcnt(0)
	v_trunc_f32_e32 v1, v1
	v_mul_f32_e64 v2, |v1|, s0
	v_floor_f32_e32 v2, v2
	s_mov_b32 s0, 0xcf800000
	v_fma_f32 v2, v2, s0, |v1|
	v_cvt_u32_f32_e32 v2, v2
	v_ashrrev_i32_e32 v1, 31, v1
	v_xor_b32_e32 v2, v2, v1
	v_sub_u32_e32 v1, v2, v1
.LBB143_502:
	s_mov_b64 s[0:1], 0
.LBB143_503:
	s_andn2_b64 vcc, exec, s[0:1]
	s_cbranch_vccnz .LBB143_505
; %bb.504:
	global_load_dword v1, v[4:5], off
	s_waitcnt vmcnt(0)
	v_cvt_f32_f16_e32 v1, v1
	v_cvt_i32_f32_e32 v1, v1
.LBB143_505:
	s_mov_b64 s[0:1], 0
.LBB143_506:
	s_andn2_b64 vcc, exec, s[0:1]
	s_cbranch_vccnz .LBB143_517
; %bb.507:
	s_cmp_lt_i32 s46, 6
	s_cbranch_scc1 .LBB143_510
; %bb.508:
	s_cmp_gt_i32 s46, 6
	s_cbranch_scc0 .LBB143_511
; %bb.509:
	global_load_dwordx2 v[1:2], v[4:5], off
	s_movk_i32 s0, 0xffe0
	s_waitcnt vmcnt(0)
	v_trunc_f64_e32 v[1:2], v[1:2]
	v_ldexp_f64 v[6:7], v[1:2], s0
	s_mov_b32 s0, 0
	s_mov_b32 s1, 0xc1f00000
	v_floor_f64_e32 v[6:7], v[6:7]
	v_fma_f64 v[1:2], v[6:7], s[0:1], v[1:2]
	s_mov_b64 s[0:1], 0
	v_cvt_u32_f64_e32 v1, v[1:2]
	s_branch .LBB143_512
.LBB143_510:
	s_mov_b64 s[0:1], -1
                                        ; implicit-def: $vgpr1
	s_branch .LBB143_515
.LBB143_511:
	s_mov_b64 s[0:1], -1
                                        ; implicit-def: $vgpr1
.LBB143_512:
	s_andn2_b64 vcc, exec, s[0:1]
	s_cbranch_vccnz .LBB143_514
; %bb.513:
	global_load_dword v1, v[4:5], off
	s_mov_b32 s0, 0x2f800000
	s_waitcnt vmcnt(0)
	v_trunc_f32_e32 v1, v1
	v_mul_f32_e64 v2, |v1|, s0
	v_floor_f32_e32 v2, v2
	s_mov_b32 s0, 0xcf800000
	v_fma_f32 v2, v2, s0, |v1|
	v_cvt_u32_f32_e32 v2, v2
	v_ashrrev_i32_e32 v1, 31, v1
	v_xor_b32_e32 v2, v2, v1
	v_sub_u32_e32 v1, v2, v1
.LBB143_514:
	s_mov_b64 s[0:1], 0
.LBB143_515:
	s_andn2_b64 vcc, exec, s[0:1]
	s_cbranch_vccnz .LBB143_517
; %bb.516:
	global_load_ushort v1, v[4:5], off
	s_waitcnt vmcnt(0)
	v_cvt_f32_f16_e32 v1, v1
	v_cvt_i32_f32_e32 v1, v1
.LBB143_517:
	s_mov_b64 s[0:1], 0
.LBB143_518:
	s_andn2_b64 vcc, exec, s[0:1]
	s_cbranch_vccnz .LBB143_538
; %bb.519:
	s_cmp_lt_i32 s46, 2
	s_cbranch_scc1 .LBB143_523
; %bb.520:
	s_cmp_lt_i32 s46, 3
	s_cbranch_scc1 .LBB143_524
; %bb.521:
	s_cmp_gt_i32 s46, 3
	s_cbranch_scc0 .LBB143_525
; %bb.522:
	global_load_dwordx2 v[1:2], v[4:5], off
	s_mov_b64 s[0:1], 0
	s_branch .LBB143_526
.LBB143_523:
	s_mov_b64 s[0:1], -1
                                        ; implicit-def: $vgpr1
	s_branch .LBB143_532
.LBB143_524:
	s_mov_b64 s[0:1], -1
                                        ; implicit-def: $vgpr1
	s_branch .LBB143_529
.LBB143_525:
	s_mov_b64 s[0:1], -1
                                        ; implicit-def: $vgpr1
.LBB143_526:
	s_andn2_b64 vcc, exec, s[0:1]
	s_cbranch_vccnz .LBB143_528
; %bb.527:
	global_load_dword v1, v[4:5], off
.LBB143_528:
	s_mov_b64 s[0:1], 0
.LBB143_529:
	s_andn2_b64 vcc, exec, s[0:1]
	s_cbranch_vccnz .LBB143_531
; %bb.530:
	global_load_ushort v1, v[4:5], off
.LBB143_531:
	s_mov_b64 s[0:1], 0
.LBB143_532:
	s_andn2_b64 vcc, exec, s[0:1]
	s_cbranch_vccnz .LBB143_538
; %bb.533:
	s_cmp_gt_i32 s46, 0
	s_cbranch_scc0 .LBB143_535
; %bb.534:
	global_load_ubyte v1, v[4:5], off
	s_mov_b64 s[0:1], 0
	s_branch .LBB143_536
.LBB143_535:
	s_mov_b64 s[0:1], -1
                                        ; implicit-def: $vgpr1
.LBB143_536:
	s_andn2_b64 vcc, exec, s[0:1]
	s_cbranch_vccnz .LBB143_538
; %bb.537:
	global_load_ubyte v1, v[4:5], off
.LBB143_538:
	s_branch .LBB143_411
.LBB143_539:
	s_mov_b64 s[52:53], 0
	s_mov_b64 s[0:1], s[36:37]
	;; [unrolled: 1-line block ×3, first 2 shown]
.LBB143_540:
                                        ; implicit-def: $vgpr10
	s_branch .LBB143_778
.LBB143_541:
	s_andn2_saveexec_b64 s[48:49], s[48:49]
	s_cbranch_execz .LBB143_200
.LBB143_542:
	v_add_f32_e32 v3, 0x42800000, v4
	v_and_b32_e32 v3, 0xff, v3
	v_cmp_ne_u32_e32 vcc, 0, v3
	s_andn2_b64 s[44:45], s[44:45], exec
	s_and_b64 s[52:53], vcc, exec
	s_or_b64 s[44:45], s[44:45], s[52:53]
	s_or_b64 exec, exec, s[48:49]
	v_mov_b32_e32 v5, 0
	s_and_saveexec_b64 s[48:49], s[44:45]
	s_cbranch_execnz .LBB143_201
	s_branch .LBB143_202
.LBB143_543:
	s_mov_b64 s[46:47], -1
                                        ; implicit-def: $vgpr4
	s_mov_b64 s[0:1], 0
.LBB143_544:
	s_and_b64 vcc, exec, s[48:49]
	s_cbranch_vccz .LBB143_548
; %bb.545:
	s_cmp_eq_u32 s53, 44
	s_cbranch_scc0 .LBB143_547
; %bb.546:
	global_load_ubyte v4, v[2:3], off
	s_mov_b32 s0, 0x2f800000
	s_mov_b32 s1, 0xcf800000
	s_mov_b64 s[46:47], 0
	s_waitcnt vmcnt(0)
	v_lshlrev_b32_e32 v5, 23, v4
	v_trunc_f32_e32 v5, v5
	v_mul_f32_e64 v6, |v5|, s0
	v_floor_f32_e32 v6, v6
	v_fma_f32 v6, v6, s1, |v5|
	v_cvt_u32_f32_e32 v6, v6
	v_ashrrev_i32_e32 v5, 31, v5
	v_cmp_ne_u32_e32 vcc, 0, v4
	s_mov_b64 s[0:1], -1
	v_xor_b32_e32 v6, v6, v5
	v_sub_u32_e32 v5, v6, v5
	v_cndmask_b32_e32 v4, 0, v5, vcc
	s_branch .LBB143_548
.LBB143_547:
	s_mov_b64 s[46:47], -1
                                        ; implicit-def: $vgpr4
.LBB143_548:
	s_mov_b64 s[48:49], 0
.LBB143_549:
	s_and_b64 vcc, exec, s[48:49]
	s_cbranch_vccz .LBB143_553
; %bb.550:
	s_cmp_eq_u32 s53, 29
	s_cbranch_scc0 .LBB143_552
; %bb.551:
	global_load_dwordx2 v[4:5], v[2:3], off
	s_mov_b64 s[0:1], -1
	s_mov_b64 s[46:47], 0
	s_branch .LBB143_553
.LBB143_552:
	s_mov_b64 s[46:47], -1
                                        ; implicit-def: $vgpr4
.LBB143_553:
	s_mov_b64 s[48:49], 0
.LBB143_554:
	s_and_b64 vcc, exec, s[48:49]
	s_cbranch_vccz .LBB143_570
; %bb.555:
	s_cmp_lt_i32 s53, 27
	s_cbranch_scc1 .LBB143_558
; %bb.556:
	s_cmp_gt_i32 s53, 27
	s_cbranch_scc0 .LBB143_559
; %bb.557:
	global_load_dword v4, v[2:3], off
	s_mov_b64 s[0:1], 0
	s_branch .LBB143_560
.LBB143_558:
	s_mov_b64 s[0:1], -1
                                        ; implicit-def: $vgpr4
	s_branch .LBB143_563
.LBB143_559:
	s_mov_b64 s[0:1], -1
                                        ; implicit-def: $vgpr4
.LBB143_560:
	s_andn2_b64 vcc, exec, s[0:1]
	s_cbranch_vccnz .LBB143_562
; %bb.561:
	global_load_ushort v4, v[2:3], off
.LBB143_562:
	s_mov_b64 s[0:1], 0
.LBB143_563:
	s_andn2_b64 vcc, exec, s[0:1]
	s_cbranch_vccnz .LBB143_569
; %bb.564:
	global_load_ubyte v5, v[2:3], off
	s_movk_i32 s0, 0x7f
	s_mov_b64 s[48:49], 0
	s_waitcnt vmcnt(0)
	v_cmp_lt_i16_e32 vcc, s0, v5
	s_and_saveexec_b64 s[0:1], vcc
	s_xor_b64 s[0:1], exec, s[0:1]
	s_cbranch_execz .LBB143_581
; %bb.565:
	s_movk_i32 s48, 0x80
	v_cmp_ne_u16_e32 vcc, s48, v5
	s_and_b64 s[48:49], vcc, exec
	s_andn2_saveexec_b64 s[0:1], s[0:1]
	s_cbranch_execnz .LBB143_582
.LBB143_566:
	s_or_b64 exec, exec, s[0:1]
	v_mov_b32_e32 v4, 0
	s_and_saveexec_b64 s[0:1], s[48:49]
	s_cbranch_execz .LBB143_568
.LBB143_567:
	v_lshlrev_b32_e32 v4, 24, v5
	v_and_b32_e32 v5, 0xffff, v5
	v_and_b32_e32 v6, 7, v5
	v_ffbh_u32_e32 v8, v6
	v_min_u32_e32 v8, 32, v8
	v_subrev_u32_e32 v9, 28, v8
	v_bfe_u32 v7, v5, 3, 4
	v_lshlrev_b32_e32 v5, v9, v5
	v_sub_u32_e32 v8, 29, v8
	v_and_b32_e32 v5, 7, v5
	v_cmp_eq_u32_e32 vcc, 0, v7
	v_cndmask_b32_e32 v7, v7, v8, vcc
	v_cndmask_b32_e32 v5, v6, v5, vcc
	v_mov_b32_e32 v6, 0x3b800000
	v_lshlrev_b32_e32 v5, 20, v5
	v_and_b32_e32 v4, 0x80000000, v4
	v_lshl_add_u32 v6, v7, 23, v6
	v_or3_b32 v4, v4, v6, v5
	v_trunc_f32_e32 v4, v4
	s_mov_b32 s48, 0x2f800000
	v_mul_f32_e64 v5, |v4|, s48
	v_floor_f32_e32 v5, v5
	s_mov_b32 s48, 0xcf800000
	v_fma_f32 v5, v5, s48, |v4|
	v_cvt_u32_f32_e32 v5, v5
	v_ashrrev_i32_e32 v4, 31, v4
	v_xor_b32_e32 v5, v5, v4
	v_sub_u32_e32 v4, v5, v4
.LBB143_568:
	s_or_b64 exec, exec, s[0:1]
.LBB143_569:
	s_mov_b64 s[0:1], -1
.LBB143_570:
	s_mov_b64 s[48:49], 0
.LBB143_571:
	s_and_b64 vcc, exec, s[48:49]
	s_cbranch_vccz .LBB143_604
; %bb.572:
	s_cmp_gt_i32 s53, 22
	s_cbranch_scc0 .LBB143_580
; %bb.573:
	s_cmp_lt_i32 s53, 24
	s_cbranch_scc1 .LBB143_583
; %bb.574:
	s_cmp_gt_i32 s53, 24
	s_cbranch_scc0 .LBB143_584
; %bb.575:
	global_load_ubyte v5, v[2:3], off
	s_movk_i32 s0, 0x7f
	s_mov_b64 s[48:49], 0
	s_waitcnt vmcnt(0)
	v_cmp_lt_i16_e32 vcc, s0, v5
	s_and_saveexec_b64 s[0:1], vcc
	s_xor_b64 s[0:1], exec, s[0:1]
	s_cbranch_execz .LBB143_596
; %bb.576:
	s_movk_i32 s48, 0x80
	v_cmp_ne_u16_e32 vcc, s48, v5
	s_and_b64 s[48:49], vcc, exec
	s_andn2_saveexec_b64 s[0:1], s[0:1]
	s_cbranch_execnz .LBB143_597
.LBB143_577:
	s_or_b64 exec, exec, s[0:1]
	v_mov_b32_e32 v4, 0
	s_and_saveexec_b64 s[0:1], s[48:49]
	s_cbranch_execz .LBB143_579
.LBB143_578:
	v_lshlrev_b32_e32 v4, 24, v5
	v_and_b32_e32 v5, 0xffff, v5
	v_and_b32_e32 v6, 3, v5
	v_ffbh_u32_e32 v8, v6
	v_min_u32_e32 v8, 32, v8
	v_subrev_u32_e32 v9, 29, v8
	v_bfe_u32 v7, v5, 2, 5
	v_lshlrev_b32_e32 v5, v9, v5
	v_sub_u32_e32 v8, 30, v8
	v_and_b32_e32 v5, 3, v5
	v_cmp_eq_u32_e32 vcc, 0, v7
	v_cndmask_b32_e32 v7, v7, v8, vcc
	v_cndmask_b32_e32 v5, v6, v5, vcc
	v_mov_b32_e32 v6, 0x37800000
	v_lshlrev_b32_e32 v5, 21, v5
	v_and_b32_e32 v4, 0x80000000, v4
	v_lshl_add_u32 v6, v7, 23, v6
	v_or3_b32 v4, v4, v6, v5
	v_trunc_f32_e32 v4, v4
	s_mov_b32 s48, 0x2f800000
	v_mul_f32_e64 v5, |v4|, s48
	v_floor_f32_e32 v5, v5
	s_mov_b32 s48, 0xcf800000
	v_fma_f32 v5, v5, s48, |v4|
	v_cvt_u32_f32_e32 v5, v5
	v_ashrrev_i32_e32 v4, 31, v4
	v_xor_b32_e32 v5, v5, v4
	v_sub_u32_e32 v4, v5, v4
.LBB143_579:
	s_or_b64 exec, exec, s[0:1]
	s_mov_b64 s[0:1], 0
	s_branch .LBB143_585
.LBB143_580:
	s_mov_b64 s[48:49], -1
                                        ; implicit-def: $vgpr4
	s_branch .LBB143_591
.LBB143_581:
	s_andn2_saveexec_b64 s[0:1], s[0:1]
	s_cbranch_execz .LBB143_566
.LBB143_582:
	v_cmp_ne_u16_e32 vcc, 0, v5
	s_andn2_b64 s[48:49], s[48:49], exec
	s_and_b64 s[54:55], vcc, exec
	s_or_b64 s[48:49], s[48:49], s[54:55]
	s_or_b64 exec, exec, s[0:1]
	v_mov_b32_e32 v4, 0
	s_and_saveexec_b64 s[0:1], s[48:49]
	s_cbranch_execnz .LBB143_567
	s_branch .LBB143_568
.LBB143_583:
	s_mov_b64 s[0:1], -1
                                        ; implicit-def: $vgpr4
	s_branch .LBB143_588
.LBB143_584:
	s_mov_b64 s[0:1], -1
                                        ; implicit-def: $vgpr4
.LBB143_585:
	s_and_b64 vcc, exec, s[0:1]
	s_cbranch_vccz .LBB143_587
; %bb.586:
	global_load_ubyte v4, v[2:3], off
	s_mov_b32 s0, 0x7f800000
	s_brev_b32 s1, 1
	s_mov_b32 s48, 0x2f800000
	s_waitcnt vmcnt(0)
	v_lshlrev_b32_e32 v4, 24, v4
	v_and_b32_e32 v5, 0x7f000000, v4
	v_ffbh_u32_e32 v6, v5
	v_min_u32_e32 v6, 32, v6
	v_sub_u32_e64 v6, v6, 4 clamp
	v_lshlrev_b32_e32 v8, v6, v5
	v_lshlrev_b32_e32 v6, 23, v6
	v_lshrrev_b32_e32 v8, 4, v8
	v_add_u32_e32 v7, 0x1000000, v5
	v_sub_u32_e32 v6, v8, v6
	v_ashrrev_i32_e32 v7, 8, v7
	v_add_u32_e32 v6, 0x3c000000, v6
	v_and_or_b32 v6, v7, s0, v6
	v_cmp_ne_u32_e32 vcc, 0, v5
	v_cndmask_b32_e32 v5, 0, v6, vcc
	v_and_or_b32 v4, v4, s1, v5
	v_trunc_f32_e32 v4, v4
	v_mul_f32_e64 v5, |v4|, s48
	v_floor_f32_e32 v5, v5
	s_mov_b32 s0, 0xcf800000
	v_fma_f32 v5, v5, s0, |v4|
	v_cvt_u32_f32_e32 v5, v5
	v_ashrrev_i32_e32 v4, 31, v4
	v_xor_b32_e32 v5, v5, v4
	v_sub_u32_e32 v4, v5, v4
.LBB143_587:
	s_mov_b64 s[0:1], 0
.LBB143_588:
	s_andn2_b64 vcc, exec, s[0:1]
	s_cbranch_vccnz .LBB143_590
; %bb.589:
	global_load_ubyte v4, v[2:3], off
	s_movk_i32 s0, 0x7f00
	s_brev_b32 s1, 16
	s_brev_b32 s48, 1
	s_mov_b32 s49, 0x2f800000
	s_waitcnt vmcnt(0)
	v_lshlrev_b16_e32 v5, 8, v4
	v_lshlrev_b32_e32 v4, 25, v4
	v_lshrrev_b32_e32 v6, 4, v4
	v_and_or_b32 v7, v5, s0, 0.5
	v_or_b32_e32 v6, 0x70000000, v6
	v_add_f32_e32 v7, -0.5, v7
	v_mul_f32_e32 v6, 0x7800000, v6
	v_cmp_gt_u32_e32 vcc, s1, v4
	v_bfe_i32 v5, v5, 0, 16
	v_cndmask_b32_e32 v4, v6, v7, vcc
	v_and_or_b32 v4, v5, s48, v4
	v_trunc_f32_e32 v4, v4
	v_mul_f32_e64 v5, |v4|, s49
	v_floor_f32_e32 v5, v5
	s_mov_b32 s0, 0xcf800000
	v_fma_f32 v5, v5, s0, |v4|
	v_cvt_u32_f32_e32 v5, v5
	v_ashrrev_i32_e32 v4, 31, v4
	v_xor_b32_e32 v5, v5, v4
	v_sub_u32_e32 v4, v5, v4
.LBB143_590:
	s_mov_b64 s[48:49], 0
	s_mov_b64 s[0:1], -1
.LBB143_591:
	s_andn2_b64 vcc, exec, s[48:49]
	s_cbranch_vccnz .LBB143_604
; %bb.592:
	s_cmp_gt_i32 s53, 14
	s_cbranch_scc0 .LBB143_595
; %bb.593:
	s_cmp_eq_u32 s53, 15
	s_cbranch_scc0 .LBB143_598
; %bb.594:
	global_load_ushort v4, v[2:3], off
	s_mov_b32 s0, 0x2f800000
	s_mov_b32 s1, 0xcf800000
	s_mov_b64 s[46:47], 0
	s_waitcnt vmcnt(0)
	v_lshlrev_b32_e32 v4, 16, v4
	v_trunc_f32_e32 v4, v4
	v_mul_f32_e64 v5, |v4|, s0
	v_floor_f32_e32 v5, v5
	v_fma_f32 v5, v5, s1, |v4|
	v_cvt_u32_f32_e32 v5, v5
	v_ashrrev_i32_e32 v4, 31, v4
	s_mov_b64 s[0:1], -1
	v_xor_b32_e32 v5, v5, v4
	v_sub_u32_e32 v4, v5, v4
	s_branch .LBB143_599
.LBB143_595:
	s_mov_b64 s[48:49], -1
                                        ; implicit-def: $vgpr4
	s_branch .LBB143_600
.LBB143_596:
	s_andn2_saveexec_b64 s[0:1], s[0:1]
	s_cbranch_execz .LBB143_577
.LBB143_597:
	v_cmp_ne_u16_e32 vcc, 0, v5
	s_andn2_b64 s[48:49], s[48:49], exec
	s_and_b64 s[54:55], vcc, exec
	s_or_b64 s[48:49], s[48:49], s[54:55]
	s_or_b64 exec, exec, s[0:1]
	v_mov_b32_e32 v4, 0
	s_and_saveexec_b64 s[0:1], s[48:49]
	s_cbranch_execnz .LBB143_578
	s_branch .LBB143_579
.LBB143_598:
	s_mov_b64 s[46:47], -1
                                        ; implicit-def: $vgpr4
.LBB143_599:
	s_mov_b64 s[48:49], 0
.LBB143_600:
	s_and_b64 vcc, exec, s[48:49]
	s_cbranch_vccz .LBB143_604
; %bb.601:
	s_cmp_eq_u32 s53, 11
	s_cbranch_scc0 .LBB143_603
; %bb.602:
	global_load_ubyte v4, v[2:3], off
	s_mov_b64 s[0:1], -1
	s_mov_b64 s[46:47], 0
	s_waitcnt vmcnt(0)
	v_cmp_ne_u16_e32 vcc, 0, v4
	v_cndmask_b32_e64 v4, 0, 1, vcc
	s_branch .LBB143_604
.LBB143_603:
	s_mov_b64 s[46:47], -1
                                        ; implicit-def: $vgpr4
.LBB143_604:
	s_mov_b64 s[48:49], 0
.LBB143_605:
	s_and_b64 vcc, exec, s[48:49]
	s_cbranch_vccz .LBB143_654
; %bb.606:
	s_and_b32 s48, 0xffff, s52
	s_cmp_lt_i32 s48, 5
	s_cbranch_scc1 .LBB143_611
; %bb.607:
	s_cmp_lt_i32 s48, 8
	s_cbranch_scc1 .LBB143_612
; %bb.608:
	;; [unrolled: 3-line block ×3, first 2 shown]
	s_cmp_gt_i32 s48, 9
	s_cbranch_scc0 .LBB143_614
; %bb.610:
	global_load_dwordx2 v[4:5], v[2:3], off
	s_movk_i32 s0, 0xffe0
	s_waitcnt vmcnt(0)
	v_trunc_f64_e32 v[4:5], v[4:5]
	v_ldexp_f64 v[6:7], v[4:5], s0
	s_mov_b32 s0, 0
	s_mov_b32 s1, 0xc1f00000
	v_floor_f64_e32 v[6:7], v[6:7]
	v_fma_f64 v[4:5], v[6:7], s[0:1], v[4:5]
	s_mov_b64 s[0:1], 0
	v_cvt_u32_f64_e32 v4, v[4:5]
	s_branch .LBB143_615
.LBB143_611:
	s_mov_b64 s[0:1], -1
                                        ; implicit-def: $vgpr4
	s_branch .LBB143_633
.LBB143_612:
	s_mov_b64 s[0:1], -1
                                        ; implicit-def: $vgpr4
	s_branch .LBB143_621
.LBB143_613:
	s_mov_b64 s[0:1], -1
                                        ; implicit-def: $vgpr4
	s_branch .LBB143_618
.LBB143_614:
	s_mov_b64 s[0:1], -1
                                        ; implicit-def: $vgpr4
.LBB143_615:
	s_andn2_b64 vcc, exec, s[0:1]
	s_cbranch_vccnz .LBB143_617
; %bb.616:
	global_load_dword v4, v[2:3], off
	s_mov_b32 s0, 0x2f800000
	s_waitcnt vmcnt(0)
	v_trunc_f32_e32 v4, v4
	v_mul_f32_e64 v5, |v4|, s0
	v_floor_f32_e32 v5, v5
	s_mov_b32 s0, 0xcf800000
	v_fma_f32 v5, v5, s0, |v4|
	v_cvt_u32_f32_e32 v5, v5
	v_ashrrev_i32_e32 v4, 31, v4
	v_xor_b32_e32 v5, v5, v4
	v_sub_u32_e32 v4, v5, v4
.LBB143_617:
	s_mov_b64 s[0:1], 0
.LBB143_618:
	s_andn2_b64 vcc, exec, s[0:1]
	s_cbranch_vccnz .LBB143_620
; %bb.619:
	global_load_dword v4, v[2:3], off
	s_waitcnt vmcnt(0)
	v_cvt_f32_f16_e32 v4, v4
	v_cvt_i32_f32_e32 v4, v4
.LBB143_620:
	s_mov_b64 s[0:1], 0
.LBB143_621:
	s_andn2_b64 vcc, exec, s[0:1]
	s_cbranch_vccnz .LBB143_632
; %bb.622:
	s_cmp_lt_i32 s48, 6
	s_cbranch_scc1 .LBB143_625
; %bb.623:
	s_cmp_gt_i32 s48, 6
	s_cbranch_scc0 .LBB143_626
; %bb.624:
	global_load_dwordx2 v[4:5], v[2:3], off
	s_movk_i32 s0, 0xffe0
	s_waitcnt vmcnt(0)
	v_trunc_f64_e32 v[4:5], v[4:5]
	v_ldexp_f64 v[6:7], v[4:5], s0
	s_mov_b32 s0, 0
	s_mov_b32 s1, 0xc1f00000
	v_floor_f64_e32 v[6:7], v[6:7]
	v_fma_f64 v[4:5], v[6:7], s[0:1], v[4:5]
	s_mov_b64 s[0:1], 0
	v_cvt_u32_f64_e32 v4, v[4:5]
	s_branch .LBB143_627
.LBB143_625:
	s_mov_b64 s[0:1], -1
                                        ; implicit-def: $vgpr4
	s_branch .LBB143_630
.LBB143_626:
	s_mov_b64 s[0:1], -1
                                        ; implicit-def: $vgpr4
.LBB143_627:
	s_andn2_b64 vcc, exec, s[0:1]
	s_cbranch_vccnz .LBB143_629
; %bb.628:
	global_load_dword v4, v[2:3], off
	s_mov_b32 s0, 0x2f800000
	s_waitcnt vmcnt(0)
	v_trunc_f32_e32 v4, v4
	v_mul_f32_e64 v5, |v4|, s0
	v_floor_f32_e32 v5, v5
	s_mov_b32 s0, 0xcf800000
	v_fma_f32 v5, v5, s0, |v4|
	v_cvt_u32_f32_e32 v5, v5
	v_ashrrev_i32_e32 v4, 31, v4
	v_xor_b32_e32 v5, v5, v4
	v_sub_u32_e32 v4, v5, v4
.LBB143_629:
	s_mov_b64 s[0:1], 0
.LBB143_630:
	s_andn2_b64 vcc, exec, s[0:1]
	s_cbranch_vccnz .LBB143_632
; %bb.631:
	global_load_ushort v4, v[2:3], off
	s_waitcnt vmcnt(0)
	v_cvt_f32_f16_e32 v4, v4
	v_cvt_i32_f32_e32 v4, v4
.LBB143_632:
	s_mov_b64 s[0:1], 0
.LBB143_633:
	s_andn2_b64 vcc, exec, s[0:1]
	s_cbranch_vccnz .LBB143_653
; %bb.634:
	s_cmp_lt_i32 s48, 2
	s_cbranch_scc1 .LBB143_638
; %bb.635:
	s_cmp_lt_i32 s48, 3
	s_cbranch_scc1 .LBB143_639
; %bb.636:
	s_cmp_gt_i32 s48, 3
	s_cbranch_scc0 .LBB143_640
; %bb.637:
	global_load_dwordx2 v[4:5], v[2:3], off
	s_mov_b64 s[0:1], 0
	s_branch .LBB143_641
.LBB143_638:
	s_mov_b64 s[0:1], -1
                                        ; implicit-def: $vgpr4
	s_branch .LBB143_647
.LBB143_639:
	s_mov_b64 s[0:1], -1
                                        ; implicit-def: $vgpr4
	s_branch .LBB143_644
.LBB143_640:
	s_mov_b64 s[0:1], -1
                                        ; implicit-def: $vgpr4
.LBB143_641:
	s_andn2_b64 vcc, exec, s[0:1]
	s_cbranch_vccnz .LBB143_643
; %bb.642:
	global_load_dword v4, v[2:3], off
.LBB143_643:
	s_mov_b64 s[0:1], 0
.LBB143_644:
	s_andn2_b64 vcc, exec, s[0:1]
	s_cbranch_vccnz .LBB143_646
; %bb.645:
	global_load_ushort v4, v[2:3], off
.LBB143_646:
	s_mov_b64 s[0:1], 0
.LBB143_647:
	s_andn2_b64 vcc, exec, s[0:1]
	s_cbranch_vccnz .LBB143_653
; %bb.648:
	s_cmp_gt_i32 s48, 0
	s_cbranch_scc0 .LBB143_650
; %bb.649:
	global_load_ubyte v4, v[2:3], off
	s_mov_b64 s[0:1], 0
	s_branch .LBB143_651
.LBB143_650:
	s_mov_b64 s[0:1], -1
                                        ; implicit-def: $vgpr4
.LBB143_651:
	s_andn2_b64 vcc, exec, s[0:1]
	s_cbranch_vccnz .LBB143_653
; %bb.652:
	global_load_ubyte v4, v[2:3], off
.LBB143_653:
	s_mov_b64 s[0:1], -1
.LBB143_654:
	s_andn2_b64 vcc, exec, s[0:1]
	s_cbranch_vccnz .LBB143_662
; %bb.655:
	v_mov_b32_e32 v2, 8
	s_waitcnt vmcnt(0)
	v_lshrrev_b16_sdwa v1, v4, v1 dst_sel:DWORD dst_unused:UNUSED_PAD src0_sel:BYTE_0 src1_sel:BYTE_0
	v_cmp_lt_u16_sdwa vcc, v4, v2 src0_sel:BYTE_0 src1_sel:DWORD
	v_cndmask_b32_e32 v2, 0, v1, vcc
	v_mov_b32_e32 v1, s9
	s_and_b32 s56, s69, 0xff
	v_add_co_u32_e32 v0, vcc, s8, v0
	s_cmp_lt_i32 s56, 11
	v_addc_co_u32_e32 v1, vcc, 0, v1, vcc
	s_cbranch_scc1 .LBB143_663
; %bb.656:
	s_and_b32 s57, 0xffff, s56
	s_cmp_gt_i32 s57, 25
	s_cbranch_scc0 .LBB143_664
; %bb.657:
	s_cmp_gt_i32 s57, 28
	s_cbranch_scc0 .LBB143_665
; %bb.658:
	;; [unrolled: 3-line block ×4, first 2 shown]
	s_mov_b64 s[52:53], 0
	s_mov_b64 s[0:1], -1
	s_cmp_eq_u32 s57, 46
	s_mov_b64 s[48:49], 0
	s_cbranch_scc0 .LBB143_668
; %bb.661:
	v_cvt_f32_ubyte0_e32 v3, v2
	v_bfe_u32 v4, v3, 16, 1
	s_movk_i32 s0, 0x7fff
	v_add3_u32 v3, v3, v4, s0
	v_lshrrev_b32_e32 v3, 16, v3
	global_store_dword v[0:1], v3, off
	s_mov_b64 s[48:49], -1
	s_mov_b64 s[0:1], 0
	s_branch .LBB143_668
.LBB143_662:
	s_mov_b64 s[52:53], 0
                                        ; implicit-def: $vgpr10
	s_mov_b64 s[0:1], s[36:37]
	s_branch .LBB143_778
.LBB143_663:
	s_mov_b64 s[52:53], -1
	s_mov_b64 s[48:49], 0
	s_mov_b64 s[0:1], s[36:37]
	s_branch .LBB143_737
.LBB143_664:
	s_mov_b64 s[52:53], -1
	s_mov_b64 s[48:49], 0
	s_mov_b64 s[0:1], s[36:37]
	s_branch .LBB143_695
.LBB143_665:
	s_mov_b64 s[52:53], -1
	s_mov_b64 s[48:49], 0
	s_mov_b64 s[0:1], s[36:37]
	s_branch .LBB143_678
.LBB143_666:
	s_mov_b64 s[52:53], -1
	s_mov_b64 s[48:49], 0
	s_mov_b64 s[0:1], s[36:37]
	s_branch .LBB143_674
.LBB143_667:
	s_mov_b64 s[52:53], -1
	s_mov_b64 s[48:49], 0
	s_mov_b64 s[0:1], s[36:37]
.LBB143_668:
	s_and_b64 vcc, exec, s[52:53]
	s_cbranch_vccz .LBB143_673
; %bb.669:
	s_cmp_eq_u32 s57, 44
	s_mov_b64 s[0:1], -1
	s_cbranch_scc0 .LBB143_673
; %bb.670:
	v_cvt_f32_ubyte0_e32 v4, v2
	v_lshrrev_b32_e32 v3, 23, v4
	s_movk_i32 s0, 0xff
	v_cmp_ne_u32_e32 vcc, s0, v3
	v_mov_b32_e32 v5, 0xff
	s_and_saveexec_b64 s[48:49], vcc
; %bb.671:
	s_mov_b32 s0, 0x3fffff
	v_and_b32_e32 v5, 0x400000, v4
	v_and_or_b32 v4, v4, s0, v3
	v_cmp_ne_u32_e32 vcc, 0, v5
	v_cmp_ne_u32_e64 s[0:1], 0, v4
	s_and_b64 s[0:1], vcc, s[0:1]
	v_cndmask_b32_e64 v4, 0, 1, s[0:1]
	v_add_u32_e32 v5, v3, v4
; %bb.672:
	s_or_b64 exec, exec, s[48:49]
	s_mov_b64 s[48:49], -1
	s_mov_b64 s[0:1], 0
	global_store_byte v[0:1], v5, off
.LBB143_673:
	s_mov_b64 s[52:53], 0
.LBB143_674:
	s_and_b64 vcc, exec, s[52:53]
	s_cbranch_vccz .LBB143_677
; %bb.675:
	s_cmp_eq_u32 s57, 29
	s_mov_b64 s[0:1], -1
	s_cbranch_scc0 .LBB143_677
; %bb.676:
	s_mov_b32 s0, 0
	v_and_b32_e32 v3, 0xffff, v2
	v_mov_b32_e32 v4, s0
	global_store_dwordx2 v[0:1], v[3:4], off
	s_mov_b64 s[48:49], -1
	s_mov_b64 s[0:1], 0
.LBB143_677:
	s_mov_b64 s[52:53], 0
.LBB143_678:
	s_and_b64 vcc, exec, s[52:53]
	s_cbranch_vccz .LBB143_694
; %bb.679:
	s_cmp_lt_i32 s57, 27
	s_mov_b64 s[48:49], -1
	s_cbranch_scc1 .LBB143_685
; %bb.680:
	s_cmp_gt_i32 s57, 27
	s_cbranch_scc0 .LBB143_682
; %bb.681:
	v_and_b32_e32 v3, 0xffff, v2
	s_mov_b64 s[48:49], 0
	global_store_dword v[0:1], v3, off
.LBB143_682:
	s_andn2_b64 vcc, exec, s[48:49]
	s_cbranch_vccnz .LBB143_684
; %bb.683:
	global_store_short v[0:1], v2, off
.LBB143_684:
	s_mov_b64 s[48:49], 0
.LBB143_685:
	s_andn2_b64 vcc, exec, s[48:49]
	s_cbranch_vccnz .LBB143_693
; %bb.686:
	v_cvt_f32_ubyte0_e32 v4, v2
	s_mov_b32 s48, 0x43800000
	v_cmp_gt_u32_e32 vcc, s48, v4
	v_mov_b32_e32 v5, 0x80
	s_and_saveexec_b64 s[48:49], vcc
	s_cbranch_execz .LBB143_692
; %bb.687:
	s_mov_b32 s52, 0x3bffffff
	v_cmp_lt_u32_e32 vcc, s52, v4
	s_mov_b64 s[52:53], 0
                                        ; implicit-def: $vgpr3
	s_and_saveexec_b64 s[54:55], vcc
	s_xor_b64 s[54:55], exec, s[54:55]
	s_cbranch_execz .LBB143_806
; %bb.688:
	v_bfe_u32 v3, v4, 20, 1
	s_mov_b32 s58, 0x487ffff
	v_add3_u32 v3, v4, v3, s58
	s_mov_b64 s[52:53], exec
	v_lshrrev_b32_e32 v3, 20, v3
                                        ; implicit-def: $vgpr4
	s_andn2_saveexec_b64 s[54:55], s[54:55]
	s_cbranch_execnz .LBB143_807
.LBB143_689:
	s_or_b64 exec, exec, s[54:55]
	v_mov_b32_e32 v5, 0
	s_and_saveexec_b64 s[54:55], s[52:53]
.LBB143_690:
	v_mov_b32_e32 v5, v3
.LBB143_691:
	s_or_b64 exec, exec, s[54:55]
.LBB143_692:
	s_or_b64 exec, exec, s[48:49]
	global_store_byte v[0:1], v5, off
.LBB143_693:
	s_mov_b64 s[48:49], -1
.LBB143_694:
	s_mov_b64 s[52:53], 0
.LBB143_695:
	s_and_b64 vcc, exec, s[52:53]
	s_cbranch_vccz .LBB143_736
; %bb.696:
	s_cmp_gt_i32 s57, 22
	s_mov_b64 s[52:53], -1
	s_cbranch_scc0 .LBB143_728
; %bb.697:
	s_cmp_lt_i32 s57, 24
	s_mov_b64 s[48:49], -1
	s_cbranch_scc1 .LBB143_717
; %bb.698:
	s_cmp_gt_i32 s57, 24
	s_cbranch_scc0 .LBB143_706
; %bb.699:
	v_cvt_f32_ubyte0_e32 v4, v2
	s_mov_b32 s48, 0x47800000
	v_cmp_gt_u32_e32 vcc, s48, v4
	v_mov_b32_e32 v5, 0x80
	s_and_saveexec_b64 s[48:49], vcc
	s_cbranch_execz .LBB143_705
; %bb.700:
	s_mov_b32 s52, 0x37ffffff
	v_cmp_lt_u32_e32 vcc, s52, v4
	s_mov_b64 s[52:53], 0
                                        ; implicit-def: $vgpr3
	s_and_saveexec_b64 s[54:55], vcc
	s_xor_b64 s[54:55], exec, s[54:55]
	s_cbranch_execz .LBB143_934
; %bb.701:
	v_bfe_u32 v3, v4, 21, 1
	s_mov_b32 s58, 0x88fffff
	v_add3_u32 v3, v4, v3, s58
	s_mov_b64 s[52:53], exec
	v_lshrrev_b32_e32 v3, 21, v3
                                        ; implicit-def: $vgpr4
	s_andn2_saveexec_b64 s[54:55], s[54:55]
	s_cbranch_execnz .LBB143_935
.LBB143_702:
	s_or_b64 exec, exec, s[54:55]
	v_mov_b32_e32 v5, 0
	s_and_saveexec_b64 s[54:55], s[52:53]
.LBB143_703:
	v_mov_b32_e32 v5, v3
.LBB143_704:
	s_or_b64 exec, exec, s[54:55]
.LBB143_705:
	s_or_b64 exec, exec, s[48:49]
	s_mov_b64 s[48:49], 0
	global_store_byte v[0:1], v5, off
.LBB143_706:
	s_and_b64 vcc, exec, s[48:49]
	s_cbranch_vccz .LBB143_716
; %bb.707:
	v_cvt_f32_ubyte0_e32 v3, v2
	s_mov_b32 s48, 0x43f00000
	v_cmp_gt_u32_e32 vcc, s48, v3
                                        ; implicit-def: $vgpr4
	s_and_saveexec_b64 s[48:49], vcc
	s_xor_b64 s[48:49], exec, s[48:49]
	s_cbranch_execz .LBB143_713
; %bb.708:
	s_mov_b32 s52, 0x3c7fffff
	v_cmp_lt_u32_e32 vcc, s52, v3
                                        ; implicit-def: $vgpr4
	s_and_saveexec_b64 s[52:53], vcc
	s_xor_b64 s[52:53], exec, s[52:53]
; %bb.709:
	v_bfe_u32 v4, v3, 20, 1
	s_mov_b32 s54, 0x407ffff
	v_add3_u32 v3, v3, v4, s54
	v_lshrrev_b32_e32 v4, 20, v3
	v_and_b32_e32 v3, 0xff00000, v3
	s_mov_b32 s54, 0x7f00000
	v_mov_b32_e32 v5, 0x7e
	v_cmp_ne_u32_e32 vcc, s54, v3
	v_cndmask_b32_e32 v4, v5, v4, vcc
                                        ; implicit-def: $vgpr3
; %bb.710:
	s_andn2_saveexec_b64 s[52:53], s[52:53]
; %bb.711:
	v_add_f32_e32 v4, 0x46800000, v3
; %bb.712:
	s_or_b64 exec, exec, s[52:53]
                                        ; implicit-def: $vgpr3
.LBB143_713:
	s_andn2_saveexec_b64 s[48:49], s[48:49]
; %bb.714:
	s_mov_b32 s52, 0x7f800000
	v_mov_b32_e32 v4, 0x7e
	v_mov_b32_e32 v5, 0x7f
	v_cmp_lt_u32_e32 vcc, s52, v3
	v_cndmask_b32_e32 v4, v4, v5, vcc
; %bb.715:
	s_or_b64 exec, exec, s[48:49]
	global_store_byte v[0:1], v4, off
.LBB143_716:
	s_mov_b64 s[48:49], 0
.LBB143_717:
	s_andn2_b64 vcc, exec, s[48:49]
	s_cbranch_vccnz .LBB143_727
; %bb.718:
	v_cvt_f32_ubyte0_e32 v3, v2
	s_mov_b32 s48, 0x47800000
	v_cmp_gt_u32_e32 vcc, s48, v3
                                        ; implicit-def: $vgpr4
	s_and_saveexec_b64 s[48:49], vcc
	s_xor_b64 s[48:49], exec, s[48:49]
	s_cbranch_execz .LBB143_724
; %bb.719:
	s_mov_b32 s52, 0x387fffff
	v_cmp_lt_u32_e32 vcc, s52, v3
                                        ; implicit-def: $vgpr4
	s_and_saveexec_b64 s[52:53], vcc
	s_xor_b64 s[52:53], exec, s[52:53]
; %bb.720:
	v_bfe_u32 v4, v3, 21, 1
	s_mov_b32 s54, 0x80fffff
	v_add3_u32 v3, v3, v4, s54
	v_lshrrev_b32_e32 v4, 21, v3
                                        ; implicit-def: $vgpr3
; %bb.721:
	s_andn2_saveexec_b64 s[52:53], s[52:53]
; %bb.722:
	v_add_f32_e32 v4, 0x43000000, v3
; %bb.723:
	s_or_b64 exec, exec, s[52:53]
                                        ; implicit-def: $vgpr3
.LBB143_724:
	s_andn2_saveexec_b64 s[48:49], s[48:49]
; %bb.725:
	s_mov_b32 s52, 0x7f800000
	v_mov_b32_e32 v4, 0x7c
	v_mov_b32_e32 v5, 0x7f
	v_cmp_lt_u32_e32 vcc, s52, v3
	v_cndmask_b32_e32 v4, v4, v5, vcc
; %bb.726:
	s_or_b64 exec, exec, s[48:49]
	global_store_byte v[0:1], v4, off
.LBB143_727:
	s_mov_b64 s[52:53], 0
	s_mov_b64 s[48:49], -1
.LBB143_728:
	s_andn2_b64 vcc, exec, s[52:53]
	s_cbranch_vccnz .LBB143_736
; %bb.729:
	s_cmp_gt_i32 s57, 14
	s_mov_b64 s[52:53], -1
	s_cbranch_scc0 .LBB143_733
; %bb.730:
	s_cmp_eq_u32 s57, 15
	s_mov_b64 s[0:1], -1
	s_cbranch_scc0 .LBB143_732
; %bb.731:
	v_cvt_f32_ubyte0_e32 v3, v2
	v_bfe_u32 v4, v3, 16, 1
	s_movk_i32 s0, 0x7fff
	v_add3_u32 v3, v3, v4, s0
	global_store_short_d16_hi v[0:1], v3, off
	s_mov_b64 s[48:49], -1
	s_mov_b64 s[0:1], 0
.LBB143_732:
	s_mov_b64 s[52:53], 0
.LBB143_733:
	s_and_b64 vcc, exec, s[52:53]
	s_cbranch_vccz .LBB143_736
; %bb.734:
	s_cmp_eq_u32 s57, 11
	s_mov_b64 s[0:1], -1
	s_cbranch_scc0 .LBB143_736
; %bb.735:
	v_cmp_ne_u16_e32 vcc, 0, v2
	v_cndmask_b32_e64 v3, 0, 1, vcc
	s_mov_b64 s[48:49], -1
	s_mov_b64 s[0:1], 0
	global_store_byte v[0:1], v3, off
.LBB143_736:
	s_mov_b64 s[52:53], 0
.LBB143_737:
	s_and_b64 vcc, exec, s[52:53]
	s_cbranch_vccz .LBB143_776
; %bb.738:
	s_and_b32 s52, 0xffff, s56
	s_cmp_lt_i32 s52, 5
	s_mov_b64 s[48:49], -1
	s_cbranch_scc1 .LBB143_759
; %bb.739:
	s_cmp_lt_i32 s52, 8
	s_cbranch_scc1 .LBB143_749
; %bb.740:
	s_cmp_lt_i32 s52, 9
	s_cbranch_scc1 .LBB143_746
; %bb.741:
	s_cmp_gt_i32 s52, 9
	s_cbranch_scc0 .LBB143_743
; %bb.742:
	v_and_b32_e32 v3, 0xffff, v2
	v_cvt_f64_u32_e32 v[3:4], v3
	v_mov_b32_e32 v5, 0
	v_mov_b32_e32 v6, v5
	s_mov_b64 s[48:49], 0
	global_store_dwordx4 v[0:1], v[3:6], off
.LBB143_743:
	s_andn2_b64 vcc, exec, s[48:49]
	s_cbranch_vccnz .LBB143_745
; %bb.744:
	v_cvt_f32_ubyte0_e32 v3, v2
	v_mov_b32_e32 v4, 0
	global_store_dwordx2 v[0:1], v[3:4], off
.LBB143_745:
	s_mov_b64 s[48:49], 0
.LBB143_746:
	s_andn2_b64 vcc, exec, s[48:49]
	s_cbranch_vccnz .LBB143_748
; %bb.747:
	v_cvt_f16_u16_e32 v3, v2
	global_store_dword v[0:1], v3, off
.LBB143_748:
	s_mov_b64 s[48:49], 0
.LBB143_749:
	s_andn2_b64 vcc, exec, s[48:49]
	s_cbranch_vccnz .LBB143_758
; %bb.750:
	s_cmp_lt_i32 s52, 6
	s_mov_b64 s[48:49], -1
	s_cbranch_scc1 .LBB143_756
; %bb.751:
	s_cmp_gt_i32 s52, 6
	s_cbranch_scc0 .LBB143_753
; %bb.752:
	v_and_b32_e32 v3, 0xffff, v2
	v_cvt_f64_u32_e32 v[3:4], v3
	s_mov_b64 s[48:49], 0
	global_store_dwordx2 v[0:1], v[3:4], off
.LBB143_753:
	s_andn2_b64 vcc, exec, s[48:49]
	s_cbranch_vccnz .LBB143_755
; %bb.754:
	v_cvt_f32_ubyte0_e32 v3, v2
	global_store_dword v[0:1], v3, off
.LBB143_755:
	s_mov_b64 s[48:49], 0
.LBB143_756:
	s_andn2_b64 vcc, exec, s[48:49]
	s_cbranch_vccnz .LBB143_758
; %bb.757:
	v_cvt_f16_u16_e32 v3, v2
	global_store_short v[0:1], v3, off
.LBB143_758:
	s_mov_b64 s[48:49], 0
.LBB143_759:
	s_andn2_b64 vcc, exec, s[48:49]
	s_cbranch_vccnz .LBB143_775
; %bb.760:
	s_cmp_lt_i32 s52, 2
	s_mov_b64 s[48:49], -1
	s_cbranch_scc1 .LBB143_770
; %bb.761:
	s_cmp_lt_i32 s52, 3
	s_cbranch_scc1 .LBB143_767
; %bb.762:
	s_cmp_gt_i32 s52, 3
	s_cbranch_scc0 .LBB143_764
; %bb.763:
	s_mov_b32 s48, 0
	v_and_b32_e32 v3, 0xffff, v2
	v_mov_b32_e32 v4, s48
	s_mov_b64 s[48:49], 0
	global_store_dwordx2 v[0:1], v[3:4], off
.LBB143_764:
	s_andn2_b64 vcc, exec, s[48:49]
	s_cbranch_vccnz .LBB143_766
; %bb.765:
	v_and_b32_e32 v3, 0xffff, v2
	global_store_dword v[0:1], v3, off
.LBB143_766:
	s_mov_b64 s[48:49], 0
.LBB143_767:
	s_andn2_b64 vcc, exec, s[48:49]
	s_cbranch_vccnz .LBB143_769
; %bb.768:
	global_store_short v[0:1], v2, off
.LBB143_769:
	s_mov_b64 s[48:49], 0
.LBB143_770:
	s_andn2_b64 vcc, exec, s[48:49]
	s_cbranch_vccnz .LBB143_775
; %bb.771:
	s_cmp_gt_i32 s52, 0
	s_mov_b64 s[48:49], -1
	s_cbranch_scc0 .LBB143_773
; %bb.772:
	s_mov_b64 s[48:49], 0
	global_store_byte v[0:1], v2, off
.LBB143_773:
	s_andn2_b64 vcc, exec, s[48:49]
	s_cbranch_vccnz .LBB143_775
; %bb.774:
	global_store_byte v[0:1], v2, off
.LBB143_775:
	s_mov_b64 s[48:49], -1
.LBB143_776:
	s_andn2_b64 vcc, exec, s[48:49]
	s_cbranch_vccnz .LBB143_788
; %bb.777:
	v_add_u32_e32 v10, 0x80, v10
	s_mov_b64 s[52:53], -1
.LBB143_778:
	s_andn2_b64 s[48:49], s[36:37], exec
	s_and_b64 s[0:1], s[0:1], exec
	s_or_b64 s[48:49], s[48:49], s[0:1]
	s_andn2_b64 s[0:1], s[38:39], exec
	s_and_b64 s[46:47], s[46:47], exec
	s_or_b64 s[46:47], s[0:1], s[46:47]
	;; [unrolled: 3-line block ×3, first 2 shown]
	s_orn2_b64 s[0:1], s[52:53], exec
.LBB143_779:
	s_or_b64 exec, exec, s[50:51]
	s_mov_b64 s[52:53], 0
	s_mov_b64 s[54:55], 0
	;; [unrolled: 1-line block ×3, first 2 shown]
                                        ; implicit-def: $sgpr73
                                        ; implicit-def: $vgpr4_vgpr5
                                        ; implicit-def: $vgpr0
                                        ; implicit-def: $vgpr3
                                        ; implicit-def: $vgpr1
	s_and_saveexec_b64 s[50:51], s[0:1]
	s_cbranch_execz .LBB143_1264
; %bb.780:
	v_cmp_gt_i32_e32 vcc, s66, v10
	s_mov_b64 s[64:65], -1
	s_mov_b64 s[0:1], s[44:45]
	s_mov_b64 s[56:57], s[46:47]
	;; [unrolled: 1-line block ×3, first 2 shown]
	s_and_saveexec_b64 s[52:53], vcc
	s_cbranch_execz .LBB143_1172
; %bb.781:
	s_andn2_b64 vcc, exec, s[20:21]
	s_cbranch_vccnz .LBB143_787
; %bb.782:
	s_andn2_b64 vcc, exec, s[34:35]
	s_cbranch_vccnz .LBB143_789
; %bb.783:
	s_add_i32 s0, s72, 1
	s_and_b32 s54, s0, 30
	s_add_u32 s0, s2, 0xffffffe8
	s_addc_u32 s1, s3, -1
	v_mov_b32_e32 v3, 0
	s_waitcnt vmcnt(0)
	v_mov_b32_e32 v5, 0
	v_mov_b32_e32 v0, 0
	;; [unrolled: 1-line block ×3, first 2 shown]
.LBB143_784:                            ; =>This Inner Loop Header: Depth=1
	s_load_dwordx4 s[56:59], s[0:1], 0x1c
	s_load_dwordx2 s[64:65], s[0:1], 0x2c
	s_load_dwordx2 s[74:75], s[0:1], 0xec
	s_load_dwordx4 s[60:63], s[0:1], 0xdc
	s_add_u32 s0, s0, 24
	s_waitcnt lgkmcnt(0)
	v_mul_hi_u32 v2, s57, v1
	s_addc_u32 s1, s1, 0
	s_add_i32 s54, s54, -2
	s_cmp_eq_u32 s54, 0
	v_add_u32_e32 v2, v1, v2
	v_lshrrev_b32_e32 v2, s58, v2
	v_mul_lo_u32 v4, v2, s56
	v_mul_hi_u32 v6, s64, v2
	v_sub_u32_e32 v4, v1, v4
	v_add_u32_e32 v1, v2, v6
	v_lshrrev_b32_e32 v1, s65, v1
	v_mul_lo_u32 v8, v1, s59
	v_mul_lo_u32 v6, v4, s60
	;; [unrolled: 1-line block ×4, first 2 shown]
	v_sub_u32_e32 v2, v2, v8
	v_mul_lo_u32 v8, v2, s63
	v_mul_lo_u32 v9, v2, s74
	;; [unrolled: 1-line block ×3, first 2 shown]
	v_add3_u32 v0, v6, v0, v8
	v_add3_u32 v5, v7, v5, v9
	;; [unrolled: 1-line block ×3, first 2 shown]
	s_cbranch_scc0 .LBB143_784
; %bb.785:
	s_bitcmp1_b32 s72, 0
	s_cselect_b64 s[54:55], -1, 0
	s_and_b64 vcc, exec, s[54:55]
	s_cbranch_vccnz .LBB143_790
; %bb.786:
	s_load_dwordx2 s[54:55], s[0:1], 0x1c
	s_load_dword s58, s[0:1], 0x24
	s_load_dwordx2 s[56:57], s[0:1], 0xdc
	s_waitcnt lgkmcnt(0)
	v_mul_hi_u32 v2, s55, v1
	v_add_u32_e32 v2, v1, v2
	v_lshrrev_b32_e32 v2, s58, v2
	v_mul_lo_u32 v2, v2, s54
	s_load_dword s54, s[0:1], 0xe4
	v_sub_u32_e32 v2, v1, v2
	v_mad_u64_u32 v[0:1], s[0:1], v2, s56, v[0:1]
	v_mad_u64_u32 v[5:6], s[0:1], v2, s57, v[5:6]
	s_waitcnt lgkmcnt(0)
	v_mad_u64_u32 v[3:4], s[0:1], v2, s54, v[3:4]
	s_branch .LBB143_790
.LBB143_787:
	s_mov_b64 s[0:1], -1
                                        ; implicit-def: $vgpr0
                                        ; implicit-def: $vgpr5
                                        ; implicit-def: $vgpr3
	s_branch .LBB143_791
.LBB143_788:
	s_mov_b64 s[52:53], 0
	s_branch .LBB143_540
.LBB143_789:
	v_mov_b32_e32 v0, 0
	s_waitcnt vmcnt(0)
	v_mov_b32_e32 v5, 0
	v_mov_b32_e32 v3, 0
.LBB143_790:
	s_mov_b64 s[0:1], 0
.LBB143_791:
	s_andn2_b64 vcc, exec, s[0:1]
	s_cbranch_vccnz .LBB143_794
; %bb.792:
	s_waitcnt lgkmcnt(0)
	v_mul_hi_u32 v0, s17, v10
	s_andn2_b64 vcc, exec, s[30:31]
	v_add_u32_e32 v0, v10, v0
	s_waitcnt vmcnt(0)
	v_lshrrev_b32_e32 v1, s18, v0
	v_mul_lo_u32 v0, v1, s16
	v_sub_u32_e32 v2, v10, v0
	v_mul_lo_u32 v0, v2, s12
	v_mul_lo_u32 v5, v2, s13
	;; [unrolled: 1-line block ×3, first 2 shown]
	s_cbranch_vccnz .LBB143_794
; %bb.793:
	v_mul_hi_u32 v2, s28, v1
	v_add_u32_e32 v2, v1, v2
	v_lshrrev_b32_e32 v2, s29, v2
	v_mul_lo_u32 v2, v2, s19
	v_sub_u32_e32 v2, v1, v2
	v_mad_u64_u32 v[0:1], s[0:1], v2, s15, v[0:1]
	v_mad_u64_u32 v[5:6], s[0:1], v2, s26, v[5:6]
	;; [unrolled: 1-line block ×3, first 2 shown]
.LBB143_794:
	s_waitcnt vmcnt(0) lgkmcnt(0)
	v_mov_b32_e32 v1, s11
	s_and_b32 s58, s71, 0xff
	v_add_co_u32_e32 v4, vcc, s10, v5
	s_cmp_lt_i32 s58, 11
	v_addc_co_u32_e32 v5, vcc, 0, v1, vcc
	s_cbranch_scc1 .LBB143_801
; %bb.795:
	s_and_b32 s59, 0xffff, s58
	s_cmp_gt_i32 s59, 25
	s_cbranch_scc0 .LBB143_802
; %bb.796:
	s_cmp_gt_i32 s59, 28
	s_cbranch_scc0 .LBB143_803
; %bb.797:
	;; [unrolled: 3-line block ×4, first 2 shown]
	s_cmp_eq_u32 s59, 46
	s_mov_b64 s[56:57], 0
	s_cbranch_scc0 .LBB143_808
; %bb.800:
	global_load_dword v1, v[4:5], off
	s_mov_b32 s0, 0x2f800000
	s_mov_b32 s1, 0xcf800000
	s_mov_b64 s[54:55], 0
	s_waitcnt vmcnt(0)
	v_lshlrev_b32_e32 v1, 16, v1
	v_trunc_f32_e32 v1, v1
	v_mul_f32_e64 v2, |v1|, s0
	v_floor_f32_e32 v2, v2
	v_fma_f32 v2, v2, s1, |v1|
	v_cvt_u32_f32_e32 v2, v2
	v_ashrrev_i32_e32 v1, 31, v1
	s_mov_b64 s[0:1], -1
	v_xor_b32_e32 v2, v2, v1
	v_sub_u32_e32 v1, v2, v1
	s_branch .LBB143_809
.LBB143_801:
	s_mov_b64 s[56:57], -1
	s_mov_b64 s[0:1], 0
                                        ; implicit-def: $vgpr1
	s_mov_b64 s[54:55], s[44:45]
	s_branch .LBB143_870
.LBB143_802:
	s_mov_b64 s[56:57], -1
	s_mov_b64 s[0:1], 0
	s_mov_b64 s[54:55], s[44:45]
                                        ; implicit-def: $vgpr1
	s_branch .LBB143_836
.LBB143_803:
	s_mov_b64 s[56:57], -1
	s_mov_b64 s[0:1], 0
	s_mov_b64 s[54:55], s[44:45]
                                        ; implicit-def: $vgpr1
	s_branch .LBB143_819
.LBB143_804:
	s_mov_b64 s[56:57], -1
	s_mov_b64 s[0:1], 0
	s_mov_b64 s[54:55], s[44:45]
                                        ; implicit-def: $vgpr1
	s_branch .LBB143_814
.LBB143_805:
	s_mov_b64 s[56:57], -1
	s_mov_b64 s[0:1], 0
	s_mov_b64 s[54:55], s[44:45]
                                        ; implicit-def: $vgpr1
	s_branch .LBB143_809
.LBB143_806:
	s_andn2_saveexec_b64 s[54:55], s[54:55]
	s_cbranch_execz .LBB143_689
.LBB143_807:
	v_add_f32_e32 v3, 0x46000000, v4
	v_and_b32_e32 v3, 0xff, v3
	v_cmp_ne_u32_e32 vcc, 0, v3
	s_andn2_b64 s[52:53], s[52:53], exec
	s_and_b64 s[58:59], vcc, exec
	s_or_b64 s[52:53], s[52:53], s[58:59]
	s_or_b64 exec, exec, s[54:55]
	v_mov_b32_e32 v5, 0
	s_and_saveexec_b64 s[54:55], s[52:53]
	s_cbranch_execnz .LBB143_690
	s_branch .LBB143_691
.LBB143_808:
	s_mov_b64 s[54:55], -1
                                        ; implicit-def: $vgpr1
	s_mov_b64 s[0:1], 0
.LBB143_809:
	s_and_b64 vcc, exec, s[56:57]
	s_cbranch_vccz .LBB143_813
; %bb.810:
	s_cmp_eq_u32 s59, 44
	s_cbranch_scc0 .LBB143_812
; %bb.811:
	global_load_ubyte v1, v[4:5], off
	s_mov_b32 s0, 0x2f800000
	s_mov_b32 s1, 0xcf800000
	s_mov_b64 s[54:55], 0
	s_waitcnt vmcnt(0)
	v_lshlrev_b32_e32 v2, 23, v1
	v_trunc_f32_e32 v2, v2
	v_mul_f32_e64 v6, |v2|, s0
	v_floor_f32_e32 v6, v6
	v_fma_f32 v6, v6, s1, |v2|
	v_cvt_u32_f32_e32 v6, v6
	v_ashrrev_i32_e32 v2, 31, v2
	v_cmp_ne_u32_e32 vcc, 0, v1
	s_mov_b64 s[0:1], -1
	v_xor_b32_e32 v6, v6, v2
	v_sub_u32_e32 v2, v6, v2
	v_cndmask_b32_e32 v1, 0, v2, vcc
	s_branch .LBB143_813
.LBB143_812:
	s_mov_b64 s[54:55], -1
                                        ; implicit-def: $vgpr1
.LBB143_813:
	s_mov_b64 s[56:57], 0
.LBB143_814:
	s_and_b64 vcc, exec, s[56:57]
	s_cbranch_vccz .LBB143_818
; %bb.815:
	s_cmp_eq_u32 s59, 29
	s_cbranch_scc0 .LBB143_817
; %bb.816:
	global_load_dwordx2 v[1:2], v[4:5], off
	s_mov_b64 s[0:1], -1
	s_mov_b64 s[54:55], 0
	s_branch .LBB143_818
.LBB143_817:
	s_mov_b64 s[54:55], -1
                                        ; implicit-def: $vgpr1
.LBB143_818:
	s_mov_b64 s[56:57], 0
.LBB143_819:
	s_and_b64 vcc, exec, s[56:57]
	s_cbranch_vccz .LBB143_835
; %bb.820:
	s_cmp_lt_i32 s59, 27
	s_cbranch_scc1 .LBB143_823
; %bb.821:
	s_cmp_gt_i32 s59, 27
	s_cbranch_scc0 .LBB143_824
; %bb.822:
	global_load_dword v1, v[4:5], off
	s_mov_b64 s[0:1], 0
	s_branch .LBB143_825
.LBB143_823:
	s_mov_b64 s[0:1], -1
                                        ; implicit-def: $vgpr1
	s_branch .LBB143_828
.LBB143_824:
	s_mov_b64 s[0:1], -1
                                        ; implicit-def: $vgpr1
.LBB143_825:
	s_andn2_b64 vcc, exec, s[0:1]
	s_cbranch_vccnz .LBB143_827
; %bb.826:
	global_load_ushort v1, v[4:5], off
.LBB143_827:
	s_mov_b64 s[0:1], 0
.LBB143_828:
	s_andn2_b64 vcc, exec, s[0:1]
	s_cbranch_vccnz .LBB143_834
; %bb.829:
	global_load_ubyte v2, v[4:5], off
	s_movk_i32 s0, 0x7f
	s_mov_b64 s[56:57], 0
	s_waitcnt vmcnt(0)
	v_cmp_lt_i16_e32 vcc, s0, v2
	s_and_saveexec_b64 s[0:1], vcc
	s_xor_b64 s[0:1], exec, s[0:1]
	s_cbranch_execz .LBB143_846
; %bb.830:
	s_movk_i32 s56, 0x80
	v_cmp_ne_u16_e32 vcc, s56, v2
	s_and_b64 s[56:57], vcc, exec
	s_andn2_saveexec_b64 s[0:1], s[0:1]
	s_cbranch_execnz .LBB143_847
.LBB143_831:
	s_or_b64 exec, exec, s[0:1]
	v_mov_b32_e32 v1, 0
	s_and_saveexec_b64 s[0:1], s[56:57]
	s_cbranch_execz .LBB143_833
.LBB143_832:
	v_lshlrev_b32_e32 v1, 24, v2
	v_and_b32_e32 v2, 0xffff, v2
	v_and_b32_e32 v6, 7, v2
	v_ffbh_u32_e32 v8, v6
	v_min_u32_e32 v8, 32, v8
	v_subrev_u32_e32 v9, 28, v8
	v_bfe_u32 v7, v2, 3, 4
	v_lshlrev_b32_e32 v2, v9, v2
	v_sub_u32_e32 v8, 29, v8
	v_and_b32_e32 v2, 7, v2
	v_cmp_eq_u32_e32 vcc, 0, v7
	v_cndmask_b32_e32 v7, v7, v8, vcc
	v_cndmask_b32_e32 v2, v6, v2, vcc
	v_mov_b32_e32 v6, 0x3b800000
	v_lshlrev_b32_e32 v2, 20, v2
	v_and_b32_e32 v1, 0x80000000, v1
	v_lshl_add_u32 v6, v7, 23, v6
	v_or3_b32 v1, v1, v6, v2
	v_trunc_f32_e32 v1, v1
	s_mov_b32 s56, 0x2f800000
	v_mul_f32_e64 v2, |v1|, s56
	v_floor_f32_e32 v2, v2
	s_mov_b32 s56, 0xcf800000
	v_fma_f32 v2, v2, s56, |v1|
	v_cvt_u32_f32_e32 v2, v2
	v_ashrrev_i32_e32 v1, 31, v1
	v_xor_b32_e32 v2, v2, v1
	v_sub_u32_e32 v1, v2, v1
.LBB143_833:
	s_or_b64 exec, exec, s[0:1]
.LBB143_834:
	s_mov_b64 s[0:1], -1
.LBB143_835:
	s_mov_b64 s[56:57], 0
.LBB143_836:
	s_and_b64 vcc, exec, s[56:57]
	s_cbranch_vccz .LBB143_869
; %bb.837:
	s_cmp_gt_i32 s59, 22
	s_cbranch_scc0 .LBB143_845
; %bb.838:
	s_cmp_lt_i32 s59, 24
	s_cbranch_scc1 .LBB143_848
; %bb.839:
	s_cmp_gt_i32 s59, 24
	s_cbranch_scc0 .LBB143_849
; %bb.840:
	global_load_ubyte v2, v[4:5], off
	s_movk_i32 s0, 0x7f
	s_mov_b64 s[56:57], 0
	s_waitcnt vmcnt(0)
	v_cmp_lt_i16_e32 vcc, s0, v2
	s_and_saveexec_b64 s[0:1], vcc
	s_xor_b64 s[0:1], exec, s[0:1]
	s_cbranch_execz .LBB143_861
; %bb.841:
	s_movk_i32 s56, 0x80
	v_cmp_ne_u16_e32 vcc, s56, v2
	s_and_b64 s[56:57], vcc, exec
	s_andn2_saveexec_b64 s[0:1], s[0:1]
	s_cbranch_execnz .LBB143_862
.LBB143_842:
	s_or_b64 exec, exec, s[0:1]
	v_mov_b32_e32 v1, 0
	s_and_saveexec_b64 s[0:1], s[56:57]
	s_cbranch_execz .LBB143_844
.LBB143_843:
	v_lshlrev_b32_e32 v1, 24, v2
	v_and_b32_e32 v2, 0xffff, v2
	v_and_b32_e32 v6, 3, v2
	v_ffbh_u32_e32 v8, v6
	v_min_u32_e32 v8, 32, v8
	v_subrev_u32_e32 v9, 29, v8
	v_bfe_u32 v7, v2, 2, 5
	v_lshlrev_b32_e32 v2, v9, v2
	v_sub_u32_e32 v8, 30, v8
	v_and_b32_e32 v2, 3, v2
	v_cmp_eq_u32_e32 vcc, 0, v7
	v_cndmask_b32_e32 v7, v7, v8, vcc
	v_cndmask_b32_e32 v2, v6, v2, vcc
	v_mov_b32_e32 v6, 0x37800000
	v_lshlrev_b32_e32 v2, 21, v2
	v_and_b32_e32 v1, 0x80000000, v1
	v_lshl_add_u32 v6, v7, 23, v6
	v_or3_b32 v1, v1, v6, v2
	v_trunc_f32_e32 v1, v1
	s_mov_b32 s56, 0x2f800000
	v_mul_f32_e64 v2, |v1|, s56
	v_floor_f32_e32 v2, v2
	s_mov_b32 s56, 0xcf800000
	v_fma_f32 v2, v2, s56, |v1|
	v_cvt_u32_f32_e32 v2, v2
	v_ashrrev_i32_e32 v1, 31, v1
	v_xor_b32_e32 v2, v2, v1
	v_sub_u32_e32 v1, v2, v1
.LBB143_844:
	s_or_b64 exec, exec, s[0:1]
	s_mov_b64 s[0:1], 0
	s_branch .LBB143_850
.LBB143_845:
	s_mov_b64 s[56:57], -1
                                        ; implicit-def: $vgpr1
	s_branch .LBB143_856
.LBB143_846:
	s_andn2_saveexec_b64 s[0:1], s[0:1]
	s_cbranch_execz .LBB143_831
.LBB143_847:
	v_cmp_ne_u16_e32 vcc, 0, v2
	s_andn2_b64 s[56:57], s[56:57], exec
	s_and_b64 s[60:61], vcc, exec
	s_or_b64 s[56:57], s[56:57], s[60:61]
	s_or_b64 exec, exec, s[0:1]
	v_mov_b32_e32 v1, 0
	s_and_saveexec_b64 s[0:1], s[56:57]
	s_cbranch_execnz .LBB143_832
	s_branch .LBB143_833
.LBB143_848:
	s_mov_b64 s[0:1], -1
                                        ; implicit-def: $vgpr1
	s_branch .LBB143_853
.LBB143_849:
	s_mov_b64 s[0:1], -1
                                        ; implicit-def: $vgpr1
.LBB143_850:
	s_and_b64 vcc, exec, s[0:1]
	s_cbranch_vccz .LBB143_852
; %bb.851:
	global_load_ubyte v1, v[4:5], off
	s_mov_b32 s0, 0x7f800000
	s_brev_b32 s1, 1
	s_mov_b32 s56, 0x2f800000
	s_waitcnt vmcnt(0)
	v_lshlrev_b32_e32 v1, 24, v1
	v_and_b32_e32 v2, 0x7f000000, v1
	v_ffbh_u32_e32 v6, v2
	v_min_u32_e32 v6, 32, v6
	v_sub_u32_e64 v6, v6, 4 clamp
	v_lshlrev_b32_e32 v8, v6, v2
	v_lshlrev_b32_e32 v6, 23, v6
	v_lshrrev_b32_e32 v8, 4, v8
	v_add_u32_e32 v7, 0x1000000, v2
	v_sub_u32_e32 v6, v8, v6
	v_ashrrev_i32_e32 v7, 8, v7
	v_add_u32_e32 v6, 0x3c000000, v6
	v_and_or_b32 v6, v7, s0, v6
	v_cmp_ne_u32_e32 vcc, 0, v2
	v_cndmask_b32_e32 v2, 0, v6, vcc
	v_and_or_b32 v1, v1, s1, v2
	v_trunc_f32_e32 v1, v1
	v_mul_f32_e64 v2, |v1|, s56
	v_floor_f32_e32 v2, v2
	s_mov_b32 s0, 0xcf800000
	v_fma_f32 v2, v2, s0, |v1|
	v_cvt_u32_f32_e32 v2, v2
	v_ashrrev_i32_e32 v1, 31, v1
	v_xor_b32_e32 v2, v2, v1
	v_sub_u32_e32 v1, v2, v1
.LBB143_852:
	s_mov_b64 s[0:1], 0
.LBB143_853:
	s_andn2_b64 vcc, exec, s[0:1]
	s_cbranch_vccnz .LBB143_855
; %bb.854:
	global_load_ubyte v1, v[4:5], off
	s_movk_i32 s0, 0x7f00
	s_brev_b32 s1, 16
	s_brev_b32 s56, 1
	s_mov_b32 s57, 0x2f800000
	s_waitcnt vmcnt(0)
	v_lshlrev_b16_e32 v2, 8, v1
	v_lshlrev_b32_e32 v1, 25, v1
	v_lshrrev_b32_e32 v6, 4, v1
	v_and_or_b32 v7, v2, s0, 0.5
	v_or_b32_e32 v6, 0x70000000, v6
	v_add_f32_e32 v7, -0.5, v7
	v_mul_f32_e32 v6, 0x7800000, v6
	v_cmp_gt_u32_e32 vcc, s1, v1
	v_bfe_i32 v2, v2, 0, 16
	v_cndmask_b32_e32 v1, v6, v7, vcc
	v_and_or_b32 v1, v2, s56, v1
	v_trunc_f32_e32 v1, v1
	v_mul_f32_e64 v2, |v1|, s57
	v_floor_f32_e32 v2, v2
	s_mov_b32 s0, 0xcf800000
	v_fma_f32 v2, v2, s0, |v1|
	v_cvt_u32_f32_e32 v2, v2
	v_ashrrev_i32_e32 v1, 31, v1
	v_xor_b32_e32 v2, v2, v1
	v_sub_u32_e32 v1, v2, v1
.LBB143_855:
	s_mov_b64 s[56:57], 0
	s_mov_b64 s[0:1], -1
.LBB143_856:
	s_andn2_b64 vcc, exec, s[56:57]
	s_cbranch_vccnz .LBB143_869
; %bb.857:
	s_cmp_gt_i32 s59, 14
	s_cbranch_scc0 .LBB143_860
; %bb.858:
	s_cmp_eq_u32 s59, 15
	s_cbranch_scc0 .LBB143_863
; %bb.859:
	global_load_ushort v1, v[4:5], off
	s_mov_b32 s0, 0x2f800000
	s_mov_b32 s1, 0xcf800000
	s_mov_b64 s[54:55], 0
	s_waitcnt vmcnt(0)
	v_lshlrev_b32_e32 v1, 16, v1
	v_trunc_f32_e32 v1, v1
	v_mul_f32_e64 v2, |v1|, s0
	v_floor_f32_e32 v2, v2
	v_fma_f32 v2, v2, s1, |v1|
	v_cvt_u32_f32_e32 v2, v2
	v_ashrrev_i32_e32 v1, 31, v1
	s_mov_b64 s[0:1], -1
	v_xor_b32_e32 v2, v2, v1
	v_sub_u32_e32 v1, v2, v1
	s_branch .LBB143_864
.LBB143_860:
	s_mov_b64 s[56:57], -1
                                        ; implicit-def: $vgpr1
	s_branch .LBB143_865
.LBB143_861:
	s_andn2_saveexec_b64 s[0:1], s[0:1]
	s_cbranch_execz .LBB143_842
.LBB143_862:
	v_cmp_ne_u16_e32 vcc, 0, v2
	s_andn2_b64 s[56:57], s[56:57], exec
	s_and_b64 s[60:61], vcc, exec
	s_or_b64 s[56:57], s[56:57], s[60:61]
	s_or_b64 exec, exec, s[0:1]
	v_mov_b32_e32 v1, 0
	s_and_saveexec_b64 s[0:1], s[56:57]
	s_cbranch_execnz .LBB143_843
	s_branch .LBB143_844
.LBB143_863:
	s_mov_b64 s[54:55], -1
                                        ; implicit-def: $vgpr1
.LBB143_864:
	s_mov_b64 s[56:57], 0
.LBB143_865:
	s_and_b64 vcc, exec, s[56:57]
	s_cbranch_vccz .LBB143_869
; %bb.866:
	s_cmp_eq_u32 s59, 11
	s_cbranch_scc0 .LBB143_868
; %bb.867:
	global_load_ubyte v1, v[4:5], off
	s_mov_b64 s[0:1], -1
	s_mov_b64 s[54:55], 0
	s_waitcnt vmcnt(0)
	v_cmp_ne_u16_e32 vcc, 0, v1
	v_cndmask_b32_e64 v1, 0, 1, vcc
	s_branch .LBB143_869
.LBB143_868:
	s_mov_b64 s[54:55], -1
                                        ; implicit-def: $vgpr1
.LBB143_869:
	s_mov_b64 s[56:57], 0
.LBB143_870:
	s_and_b64 vcc, exec, s[56:57]
	s_cbranch_vccz .LBB143_919
; %bb.871:
	s_and_b32 s56, 0xffff, s58
	s_cmp_lt_i32 s56, 5
	s_cbranch_scc1 .LBB143_876
; %bb.872:
	s_cmp_lt_i32 s56, 8
	s_cbranch_scc1 .LBB143_877
; %bb.873:
	;; [unrolled: 3-line block ×3, first 2 shown]
	s_cmp_gt_i32 s56, 9
	s_cbranch_scc0 .LBB143_879
; %bb.875:
	global_load_dwordx2 v[1:2], v[4:5], off
	s_movk_i32 s0, 0xffe0
	s_waitcnt vmcnt(0)
	v_trunc_f64_e32 v[1:2], v[1:2]
	v_ldexp_f64 v[6:7], v[1:2], s0
	s_mov_b32 s0, 0
	s_mov_b32 s1, 0xc1f00000
	v_floor_f64_e32 v[6:7], v[6:7]
	v_fma_f64 v[1:2], v[6:7], s[0:1], v[1:2]
	s_mov_b64 s[0:1], 0
	v_cvt_u32_f64_e32 v1, v[1:2]
	s_branch .LBB143_880
.LBB143_876:
	s_mov_b64 s[0:1], -1
                                        ; implicit-def: $vgpr1
	s_branch .LBB143_898
.LBB143_877:
	s_mov_b64 s[0:1], -1
                                        ; implicit-def: $vgpr1
	s_branch .LBB143_886
.LBB143_878:
	s_mov_b64 s[0:1], -1
                                        ; implicit-def: $vgpr1
	s_branch .LBB143_883
.LBB143_879:
	s_mov_b64 s[0:1], -1
                                        ; implicit-def: $vgpr1
.LBB143_880:
	s_andn2_b64 vcc, exec, s[0:1]
	s_cbranch_vccnz .LBB143_882
; %bb.881:
	global_load_dword v1, v[4:5], off
	s_mov_b32 s0, 0x2f800000
	s_waitcnt vmcnt(0)
	v_trunc_f32_e32 v1, v1
	v_mul_f32_e64 v2, |v1|, s0
	v_floor_f32_e32 v2, v2
	s_mov_b32 s0, 0xcf800000
	v_fma_f32 v2, v2, s0, |v1|
	v_cvt_u32_f32_e32 v2, v2
	v_ashrrev_i32_e32 v1, 31, v1
	v_xor_b32_e32 v2, v2, v1
	v_sub_u32_e32 v1, v2, v1
.LBB143_882:
	s_mov_b64 s[0:1], 0
.LBB143_883:
	s_andn2_b64 vcc, exec, s[0:1]
	s_cbranch_vccnz .LBB143_885
; %bb.884:
	global_load_dword v1, v[4:5], off
	s_waitcnt vmcnt(0)
	v_cvt_f32_f16_e32 v1, v1
	v_cvt_i32_f32_e32 v1, v1
.LBB143_885:
	s_mov_b64 s[0:1], 0
.LBB143_886:
	s_andn2_b64 vcc, exec, s[0:1]
	s_cbranch_vccnz .LBB143_897
; %bb.887:
	s_cmp_lt_i32 s56, 6
	s_cbranch_scc1 .LBB143_890
; %bb.888:
	s_cmp_gt_i32 s56, 6
	s_cbranch_scc0 .LBB143_891
; %bb.889:
	global_load_dwordx2 v[1:2], v[4:5], off
	s_movk_i32 s0, 0xffe0
	s_waitcnt vmcnt(0)
	v_trunc_f64_e32 v[1:2], v[1:2]
	v_ldexp_f64 v[6:7], v[1:2], s0
	s_mov_b32 s0, 0
	s_mov_b32 s1, 0xc1f00000
	v_floor_f64_e32 v[6:7], v[6:7]
	v_fma_f64 v[1:2], v[6:7], s[0:1], v[1:2]
	s_mov_b64 s[0:1], 0
	v_cvt_u32_f64_e32 v1, v[1:2]
	s_branch .LBB143_892
.LBB143_890:
	s_mov_b64 s[0:1], -1
                                        ; implicit-def: $vgpr1
	s_branch .LBB143_895
.LBB143_891:
	s_mov_b64 s[0:1], -1
                                        ; implicit-def: $vgpr1
.LBB143_892:
	s_andn2_b64 vcc, exec, s[0:1]
	s_cbranch_vccnz .LBB143_894
; %bb.893:
	global_load_dword v1, v[4:5], off
	s_mov_b32 s0, 0x2f800000
	s_waitcnt vmcnt(0)
	v_trunc_f32_e32 v1, v1
	v_mul_f32_e64 v2, |v1|, s0
	v_floor_f32_e32 v2, v2
	s_mov_b32 s0, 0xcf800000
	v_fma_f32 v2, v2, s0, |v1|
	v_cvt_u32_f32_e32 v2, v2
	v_ashrrev_i32_e32 v1, 31, v1
	v_xor_b32_e32 v2, v2, v1
	v_sub_u32_e32 v1, v2, v1
.LBB143_894:
	s_mov_b64 s[0:1], 0
.LBB143_895:
	s_andn2_b64 vcc, exec, s[0:1]
	s_cbranch_vccnz .LBB143_897
; %bb.896:
	global_load_ushort v1, v[4:5], off
	s_waitcnt vmcnt(0)
	v_cvt_f32_f16_e32 v1, v1
	v_cvt_i32_f32_e32 v1, v1
.LBB143_897:
	s_mov_b64 s[0:1], 0
.LBB143_898:
	s_andn2_b64 vcc, exec, s[0:1]
	s_cbranch_vccnz .LBB143_918
; %bb.899:
	s_cmp_lt_i32 s56, 2
	s_cbranch_scc1 .LBB143_903
; %bb.900:
	s_cmp_lt_i32 s56, 3
	s_cbranch_scc1 .LBB143_904
; %bb.901:
	s_cmp_gt_i32 s56, 3
	s_cbranch_scc0 .LBB143_905
; %bb.902:
	global_load_dwordx2 v[1:2], v[4:5], off
	s_mov_b64 s[0:1], 0
	s_branch .LBB143_906
.LBB143_903:
	s_mov_b64 s[0:1], -1
                                        ; implicit-def: $vgpr1
	s_branch .LBB143_912
.LBB143_904:
	s_mov_b64 s[0:1], -1
                                        ; implicit-def: $vgpr1
	s_branch .LBB143_909
.LBB143_905:
	s_mov_b64 s[0:1], -1
                                        ; implicit-def: $vgpr1
.LBB143_906:
	s_andn2_b64 vcc, exec, s[0:1]
	s_cbranch_vccnz .LBB143_908
; %bb.907:
	global_load_dword v1, v[4:5], off
.LBB143_908:
	s_mov_b64 s[0:1], 0
.LBB143_909:
	s_andn2_b64 vcc, exec, s[0:1]
	s_cbranch_vccnz .LBB143_911
; %bb.910:
	global_load_ushort v1, v[4:5], off
.LBB143_911:
	s_mov_b64 s[0:1], 0
.LBB143_912:
	s_andn2_b64 vcc, exec, s[0:1]
	s_cbranch_vccnz .LBB143_918
; %bb.913:
	s_cmp_gt_i32 s56, 0
	s_cbranch_scc0 .LBB143_915
; %bb.914:
	global_load_ubyte v1, v[4:5], off
	s_mov_b64 s[0:1], 0
	s_branch .LBB143_916
.LBB143_915:
	s_mov_b64 s[0:1], -1
                                        ; implicit-def: $vgpr1
.LBB143_916:
	s_andn2_b64 vcc, exec, s[0:1]
	s_cbranch_vccnz .LBB143_918
; %bb.917:
	global_load_ubyte v1, v[4:5], off
.LBB143_918:
	s_mov_b64 s[0:1], -1
.LBB143_919:
	s_andn2_b64 vcc, exec, s[0:1]
	s_cbranch_vccnz .LBB143_927
; %bb.920:
	v_mov_b32_e32 v4, s25
	s_and_b32 s60, s70, 0xff
	s_waitcnt vmcnt(0)
	v_add_co_u32_e32 v2, vcc, s24, v3
	s_cmp_lt_i32 s60, 11
	v_addc_co_u32_e32 v3, vcc, 0, v4, vcc
	s_cbranch_scc1 .LBB143_929
; %bb.921:
	s_and_b32 s61, 0xffff, s60
	s_cmp_gt_i32 s61, 25
	s_cbranch_scc0 .LBB143_930
; %bb.922:
	s_cmp_gt_i32 s61, 28
	s_cbranch_scc0 .LBB143_931
; %bb.923:
	;; [unrolled: 3-line block ×4, first 2 shown]
	s_cmp_eq_u32 s61, 46
	s_mov_b64 s[58:59], 0
	s_cbranch_scc0 .LBB143_936
; %bb.926:
	global_load_dword v4, v[2:3], off
	s_mov_b32 s0, 0x2f800000
	s_mov_b32 s1, 0xcf800000
	s_mov_b64 s[56:57], 0
	s_waitcnt vmcnt(0)
	v_lshlrev_b32_e32 v4, 16, v4
	v_trunc_f32_e32 v4, v4
	v_mul_f32_e64 v5, |v4|, s0
	v_floor_f32_e32 v5, v5
	v_fma_f32 v5, v5, s1, |v4|
	v_cvt_u32_f32_e32 v5, v5
	v_ashrrev_i32_e32 v4, 31, v4
	s_mov_b64 s[0:1], -1
	v_xor_b32_e32 v5, v5, v4
	v_sub_u32_e32 v4, v5, v4
	s_branch .LBB143_937
.LBB143_927:
	s_mov_b64 s[60:61], 0
	s_mov_b64 s[0:1], s[48:49]
	;; [unrolled: 1-line block ×3, first 2 shown]
.LBB143_928:
                                        ; implicit-def: $vgpr10
	s_branch .LBB143_1171
.LBB143_929:
	s_mov_b64 s[58:59], -1
	s_mov_b64 s[0:1], 0
                                        ; implicit-def: $vgpr4
	s_mov_b64 s[56:57], s[46:47]
	s_branch .LBB143_998
.LBB143_930:
	s_mov_b64 s[58:59], -1
	s_mov_b64 s[0:1], 0
	s_mov_b64 s[56:57], s[46:47]
                                        ; implicit-def: $vgpr4
	s_branch .LBB143_964
.LBB143_931:
	s_mov_b64 s[58:59], -1
	s_mov_b64 s[0:1], 0
	s_mov_b64 s[56:57], s[46:47]
                                        ; implicit-def: $vgpr4
	s_branch .LBB143_947
.LBB143_932:
	s_mov_b64 s[58:59], -1
	s_mov_b64 s[0:1], 0
	s_mov_b64 s[56:57], s[46:47]
                                        ; implicit-def: $vgpr4
	s_branch .LBB143_942
.LBB143_933:
	s_mov_b64 s[58:59], -1
	s_mov_b64 s[0:1], 0
	s_mov_b64 s[56:57], s[46:47]
                                        ; implicit-def: $vgpr4
	s_branch .LBB143_937
.LBB143_934:
	s_andn2_saveexec_b64 s[54:55], s[54:55]
	s_cbranch_execz .LBB143_702
.LBB143_935:
	v_add_f32_e32 v3, 0x42800000, v4
	v_and_b32_e32 v3, 0xff, v3
	v_cmp_ne_u32_e32 vcc, 0, v3
	s_andn2_b64 s[52:53], s[52:53], exec
	s_and_b64 s[58:59], vcc, exec
	s_or_b64 s[52:53], s[52:53], s[58:59]
	s_or_b64 exec, exec, s[54:55]
	v_mov_b32_e32 v5, 0
	s_and_saveexec_b64 s[54:55], s[52:53]
	s_cbranch_execnz .LBB143_703
	s_branch .LBB143_704
.LBB143_936:
	s_mov_b64 s[56:57], -1
                                        ; implicit-def: $vgpr4
	s_mov_b64 s[0:1], 0
.LBB143_937:
	s_and_b64 vcc, exec, s[58:59]
	s_cbranch_vccz .LBB143_941
; %bb.938:
	s_cmp_eq_u32 s61, 44
	s_cbranch_scc0 .LBB143_940
; %bb.939:
	global_load_ubyte v4, v[2:3], off
	s_mov_b32 s0, 0x2f800000
	s_mov_b32 s1, 0xcf800000
	s_mov_b64 s[56:57], 0
	s_waitcnt vmcnt(0)
	v_lshlrev_b32_e32 v5, 23, v4
	v_trunc_f32_e32 v5, v5
	v_mul_f32_e64 v6, |v5|, s0
	v_floor_f32_e32 v6, v6
	v_fma_f32 v6, v6, s1, |v5|
	v_cvt_u32_f32_e32 v6, v6
	v_ashrrev_i32_e32 v5, 31, v5
	v_cmp_ne_u32_e32 vcc, 0, v4
	s_mov_b64 s[0:1], -1
	v_xor_b32_e32 v6, v6, v5
	v_sub_u32_e32 v5, v6, v5
	v_cndmask_b32_e32 v4, 0, v5, vcc
	s_branch .LBB143_941
.LBB143_940:
	s_mov_b64 s[56:57], -1
                                        ; implicit-def: $vgpr4
.LBB143_941:
	s_mov_b64 s[58:59], 0
.LBB143_942:
	s_and_b64 vcc, exec, s[58:59]
	s_cbranch_vccz .LBB143_946
; %bb.943:
	s_cmp_eq_u32 s61, 29
	s_cbranch_scc0 .LBB143_945
; %bb.944:
	global_load_dwordx2 v[4:5], v[2:3], off
	s_mov_b64 s[0:1], -1
	s_mov_b64 s[56:57], 0
	s_branch .LBB143_946
.LBB143_945:
	s_mov_b64 s[56:57], -1
                                        ; implicit-def: $vgpr4
.LBB143_946:
	s_mov_b64 s[58:59], 0
.LBB143_947:
	s_and_b64 vcc, exec, s[58:59]
	s_cbranch_vccz .LBB143_963
; %bb.948:
	s_cmp_lt_i32 s61, 27
	s_cbranch_scc1 .LBB143_951
; %bb.949:
	s_cmp_gt_i32 s61, 27
	s_cbranch_scc0 .LBB143_952
; %bb.950:
	global_load_dword v4, v[2:3], off
	s_mov_b64 s[0:1], 0
	s_branch .LBB143_953
.LBB143_951:
	s_mov_b64 s[0:1], -1
                                        ; implicit-def: $vgpr4
	s_branch .LBB143_956
.LBB143_952:
	s_mov_b64 s[0:1], -1
                                        ; implicit-def: $vgpr4
.LBB143_953:
	s_andn2_b64 vcc, exec, s[0:1]
	s_cbranch_vccnz .LBB143_955
; %bb.954:
	global_load_ushort v4, v[2:3], off
.LBB143_955:
	s_mov_b64 s[0:1], 0
.LBB143_956:
	s_andn2_b64 vcc, exec, s[0:1]
	s_cbranch_vccnz .LBB143_962
; %bb.957:
	global_load_ubyte v5, v[2:3], off
	s_movk_i32 s0, 0x7f
	s_mov_b64 s[58:59], 0
	s_waitcnt vmcnt(0)
	v_cmp_lt_i16_e32 vcc, s0, v5
	s_and_saveexec_b64 s[0:1], vcc
	s_xor_b64 s[0:1], exec, s[0:1]
	s_cbranch_execz .LBB143_974
; %bb.958:
	s_movk_i32 s58, 0x80
	v_cmp_ne_u16_e32 vcc, s58, v5
	s_and_b64 s[58:59], vcc, exec
	s_andn2_saveexec_b64 s[0:1], s[0:1]
	s_cbranch_execnz .LBB143_975
.LBB143_959:
	s_or_b64 exec, exec, s[0:1]
	v_mov_b32_e32 v4, 0
	s_and_saveexec_b64 s[0:1], s[58:59]
	s_cbranch_execz .LBB143_961
.LBB143_960:
	v_lshlrev_b32_e32 v4, 24, v5
	v_and_b32_e32 v5, 0xffff, v5
	v_and_b32_e32 v6, 7, v5
	v_ffbh_u32_e32 v8, v6
	v_min_u32_e32 v8, 32, v8
	v_subrev_u32_e32 v9, 28, v8
	v_bfe_u32 v7, v5, 3, 4
	v_lshlrev_b32_e32 v5, v9, v5
	v_sub_u32_e32 v8, 29, v8
	v_and_b32_e32 v5, 7, v5
	v_cmp_eq_u32_e32 vcc, 0, v7
	v_cndmask_b32_e32 v7, v7, v8, vcc
	v_cndmask_b32_e32 v5, v6, v5, vcc
	v_mov_b32_e32 v6, 0x3b800000
	v_lshlrev_b32_e32 v5, 20, v5
	v_and_b32_e32 v4, 0x80000000, v4
	v_lshl_add_u32 v6, v7, 23, v6
	v_or3_b32 v4, v4, v6, v5
	v_trunc_f32_e32 v4, v4
	s_mov_b32 s58, 0x2f800000
	v_mul_f32_e64 v5, |v4|, s58
	v_floor_f32_e32 v5, v5
	s_mov_b32 s58, 0xcf800000
	v_fma_f32 v5, v5, s58, |v4|
	v_cvt_u32_f32_e32 v5, v5
	v_ashrrev_i32_e32 v4, 31, v4
	v_xor_b32_e32 v5, v5, v4
	v_sub_u32_e32 v4, v5, v4
.LBB143_961:
	s_or_b64 exec, exec, s[0:1]
.LBB143_962:
	s_mov_b64 s[0:1], -1
.LBB143_963:
	s_mov_b64 s[58:59], 0
.LBB143_964:
	s_and_b64 vcc, exec, s[58:59]
	s_cbranch_vccz .LBB143_997
; %bb.965:
	s_cmp_gt_i32 s61, 22
	s_cbranch_scc0 .LBB143_973
; %bb.966:
	s_cmp_lt_i32 s61, 24
	s_cbranch_scc1 .LBB143_976
; %bb.967:
	s_cmp_gt_i32 s61, 24
	s_cbranch_scc0 .LBB143_977
; %bb.968:
	global_load_ubyte v5, v[2:3], off
	s_movk_i32 s0, 0x7f
	s_mov_b64 s[58:59], 0
	s_waitcnt vmcnt(0)
	v_cmp_lt_i16_e32 vcc, s0, v5
	s_and_saveexec_b64 s[0:1], vcc
	s_xor_b64 s[0:1], exec, s[0:1]
	s_cbranch_execz .LBB143_989
; %bb.969:
	s_movk_i32 s58, 0x80
	v_cmp_ne_u16_e32 vcc, s58, v5
	s_and_b64 s[58:59], vcc, exec
	s_andn2_saveexec_b64 s[0:1], s[0:1]
	s_cbranch_execnz .LBB143_990
.LBB143_970:
	s_or_b64 exec, exec, s[0:1]
	v_mov_b32_e32 v4, 0
	s_and_saveexec_b64 s[0:1], s[58:59]
	s_cbranch_execz .LBB143_972
.LBB143_971:
	v_lshlrev_b32_e32 v4, 24, v5
	v_and_b32_e32 v5, 0xffff, v5
	v_and_b32_e32 v6, 3, v5
	v_ffbh_u32_e32 v8, v6
	v_min_u32_e32 v8, 32, v8
	v_subrev_u32_e32 v9, 29, v8
	v_bfe_u32 v7, v5, 2, 5
	v_lshlrev_b32_e32 v5, v9, v5
	v_sub_u32_e32 v8, 30, v8
	v_and_b32_e32 v5, 3, v5
	v_cmp_eq_u32_e32 vcc, 0, v7
	v_cndmask_b32_e32 v7, v7, v8, vcc
	v_cndmask_b32_e32 v5, v6, v5, vcc
	v_mov_b32_e32 v6, 0x37800000
	v_lshlrev_b32_e32 v5, 21, v5
	v_and_b32_e32 v4, 0x80000000, v4
	v_lshl_add_u32 v6, v7, 23, v6
	v_or3_b32 v4, v4, v6, v5
	v_trunc_f32_e32 v4, v4
	s_mov_b32 s58, 0x2f800000
	v_mul_f32_e64 v5, |v4|, s58
	v_floor_f32_e32 v5, v5
	s_mov_b32 s58, 0xcf800000
	v_fma_f32 v5, v5, s58, |v4|
	v_cvt_u32_f32_e32 v5, v5
	v_ashrrev_i32_e32 v4, 31, v4
	v_xor_b32_e32 v5, v5, v4
	v_sub_u32_e32 v4, v5, v4
.LBB143_972:
	s_or_b64 exec, exec, s[0:1]
	s_mov_b64 s[0:1], 0
	s_branch .LBB143_978
.LBB143_973:
	s_mov_b64 s[58:59], -1
                                        ; implicit-def: $vgpr4
	s_branch .LBB143_984
.LBB143_974:
	s_andn2_saveexec_b64 s[0:1], s[0:1]
	s_cbranch_execz .LBB143_959
.LBB143_975:
	v_cmp_ne_u16_e32 vcc, 0, v5
	s_andn2_b64 s[58:59], s[58:59], exec
	s_and_b64 s[62:63], vcc, exec
	s_or_b64 s[58:59], s[58:59], s[62:63]
	s_or_b64 exec, exec, s[0:1]
	v_mov_b32_e32 v4, 0
	s_and_saveexec_b64 s[0:1], s[58:59]
	s_cbranch_execnz .LBB143_960
	s_branch .LBB143_961
.LBB143_976:
	s_mov_b64 s[0:1], -1
                                        ; implicit-def: $vgpr4
	s_branch .LBB143_981
.LBB143_977:
	s_mov_b64 s[0:1], -1
                                        ; implicit-def: $vgpr4
.LBB143_978:
	s_and_b64 vcc, exec, s[0:1]
	s_cbranch_vccz .LBB143_980
; %bb.979:
	global_load_ubyte v4, v[2:3], off
	s_mov_b32 s0, 0x7f800000
	s_brev_b32 s1, 1
	s_mov_b32 s58, 0x2f800000
	s_waitcnt vmcnt(0)
	v_lshlrev_b32_e32 v4, 24, v4
	v_and_b32_e32 v5, 0x7f000000, v4
	v_ffbh_u32_e32 v6, v5
	v_min_u32_e32 v6, 32, v6
	v_sub_u32_e64 v6, v6, 4 clamp
	v_lshlrev_b32_e32 v8, v6, v5
	v_lshlrev_b32_e32 v6, 23, v6
	v_lshrrev_b32_e32 v8, 4, v8
	v_add_u32_e32 v7, 0x1000000, v5
	v_sub_u32_e32 v6, v8, v6
	v_ashrrev_i32_e32 v7, 8, v7
	v_add_u32_e32 v6, 0x3c000000, v6
	v_and_or_b32 v6, v7, s0, v6
	v_cmp_ne_u32_e32 vcc, 0, v5
	v_cndmask_b32_e32 v5, 0, v6, vcc
	v_and_or_b32 v4, v4, s1, v5
	v_trunc_f32_e32 v4, v4
	v_mul_f32_e64 v5, |v4|, s58
	v_floor_f32_e32 v5, v5
	s_mov_b32 s0, 0xcf800000
	v_fma_f32 v5, v5, s0, |v4|
	v_cvt_u32_f32_e32 v5, v5
	v_ashrrev_i32_e32 v4, 31, v4
	v_xor_b32_e32 v5, v5, v4
	v_sub_u32_e32 v4, v5, v4
.LBB143_980:
	s_mov_b64 s[0:1], 0
.LBB143_981:
	s_andn2_b64 vcc, exec, s[0:1]
	s_cbranch_vccnz .LBB143_983
; %bb.982:
	global_load_ubyte v4, v[2:3], off
	s_movk_i32 s0, 0x7f00
	s_brev_b32 s1, 16
	s_brev_b32 s58, 1
	s_mov_b32 s59, 0x2f800000
	s_waitcnt vmcnt(0)
	v_lshlrev_b16_e32 v5, 8, v4
	v_lshlrev_b32_e32 v4, 25, v4
	v_lshrrev_b32_e32 v6, 4, v4
	v_and_or_b32 v7, v5, s0, 0.5
	v_or_b32_e32 v6, 0x70000000, v6
	v_add_f32_e32 v7, -0.5, v7
	v_mul_f32_e32 v6, 0x7800000, v6
	v_cmp_gt_u32_e32 vcc, s1, v4
	v_bfe_i32 v5, v5, 0, 16
	v_cndmask_b32_e32 v4, v6, v7, vcc
	v_and_or_b32 v4, v5, s58, v4
	v_trunc_f32_e32 v4, v4
	v_mul_f32_e64 v5, |v4|, s59
	v_floor_f32_e32 v5, v5
	s_mov_b32 s0, 0xcf800000
	v_fma_f32 v5, v5, s0, |v4|
	v_cvt_u32_f32_e32 v5, v5
	v_ashrrev_i32_e32 v4, 31, v4
	v_xor_b32_e32 v5, v5, v4
	v_sub_u32_e32 v4, v5, v4
.LBB143_983:
	s_mov_b64 s[58:59], 0
	s_mov_b64 s[0:1], -1
.LBB143_984:
	s_andn2_b64 vcc, exec, s[58:59]
	s_cbranch_vccnz .LBB143_997
; %bb.985:
	s_cmp_gt_i32 s61, 14
	s_cbranch_scc0 .LBB143_988
; %bb.986:
	s_cmp_eq_u32 s61, 15
	s_cbranch_scc0 .LBB143_991
; %bb.987:
	global_load_ushort v4, v[2:3], off
	s_mov_b32 s0, 0x2f800000
	s_mov_b32 s1, 0xcf800000
	s_mov_b64 s[56:57], 0
	s_waitcnt vmcnt(0)
	v_lshlrev_b32_e32 v4, 16, v4
	v_trunc_f32_e32 v4, v4
	v_mul_f32_e64 v5, |v4|, s0
	v_floor_f32_e32 v5, v5
	v_fma_f32 v5, v5, s1, |v4|
	v_cvt_u32_f32_e32 v5, v5
	v_ashrrev_i32_e32 v4, 31, v4
	s_mov_b64 s[0:1], -1
	v_xor_b32_e32 v5, v5, v4
	v_sub_u32_e32 v4, v5, v4
	s_branch .LBB143_992
.LBB143_988:
	s_mov_b64 s[58:59], -1
                                        ; implicit-def: $vgpr4
	s_branch .LBB143_993
.LBB143_989:
	s_andn2_saveexec_b64 s[0:1], s[0:1]
	s_cbranch_execz .LBB143_970
.LBB143_990:
	v_cmp_ne_u16_e32 vcc, 0, v5
	s_andn2_b64 s[58:59], s[58:59], exec
	s_and_b64 s[62:63], vcc, exec
	s_or_b64 s[58:59], s[58:59], s[62:63]
	s_or_b64 exec, exec, s[0:1]
	v_mov_b32_e32 v4, 0
	s_and_saveexec_b64 s[0:1], s[58:59]
	s_cbranch_execnz .LBB143_971
	s_branch .LBB143_972
.LBB143_991:
	s_mov_b64 s[56:57], -1
                                        ; implicit-def: $vgpr4
.LBB143_992:
	s_mov_b64 s[58:59], 0
.LBB143_993:
	s_and_b64 vcc, exec, s[58:59]
	s_cbranch_vccz .LBB143_997
; %bb.994:
	s_cmp_eq_u32 s61, 11
	s_cbranch_scc0 .LBB143_996
; %bb.995:
	global_load_ubyte v4, v[2:3], off
	s_mov_b64 s[0:1], -1
	s_mov_b64 s[56:57], 0
	s_waitcnt vmcnt(0)
	v_cmp_ne_u16_e32 vcc, 0, v4
	v_cndmask_b32_e64 v4, 0, 1, vcc
	s_branch .LBB143_997
.LBB143_996:
	s_mov_b64 s[56:57], -1
                                        ; implicit-def: $vgpr4
.LBB143_997:
	s_mov_b64 s[58:59], 0
.LBB143_998:
	s_and_b64 vcc, exec, s[58:59]
	s_cbranch_vccz .LBB143_1047
; %bb.999:
	s_and_b32 s58, 0xffff, s60
	s_cmp_lt_i32 s58, 5
	s_cbranch_scc1 .LBB143_1004
; %bb.1000:
	s_cmp_lt_i32 s58, 8
	s_cbranch_scc1 .LBB143_1005
; %bb.1001:
	;; [unrolled: 3-line block ×3, first 2 shown]
	s_cmp_gt_i32 s58, 9
	s_cbranch_scc0 .LBB143_1007
; %bb.1003:
	global_load_dwordx2 v[4:5], v[2:3], off
	s_movk_i32 s0, 0xffe0
	s_waitcnt vmcnt(0)
	v_trunc_f64_e32 v[4:5], v[4:5]
	v_ldexp_f64 v[6:7], v[4:5], s0
	s_mov_b32 s0, 0
	s_mov_b32 s1, 0xc1f00000
	v_floor_f64_e32 v[6:7], v[6:7]
	v_fma_f64 v[4:5], v[6:7], s[0:1], v[4:5]
	s_mov_b64 s[0:1], 0
	v_cvt_u32_f64_e32 v4, v[4:5]
	s_branch .LBB143_1008
.LBB143_1004:
	s_mov_b64 s[0:1], -1
                                        ; implicit-def: $vgpr4
	s_branch .LBB143_1026
.LBB143_1005:
	s_mov_b64 s[0:1], -1
                                        ; implicit-def: $vgpr4
	s_branch .LBB143_1014
.LBB143_1006:
	s_mov_b64 s[0:1], -1
                                        ; implicit-def: $vgpr4
	s_branch .LBB143_1011
.LBB143_1007:
	s_mov_b64 s[0:1], -1
                                        ; implicit-def: $vgpr4
.LBB143_1008:
	s_andn2_b64 vcc, exec, s[0:1]
	s_cbranch_vccnz .LBB143_1010
; %bb.1009:
	global_load_dword v4, v[2:3], off
	s_mov_b32 s0, 0x2f800000
	s_waitcnt vmcnt(0)
	v_trunc_f32_e32 v4, v4
	v_mul_f32_e64 v5, |v4|, s0
	v_floor_f32_e32 v5, v5
	s_mov_b32 s0, 0xcf800000
	v_fma_f32 v5, v5, s0, |v4|
	v_cvt_u32_f32_e32 v5, v5
	v_ashrrev_i32_e32 v4, 31, v4
	v_xor_b32_e32 v5, v5, v4
	v_sub_u32_e32 v4, v5, v4
.LBB143_1010:
	s_mov_b64 s[0:1], 0
.LBB143_1011:
	s_andn2_b64 vcc, exec, s[0:1]
	s_cbranch_vccnz .LBB143_1013
; %bb.1012:
	global_load_dword v4, v[2:3], off
	s_waitcnt vmcnt(0)
	v_cvt_f32_f16_e32 v4, v4
	v_cvt_i32_f32_e32 v4, v4
.LBB143_1013:
	s_mov_b64 s[0:1], 0
.LBB143_1014:
	s_andn2_b64 vcc, exec, s[0:1]
	s_cbranch_vccnz .LBB143_1025
; %bb.1015:
	s_cmp_lt_i32 s58, 6
	s_cbranch_scc1 .LBB143_1018
; %bb.1016:
	s_cmp_gt_i32 s58, 6
	s_cbranch_scc0 .LBB143_1019
; %bb.1017:
	global_load_dwordx2 v[4:5], v[2:3], off
	s_movk_i32 s0, 0xffe0
	s_waitcnt vmcnt(0)
	v_trunc_f64_e32 v[4:5], v[4:5]
	v_ldexp_f64 v[6:7], v[4:5], s0
	s_mov_b32 s0, 0
	s_mov_b32 s1, 0xc1f00000
	v_floor_f64_e32 v[6:7], v[6:7]
	v_fma_f64 v[4:5], v[6:7], s[0:1], v[4:5]
	s_mov_b64 s[0:1], 0
	v_cvt_u32_f64_e32 v4, v[4:5]
	s_branch .LBB143_1020
.LBB143_1018:
	s_mov_b64 s[0:1], -1
                                        ; implicit-def: $vgpr4
	s_branch .LBB143_1023
.LBB143_1019:
	s_mov_b64 s[0:1], -1
                                        ; implicit-def: $vgpr4
.LBB143_1020:
	s_andn2_b64 vcc, exec, s[0:1]
	s_cbranch_vccnz .LBB143_1022
; %bb.1021:
	global_load_dword v4, v[2:3], off
	s_mov_b32 s0, 0x2f800000
	s_waitcnt vmcnt(0)
	v_trunc_f32_e32 v4, v4
	v_mul_f32_e64 v5, |v4|, s0
	v_floor_f32_e32 v5, v5
	s_mov_b32 s0, 0xcf800000
	v_fma_f32 v5, v5, s0, |v4|
	v_cvt_u32_f32_e32 v5, v5
	v_ashrrev_i32_e32 v4, 31, v4
	v_xor_b32_e32 v5, v5, v4
	v_sub_u32_e32 v4, v5, v4
.LBB143_1022:
	s_mov_b64 s[0:1], 0
.LBB143_1023:
	s_andn2_b64 vcc, exec, s[0:1]
	s_cbranch_vccnz .LBB143_1025
; %bb.1024:
	global_load_ushort v4, v[2:3], off
	s_waitcnt vmcnt(0)
	v_cvt_f32_f16_e32 v4, v4
	v_cvt_i32_f32_e32 v4, v4
.LBB143_1025:
	s_mov_b64 s[0:1], 0
.LBB143_1026:
	s_andn2_b64 vcc, exec, s[0:1]
	s_cbranch_vccnz .LBB143_1046
; %bb.1027:
	s_cmp_lt_i32 s58, 2
	s_cbranch_scc1 .LBB143_1031
; %bb.1028:
	s_cmp_lt_i32 s58, 3
	s_cbranch_scc1 .LBB143_1032
; %bb.1029:
	s_cmp_gt_i32 s58, 3
	s_cbranch_scc0 .LBB143_1033
; %bb.1030:
	global_load_dwordx2 v[4:5], v[2:3], off
	s_mov_b64 s[0:1], 0
	s_branch .LBB143_1034
.LBB143_1031:
	s_mov_b64 s[0:1], -1
                                        ; implicit-def: $vgpr4
	s_branch .LBB143_1040
.LBB143_1032:
	s_mov_b64 s[0:1], -1
                                        ; implicit-def: $vgpr4
	s_branch .LBB143_1037
.LBB143_1033:
	s_mov_b64 s[0:1], -1
                                        ; implicit-def: $vgpr4
.LBB143_1034:
	s_andn2_b64 vcc, exec, s[0:1]
	s_cbranch_vccnz .LBB143_1036
; %bb.1035:
	global_load_dword v4, v[2:3], off
.LBB143_1036:
	s_mov_b64 s[0:1], 0
.LBB143_1037:
	s_andn2_b64 vcc, exec, s[0:1]
	s_cbranch_vccnz .LBB143_1039
; %bb.1038:
	global_load_ushort v4, v[2:3], off
.LBB143_1039:
	s_mov_b64 s[0:1], 0
.LBB143_1040:
	s_andn2_b64 vcc, exec, s[0:1]
	s_cbranch_vccnz .LBB143_1046
; %bb.1041:
	s_cmp_gt_i32 s58, 0
	s_cbranch_scc0 .LBB143_1043
; %bb.1042:
	global_load_ubyte v4, v[2:3], off
	s_mov_b64 s[0:1], 0
	s_branch .LBB143_1044
.LBB143_1043:
	s_mov_b64 s[0:1], -1
                                        ; implicit-def: $vgpr4
.LBB143_1044:
	s_andn2_b64 vcc, exec, s[0:1]
	s_cbranch_vccnz .LBB143_1046
; %bb.1045:
	global_load_ubyte v4, v[2:3], off
.LBB143_1046:
	s_mov_b64 s[0:1], -1
.LBB143_1047:
	s_andn2_b64 vcc, exec, s[0:1]
	s_cbranch_vccnz .LBB143_1055
; %bb.1048:
	v_mov_b32_e32 v2, 8
	s_waitcnt vmcnt(0)
	v_lshrrev_b16_sdwa v1, v4, v1 dst_sel:DWORD dst_unused:UNUSED_PAD src0_sel:BYTE_0 src1_sel:BYTE_0
	v_cmp_lt_u16_sdwa vcc, v4, v2 src0_sel:BYTE_0 src1_sel:DWORD
	v_cndmask_b32_e32 v2, 0, v1, vcc
	v_mov_b32_e32 v1, s9
	s_and_b32 s64, s69, 0xff
	v_add_co_u32_e32 v0, vcc, s8, v0
	s_cmp_lt_i32 s64, 11
	v_addc_co_u32_e32 v1, vcc, 0, v1, vcc
	s_cbranch_scc1 .LBB143_1056
; %bb.1049:
	s_and_b32 s65, 0xffff, s64
	s_cmp_gt_i32 s65, 25
	s_cbranch_scc0 .LBB143_1057
; %bb.1050:
	s_cmp_gt_i32 s65, 28
	s_cbranch_scc0 .LBB143_1058
; %bb.1051:
	;; [unrolled: 3-line block ×4, first 2 shown]
	s_mov_b64 s[60:61], 0
	s_mov_b64 s[0:1], -1
	s_cmp_eq_u32 s65, 46
	s_mov_b64 s[58:59], 0
	s_cbranch_scc0 .LBB143_1061
; %bb.1054:
	v_cvt_f32_ubyte0_e32 v3, v2
	v_bfe_u32 v4, v3, 16, 1
	s_movk_i32 s0, 0x7fff
	v_add3_u32 v3, v3, v4, s0
	v_lshrrev_b32_e32 v3, 16, v3
	global_store_dword v[0:1], v3, off
	s_mov_b64 s[58:59], -1
	s_mov_b64 s[0:1], 0
	s_branch .LBB143_1061
.LBB143_1055:
	s_mov_b64 s[60:61], 0
                                        ; implicit-def: $vgpr10
	s_mov_b64 s[0:1], s[48:49]
	s_branch .LBB143_1171
.LBB143_1056:
	s_mov_b64 s[60:61], -1
	s_mov_b64 s[58:59], 0
	s_mov_b64 s[0:1], s[48:49]
	s_branch .LBB143_1130
.LBB143_1057:
	s_mov_b64 s[60:61], -1
	s_mov_b64 s[58:59], 0
	s_mov_b64 s[0:1], s[48:49]
	s_branch .LBB143_1088
.LBB143_1058:
	s_mov_b64 s[60:61], -1
	s_mov_b64 s[58:59], 0
	s_mov_b64 s[0:1], s[48:49]
	s_branch .LBB143_1071
.LBB143_1059:
	s_mov_b64 s[60:61], -1
	s_mov_b64 s[58:59], 0
	s_mov_b64 s[0:1], s[48:49]
	s_branch .LBB143_1067
.LBB143_1060:
	s_mov_b64 s[60:61], -1
	s_mov_b64 s[58:59], 0
	s_mov_b64 s[0:1], s[48:49]
.LBB143_1061:
	s_and_b64 vcc, exec, s[60:61]
	s_cbranch_vccz .LBB143_1066
; %bb.1062:
	s_cmp_eq_u32 s65, 44
	s_mov_b64 s[0:1], -1
	s_cbranch_scc0 .LBB143_1066
; %bb.1063:
	v_cvt_f32_ubyte0_e32 v4, v2
	v_lshrrev_b32_e32 v3, 23, v4
	s_movk_i32 s0, 0xff
	v_cmp_ne_u32_e32 vcc, s0, v3
	v_mov_b32_e32 v5, 0xff
	s_and_saveexec_b64 s[58:59], vcc
; %bb.1064:
	s_mov_b32 s0, 0x3fffff
	v_and_b32_e32 v5, 0x400000, v4
	v_and_or_b32 v4, v4, s0, v3
	v_cmp_ne_u32_e32 vcc, 0, v5
	v_cmp_ne_u32_e64 s[0:1], 0, v4
	s_and_b64 s[0:1], vcc, s[0:1]
	v_cndmask_b32_e64 v4, 0, 1, s[0:1]
	v_add_u32_e32 v5, v3, v4
; %bb.1065:
	s_or_b64 exec, exec, s[58:59]
	s_mov_b64 s[58:59], -1
	s_mov_b64 s[0:1], 0
	global_store_byte v[0:1], v5, off
.LBB143_1066:
	s_mov_b64 s[60:61], 0
.LBB143_1067:
	s_and_b64 vcc, exec, s[60:61]
	s_cbranch_vccz .LBB143_1070
; %bb.1068:
	s_cmp_eq_u32 s65, 29
	s_mov_b64 s[0:1], -1
	s_cbranch_scc0 .LBB143_1070
; %bb.1069:
	s_mov_b32 s0, 0
	v_and_b32_e32 v3, 0xffff, v2
	v_mov_b32_e32 v4, s0
	global_store_dwordx2 v[0:1], v[3:4], off
	s_mov_b64 s[58:59], -1
	s_mov_b64 s[0:1], 0
.LBB143_1070:
	s_mov_b64 s[60:61], 0
.LBB143_1071:
	s_and_b64 vcc, exec, s[60:61]
	s_cbranch_vccz .LBB143_1087
; %bb.1072:
	s_cmp_lt_i32 s65, 27
	s_mov_b64 s[58:59], -1
	s_cbranch_scc1 .LBB143_1078
; %bb.1073:
	s_cmp_gt_i32 s65, 27
	s_cbranch_scc0 .LBB143_1075
; %bb.1074:
	v_and_b32_e32 v3, 0xffff, v2
	s_mov_b64 s[58:59], 0
	global_store_dword v[0:1], v3, off
.LBB143_1075:
	s_andn2_b64 vcc, exec, s[58:59]
	s_cbranch_vccnz .LBB143_1077
; %bb.1076:
	global_store_short v[0:1], v2, off
.LBB143_1077:
	s_mov_b64 s[58:59], 0
.LBB143_1078:
	s_andn2_b64 vcc, exec, s[58:59]
	s_cbranch_vccnz .LBB143_1086
; %bb.1079:
	v_cvt_f32_ubyte0_e32 v4, v2
	s_mov_b32 s58, 0x43800000
	v_cmp_gt_u32_e32 vcc, s58, v4
	v_mov_b32_e32 v5, 0x80
	s_and_saveexec_b64 s[58:59], vcc
	s_cbranch_execz .LBB143_1085
; %bb.1080:
	s_mov_b32 s60, 0x3bffffff
	v_cmp_lt_u32_e32 vcc, s60, v4
	s_mov_b64 s[60:61], 0
                                        ; implicit-def: $vgpr3
	s_and_saveexec_b64 s[62:63], vcc
	s_xor_b64 s[62:63], exec, s[62:63]
	s_cbranch_execz .LBB143_1199
; %bb.1081:
	v_bfe_u32 v3, v4, 20, 1
	s_mov_b32 s67, 0x487ffff
	v_add3_u32 v3, v4, v3, s67
	s_mov_b64 s[60:61], exec
	v_lshrrev_b32_e32 v3, 20, v3
                                        ; implicit-def: $vgpr4
	s_andn2_saveexec_b64 s[62:63], s[62:63]
	s_cbranch_execnz .LBB143_1200
.LBB143_1082:
	s_or_b64 exec, exec, s[62:63]
	v_mov_b32_e32 v5, 0
	s_and_saveexec_b64 s[62:63], s[60:61]
.LBB143_1083:
	v_mov_b32_e32 v5, v3
.LBB143_1084:
	s_or_b64 exec, exec, s[62:63]
.LBB143_1085:
	s_or_b64 exec, exec, s[58:59]
	global_store_byte v[0:1], v5, off
.LBB143_1086:
	s_mov_b64 s[58:59], -1
.LBB143_1087:
	s_mov_b64 s[60:61], 0
.LBB143_1088:
	s_and_b64 vcc, exec, s[60:61]
	s_cbranch_vccz .LBB143_1129
; %bb.1089:
	s_cmp_gt_i32 s65, 22
	s_mov_b64 s[60:61], -1
	s_cbranch_scc0 .LBB143_1121
; %bb.1090:
	s_cmp_lt_i32 s65, 24
	s_mov_b64 s[58:59], -1
	s_cbranch_scc1 .LBB143_1110
; %bb.1091:
	s_cmp_gt_i32 s65, 24
	s_cbranch_scc0 .LBB143_1099
; %bb.1092:
	v_cvt_f32_ubyte0_e32 v4, v2
	s_mov_b32 s58, 0x47800000
	v_cmp_gt_u32_e32 vcc, s58, v4
	v_mov_b32_e32 v5, 0x80
	s_and_saveexec_b64 s[58:59], vcc
	s_cbranch_execz .LBB143_1098
; %bb.1093:
	s_mov_b32 s60, 0x37ffffff
	v_cmp_lt_u32_e32 vcc, s60, v4
	s_mov_b64 s[60:61], 0
                                        ; implicit-def: $vgpr3
	s_and_saveexec_b64 s[62:63], vcc
	s_xor_b64 s[62:63], exec, s[62:63]
	s_cbranch_execz .LBB143_2236
; %bb.1094:
	v_bfe_u32 v3, v4, 21, 1
	s_mov_b32 s67, 0x88fffff
	v_add3_u32 v3, v4, v3, s67
	s_mov_b64 s[60:61], exec
	v_lshrrev_b32_e32 v3, 21, v3
                                        ; implicit-def: $vgpr4
	s_andn2_saveexec_b64 s[62:63], s[62:63]
	s_cbranch_execnz .LBB143_2237
.LBB143_1095:
	s_or_b64 exec, exec, s[62:63]
	v_mov_b32_e32 v5, 0
	s_and_saveexec_b64 s[62:63], s[60:61]
.LBB143_1096:
	v_mov_b32_e32 v5, v3
.LBB143_1097:
	s_or_b64 exec, exec, s[62:63]
.LBB143_1098:
	s_or_b64 exec, exec, s[58:59]
	s_mov_b64 s[58:59], 0
	global_store_byte v[0:1], v5, off
.LBB143_1099:
	s_and_b64 vcc, exec, s[58:59]
	s_cbranch_vccz .LBB143_1109
; %bb.1100:
	v_cvt_f32_ubyte0_e32 v3, v2
	s_mov_b32 s58, 0x43f00000
	v_cmp_gt_u32_e32 vcc, s58, v3
                                        ; implicit-def: $vgpr4
	s_and_saveexec_b64 s[58:59], vcc
	s_xor_b64 s[58:59], exec, s[58:59]
	s_cbranch_execz .LBB143_1106
; %bb.1101:
	s_mov_b32 s60, 0x3c7fffff
	v_cmp_lt_u32_e32 vcc, s60, v3
                                        ; implicit-def: $vgpr4
	s_and_saveexec_b64 s[60:61], vcc
	s_xor_b64 s[60:61], exec, s[60:61]
; %bb.1102:
	v_bfe_u32 v4, v3, 20, 1
	s_mov_b32 s62, 0x407ffff
	v_add3_u32 v3, v3, v4, s62
	v_lshrrev_b32_e32 v4, 20, v3
	v_and_b32_e32 v3, 0xff00000, v3
	s_mov_b32 s62, 0x7f00000
	v_mov_b32_e32 v5, 0x7e
	v_cmp_ne_u32_e32 vcc, s62, v3
	v_cndmask_b32_e32 v4, v5, v4, vcc
                                        ; implicit-def: $vgpr3
; %bb.1103:
	s_andn2_saveexec_b64 s[60:61], s[60:61]
; %bb.1104:
	v_add_f32_e32 v4, 0x46800000, v3
; %bb.1105:
	s_or_b64 exec, exec, s[60:61]
                                        ; implicit-def: $vgpr3
.LBB143_1106:
	s_andn2_saveexec_b64 s[58:59], s[58:59]
; %bb.1107:
	s_mov_b32 s60, 0x7f800000
	v_mov_b32_e32 v4, 0x7e
	v_mov_b32_e32 v5, 0x7f
	v_cmp_lt_u32_e32 vcc, s60, v3
	v_cndmask_b32_e32 v4, v4, v5, vcc
; %bb.1108:
	s_or_b64 exec, exec, s[58:59]
	global_store_byte v[0:1], v4, off
.LBB143_1109:
	s_mov_b64 s[58:59], 0
.LBB143_1110:
	s_andn2_b64 vcc, exec, s[58:59]
	s_cbranch_vccnz .LBB143_1120
; %bb.1111:
	v_cvt_f32_ubyte0_e32 v3, v2
	s_mov_b32 s58, 0x47800000
	v_cmp_gt_u32_e32 vcc, s58, v3
                                        ; implicit-def: $vgpr4
	s_and_saveexec_b64 s[58:59], vcc
	s_xor_b64 s[58:59], exec, s[58:59]
	s_cbranch_execz .LBB143_1117
; %bb.1112:
	s_mov_b32 s60, 0x387fffff
	v_cmp_lt_u32_e32 vcc, s60, v3
                                        ; implicit-def: $vgpr4
	s_and_saveexec_b64 s[60:61], vcc
	s_xor_b64 s[60:61], exec, s[60:61]
; %bb.1113:
	v_bfe_u32 v4, v3, 21, 1
	s_mov_b32 s62, 0x80fffff
	v_add3_u32 v3, v3, v4, s62
	v_lshrrev_b32_e32 v4, 21, v3
                                        ; implicit-def: $vgpr3
; %bb.1114:
	s_andn2_saveexec_b64 s[60:61], s[60:61]
; %bb.1115:
	v_add_f32_e32 v4, 0x43000000, v3
; %bb.1116:
	s_or_b64 exec, exec, s[60:61]
                                        ; implicit-def: $vgpr3
.LBB143_1117:
	s_andn2_saveexec_b64 s[58:59], s[58:59]
; %bb.1118:
	s_mov_b32 s60, 0x7f800000
	v_mov_b32_e32 v4, 0x7c
	v_mov_b32_e32 v5, 0x7f
	v_cmp_lt_u32_e32 vcc, s60, v3
	v_cndmask_b32_e32 v4, v4, v5, vcc
; %bb.1119:
	s_or_b64 exec, exec, s[58:59]
	global_store_byte v[0:1], v4, off
.LBB143_1120:
	s_mov_b64 s[60:61], 0
	s_mov_b64 s[58:59], -1
.LBB143_1121:
	s_andn2_b64 vcc, exec, s[60:61]
	s_cbranch_vccnz .LBB143_1129
; %bb.1122:
	s_cmp_gt_i32 s65, 14
	s_mov_b64 s[60:61], -1
	s_cbranch_scc0 .LBB143_1126
; %bb.1123:
	s_cmp_eq_u32 s65, 15
	s_mov_b64 s[0:1], -1
	s_cbranch_scc0 .LBB143_1125
; %bb.1124:
	v_cvt_f32_ubyte0_e32 v3, v2
	v_bfe_u32 v4, v3, 16, 1
	s_movk_i32 s0, 0x7fff
	v_add3_u32 v3, v3, v4, s0
	global_store_short_d16_hi v[0:1], v3, off
	s_mov_b64 s[58:59], -1
	s_mov_b64 s[0:1], 0
.LBB143_1125:
	s_mov_b64 s[60:61], 0
.LBB143_1126:
	s_and_b64 vcc, exec, s[60:61]
	s_cbranch_vccz .LBB143_1129
; %bb.1127:
	s_cmp_eq_u32 s65, 11
	s_mov_b64 s[0:1], -1
	s_cbranch_scc0 .LBB143_1129
; %bb.1128:
	v_cmp_ne_u16_e32 vcc, 0, v2
	v_cndmask_b32_e64 v3, 0, 1, vcc
	s_mov_b64 s[58:59], -1
	s_mov_b64 s[0:1], 0
	global_store_byte v[0:1], v3, off
.LBB143_1129:
	s_mov_b64 s[60:61], 0
.LBB143_1130:
	s_and_b64 vcc, exec, s[60:61]
	s_cbranch_vccz .LBB143_1169
; %bb.1131:
	s_and_b32 s60, 0xffff, s64
	s_cmp_lt_i32 s60, 5
	s_mov_b64 s[58:59], -1
	s_cbranch_scc1 .LBB143_1152
; %bb.1132:
	s_cmp_lt_i32 s60, 8
	s_cbranch_scc1 .LBB143_1142
; %bb.1133:
	s_cmp_lt_i32 s60, 9
	s_cbranch_scc1 .LBB143_1139
; %bb.1134:
	s_cmp_gt_i32 s60, 9
	s_cbranch_scc0 .LBB143_1136
; %bb.1135:
	v_and_b32_e32 v3, 0xffff, v2
	v_cvt_f64_u32_e32 v[3:4], v3
	v_mov_b32_e32 v5, 0
	v_mov_b32_e32 v6, v5
	s_mov_b64 s[58:59], 0
	global_store_dwordx4 v[0:1], v[3:6], off
.LBB143_1136:
	s_andn2_b64 vcc, exec, s[58:59]
	s_cbranch_vccnz .LBB143_1138
; %bb.1137:
	v_cvt_f32_ubyte0_e32 v3, v2
	v_mov_b32_e32 v4, 0
	global_store_dwordx2 v[0:1], v[3:4], off
.LBB143_1138:
	s_mov_b64 s[58:59], 0
.LBB143_1139:
	s_andn2_b64 vcc, exec, s[58:59]
	s_cbranch_vccnz .LBB143_1141
; %bb.1140:
	v_cvt_f16_u16_e32 v3, v2
	global_store_dword v[0:1], v3, off
.LBB143_1141:
	s_mov_b64 s[58:59], 0
.LBB143_1142:
	s_andn2_b64 vcc, exec, s[58:59]
	s_cbranch_vccnz .LBB143_1151
; %bb.1143:
	s_cmp_lt_i32 s60, 6
	s_mov_b64 s[58:59], -1
	s_cbranch_scc1 .LBB143_1149
; %bb.1144:
	s_cmp_gt_i32 s60, 6
	s_cbranch_scc0 .LBB143_1146
; %bb.1145:
	v_and_b32_e32 v3, 0xffff, v2
	v_cvt_f64_u32_e32 v[3:4], v3
	s_mov_b64 s[58:59], 0
	global_store_dwordx2 v[0:1], v[3:4], off
.LBB143_1146:
	s_andn2_b64 vcc, exec, s[58:59]
	s_cbranch_vccnz .LBB143_1148
; %bb.1147:
	v_cvt_f32_ubyte0_e32 v3, v2
	global_store_dword v[0:1], v3, off
.LBB143_1148:
	s_mov_b64 s[58:59], 0
.LBB143_1149:
	s_andn2_b64 vcc, exec, s[58:59]
	s_cbranch_vccnz .LBB143_1151
; %bb.1150:
	v_cvt_f16_u16_e32 v3, v2
	global_store_short v[0:1], v3, off
.LBB143_1151:
	s_mov_b64 s[58:59], 0
.LBB143_1152:
	s_andn2_b64 vcc, exec, s[58:59]
	s_cbranch_vccnz .LBB143_1168
; %bb.1153:
	s_cmp_lt_i32 s60, 2
	s_mov_b64 s[58:59], -1
	s_cbranch_scc1 .LBB143_1163
; %bb.1154:
	s_cmp_lt_i32 s60, 3
	s_cbranch_scc1 .LBB143_1160
; %bb.1155:
	s_cmp_gt_i32 s60, 3
	s_cbranch_scc0 .LBB143_1157
; %bb.1156:
	s_mov_b32 s58, 0
	v_and_b32_e32 v3, 0xffff, v2
	v_mov_b32_e32 v4, s58
	s_mov_b64 s[58:59], 0
	global_store_dwordx2 v[0:1], v[3:4], off
.LBB143_1157:
	s_andn2_b64 vcc, exec, s[58:59]
	s_cbranch_vccnz .LBB143_1159
; %bb.1158:
	v_and_b32_e32 v3, 0xffff, v2
	global_store_dword v[0:1], v3, off
.LBB143_1159:
	s_mov_b64 s[58:59], 0
.LBB143_1160:
	s_andn2_b64 vcc, exec, s[58:59]
	s_cbranch_vccnz .LBB143_1162
; %bb.1161:
	global_store_short v[0:1], v2, off
.LBB143_1162:
	s_mov_b64 s[58:59], 0
.LBB143_1163:
	s_andn2_b64 vcc, exec, s[58:59]
	s_cbranch_vccnz .LBB143_1168
; %bb.1164:
	s_cmp_gt_i32 s60, 0
	s_mov_b64 s[58:59], -1
	s_cbranch_scc0 .LBB143_1166
; %bb.1165:
	s_mov_b64 s[58:59], 0
	global_store_byte v[0:1], v2, off
.LBB143_1166:
	s_andn2_b64 vcc, exec, s[58:59]
	s_cbranch_vccnz .LBB143_1168
; %bb.1167:
	global_store_byte v[0:1], v2, off
.LBB143_1168:
	s_mov_b64 s[58:59], -1
.LBB143_1169:
	s_andn2_b64 vcc, exec, s[58:59]
	s_cbranch_vccnz .LBB143_1181
; %bb.1170:
	v_add_u32_e32 v10, 0x80, v10
	s_mov_b64 s[60:61], -1
.LBB143_1171:
	s_andn2_b64 s[58:59], s[48:49], exec
	s_and_b64 s[0:1], s[0:1], exec
	s_or_b64 s[58:59], s[58:59], s[0:1]
	s_andn2_b64 s[0:1], s[46:47], exec
	s_and_b64 s[56:57], s[56:57], exec
	s_or_b64 s[56:57], s[0:1], s[56:57]
	;; [unrolled: 3-line block ×3, first 2 shown]
	s_orn2_b64 s[64:65], s[60:61], exec
.LBB143_1172:
	s_or_b64 exec, exec, s[52:53]
	s_mov_b64 s[60:61], 0
	s_mov_b64 s[54:55], 0
	;; [unrolled: 1-line block ×3, first 2 shown]
                                        ; implicit-def: $sgpr73
                                        ; implicit-def: $vgpr4_vgpr5
                                        ; implicit-def: $vgpr0
                                        ; implicit-def: $vgpr3
                                        ; implicit-def: $vgpr1
	s_and_saveexec_b64 s[52:53], s[64:65]
	s_cbranch_execz .LBB143_1263
; %bb.1173:
	v_cmp_gt_i32_e32 vcc, s66, v10
	s_mov_b64 s[64:65], s[0:1]
	s_mov_b64 s[66:67], 0
                                        ; implicit-def: $sgpr73
                                        ; implicit-def: $vgpr4_vgpr5
                                        ; implicit-def: $vgpr0
                                        ; implicit-def: $vgpr3
                                        ; implicit-def: $vgpr1
	s_and_saveexec_b64 s[54:55], vcc
	s_cbranch_execz .LBB143_1262
; %bb.1174:
	s_andn2_b64 vcc, exec, s[20:21]
	s_cbranch_vccnz .LBB143_1180
; %bb.1175:
	s_andn2_b64 vcc, exec, s[34:35]
	s_cbranch_vccnz .LBB143_1182
; %bb.1176:
	s_add_i32 s34, s72, 1
	s_and_b32 s60, s34, 30
	s_add_u32 s34, s2, 0xffffffe8
	s_addc_u32 s35, s3, -1
	v_mov_b32_e32 v3, 0
	s_waitcnt vmcnt(0)
	v_mov_b32_e32 v5, 0
	v_mov_b32_e32 v0, 0
	;; [unrolled: 1-line block ×3, first 2 shown]
.LBB143_1177:                           ; =>This Inner Loop Header: Depth=1
	s_load_dwordx4 s[64:67], s[34:35], 0x1c
	s_load_dwordx2 s[62:63], s[34:35], 0x2c
	s_load_dwordx2 s[74:75], s[34:35], 0xec
	s_load_dwordx4 s[76:79], s[34:35], 0xdc
	s_add_u32 s34, s34, 24
	s_waitcnt lgkmcnt(0)
	v_mul_hi_u32 v2, s65, v1
	s_addc_u32 s35, s35, 0
	s_add_i32 s60, s60, -2
	s_cmp_eq_u32 s60, 0
	v_add_u32_e32 v2, v1, v2
	v_lshrrev_b32_e32 v2, s66, v2
	v_mul_lo_u32 v4, v2, s64
	v_mul_hi_u32 v6, s62, v2
	v_sub_u32_e32 v4, v1, v4
	v_add_u32_e32 v1, v2, v6
	v_lshrrev_b32_e32 v1, s63, v1
	v_mul_lo_u32 v8, v1, s67
	v_mul_lo_u32 v6, v4, s76
	;; [unrolled: 1-line block ×4, first 2 shown]
	v_sub_u32_e32 v2, v2, v8
	v_mul_lo_u32 v8, v2, s79
	v_mul_lo_u32 v9, v2, s74
	;; [unrolled: 1-line block ×3, first 2 shown]
	v_add3_u32 v0, v6, v0, v8
	v_add3_u32 v5, v7, v5, v9
	;; [unrolled: 1-line block ×3, first 2 shown]
	s_cbranch_scc0 .LBB143_1177
; %bb.1178:
	s_bitcmp1_b32 s72, 0
	s_cselect_b64 s[60:61], -1, 0
	s_and_b64 vcc, exec, s[60:61]
	s_cbranch_vccnz .LBB143_1183
; %bb.1179:
	s_load_dwordx2 s[60:61], s[34:35], 0x1c
	s_load_dword s64, s[34:35], 0x24
	s_load_dwordx2 s[62:63], s[34:35], 0xdc
	s_waitcnt lgkmcnt(0)
	v_mul_hi_u32 v2, s61, v1
	v_add_u32_e32 v2, v1, v2
	v_lshrrev_b32_e32 v2, s64, v2
	v_mul_lo_u32 v2, v2, s60
	s_load_dword s60, s[34:35], 0xe4
	v_sub_u32_e32 v2, v1, v2
	v_mad_u64_u32 v[0:1], s[34:35], v2, s62, v[0:1]
	v_mad_u64_u32 v[5:6], s[34:35], v2, s63, v[5:6]
	s_waitcnt lgkmcnt(0)
	v_mad_u64_u32 v[3:4], s[34:35], v2, s60, v[3:4]
	s_branch .LBB143_1183
.LBB143_1180:
	s_mov_b64 s[34:35], -1
                                        ; implicit-def: $vgpr0
                                        ; implicit-def: $vgpr5
                                        ; implicit-def: $vgpr3
	s_branch .LBB143_1184
.LBB143_1181:
	s_mov_b64 s[60:61], 0
	s_branch .LBB143_928
.LBB143_1182:
	v_mov_b32_e32 v0, 0
	s_waitcnt vmcnt(0)
	v_mov_b32_e32 v5, 0
	v_mov_b32_e32 v3, 0
.LBB143_1183:
	s_mov_b64 s[34:35], 0
.LBB143_1184:
	s_andn2_b64 vcc, exec, s[34:35]
	s_cbranch_vccnz .LBB143_1187
; %bb.1185:
	s_waitcnt lgkmcnt(0)
	v_mul_hi_u32 v0, s17, v10
	s_andn2_b64 vcc, exec, s[30:31]
	v_add_u32_e32 v0, v10, v0
	s_waitcnt vmcnt(0)
	v_lshrrev_b32_e32 v1, s18, v0
	v_mul_lo_u32 v0, v1, s16
	v_sub_u32_e32 v2, v10, v0
	v_mul_lo_u32 v0, v2, s12
	v_mul_lo_u32 v5, v2, s13
	;; [unrolled: 1-line block ×3, first 2 shown]
	s_cbranch_vccnz .LBB143_1187
; %bb.1186:
	v_mul_hi_u32 v2, s28, v1
	v_add_u32_e32 v2, v1, v2
	v_lshrrev_b32_e32 v2, s29, v2
	v_mul_lo_u32 v2, v2, s19
	v_sub_u32_e32 v2, v1, v2
	v_mad_u64_u32 v[0:1], s[12:13], v2, s15, v[0:1]
	v_mad_u64_u32 v[5:6], s[12:13], v2, s26, v[5:6]
	v_mad_u64_u32 v[3:4], s[12:13], v2, s27, v[3:4]
.LBB143_1187:
	s_waitcnt vmcnt(0) lgkmcnt(0)
	v_mov_b32_e32 v1, s11
	s_and_b32 s73, s71, 0xff
	v_add_co_u32_e32 v4, vcc, s10, v5
	s_cmp_lt_i32 s73, 11
	v_addc_co_u32_e32 v5, vcc, 0, v1, vcc
	s_cbranch_scc1 .LBB143_1194
; %bb.1188:
	s_and_b32 s18, 0xffff, s73
	s_cmp_gt_i32 s18, 25
	s_mov_b64 s[12:13], 0
	s_cbranch_scc0 .LBB143_1195
; %bb.1189:
	s_cmp_gt_i32 s18, 28
	s_cbranch_scc0 .LBB143_1196
; %bb.1190:
	s_cmp_gt_i32 s18, 43
	;; [unrolled: 3-line block ×3, first 2 shown]
	s_cbranch_scc0 .LBB143_1198
; %bb.1192:
	s_cmp_eq_u32 s18, 46
	s_mov_b64 s[16:17], 0
	s_cbranch_scc0 .LBB143_1201
; %bb.1193:
	global_load_dword v1, v[4:5], off
	s_mov_b32 s10, 0x2f800000
	s_mov_b32 s11, 0xcf800000
	s_mov_b64 s[14:15], -1
	s_waitcnt vmcnt(0)
	v_lshlrev_b32_e32 v1, 16, v1
	v_trunc_f32_e32 v1, v1
	v_mul_f32_e64 v2, |v1|, s10
	v_floor_f32_e32 v2, v2
	v_fma_f32 v2, v2, s11, |v1|
	v_cvt_u32_f32_e32 v2, v2
	v_ashrrev_i32_e32 v1, 31, v1
	s_mov_b64 s[10:11], 0
	v_xor_b32_e32 v2, v2, v1
	v_sub_u32_e32 v1, v2, v1
	s_branch .LBB143_1202
.LBB143_1194:
	s_mov_b64 s[16:17], -1
	s_mov_b64 s[14:15], 0
	s_mov_b64 s[12:13], 0
	s_mov_b64 s[10:11], s[0:1]
                                        ; implicit-def: $vgpr1
	s_branch .LBB143_1261
.LBB143_1195:
	s_mov_b64 s[16:17], -1
	s_mov_b64 s[14:15], 0
	s_mov_b64 s[10:11], s[0:1]
                                        ; implicit-def: $vgpr1
	s_branch .LBB143_1229
.LBB143_1196:
	s_mov_b64 s[16:17], -1
	s_mov_b64 s[14:15], 0
	s_mov_b64 s[10:11], s[0:1]
                                        ; implicit-def: $vgpr1
	s_branch .LBB143_1212
.LBB143_1197:
	s_mov_b64 s[16:17], -1
	s_mov_b64 s[14:15], 0
	s_mov_b64 s[10:11], s[0:1]
                                        ; implicit-def: $vgpr1
	s_branch .LBB143_1207
.LBB143_1198:
	s_mov_b64 s[16:17], -1
	s_mov_b64 s[14:15], 0
	s_mov_b64 s[10:11], s[0:1]
                                        ; implicit-def: $vgpr1
	s_branch .LBB143_1202
.LBB143_1199:
	s_andn2_saveexec_b64 s[62:63], s[62:63]
	s_cbranch_execz .LBB143_1082
.LBB143_1200:
	v_add_f32_e32 v3, 0x46000000, v4
	v_and_b32_e32 v3, 0xff, v3
	v_cmp_ne_u32_e32 vcc, 0, v3
	s_andn2_b64 s[60:61], s[60:61], exec
	s_and_b64 s[74:75], vcc, exec
	s_or_b64 s[60:61], s[60:61], s[74:75]
	s_or_b64 exec, exec, s[62:63]
	v_mov_b32_e32 v5, 0
	s_and_saveexec_b64 s[62:63], s[60:61]
	s_cbranch_execnz .LBB143_1083
	s_branch .LBB143_1084
.LBB143_1201:
	s_mov_b64 s[10:11], -1
                                        ; implicit-def: $vgpr1
	s_mov_b64 s[14:15], 0
.LBB143_1202:
	s_and_b64 vcc, exec, s[16:17]
	s_cbranch_vccz .LBB143_1206
; %bb.1203:
	s_cmp_eq_u32 s18, 44
	s_cbranch_scc0 .LBB143_1205
; %bb.1204:
	global_load_ubyte v1, v[4:5], off
	s_mov_b32 s10, 0x2f800000
	s_mov_b32 s11, 0xcf800000
	s_mov_b64 s[14:15], -1
	s_waitcnt vmcnt(0)
	v_lshlrev_b32_e32 v2, 23, v1
	v_trunc_f32_e32 v2, v2
	v_mul_f32_e64 v6, |v2|, s10
	v_floor_f32_e32 v6, v6
	v_fma_f32 v6, v6, s11, |v2|
	v_cvt_u32_f32_e32 v6, v6
	v_ashrrev_i32_e32 v2, 31, v2
	v_cmp_ne_u32_e32 vcc, 0, v1
	s_mov_b64 s[10:11], 0
	v_xor_b32_e32 v6, v6, v2
	v_sub_u32_e32 v2, v6, v2
	v_cndmask_b32_e32 v1, 0, v2, vcc
	s_branch .LBB143_1206
.LBB143_1205:
	s_mov_b64 s[10:11], -1
                                        ; implicit-def: $vgpr1
.LBB143_1206:
	s_mov_b64 s[16:17], 0
.LBB143_1207:
	s_and_b64 vcc, exec, s[16:17]
	s_cbranch_vccz .LBB143_1211
; %bb.1208:
	s_cmp_eq_u32 s18, 29
	s_cbranch_scc0 .LBB143_1210
; %bb.1209:
	global_load_dwordx2 v[1:2], v[4:5], off
	s_mov_b64 s[10:11], 0
	s_mov_b64 s[14:15], -1
	s_branch .LBB143_1211
.LBB143_1210:
	s_mov_b64 s[10:11], -1
                                        ; implicit-def: $vgpr1
.LBB143_1211:
	s_mov_b64 s[16:17], 0
.LBB143_1212:
	s_and_b64 vcc, exec, s[16:17]
	s_cbranch_vccz .LBB143_1228
; %bb.1213:
	s_cmp_lt_i32 s18, 27
	s_cbranch_scc1 .LBB143_1216
; %bb.1214:
	s_cmp_gt_i32 s18, 27
	s_cbranch_scc0 .LBB143_1217
; %bb.1215:
	global_load_dword v1, v[4:5], off
	s_mov_b64 s[14:15], 0
	s_branch .LBB143_1218
.LBB143_1216:
	s_mov_b64 s[14:15], -1
                                        ; implicit-def: $vgpr1
	s_branch .LBB143_1221
.LBB143_1217:
	s_mov_b64 s[14:15], -1
                                        ; implicit-def: $vgpr1
.LBB143_1218:
	s_andn2_b64 vcc, exec, s[14:15]
	s_cbranch_vccnz .LBB143_1220
; %bb.1219:
	global_load_ushort v1, v[4:5], off
.LBB143_1220:
	s_mov_b64 s[14:15], 0
.LBB143_1221:
	s_andn2_b64 vcc, exec, s[14:15]
	s_cbranch_vccnz .LBB143_1227
; %bb.1222:
	global_load_ubyte v2, v[4:5], off
	s_movk_i32 s14, 0x7f
	s_mov_b64 s[16:17], 0
	s_waitcnt vmcnt(0)
	v_cmp_lt_i16_e32 vcc, s14, v2
	s_and_saveexec_b64 s[14:15], vcc
	s_xor_b64 s[14:15], exec, s[14:15]
	s_cbranch_execz .LBB143_1239
; %bb.1223:
	s_movk_i32 s16, 0x80
	v_cmp_ne_u16_e32 vcc, s16, v2
	s_and_b64 s[16:17], vcc, exec
	s_andn2_saveexec_b64 s[14:15], s[14:15]
	s_cbranch_execnz .LBB143_1240
.LBB143_1224:
	s_or_b64 exec, exec, s[14:15]
	v_mov_b32_e32 v1, 0
	s_and_saveexec_b64 s[14:15], s[16:17]
	s_cbranch_execz .LBB143_1226
.LBB143_1225:
	v_lshlrev_b32_e32 v1, 24, v2
	v_and_b32_e32 v2, 0xffff, v2
	v_and_b32_e32 v6, 7, v2
	v_ffbh_u32_e32 v8, v6
	v_min_u32_e32 v8, 32, v8
	v_subrev_u32_e32 v9, 28, v8
	v_bfe_u32 v7, v2, 3, 4
	v_lshlrev_b32_e32 v2, v9, v2
	v_sub_u32_e32 v8, 29, v8
	v_and_b32_e32 v2, 7, v2
	v_cmp_eq_u32_e32 vcc, 0, v7
	v_cndmask_b32_e32 v7, v7, v8, vcc
	v_cndmask_b32_e32 v2, v6, v2, vcc
	v_mov_b32_e32 v6, 0x3b800000
	v_lshlrev_b32_e32 v2, 20, v2
	v_and_b32_e32 v1, 0x80000000, v1
	v_lshl_add_u32 v6, v7, 23, v6
	v_or3_b32 v1, v1, v6, v2
	v_trunc_f32_e32 v1, v1
	s_mov_b32 s16, 0x2f800000
	v_mul_f32_e64 v2, |v1|, s16
	v_floor_f32_e32 v2, v2
	s_mov_b32 s16, 0xcf800000
	v_fma_f32 v2, v2, s16, |v1|
	v_cvt_u32_f32_e32 v2, v2
	v_ashrrev_i32_e32 v1, 31, v1
	v_xor_b32_e32 v2, v2, v1
	v_sub_u32_e32 v1, v2, v1
.LBB143_1226:
	s_or_b64 exec, exec, s[14:15]
.LBB143_1227:
	s_mov_b64 s[14:15], -1
.LBB143_1228:
	s_mov_b64 s[16:17], 0
.LBB143_1229:
	s_and_b64 vcc, exec, s[16:17]
	s_cbranch_vccz .LBB143_1260
; %bb.1230:
	s_cmp_gt_i32 s18, 22
	s_cbranch_scc0 .LBB143_1238
; %bb.1231:
	s_cmp_lt_i32 s18, 24
	s_cbranch_scc1 .LBB143_1241
; %bb.1232:
	s_cmp_gt_i32 s18, 24
	s_cbranch_scc0 .LBB143_1242
; %bb.1233:
	global_load_ubyte v2, v[4:5], off
	s_movk_i32 s12, 0x7f
	s_mov_b64 s[14:15], 0
	s_waitcnt vmcnt(0)
	v_cmp_lt_i16_e32 vcc, s12, v2
	s_and_saveexec_b64 s[12:13], vcc
	s_xor_b64 s[12:13], exec, s[12:13]
	s_cbranch_execz .LBB143_1254
; %bb.1234:
	s_movk_i32 s14, 0x80
	v_cmp_ne_u16_e32 vcc, s14, v2
	s_and_b64 s[14:15], vcc, exec
	s_andn2_saveexec_b64 s[12:13], s[12:13]
	s_cbranch_execnz .LBB143_1255
.LBB143_1235:
	s_or_b64 exec, exec, s[12:13]
	v_mov_b32_e32 v1, 0
	s_and_saveexec_b64 s[12:13], s[14:15]
	s_cbranch_execz .LBB143_1237
.LBB143_1236:
	v_lshlrev_b32_e32 v1, 24, v2
	v_and_b32_e32 v2, 0xffff, v2
	v_and_b32_e32 v6, 3, v2
	v_ffbh_u32_e32 v8, v6
	v_min_u32_e32 v8, 32, v8
	v_subrev_u32_e32 v9, 29, v8
	v_bfe_u32 v7, v2, 2, 5
	v_lshlrev_b32_e32 v2, v9, v2
	v_sub_u32_e32 v8, 30, v8
	v_and_b32_e32 v2, 3, v2
	v_cmp_eq_u32_e32 vcc, 0, v7
	v_cndmask_b32_e32 v7, v7, v8, vcc
	v_cndmask_b32_e32 v2, v6, v2, vcc
	v_mov_b32_e32 v6, 0x37800000
	v_lshlrev_b32_e32 v2, 21, v2
	v_and_b32_e32 v1, 0x80000000, v1
	v_lshl_add_u32 v6, v7, 23, v6
	v_or3_b32 v1, v1, v6, v2
	v_trunc_f32_e32 v1, v1
	s_mov_b32 s14, 0x2f800000
	v_mul_f32_e64 v2, |v1|, s14
	v_floor_f32_e32 v2, v2
	s_mov_b32 s14, 0xcf800000
	v_fma_f32 v2, v2, s14, |v1|
	v_cvt_u32_f32_e32 v2, v2
	v_ashrrev_i32_e32 v1, 31, v1
	v_xor_b32_e32 v2, v2, v1
	v_sub_u32_e32 v1, v2, v1
.LBB143_1237:
	s_or_b64 exec, exec, s[12:13]
	s_mov_b64 s[12:13], 0
	s_branch .LBB143_1243
.LBB143_1238:
	s_mov_b64 s[12:13], -1
                                        ; implicit-def: $vgpr1
	s_branch .LBB143_1249
.LBB143_1239:
	s_andn2_saveexec_b64 s[14:15], s[14:15]
	s_cbranch_execz .LBB143_1224
.LBB143_1240:
	v_cmp_ne_u16_e32 vcc, 0, v2
	s_andn2_b64 s[16:17], s[16:17], exec
	s_and_b64 s[26:27], vcc, exec
	s_or_b64 s[16:17], s[16:17], s[26:27]
	s_or_b64 exec, exec, s[14:15]
	v_mov_b32_e32 v1, 0
	s_and_saveexec_b64 s[14:15], s[16:17]
	s_cbranch_execnz .LBB143_1225
	s_branch .LBB143_1226
.LBB143_1241:
	s_mov_b64 s[12:13], -1
                                        ; implicit-def: $vgpr1
	s_branch .LBB143_1246
.LBB143_1242:
	s_mov_b64 s[12:13], -1
                                        ; implicit-def: $vgpr1
.LBB143_1243:
	s_and_b64 vcc, exec, s[12:13]
	s_cbranch_vccz .LBB143_1245
; %bb.1244:
	global_load_ubyte v1, v[4:5], off
	s_mov_b32 s12, 0x7f800000
	s_brev_b32 s13, 1
	s_mov_b32 s14, 0x2f800000
	s_waitcnt vmcnt(0)
	v_lshlrev_b32_e32 v1, 24, v1
	v_and_b32_e32 v2, 0x7f000000, v1
	v_ffbh_u32_e32 v6, v2
	v_min_u32_e32 v6, 32, v6
	v_sub_u32_e64 v6, v6, 4 clamp
	v_lshlrev_b32_e32 v8, v6, v2
	v_lshlrev_b32_e32 v6, 23, v6
	v_lshrrev_b32_e32 v8, 4, v8
	v_add_u32_e32 v7, 0x1000000, v2
	v_sub_u32_e32 v6, v8, v6
	v_ashrrev_i32_e32 v7, 8, v7
	v_add_u32_e32 v6, 0x3c000000, v6
	v_and_or_b32 v6, v7, s12, v6
	v_cmp_ne_u32_e32 vcc, 0, v2
	v_cndmask_b32_e32 v2, 0, v6, vcc
	v_and_or_b32 v1, v1, s13, v2
	v_trunc_f32_e32 v1, v1
	v_mul_f32_e64 v2, |v1|, s14
	v_floor_f32_e32 v2, v2
	s_mov_b32 s12, 0xcf800000
	v_fma_f32 v2, v2, s12, |v1|
	v_cvt_u32_f32_e32 v2, v2
	v_ashrrev_i32_e32 v1, 31, v1
	v_xor_b32_e32 v2, v2, v1
	v_sub_u32_e32 v1, v2, v1
.LBB143_1245:
	s_mov_b64 s[12:13], 0
.LBB143_1246:
	s_andn2_b64 vcc, exec, s[12:13]
	s_cbranch_vccnz .LBB143_1248
; %bb.1247:
	global_load_ubyte v1, v[4:5], off
	s_movk_i32 s12, 0x7f00
	s_brev_b32 s13, 16
	s_brev_b32 s14, 1
	s_mov_b32 s15, 0x2f800000
	s_waitcnt vmcnt(0)
	v_lshlrev_b16_e32 v2, 8, v1
	v_lshlrev_b32_e32 v1, 25, v1
	v_lshrrev_b32_e32 v6, 4, v1
	v_and_or_b32 v7, v2, s12, 0.5
	v_or_b32_e32 v6, 0x70000000, v6
	v_add_f32_e32 v7, -0.5, v7
	v_mul_f32_e32 v6, 0x7800000, v6
	v_cmp_gt_u32_e32 vcc, s13, v1
	v_bfe_i32 v2, v2, 0, 16
	v_cndmask_b32_e32 v1, v6, v7, vcc
	v_and_or_b32 v1, v2, s14, v1
	v_trunc_f32_e32 v1, v1
	v_mul_f32_e64 v2, |v1|, s15
	v_floor_f32_e32 v2, v2
	s_mov_b32 s12, 0xcf800000
	v_fma_f32 v2, v2, s12, |v1|
	v_cvt_u32_f32_e32 v2, v2
	v_ashrrev_i32_e32 v1, 31, v1
	v_xor_b32_e32 v2, v2, v1
	v_sub_u32_e32 v1, v2, v1
.LBB143_1248:
	s_mov_b64 s[12:13], 0
	s_mov_b64 s[14:15], -1
.LBB143_1249:
	s_andn2_b64 vcc, exec, s[12:13]
	s_mov_b64 s[12:13], 0
	s_cbranch_vccnz .LBB143_1260
; %bb.1250:
	s_cmp_gt_i32 s18, 14
	s_cbranch_scc0 .LBB143_1253
; %bb.1251:
	s_cmp_eq_u32 s18, 15
	s_cbranch_scc0 .LBB143_1256
; %bb.1252:
	global_load_ushort v1, v[4:5], off
	s_mov_b32 s10, 0x2f800000
	s_mov_b32 s11, 0xcf800000
	s_mov_b64 s[14:15], -1
	s_waitcnt vmcnt(0)
	v_lshlrev_b32_e32 v1, 16, v1
	v_trunc_f32_e32 v1, v1
	v_mul_f32_e64 v2, |v1|, s10
	v_floor_f32_e32 v2, v2
	v_fma_f32 v2, v2, s11, |v1|
	v_cvt_u32_f32_e32 v2, v2
	v_ashrrev_i32_e32 v1, 31, v1
	s_mov_b64 s[10:11], 0
	v_xor_b32_e32 v2, v2, v1
	v_sub_u32_e32 v1, v2, v1
	s_branch .LBB143_1257
.LBB143_1253:
	s_mov_b64 s[16:17], -1
                                        ; implicit-def: $vgpr1
	s_branch .LBB143_1258
.LBB143_1254:
	s_andn2_saveexec_b64 s[12:13], s[12:13]
	s_cbranch_execz .LBB143_1235
.LBB143_1255:
	v_cmp_ne_u16_e32 vcc, 0, v2
	s_andn2_b64 s[14:15], s[14:15], exec
	s_and_b64 s[16:17], vcc, exec
	s_or_b64 s[14:15], s[14:15], s[16:17]
	s_or_b64 exec, exec, s[12:13]
	v_mov_b32_e32 v1, 0
	s_and_saveexec_b64 s[12:13], s[14:15]
	s_cbranch_execnz .LBB143_1236
	s_branch .LBB143_1237
.LBB143_1256:
	s_mov_b64 s[10:11], -1
                                        ; implicit-def: $vgpr1
.LBB143_1257:
	s_mov_b64 s[16:17], 0
.LBB143_1258:
	s_and_b64 vcc, exec, s[16:17]
	s_cbranch_vccz .LBB143_1260
; %bb.1259:
	s_cmp_lg_u32 s18, 11
	s_cselect_b64 s[16:17], -1, 0
	s_andn2_b64 s[10:11], s[10:11], exec
	s_and_b64 s[16:17], s[16:17], exec
	s_mov_b64 s[12:13], -1
	s_or_b64 s[10:11], s[10:11], s[16:17]
.LBB143_1260:
	s_mov_b64 s[16:17], 0
.LBB143_1261:
	s_and_b64 s[60:61], s[12:13], exec
	s_andn2_b64 s[12:13], s[0:1], exec
	s_and_b64 s[10:11], s[10:11], exec
	s_and_b64 s[62:63], s[14:15], exec
	;; [unrolled: 1-line block ×3, first 2 shown]
	s_or_b64 s[64:65], s[12:13], s[10:11]
.LBB143_1262:
	s_or_b64 exec, exec, s[54:55]
	s_andn2_b64 s[0:1], s[0:1], exec
	s_waitcnt lgkmcnt(0)
	s_and_b64 s[10:11], s[64:65], exec
	s_and_b64 s[62:63], s[62:63], exec
	;; [unrolled: 1-line block ×4, first 2 shown]
	s_or_b64 s[0:1], s[0:1], s[10:11]
.LBB143_1263:
	s_or_b64 exec, exec, s[52:53]
	s_waitcnt lgkmcnt(0)
	s_andn2_b64 s[10:11], s[48:49], exec
	s_and_b64 s[12:13], s[58:59], exec
	s_or_b64 s[48:49], s[10:11], s[12:13]
	s_andn2_b64 s[10:11], s[46:47], exec
	s_and_b64 s[12:13], s[56:57], exec
	s_or_b64 s[46:47], s[10:11], s[12:13]
	s_andn2_b64 s[10:11], s[44:45], exec
	s_and_b64 s[0:1], s[0:1], exec
	s_and_b64 s[56:57], s[62:63], exec
	;; [unrolled: 1-line block ×4, first 2 shown]
	s_or_b64 s[44:45], s[10:11], s[0:1]
.LBB143_1264:
	s_or_b64 exec, exec, s[50:51]
	s_andn2_b64 s[0:1], s[36:37], exec
	s_waitcnt lgkmcnt(0)
	s_and_b64 s[10:11], s[48:49], exec
	s_or_b64 s[36:37], s[0:1], s[10:11]
	s_andn2_b64 s[0:1], s[38:39], exec
	s_and_b64 s[10:11], s[46:47], exec
	s_or_b64 s[38:39], s[0:1], s[10:11]
	s_andn2_b64 s[0:1], s[40:41], exec
	s_and_b64 s[10:11], s[44:45], exec
	s_and_b64 s[48:49], s[56:57], exec
	;; [unrolled: 1-line block ×4, first 2 shown]
	s_or_b64 s[40:41], s[0:1], s[10:11]
	s_or_b64 exec, exec, s[42:43]
	s_mov_b64 s[10:11], 0
	s_and_saveexec_b64 s[0:1], s[40:41]
	s_cbranch_execz .LBB143_395
.LBB143_1265:
	s_mov_b64 s[10:11], exec
	s_andn2_b64 s[46:47], s[46:47], exec
	s_trap 2
	s_or_b64 exec, exec, s[0:1]
	s_and_saveexec_b64 s[0:1], s[46:47]
	s_xor_b64 s[0:1], exec, s[0:1]
	s_cbranch_execnz .LBB143_396
.LBB143_1266:
	s_or_b64 exec, exec, s[0:1]
	s_and_saveexec_b64 s[0:1], s[50:51]
	s_cbranch_execz .LBB143_1312
.LBB143_1267:
	s_sext_i32_i16 s12, s73
	s_cmp_lt_i32 s12, 5
	s_cbranch_scc1 .LBB143_1272
; %bb.1268:
	s_cmp_lt_i32 s12, 8
	s_cbranch_scc1 .LBB143_1273
; %bb.1269:
	;; [unrolled: 3-line block ×3, first 2 shown]
	s_cmp_gt_i32 s12, 9
	s_cbranch_scc0 .LBB143_1275
; %bb.1271:
	s_waitcnt vmcnt(0)
	global_load_dwordx2 v[1:2], v[4:5], off
	s_movk_i32 s12, 0xffe0
	s_waitcnt vmcnt(0)
	v_trunc_f64_e32 v[1:2], v[1:2]
	v_ldexp_f64 v[6:7], v[1:2], s12
	s_mov_b32 s12, 0
	s_mov_b32 s13, 0xc1f00000
	v_floor_f64_e32 v[6:7], v[6:7]
	v_fma_f64 v[1:2], v[6:7], s[12:13], v[1:2]
	s_mov_b64 s[12:13], 0
	v_cvt_u32_f64_e32 v1, v[1:2]
	s_branch .LBB143_1276
.LBB143_1272:
                                        ; implicit-def: $vgpr1
	s_branch .LBB143_1293
.LBB143_1273:
                                        ; implicit-def: $vgpr1
	s_branch .LBB143_1282
.LBB143_1274:
	s_mov_b64 s[12:13], -1
                                        ; implicit-def: $vgpr1
	s_branch .LBB143_1279
.LBB143_1275:
	s_mov_b64 s[12:13], -1
                                        ; implicit-def: $vgpr1
.LBB143_1276:
	s_andn2_b64 vcc, exec, s[12:13]
	s_cbranch_vccnz .LBB143_1278
; %bb.1277:
	s_waitcnt vmcnt(0)
	global_load_dword v1, v[4:5], off
	s_mov_b32 s12, 0x2f800000
	s_waitcnt vmcnt(0)
	v_trunc_f32_e32 v1, v1
	v_mul_f32_e64 v2, |v1|, s12
	v_floor_f32_e32 v2, v2
	s_mov_b32 s12, 0xcf800000
	v_fma_f32 v2, v2, s12, |v1|
	v_cvt_u32_f32_e32 v2, v2
	v_ashrrev_i32_e32 v1, 31, v1
	v_xor_b32_e32 v2, v2, v1
	v_sub_u32_e32 v1, v2, v1
.LBB143_1278:
	s_mov_b64 s[12:13], 0
.LBB143_1279:
	s_andn2_b64 vcc, exec, s[12:13]
	s_cbranch_vccnz .LBB143_1281
; %bb.1280:
	s_waitcnt vmcnt(0)
	global_load_dword v1, v[4:5], off
	s_waitcnt vmcnt(0)
	v_cvt_f32_f16_e32 v1, v1
	v_cvt_i32_f32_e32 v1, v1
.LBB143_1281:
	s_cbranch_execnz .LBB143_1292
.LBB143_1282:
	s_sext_i32_i16 s12, s73
	s_cmp_lt_i32 s12, 6
	s_cbranch_scc1 .LBB143_1285
; %bb.1283:
	s_cmp_gt_i32 s12, 6
	s_cbranch_scc0 .LBB143_1286
; %bb.1284:
	s_waitcnt vmcnt(0)
	global_load_dwordx2 v[1:2], v[4:5], off
	s_movk_i32 s12, 0xffe0
	s_waitcnt vmcnt(0)
	v_trunc_f64_e32 v[1:2], v[1:2]
	v_ldexp_f64 v[6:7], v[1:2], s12
	s_mov_b32 s12, 0
	s_mov_b32 s13, 0xc1f00000
	v_floor_f64_e32 v[6:7], v[6:7]
	v_fma_f64 v[1:2], v[6:7], s[12:13], v[1:2]
	s_mov_b64 s[12:13], 0
	v_cvt_u32_f64_e32 v1, v[1:2]
	s_branch .LBB143_1287
.LBB143_1285:
	s_mov_b64 s[12:13], -1
                                        ; implicit-def: $vgpr1
	s_branch .LBB143_1290
.LBB143_1286:
	s_mov_b64 s[12:13], -1
                                        ; implicit-def: $vgpr1
.LBB143_1287:
	s_andn2_b64 vcc, exec, s[12:13]
	s_cbranch_vccnz .LBB143_1289
; %bb.1288:
	s_waitcnt vmcnt(0)
	global_load_dword v1, v[4:5], off
	s_mov_b32 s12, 0x2f800000
	s_waitcnt vmcnt(0)
	v_trunc_f32_e32 v1, v1
	v_mul_f32_e64 v2, |v1|, s12
	v_floor_f32_e32 v2, v2
	s_mov_b32 s12, 0xcf800000
	v_fma_f32 v2, v2, s12, |v1|
	v_cvt_u32_f32_e32 v2, v2
	v_ashrrev_i32_e32 v1, 31, v1
	v_xor_b32_e32 v2, v2, v1
	v_sub_u32_e32 v1, v2, v1
.LBB143_1289:
	s_mov_b64 s[12:13], 0
.LBB143_1290:
	s_andn2_b64 vcc, exec, s[12:13]
	s_cbranch_vccnz .LBB143_1292
; %bb.1291:
	s_waitcnt vmcnt(0)
	global_load_ushort v1, v[4:5], off
	s_waitcnt vmcnt(0)
	v_cvt_f32_f16_e32 v1, v1
	v_cvt_i32_f32_e32 v1, v1
.LBB143_1292:
	s_cbranch_execnz .LBB143_1311
.LBB143_1293:
	s_sext_i32_i16 s12, s73
	s_cmp_lt_i32 s12, 2
	s_cbranch_scc1 .LBB143_1297
; %bb.1294:
	s_cmp_lt_i32 s12, 3
	s_cbranch_scc1 .LBB143_1298
; %bb.1295:
	s_cmp_gt_i32 s12, 3
	s_cbranch_scc0 .LBB143_1299
; %bb.1296:
	s_waitcnt vmcnt(0)
	global_load_dwordx2 v[1:2], v[4:5], off
	s_mov_b64 s[12:13], 0
	s_branch .LBB143_1300
.LBB143_1297:
                                        ; implicit-def: $vgpr1
	s_branch .LBB143_1306
.LBB143_1298:
	s_mov_b64 s[12:13], -1
                                        ; implicit-def: $vgpr1
	s_branch .LBB143_1303
.LBB143_1299:
	s_mov_b64 s[12:13], -1
                                        ; implicit-def: $vgpr1
.LBB143_1300:
	s_andn2_b64 vcc, exec, s[12:13]
	s_cbranch_vccnz .LBB143_1302
; %bb.1301:
	s_waitcnt vmcnt(0)
	global_load_dword v1, v[4:5], off
.LBB143_1302:
	s_mov_b64 s[12:13], 0
.LBB143_1303:
	s_andn2_b64 vcc, exec, s[12:13]
	s_cbranch_vccnz .LBB143_1305
; %bb.1304:
	s_waitcnt vmcnt(0)
	global_load_ushort v1, v[4:5], off
.LBB143_1305:
	s_cbranch_execnz .LBB143_1311
.LBB143_1306:
	s_sext_i32_i16 s12, s73
	s_cmp_gt_i32 s12, 0
	s_cbranch_scc0 .LBB143_1308
; %bb.1307:
	s_waitcnt vmcnt(0)
	global_load_ubyte v1, v[4:5], off
	s_mov_b64 s[12:13], 0
	s_branch .LBB143_1309
.LBB143_1308:
	s_mov_b64 s[12:13], -1
                                        ; implicit-def: $vgpr1
.LBB143_1309:
	s_andn2_b64 vcc, exec, s[12:13]
	s_cbranch_vccnz .LBB143_1311
; %bb.1310:
	s_waitcnt vmcnt(0)
	global_load_ubyte v1, v[4:5], off
.LBB143_1311:
	s_or_b64 s[48:49], s[48:49], exec
.LBB143_1312:
	s_or_b64 exec, exec, s[0:1]
	s_mov_b64 s[16:17], 0
	s_mov_b64 s[18:19], 0
	;; [unrolled: 1-line block ×3, first 2 shown]
                                        ; implicit-def: $sgpr26
                                        ; implicit-def: $vgpr4_vgpr5
                                        ; implicit-def: $vgpr6
	s_and_saveexec_b64 s[0:1], s[48:49]
	s_cbranch_execz .LBB143_1320
; %bb.1313:
	s_waitcnt vmcnt(0)
	v_mov_b32_e32 v2, s25
	s_and_b32 s26, s70, 0xff
	v_add_co_u32_e32 v4, vcc, s24, v3
	s_cmp_lt_i32 s26, 11
	v_addc_co_u32_e32 v5, vcc, 0, v2, vcc
	s_cbranch_scc1 .LBB143_1323
; %bb.1314:
	s_and_b32 s24, 0xffff, s26
	s_cmp_gt_i32 s24, 25
	s_cbranch_scc0 .LBB143_1324
; %bb.1315:
	s_cmp_gt_i32 s24, 28
	s_cbranch_scc0 .LBB143_1325
; %bb.1316:
	;; [unrolled: 3-line block ×4, first 2 shown]
	s_cmp_eq_u32 s24, 46
	s_cbranch_scc0 .LBB143_1328
; %bb.1319:
	global_load_dword v2, v[4:5], off
	s_mov_b32 s12, 0x2f800000
	s_mov_b32 s13, 0xcf800000
	s_mov_b64 s[14:15], -1
	s_waitcnt vmcnt(0)
	v_lshlrev_b32_e32 v2, 16, v2
	v_trunc_f32_e32 v2, v2
	v_mul_f32_e64 v3, |v2|, s12
	v_floor_f32_e32 v3, v3
	v_fma_f32 v3, v3, s13, |v2|
	v_cvt_u32_f32_e32 v3, v3
	v_ashrrev_i32_e32 v2, 31, v2
	s_mov_b64 s[12:13], 0
	v_xor_b32_e32 v3, v3, v2
	v_sub_u32_e32 v6, v3, v2
	s_branch .LBB143_1330
.LBB143_1320:
	s_or_b64 exec, exec, s[0:1]
	s_and_saveexec_b64 s[0:1], s[38:39]
	s_cbranch_execnz .LBB143_1389
.LBB143_1321:
	s_or_b64 exec, exec, s[0:1]
	s_and_saveexec_b64 s[0:1], s[16:17]
	s_xor_b64 s[0:1], exec, s[0:1]
	s_cbranch_execz .LBB143_1390
.LBB143_1322:
	s_waitcnt vmcnt(0)
	global_load_ubyte v2, v[4:5], off
	s_or_b64 s[14:15], s[14:15], exec
	s_waitcnt vmcnt(0)
	v_cmp_ne_u16_e32 vcc, 0, v2
	v_cndmask_b32_e64 v6, 0, 1, vcc
	s_or_b64 exec, exec, s[0:1]
	s_and_saveexec_b64 s[0:1], s[18:19]
	s_cbranch_execz .LBB143_1436
	s_branch .LBB143_1391
.LBB143_1323:
	s_mov_b64 s[18:19], -1
                                        ; implicit-def: $vgpr6
	s_mov_b64 s[12:13], s[38:39]
	s_branch .LBB143_1388
.LBB143_1324:
	s_mov_b64 s[12:13], s[38:39]
                                        ; implicit-def: $vgpr6
	s_cbranch_execnz .LBB143_1357
	s_branch .LBB143_1387
.LBB143_1325:
	s_mov_b64 s[18:19], -1
	s_mov_b64 s[12:13], s[38:39]
                                        ; implicit-def: $vgpr6
	s_branch .LBB143_1340
.LBB143_1326:
	s_mov_b64 s[18:19], -1
	s_mov_b64 s[12:13], s[38:39]
                                        ; implicit-def: $vgpr6
	s_branch .LBB143_1335
.LBB143_1327:
	s_mov_b64 s[18:19], -1
	s_mov_b64 s[12:13], s[38:39]
	s_branch .LBB143_1329
.LBB143_1328:
	s_mov_b64 s[12:13], -1
.LBB143_1329:
                                        ; implicit-def: $vgpr6
.LBB143_1330:
	s_and_b64 vcc, exec, s[18:19]
	s_cbranch_vccz .LBB143_1334
; %bb.1331:
	s_cmp_eq_u32 s24, 44
	s_cbranch_scc0 .LBB143_1333
; %bb.1332:
	global_load_ubyte v2, v[4:5], off
	s_mov_b32 s12, 0x2f800000
	s_mov_b32 s13, 0xcf800000
	s_mov_b64 s[14:15], -1
	s_waitcnt vmcnt(0)
	v_lshlrev_b32_e32 v3, 23, v2
	v_trunc_f32_e32 v3, v3
	v_mul_f32_e64 v6, |v3|, s12
	v_floor_f32_e32 v6, v6
	v_fma_f32 v6, v6, s13, |v3|
	v_cvt_u32_f32_e32 v6, v6
	v_ashrrev_i32_e32 v3, 31, v3
	v_cmp_ne_u32_e32 vcc, 0, v2
	s_mov_b64 s[12:13], 0
	v_xor_b32_e32 v6, v6, v3
	v_sub_u32_e32 v3, v6, v3
	v_cndmask_b32_e32 v6, 0, v3, vcc
	s_branch .LBB143_1334
.LBB143_1333:
	s_mov_b64 s[12:13], -1
                                        ; implicit-def: $vgpr6
.LBB143_1334:
	s_mov_b64 s[18:19], 0
.LBB143_1335:
	s_and_b64 vcc, exec, s[18:19]
	s_cbranch_vccz .LBB143_1339
; %bb.1336:
	s_cmp_eq_u32 s24, 29
	s_cbranch_scc0 .LBB143_1338
; %bb.1337:
	global_load_dwordx2 v[6:7], v[4:5], off
	s_mov_b64 s[12:13], 0
	s_mov_b64 s[14:15], -1
	s_branch .LBB143_1339
.LBB143_1338:
	s_mov_b64 s[12:13], -1
                                        ; implicit-def: $vgpr6
.LBB143_1339:
	s_mov_b64 s[18:19], 0
.LBB143_1340:
	s_and_b64 vcc, exec, s[18:19]
	s_cbranch_vccz .LBB143_1356
; %bb.1341:
	s_cmp_lt_i32 s24, 27
	s_cbranch_scc1 .LBB143_1344
; %bb.1342:
	s_cmp_gt_i32 s24, 27
	s_cbranch_scc0 .LBB143_1345
; %bb.1343:
	global_load_dword v6, v[4:5], off
	s_mov_b64 s[14:15], 0
	s_branch .LBB143_1346
.LBB143_1344:
	s_mov_b64 s[14:15], -1
                                        ; implicit-def: $vgpr6
	s_branch .LBB143_1349
.LBB143_1345:
	s_mov_b64 s[14:15], -1
                                        ; implicit-def: $vgpr6
.LBB143_1346:
	s_andn2_b64 vcc, exec, s[14:15]
	s_cbranch_vccnz .LBB143_1348
; %bb.1347:
	global_load_ushort v6, v[4:5], off
.LBB143_1348:
	s_mov_b64 s[14:15], 0
.LBB143_1349:
	s_andn2_b64 vcc, exec, s[14:15]
	s_cbranch_vccnz .LBB143_1355
; %bb.1350:
	global_load_ubyte v2, v[4:5], off
	s_movk_i32 s14, 0x7f
	s_mov_b64 s[18:19], 0
	s_waitcnt vmcnt(0)
	v_cmp_lt_i16_e32 vcc, s14, v2
	s_and_saveexec_b64 s[14:15], vcc
	s_xor_b64 s[14:15], exec, s[14:15]
	s_cbranch_execz .LBB143_1366
; %bb.1351:
	s_movk_i32 s18, 0x80
	v_cmp_ne_u16_e32 vcc, s18, v2
	s_and_b64 s[18:19], vcc, exec
	s_andn2_saveexec_b64 s[14:15], s[14:15]
	s_cbranch_execnz .LBB143_1367
.LBB143_1352:
	s_or_b64 exec, exec, s[14:15]
	v_mov_b32_e32 v6, 0
	s_and_saveexec_b64 s[14:15], s[18:19]
	s_cbranch_execz .LBB143_1354
.LBB143_1353:
	v_lshlrev_b32_e32 v3, 24, v2
	v_and_b32_e32 v2, 0xffff, v2
	v_and_b32_e32 v6, 7, v2
	v_ffbh_u32_e32 v8, v6
	v_min_u32_e32 v8, 32, v8
	v_subrev_u32_e32 v9, 28, v8
	v_bfe_u32 v7, v2, 3, 4
	v_lshlrev_b32_e32 v2, v9, v2
	v_sub_u32_e32 v8, 29, v8
	v_and_b32_e32 v2, 7, v2
	v_cmp_eq_u32_e32 vcc, 0, v7
	v_cndmask_b32_e32 v7, v7, v8, vcc
	v_cndmask_b32_e32 v2, v6, v2, vcc
	v_mov_b32_e32 v6, 0x3b800000
	v_lshlrev_b32_e32 v2, 20, v2
	v_and_b32_e32 v3, 0x80000000, v3
	v_lshl_add_u32 v6, v7, 23, v6
	v_or3_b32 v2, v3, v6, v2
	v_trunc_f32_e32 v2, v2
	s_mov_b32 s18, 0x2f800000
	v_mul_f32_e64 v3, |v2|, s18
	v_floor_f32_e32 v3, v3
	s_mov_b32 s18, 0xcf800000
	v_fma_f32 v3, v3, s18, |v2|
	v_cvt_u32_f32_e32 v3, v3
	v_ashrrev_i32_e32 v2, 31, v2
	v_xor_b32_e32 v3, v3, v2
	v_sub_u32_e32 v6, v3, v2
.LBB143_1354:
	s_or_b64 exec, exec, s[14:15]
.LBB143_1355:
	s_mov_b64 s[14:15], -1
.LBB143_1356:
	s_branch .LBB143_1387
.LBB143_1357:
	s_cmp_gt_i32 s24, 22
	s_cbranch_scc0 .LBB143_1365
; %bb.1358:
	s_cmp_lt_i32 s24, 24
	s_cbranch_scc1 .LBB143_1368
; %bb.1359:
	s_cmp_gt_i32 s24, 24
	s_cbranch_scc0 .LBB143_1369
; %bb.1360:
	global_load_ubyte v2, v[4:5], off
	s_movk_i32 s14, 0x7f
	s_waitcnt vmcnt(0)
	v_cmp_lt_i16_e32 vcc, s14, v2
	s_and_saveexec_b64 s[14:15], vcc
	s_xor_b64 s[14:15], exec, s[14:15]
	s_cbranch_execz .LBB143_1381
; %bb.1361:
	s_movk_i32 s16, 0x80
	v_cmp_ne_u16_e32 vcc, s16, v2
	s_and_b64 s[16:17], vcc, exec
	s_andn2_saveexec_b64 s[14:15], s[14:15]
	s_cbranch_execnz .LBB143_1382
.LBB143_1362:
	s_or_b64 exec, exec, s[14:15]
	v_mov_b32_e32 v6, 0
	s_and_saveexec_b64 s[14:15], s[16:17]
	s_cbranch_execz .LBB143_1364
.LBB143_1363:
	v_lshlrev_b32_e32 v3, 24, v2
	v_and_b32_e32 v2, 0xffff, v2
	v_and_b32_e32 v6, 3, v2
	v_ffbh_u32_e32 v8, v6
	v_min_u32_e32 v8, 32, v8
	v_subrev_u32_e32 v9, 29, v8
	v_bfe_u32 v7, v2, 2, 5
	v_lshlrev_b32_e32 v2, v9, v2
	v_sub_u32_e32 v8, 30, v8
	v_and_b32_e32 v2, 3, v2
	v_cmp_eq_u32_e32 vcc, 0, v7
	v_cndmask_b32_e32 v7, v7, v8, vcc
	v_cndmask_b32_e32 v2, v6, v2, vcc
	v_mov_b32_e32 v6, 0x37800000
	v_lshlrev_b32_e32 v2, 21, v2
	v_and_b32_e32 v3, 0x80000000, v3
	v_lshl_add_u32 v6, v7, 23, v6
	v_or3_b32 v2, v3, v6, v2
	v_trunc_f32_e32 v2, v2
	s_mov_b32 s16, 0x2f800000
	v_mul_f32_e64 v3, |v2|, s16
	v_floor_f32_e32 v3, v3
	s_mov_b32 s16, 0xcf800000
	v_fma_f32 v3, v3, s16, |v2|
	v_cvt_u32_f32_e32 v3, v3
	v_ashrrev_i32_e32 v2, 31, v2
	v_xor_b32_e32 v3, v3, v2
	v_sub_u32_e32 v6, v3, v2
.LBB143_1364:
	s_or_b64 exec, exec, s[14:15]
	s_mov_b64 s[14:15], 0
	s_branch .LBB143_1370
.LBB143_1365:
	s_mov_b64 s[16:17], -1
                                        ; implicit-def: $vgpr6
	s_branch .LBB143_1376
.LBB143_1366:
	s_andn2_saveexec_b64 s[14:15], s[14:15]
	s_cbranch_execz .LBB143_1352
.LBB143_1367:
	v_cmp_ne_u16_e32 vcc, 0, v2
	s_andn2_b64 s[18:19], s[18:19], exec
	s_and_b64 s[28:29], vcc, exec
	s_or_b64 s[18:19], s[18:19], s[28:29]
	s_or_b64 exec, exec, s[14:15]
	v_mov_b32_e32 v6, 0
	s_and_saveexec_b64 s[14:15], s[18:19]
	s_cbranch_execnz .LBB143_1353
	s_branch .LBB143_1354
.LBB143_1368:
	s_mov_b64 s[14:15], -1
                                        ; implicit-def: $vgpr6
	s_branch .LBB143_1373
.LBB143_1369:
	s_mov_b64 s[14:15], -1
                                        ; implicit-def: $vgpr6
.LBB143_1370:
	s_and_b64 vcc, exec, s[14:15]
	s_cbranch_vccz .LBB143_1372
; %bb.1371:
	global_load_ubyte v2, v[4:5], off
	s_mov_b32 s14, 0x7f800000
	s_brev_b32 s15, 1
	s_mov_b32 s16, 0x2f800000
	s_waitcnt vmcnt(0)
	v_lshlrev_b32_e32 v2, 24, v2
	v_and_b32_e32 v3, 0x7f000000, v2
	v_ffbh_u32_e32 v6, v3
	v_min_u32_e32 v6, 32, v6
	v_sub_u32_e64 v6, v6, 4 clamp
	v_lshlrev_b32_e32 v8, v6, v3
	v_lshlrev_b32_e32 v6, 23, v6
	v_lshrrev_b32_e32 v8, 4, v8
	v_add_u32_e32 v7, 0x1000000, v3
	v_sub_u32_e32 v6, v8, v6
	v_ashrrev_i32_e32 v7, 8, v7
	v_add_u32_e32 v6, 0x3c000000, v6
	v_and_or_b32 v6, v7, s14, v6
	v_cmp_ne_u32_e32 vcc, 0, v3
	v_cndmask_b32_e32 v3, 0, v6, vcc
	v_and_or_b32 v2, v2, s15, v3
	v_trunc_f32_e32 v2, v2
	v_mul_f32_e64 v3, |v2|, s16
	v_floor_f32_e32 v3, v3
	s_mov_b32 s14, 0xcf800000
	v_fma_f32 v3, v3, s14, |v2|
	v_cvt_u32_f32_e32 v3, v3
	v_ashrrev_i32_e32 v2, 31, v2
	v_xor_b32_e32 v3, v3, v2
	v_sub_u32_e32 v6, v3, v2
.LBB143_1372:
	s_mov_b64 s[14:15], 0
.LBB143_1373:
	s_andn2_b64 vcc, exec, s[14:15]
	s_cbranch_vccnz .LBB143_1375
; %bb.1374:
	global_load_ubyte v2, v[4:5], off
	s_movk_i32 s14, 0x7f00
	s_brev_b32 s15, 16
	s_brev_b32 s16, 1
	s_mov_b32 s17, 0x2f800000
	s_waitcnt vmcnt(0)
	v_lshlrev_b16_e32 v3, 8, v2
	v_lshlrev_b32_e32 v2, 25, v2
	v_lshrrev_b32_e32 v6, 4, v2
	v_and_or_b32 v7, v3, s14, 0.5
	v_or_b32_e32 v6, 0x70000000, v6
	v_add_f32_e32 v7, -0.5, v7
	v_mul_f32_e32 v6, 0x7800000, v6
	v_cmp_gt_u32_e32 vcc, s15, v2
	v_bfe_i32 v3, v3, 0, 16
	v_cndmask_b32_e32 v2, v6, v7, vcc
	v_and_or_b32 v2, v3, s16, v2
	v_trunc_f32_e32 v2, v2
	v_mul_f32_e64 v3, |v2|, s17
	v_floor_f32_e32 v3, v3
	s_mov_b32 s14, 0xcf800000
	v_fma_f32 v3, v3, s14, |v2|
	v_cvt_u32_f32_e32 v3, v3
	v_ashrrev_i32_e32 v2, 31, v2
	v_xor_b32_e32 v3, v3, v2
	v_sub_u32_e32 v6, v3, v2
.LBB143_1375:
	s_mov_b64 s[16:17], 0
	s_mov_b64 s[14:15], -1
.LBB143_1376:
	s_andn2_b64 vcc, exec, s[16:17]
	s_mov_b64 s[16:17], 0
	s_cbranch_vccnz .LBB143_1387
; %bb.1377:
	s_cmp_gt_i32 s24, 14
	s_cbranch_scc0 .LBB143_1380
; %bb.1378:
	s_cmp_eq_u32 s24, 15
	s_cbranch_scc0 .LBB143_1383
; %bb.1379:
	global_load_ushort v2, v[4:5], off
	s_mov_b32 s12, 0x2f800000
	s_mov_b32 s13, 0xcf800000
	s_mov_b64 s[14:15], -1
	s_waitcnt vmcnt(0)
	v_lshlrev_b32_e32 v2, 16, v2
	v_trunc_f32_e32 v2, v2
	v_mul_f32_e64 v3, |v2|, s12
	v_floor_f32_e32 v3, v3
	v_fma_f32 v3, v3, s13, |v2|
	v_cvt_u32_f32_e32 v3, v3
	v_ashrrev_i32_e32 v2, 31, v2
	s_mov_b64 s[12:13], 0
	v_xor_b32_e32 v3, v3, v2
	v_sub_u32_e32 v6, v3, v2
	s_branch .LBB143_1384
.LBB143_1380:
	s_mov_b64 s[18:19], -1
                                        ; implicit-def: $vgpr6
	s_branch .LBB143_1385
.LBB143_1381:
	s_andn2_saveexec_b64 s[14:15], s[14:15]
	s_cbranch_execz .LBB143_1362
.LBB143_1382:
	v_cmp_ne_u16_e32 vcc, 0, v2
	s_andn2_b64 s[16:17], s[16:17], exec
	s_and_b64 s[18:19], vcc, exec
	s_or_b64 s[16:17], s[16:17], s[18:19]
	s_or_b64 exec, exec, s[14:15]
	v_mov_b32_e32 v6, 0
	s_and_saveexec_b64 s[14:15], s[16:17]
	s_cbranch_execnz .LBB143_1363
	s_branch .LBB143_1364
.LBB143_1383:
	s_mov_b64 s[12:13], -1
                                        ; implicit-def: $vgpr6
.LBB143_1384:
	s_mov_b64 s[18:19], 0
.LBB143_1385:
	s_and_b64 vcc, exec, s[18:19]
	s_cbranch_vccz .LBB143_1387
; %bb.1386:
	s_cmp_lg_u32 s24, 11
	s_cselect_b64 s[18:19], -1, 0
	s_andn2_b64 s[12:13], s[12:13], exec
	s_and_b64 s[18:19], s[18:19], exec
	s_mov_b64 s[16:17], -1
	s_or_b64 s[12:13], s[12:13], s[18:19]
.LBB143_1387:
	s_mov_b64 s[18:19], 0
.LBB143_1388:
	s_andn2_b64 s[24:25], s[38:39], exec
	s_and_b64 s[12:13], s[12:13], exec
	s_and_b64 s[14:15], s[14:15], exec
	;; [unrolled: 1-line block ×4, first 2 shown]
	s_or_b64 s[38:39], s[24:25], s[12:13]
	s_or_b64 exec, exec, s[0:1]
	s_and_saveexec_b64 s[0:1], s[38:39]
	s_cbranch_execz .LBB143_1321
.LBB143_1389:
	s_or_b64 s[10:11], s[10:11], exec
	s_andn2_b64 s[16:17], s[16:17], exec
	s_trap 2
	s_or_b64 exec, exec, s[0:1]
	s_and_saveexec_b64 s[0:1], s[16:17]
	s_xor_b64 s[0:1], exec, s[0:1]
	s_cbranch_execnz .LBB143_1322
.LBB143_1390:
	s_or_b64 exec, exec, s[0:1]
	s_and_saveexec_b64 s[0:1], s[18:19]
	s_cbranch_execz .LBB143_1436
.LBB143_1391:
	s_sext_i32_i16 s12, s26
	s_cmp_lt_i32 s12, 5
	s_cbranch_scc1 .LBB143_1396
; %bb.1392:
	s_cmp_lt_i32 s12, 8
	s_cbranch_scc1 .LBB143_1397
; %bb.1393:
	;; [unrolled: 3-line block ×3, first 2 shown]
	s_cmp_gt_i32 s12, 9
	s_cbranch_scc0 .LBB143_1399
; %bb.1395:
	s_waitcnt vmcnt(0)
	global_load_dwordx2 v[2:3], v[4:5], off
	s_movk_i32 s12, 0xffe0
	s_waitcnt vmcnt(0)
	v_trunc_f64_e32 v[2:3], v[2:3]
	v_ldexp_f64 v[6:7], v[2:3], s12
	s_mov_b32 s12, 0
	s_mov_b32 s13, 0xc1f00000
	v_floor_f64_e32 v[6:7], v[6:7]
	v_fma_f64 v[2:3], v[6:7], s[12:13], v[2:3]
	s_mov_b64 s[12:13], 0
	v_cvt_u32_f64_e32 v6, v[2:3]
	s_branch .LBB143_1400
.LBB143_1396:
                                        ; implicit-def: $vgpr6
	s_branch .LBB143_1417
.LBB143_1397:
                                        ; implicit-def: $vgpr6
	s_branch .LBB143_1406
.LBB143_1398:
	s_mov_b64 s[12:13], -1
                                        ; implicit-def: $vgpr6
	s_branch .LBB143_1403
.LBB143_1399:
	s_mov_b64 s[12:13], -1
                                        ; implicit-def: $vgpr6
.LBB143_1400:
	s_andn2_b64 vcc, exec, s[12:13]
	s_cbranch_vccnz .LBB143_1402
; %bb.1401:
	s_waitcnt vmcnt(0)
	global_load_dword v2, v[4:5], off
	s_mov_b32 s12, 0x2f800000
	s_waitcnt vmcnt(0)
	v_trunc_f32_e32 v2, v2
	v_mul_f32_e64 v3, |v2|, s12
	v_floor_f32_e32 v3, v3
	s_mov_b32 s12, 0xcf800000
	v_fma_f32 v3, v3, s12, |v2|
	v_cvt_u32_f32_e32 v3, v3
	v_ashrrev_i32_e32 v2, 31, v2
	v_xor_b32_e32 v3, v3, v2
	v_sub_u32_e32 v6, v3, v2
.LBB143_1402:
	s_mov_b64 s[12:13], 0
.LBB143_1403:
	s_andn2_b64 vcc, exec, s[12:13]
	s_cbranch_vccnz .LBB143_1405
; %bb.1404:
	s_waitcnt vmcnt(0)
	global_load_dword v2, v[4:5], off
	s_waitcnt vmcnt(0)
	v_cvt_f32_f16_e32 v2, v2
	v_cvt_i32_f32_e32 v6, v2
.LBB143_1405:
	s_cbranch_execnz .LBB143_1416
.LBB143_1406:
	s_sext_i32_i16 s12, s26
	s_cmp_lt_i32 s12, 6
	s_cbranch_scc1 .LBB143_1409
; %bb.1407:
	s_cmp_gt_i32 s12, 6
	s_cbranch_scc0 .LBB143_1410
; %bb.1408:
	s_waitcnt vmcnt(0)
	global_load_dwordx2 v[2:3], v[4:5], off
	s_movk_i32 s12, 0xffe0
	s_waitcnt vmcnt(0)
	v_trunc_f64_e32 v[2:3], v[2:3]
	v_ldexp_f64 v[6:7], v[2:3], s12
	s_mov_b32 s12, 0
	s_mov_b32 s13, 0xc1f00000
	v_floor_f64_e32 v[6:7], v[6:7]
	v_fma_f64 v[2:3], v[6:7], s[12:13], v[2:3]
	s_mov_b64 s[12:13], 0
	v_cvt_u32_f64_e32 v6, v[2:3]
	s_branch .LBB143_1411
.LBB143_1409:
	s_mov_b64 s[12:13], -1
                                        ; implicit-def: $vgpr6
	s_branch .LBB143_1414
.LBB143_1410:
	s_mov_b64 s[12:13], -1
                                        ; implicit-def: $vgpr6
.LBB143_1411:
	s_andn2_b64 vcc, exec, s[12:13]
	s_cbranch_vccnz .LBB143_1413
; %bb.1412:
	s_waitcnt vmcnt(0)
	global_load_dword v2, v[4:5], off
	s_mov_b32 s12, 0x2f800000
	s_waitcnt vmcnt(0)
	v_trunc_f32_e32 v2, v2
	v_mul_f32_e64 v3, |v2|, s12
	v_floor_f32_e32 v3, v3
	s_mov_b32 s12, 0xcf800000
	v_fma_f32 v3, v3, s12, |v2|
	v_cvt_u32_f32_e32 v3, v3
	v_ashrrev_i32_e32 v2, 31, v2
	v_xor_b32_e32 v3, v3, v2
	v_sub_u32_e32 v6, v3, v2
.LBB143_1413:
	s_mov_b64 s[12:13], 0
.LBB143_1414:
	s_andn2_b64 vcc, exec, s[12:13]
	s_cbranch_vccnz .LBB143_1416
; %bb.1415:
	s_waitcnt vmcnt(0)
	global_load_ushort v2, v[4:5], off
	s_waitcnt vmcnt(0)
	v_cvt_f32_f16_e32 v2, v2
	v_cvt_i32_f32_e32 v6, v2
.LBB143_1416:
	s_cbranch_execnz .LBB143_1435
.LBB143_1417:
	s_sext_i32_i16 s12, s26
	s_cmp_lt_i32 s12, 2
	s_cbranch_scc1 .LBB143_1421
; %bb.1418:
	s_cmp_lt_i32 s12, 3
	s_cbranch_scc1 .LBB143_1422
; %bb.1419:
	s_cmp_gt_i32 s12, 3
	s_cbranch_scc0 .LBB143_1423
; %bb.1420:
	s_waitcnt vmcnt(0)
	global_load_dwordx2 v[6:7], v[4:5], off
	s_mov_b64 s[12:13], 0
	s_branch .LBB143_1424
.LBB143_1421:
                                        ; implicit-def: $vgpr6
	s_branch .LBB143_1430
.LBB143_1422:
	s_mov_b64 s[12:13], -1
                                        ; implicit-def: $vgpr6
	s_branch .LBB143_1427
.LBB143_1423:
	s_mov_b64 s[12:13], -1
                                        ; implicit-def: $vgpr6
.LBB143_1424:
	s_andn2_b64 vcc, exec, s[12:13]
	s_cbranch_vccnz .LBB143_1426
; %bb.1425:
	s_waitcnt vmcnt(0)
	global_load_dword v6, v[4:5], off
.LBB143_1426:
	s_mov_b64 s[12:13], 0
.LBB143_1427:
	s_andn2_b64 vcc, exec, s[12:13]
	s_cbranch_vccnz .LBB143_1429
; %bb.1428:
	s_waitcnt vmcnt(0)
	global_load_ushort v6, v[4:5], off
.LBB143_1429:
	s_cbranch_execnz .LBB143_1435
.LBB143_1430:
	s_sext_i32_i16 s12, s26
	s_cmp_gt_i32 s12, 0
	s_cbranch_scc0 .LBB143_1432
; %bb.1431:
	s_waitcnt vmcnt(0)
	global_load_ubyte v6, v[4:5], off
	s_mov_b64 s[12:13], 0
	s_branch .LBB143_1433
.LBB143_1432:
	s_mov_b64 s[12:13], -1
                                        ; implicit-def: $vgpr6
.LBB143_1433:
	s_andn2_b64 vcc, exec, s[12:13]
	s_cbranch_vccnz .LBB143_1435
; %bb.1434:
	s_waitcnt vmcnt(0)
	global_load_ubyte v6, v[4:5], off
.LBB143_1435:
	s_or_b64 s[14:15], s[14:15], exec
.LBB143_1436:
	s_or_b64 exec, exec, s[0:1]
	s_mov_b64 s[18:19], 0
	s_mov_b64 s[16:17], 0
                                        ; implicit-def: $sgpr24
                                        ; implicit-def: $vgpr2_vgpr3
                                        ; implicit-def: $vgpr4
	s_and_saveexec_b64 s[12:13], s[14:15]
	s_cbranch_execz .LBB143_1511
; %bb.1437:
	s_waitcnt vmcnt(0)
	v_mov_b32_e32 v2, 8
	v_lshrrev_b16_sdwa v1, v6, v1 dst_sel:DWORD dst_unused:UNUSED_PAD src0_sel:BYTE_0 src1_sel:BYTE_0
	v_cmp_lt_u16_sdwa vcc, v6, v2 src0_sel:BYTE_0 src1_sel:DWORD
	v_cndmask_b32_e32 v4, 0, v1, vcc
	v_mov_b32_e32 v1, s9
	s_and_b32 s24, s69, 0xff
	v_add_co_u32_e32 v2, vcc, s8, v0
	s_cmp_lt_i32 s24, 11
	v_addc_co_u32_e32 v3, vcc, 0, v1, vcc
	s_cbranch_scc1 .LBB143_1514
; %bb.1438:
	s_and_b32 s25, 0xffff, s24
	s_mov_b64 s[14:15], -1
	s_cmp_gt_i32 s25, 25
	s_mov_b64 s[0:1], s[36:37]
	s_cbranch_scc0 .LBB143_1471
; %bb.1439:
	s_mov_b64 s[8:9], -1
	s_cmp_gt_i32 s25, 28
	s_mov_b64 s[0:1], s[36:37]
	s_cbranch_scc0 .LBB143_1455
; %bb.1440:
	s_cmp_gt_i32 s25, 43
	s_mov_b64 s[0:1], s[36:37]
	s_cbranch_scc0 .LBB143_1451
; %bb.1441:
	;; [unrolled: 4-line block ×3, first 2 shown]
	s_cmp_eq_u32 s25, 46
	s_mov_b64 s[0:1], -1
	s_cbranch_scc0 .LBB143_1444
; %bb.1443:
	v_cvt_f32_ubyte0_e32 v0, v4
	v_bfe_u32 v1, v0, 16, 1
	s_movk_i32 s0, 0x7fff
	v_add3_u32 v0, v0, v1, s0
	v_lshrrev_b32_e32 v0, 16, v0
	global_store_dword v[2:3], v0, off
	s_mov_b64 s[0:1], 0
.LBB143_1444:
	s_mov_b64 s[8:9], 0
.LBB143_1445:
	s_and_b64 vcc, exec, s[8:9]
	s_cbranch_vccz .LBB143_1450
; %bb.1446:
	s_cmp_eq_u32 s25, 44
	s_mov_b64 s[0:1], -1
	s_cbranch_scc0 .LBB143_1450
; %bb.1447:
	v_cvt_f32_ubyte0_e32 v1, v4
	v_lshrrev_b32_e32 v0, 23, v1
	s_movk_i32 s0, 0xff
	v_cmp_ne_u32_e32 vcc, s0, v0
	v_mov_b32_e32 v5, 0xff
	s_and_saveexec_b64 s[8:9], vcc
; %bb.1448:
	s_mov_b32 s0, 0x3fffff
	v_and_b32_e32 v5, 0x400000, v1
	v_and_or_b32 v1, v1, s0, v0
	v_cmp_ne_u32_e32 vcc, 0, v5
	v_cmp_ne_u32_e64 s[0:1], 0, v1
	s_and_b64 s[0:1], vcc, s[0:1]
	v_cndmask_b32_e64 v1, 0, 1, s[0:1]
	v_add_u32_e32 v5, v0, v1
; %bb.1449:
	s_or_b64 exec, exec, s[8:9]
	s_mov_b64 s[0:1], 0
	global_store_byte v[2:3], v5, off
.LBB143_1450:
	s_mov_b64 s[8:9], 0
.LBB143_1451:
	s_and_b64 vcc, exec, s[8:9]
	s_cbranch_vccz .LBB143_1454
; %bb.1452:
	s_cmp_eq_u32 s25, 29
	s_mov_b64 s[0:1], -1
	s_cbranch_scc0 .LBB143_1454
; %bb.1453:
	s_mov_b32 s0, 0
	v_and_b32_e32 v0, 0xffff, v4
	v_mov_b32_e32 v1, s0
	global_store_dwordx2 v[2:3], v[0:1], off
	s_mov_b64 s[0:1], 0
.LBB143_1454:
	s_mov_b64 s[8:9], 0
.LBB143_1455:
	s_and_b64 vcc, exec, s[8:9]
	s_cbranch_vccz .LBB143_1470
; %bb.1456:
	s_cmp_lt_i32 s25, 27
	s_mov_b64 s[8:9], -1
	s_cbranch_scc1 .LBB143_1462
; %bb.1457:
	s_cmp_gt_i32 s25, 27
	s_cbranch_scc0 .LBB143_1459
; %bb.1458:
	v_and_b32_e32 v0, 0xffff, v4
	s_mov_b64 s[8:9], 0
	global_store_dword v[2:3], v0, off
.LBB143_1459:
	s_andn2_b64 vcc, exec, s[8:9]
	s_cbranch_vccnz .LBB143_1461
; %bb.1460:
	global_store_short v[2:3], v4, off
.LBB143_1461:
	s_mov_b64 s[8:9], 0
.LBB143_1462:
	s_andn2_b64 vcc, exec, s[8:9]
	s_cbranch_vccnz .LBB143_1470
; %bb.1463:
	v_cvt_f32_ubyte0_e32 v1, v4
	s_mov_b32 s8, 0x43800000
	v_cmp_gt_u32_e32 vcc, s8, v1
	v_mov_b32_e32 v5, 0x80
	s_and_saveexec_b64 s[8:9], vcc
	s_cbranch_execz .LBB143_1469
; %bb.1464:
	s_mov_b32 s14, 0x3bffffff
	v_cmp_lt_u32_e32 vcc, s14, v1
	s_mov_b64 s[14:15], 0
                                        ; implicit-def: $vgpr0
	s_and_saveexec_b64 s[16:17], vcc
	s_xor_b64 s[16:17], exec, s[16:17]
	s_cbranch_execz .LBB143_1615
; %bb.1465:
	v_bfe_u32 v0, v1, 20, 1
	s_mov_b32 s18, 0x487ffff
	v_add3_u32 v0, v1, v0, s18
	s_mov_b64 s[14:15], exec
	v_lshrrev_b32_e32 v0, 20, v0
                                        ; implicit-def: $vgpr1
	s_andn2_saveexec_b64 s[16:17], s[16:17]
	s_cbranch_execnz .LBB143_1616
.LBB143_1466:
	s_or_b64 exec, exec, s[16:17]
	v_mov_b32_e32 v5, 0
	s_and_saveexec_b64 s[16:17], s[14:15]
.LBB143_1467:
	v_mov_b32_e32 v5, v0
.LBB143_1468:
	s_or_b64 exec, exec, s[16:17]
.LBB143_1469:
	s_or_b64 exec, exec, s[8:9]
	global_store_byte v[2:3], v5, off
.LBB143_1470:
	s_mov_b64 s[14:15], 0
.LBB143_1471:
	s_mov_b64 s[8:9], 0
	s_and_b64 vcc, exec, s[14:15]
	s_cbranch_vccz .LBB143_1515
; %bb.1472:
	s_cmp_gt_i32 s25, 22
	s_mov_b64 s[14:15], -1
	s_cbranch_scc0 .LBB143_1504
; %bb.1473:
	s_cmp_lt_i32 s25, 24
	s_cbranch_scc1 .LBB143_1493
; %bb.1474:
	s_cmp_gt_i32 s25, 24
	s_cbranch_scc0 .LBB143_1482
; %bb.1475:
	v_cvt_f32_ubyte0_e32 v1, v4
	s_mov_b32 s14, 0x47800000
	v_cmp_gt_u32_e32 vcc, s14, v1
	v_mov_b32_e32 v5, 0x80
	s_and_saveexec_b64 s[14:15], vcc
	s_cbranch_execz .LBB143_1481
; %bb.1476:
	s_mov_b32 s16, 0x37ffffff
	v_cmp_lt_u32_e32 vcc, s16, v1
	s_mov_b64 s[16:17], 0
                                        ; implicit-def: $vgpr0
	s_and_saveexec_b64 s[18:19], vcc
	s_xor_b64 s[18:19], exec, s[18:19]
	s_cbranch_execz .LBB143_1735
; %bb.1477:
	v_bfe_u32 v0, v1, 21, 1
	s_mov_b32 s26, 0x88fffff
	v_add3_u32 v0, v1, v0, s26
	s_mov_b64 s[16:17], exec
	v_lshrrev_b32_e32 v0, 21, v0
                                        ; implicit-def: $vgpr1
	s_andn2_saveexec_b64 s[18:19], s[18:19]
	s_cbranch_execnz .LBB143_1736
.LBB143_1478:
	s_or_b64 exec, exec, s[18:19]
	v_mov_b32_e32 v5, 0
	s_and_saveexec_b64 s[18:19], s[16:17]
.LBB143_1479:
	v_mov_b32_e32 v5, v0
.LBB143_1480:
	s_or_b64 exec, exec, s[18:19]
.LBB143_1481:
	s_or_b64 exec, exec, s[14:15]
	s_mov_b64 s[14:15], 0
	global_store_byte v[2:3], v5, off
.LBB143_1482:
	s_and_b64 vcc, exec, s[14:15]
	s_cbranch_vccz .LBB143_1492
; %bb.1483:
	v_cvt_f32_ubyte0_e32 v0, v4
	s_mov_b32 s14, 0x43f00000
	v_cmp_gt_u32_e32 vcc, s14, v0
                                        ; implicit-def: $vgpr1
	s_and_saveexec_b64 s[14:15], vcc
	s_xor_b64 s[14:15], exec, s[14:15]
	s_cbranch_execz .LBB143_1489
; %bb.1484:
	s_mov_b32 s16, 0x3c7fffff
	v_cmp_lt_u32_e32 vcc, s16, v0
                                        ; implicit-def: $vgpr1
	s_and_saveexec_b64 s[16:17], vcc
	s_xor_b64 s[16:17], exec, s[16:17]
; %bb.1485:
	v_bfe_u32 v1, v0, 20, 1
	s_mov_b32 s18, 0x407ffff
	v_add3_u32 v0, v0, v1, s18
	v_lshrrev_b32_e32 v1, 20, v0
	v_and_b32_e32 v0, 0xff00000, v0
	s_mov_b32 s18, 0x7f00000
	v_mov_b32_e32 v5, 0x7e
	v_cmp_ne_u32_e32 vcc, s18, v0
	v_cndmask_b32_e32 v1, v5, v1, vcc
                                        ; implicit-def: $vgpr0
; %bb.1486:
	s_andn2_saveexec_b64 s[16:17], s[16:17]
; %bb.1487:
	v_add_f32_e32 v1, 0x46800000, v0
; %bb.1488:
	s_or_b64 exec, exec, s[16:17]
                                        ; implicit-def: $vgpr0
.LBB143_1489:
	s_andn2_saveexec_b64 s[14:15], s[14:15]
; %bb.1490:
	s_mov_b32 s16, 0x7f800000
	v_mov_b32_e32 v1, 0x7e
	v_mov_b32_e32 v5, 0x7f
	v_cmp_lt_u32_e32 vcc, s16, v0
	v_cndmask_b32_e32 v1, v1, v5, vcc
; %bb.1491:
	s_or_b64 exec, exec, s[14:15]
	global_store_byte v[2:3], v1, off
.LBB143_1492:
	s_mov_b64 s[14:15], 0
.LBB143_1493:
	s_andn2_b64 vcc, exec, s[14:15]
	s_cbranch_vccnz .LBB143_1503
; %bb.1494:
	v_cvt_f32_ubyte0_e32 v0, v4
	s_mov_b32 s14, 0x47800000
	v_cmp_gt_u32_e32 vcc, s14, v0
                                        ; implicit-def: $vgpr1
	s_and_saveexec_b64 s[14:15], vcc
	s_xor_b64 s[14:15], exec, s[14:15]
	s_cbranch_execz .LBB143_1500
; %bb.1495:
	s_mov_b32 s16, 0x387fffff
	v_cmp_lt_u32_e32 vcc, s16, v0
                                        ; implicit-def: $vgpr1
	s_and_saveexec_b64 s[16:17], vcc
	s_xor_b64 s[16:17], exec, s[16:17]
; %bb.1496:
	v_bfe_u32 v1, v0, 21, 1
	s_mov_b32 s18, 0x80fffff
	v_add3_u32 v0, v0, v1, s18
	v_lshrrev_b32_e32 v1, 21, v0
                                        ; implicit-def: $vgpr0
; %bb.1497:
	s_andn2_saveexec_b64 s[16:17], s[16:17]
; %bb.1498:
	v_add_f32_e32 v1, 0x43000000, v0
; %bb.1499:
	s_or_b64 exec, exec, s[16:17]
                                        ; implicit-def: $vgpr0
.LBB143_1500:
	s_andn2_saveexec_b64 s[14:15], s[14:15]
; %bb.1501:
	s_mov_b32 s16, 0x7f800000
	v_mov_b32_e32 v1, 0x7c
	v_mov_b32_e32 v5, 0x7f
	v_cmp_lt_u32_e32 vcc, s16, v0
	v_cndmask_b32_e32 v1, v1, v5, vcc
; %bb.1502:
	s_or_b64 exec, exec, s[14:15]
	global_store_byte v[2:3], v1, off
.LBB143_1503:
	s_mov_b64 s[14:15], 0
.LBB143_1504:
	s_andn2_b64 vcc, exec, s[14:15]
	s_mov_b64 s[14:15], 0
	s_cbranch_vccnz .LBB143_1516
; %bb.1505:
	s_cmp_gt_i32 s25, 14
	s_mov_b64 s[16:17], -1
	s_cbranch_scc0 .LBB143_1509
; %bb.1506:
	s_cmp_eq_u32 s25, 15
	s_mov_b64 s[0:1], -1
	s_cbranch_scc0 .LBB143_1508
; %bb.1507:
	v_cvt_f32_ubyte0_e32 v0, v4
	v_bfe_u32 v1, v0, 16, 1
	s_movk_i32 s0, 0x7fff
	v_add3_u32 v0, v0, v1, s0
	global_store_short_d16_hi v[2:3], v0, off
	s_mov_b64 s[0:1], 0
.LBB143_1508:
	s_mov_b64 s[16:17], 0
.LBB143_1509:
	s_and_b64 vcc, exec, s[16:17]
	s_cbranch_vccz .LBB143_1516
; %bb.1510:
	s_cmp_lg_u32 s25, 11
	s_cselect_b64 s[16:17], -1, 0
	s_andn2_b64 s[0:1], s[0:1], exec
	s_and_b64 s[16:17], s[16:17], exec
	s_mov_b64 s[14:15], -1
	s_or_b64 s[0:1], s[0:1], s[16:17]
	s_branch .LBB143_1516
.LBB143_1511:
	s_or_b64 exec, exec, s[12:13]
	s_and_saveexec_b64 s[0:1], s[36:37]
	s_cbranch_execnz .LBB143_1517
.LBB143_1512:
	s_or_b64 exec, exec, s[0:1]
	s_and_saveexec_b64 s[0:1], s[18:19]
	s_xor_b64 s[0:1], exec, s[0:1]
	s_cbranch_execz .LBB143_1518
.LBB143_1513:
	v_mov_b32_e32 v0, 0
	s_waitcnt vmcnt(0)
	v_cmp_ne_u16_sdwa s[8:9], v4, v0 src0_sel:BYTE_0 src1_sel:DWORD
	v_cndmask_b32_e64 v0, 0, 1, s[8:9]
	global_store_byte v[2:3], v0, off
	s_or_b64 exec, exec, s[0:1]
	s_and_saveexec_b64 s[0:1], s[16:17]
	s_xor_b64 s[0:1], exec, s[0:1]
	s_cbranch_execz .LBB143_1556
	s_branch .LBB143_1519
.LBB143_1514:
	s_mov_b64 s[14:15], 0
	s_mov_b64 s[8:9], -1
	s_mov_b64 s[0:1], s[36:37]
	s_branch .LBB143_1516
.LBB143_1515:
	s_mov_b64 s[14:15], 0
.LBB143_1516:
	s_and_b64 s[16:17], s[8:9], exec
	s_andn2_b64 s[8:9], s[36:37], exec
	s_and_b64 s[0:1], s[0:1], exec
	s_and_b64 s[18:19], s[14:15], exec
	s_or_b64 s[36:37], s[8:9], s[0:1]
	s_or_b64 exec, exec, s[12:13]
	s_and_saveexec_b64 s[0:1], s[36:37]
	s_cbranch_execz .LBB143_1512
.LBB143_1517:
	s_or_b64 s[10:11], s[10:11], exec
	s_andn2_b64 s[18:19], s[18:19], exec
	s_trap 2
	s_or_b64 exec, exec, s[0:1]
	s_and_saveexec_b64 s[0:1], s[18:19]
	s_xor_b64 s[0:1], exec, s[0:1]
	s_cbranch_execnz .LBB143_1513
.LBB143_1518:
	s_or_b64 exec, exec, s[0:1]
	s_and_saveexec_b64 s[0:1], s[16:17]
	s_xor_b64 s[0:1], exec, s[0:1]
	s_cbranch_execz .LBB143_1556
.LBB143_1519:
	s_sext_i32_i16 s12, s24
	s_cmp_lt_i32 s12, 5
	s_mov_b64 s[8:9], -1
	s_cbranch_scc1 .LBB143_1540
; %bb.1520:
	s_cmp_lt_i32 s12, 8
	s_cbranch_scc1 .LBB143_1530
; %bb.1521:
	s_cmp_lt_i32 s12, 9
	s_cbranch_scc1 .LBB143_1527
; %bb.1522:
	s_cmp_gt_i32 s12, 9
	s_cbranch_scc0 .LBB143_1524
; %bb.1523:
	s_mov_b32 s8, 0xffff
	s_waitcnt vmcnt(0)
	v_and_b32_sdwa v0, s8, v4 dst_sel:DWORD dst_unused:UNUSED_PAD src0_sel:DWORD src1_sel:BYTE_0
	v_cvt_f64_u32_e32 v[5:6], v0
	v_mov_b32_e32 v7, 0
	v_mov_b32_e32 v8, v7
	s_mov_b64 s[8:9], 0
	global_store_dwordx4 v[2:3], v[5:8], off
.LBB143_1524:
	s_andn2_b64 vcc, exec, s[8:9]
	s_cbranch_vccnz .LBB143_1526
; %bb.1525:
	s_waitcnt vmcnt(0)
	v_cvt_f32_ubyte0_e32 v0, v4
	v_mov_b32_e32 v1, 0
	global_store_dwordx2 v[2:3], v[0:1], off
.LBB143_1526:
	s_mov_b64 s[8:9], 0
.LBB143_1527:
	s_andn2_b64 vcc, exec, s[8:9]
	s_cbranch_vccnz .LBB143_1529
; %bb.1528:
	s_waitcnt vmcnt(0)
	v_cvt_f16_u16_sdwa v0, v4 dst_sel:DWORD dst_unused:UNUSED_PAD src0_sel:BYTE_0
	global_store_dword v[2:3], v0, off
.LBB143_1529:
	s_mov_b64 s[8:9], 0
.LBB143_1530:
	s_andn2_b64 vcc, exec, s[8:9]
	s_cbranch_vccnz .LBB143_1539
; %bb.1531:
	s_sext_i32_i16 s12, s24
	s_cmp_lt_i32 s12, 6
	s_mov_b64 s[8:9], -1
	s_cbranch_scc1 .LBB143_1537
; %bb.1532:
	s_cmp_gt_i32 s12, 6
	s_cbranch_scc0 .LBB143_1534
; %bb.1533:
	s_mov_b32 s8, 0xffff
	s_waitcnt vmcnt(0)
	v_and_b32_sdwa v0, s8, v4 dst_sel:DWORD dst_unused:UNUSED_PAD src0_sel:DWORD src1_sel:BYTE_0
	v_cvt_f64_u32_e32 v[0:1], v0
	s_mov_b64 s[8:9], 0
	global_store_dwordx2 v[2:3], v[0:1], off
.LBB143_1534:
	s_andn2_b64 vcc, exec, s[8:9]
	s_cbranch_vccnz .LBB143_1536
; %bb.1535:
	s_waitcnt vmcnt(0)
	v_cvt_f32_ubyte0_e32 v0, v4
	global_store_dword v[2:3], v0, off
.LBB143_1536:
	s_mov_b64 s[8:9], 0
.LBB143_1537:
	s_andn2_b64 vcc, exec, s[8:9]
	s_cbranch_vccnz .LBB143_1539
; %bb.1538:
	s_waitcnt vmcnt(0)
	v_cvt_f16_u16_sdwa v0, v4 dst_sel:DWORD dst_unused:UNUSED_PAD src0_sel:BYTE_0
	global_store_short v[2:3], v0, off
.LBB143_1539:
	s_mov_b64 s[8:9], 0
.LBB143_1540:
	s_andn2_b64 vcc, exec, s[8:9]
	s_cbranch_vccnz .LBB143_1556
; %bb.1541:
	s_sext_i32_i16 s12, s24
	s_cmp_lt_i32 s12, 2
	s_mov_b64 s[8:9], -1
	s_cbranch_scc1 .LBB143_1551
; %bb.1542:
	s_cmp_lt_i32 s12, 3
	s_cbranch_scc1 .LBB143_1548
; %bb.1543:
	s_cmp_gt_i32 s12, 3
	s_cbranch_scc0 .LBB143_1545
; %bb.1544:
	s_waitcnt vmcnt(0)
	v_and_b32_e32 v0, 0xff, v4
	v_mov_b32_e32 v1, 0
	s_mov_b64 s[8:9], 0
	global_store_dwordx2 v[2:3], v[0:1], off
.LBB143_1545:
	s_andn2_b64 vcc, exec, s[8:9]
	s_cbranch_vccnz .LBB143_1547
; %bb.1546:
	s_waitcnt vmcnt(0)
	v_and_b32_e32 v0, 0xff, v4
	global_store_dword v[2:3], v0, off
.LBB143_1547:
	s_mov_b64 s[8:9], 0
.LBB143_1548:
	s_andn2_b64 vcc, exec, s[8:9]
	s_cbranch_vccnz .LBB143_1550
; %bb.1549:
	s_waitcnt vmcnt(0)
	v_and_b32_e32 v0, 0xff, v4
	global_store_short v[2:3], v0, off
.LBB143_1550:
	s_mov_b64 s[8:9], 0
.LBB143_1551:
	s_andn2_b64 vcc, exec, s[8:9]
	s_cbranch_vccnz .LBB143_1556
; %bb.1552:
	s_sext_i32_i16 s8, s24
	s_cmp_gt_i32 s8, 0
	s_mov_b64 s[8:9], -1
	s_cbranch_scc0 .LBB143_1554
; %bb.1553:
	s_mov_b64 s[8:9], 0
	s_waitcnt vmcnt(0)
	global_store_byte v[2:3], v4, off
.LBB143_1554:
	s_andn2_b64 vcc, exec, s[8:9]
	s_cbranch_vccnz .LBB143_1556
; %bb.1555:
	s_waitcnt vmcnt(0)
	global_store_byte v[2:3], v4, off
.LBB143_1556:
	s_or_b64 exec, exec, s[0:1]
	s_and_b64 s[12:13], s[10:11], exec
                                        ; implicit-def: $vgpr20
                                        ; implicit-def: $vgpr10
.LBB143_1557:
	s_or_saveexec_b64 s[14:15], s[22:23]
	s_mov_b64 s[0:1], 0
                                        ; implicit-def: $vgpr0_vgpr1
                                        ; implicit-def: $sgpr18
                                        ; implicit-def: $vgpr2
	s_xor_b64 exec, exec, s[14:15]
	s_cbranch_execz .LBB143_3038
; %bb.1558:
	v_cndmask_b32_e64 v0, 0, 1, s[20:21]
	v_cmp_ne_u32_e64 s[0:1], 1, v0
	s_andn2_b64 vcc, exec, s[20:21]
	s_cbranch_vccnz .LBB143_1564
; %bb.1559:
	s_cmp_lg_u32 s33, 0
	s_cbranch_scc0 .LBB143_1565
; %bb.1560:
	s_min_u32 s8, s68, 15
	s_add_i32 s6, s8, 1
	s_and_b32 s9, s6, 30
	s_add_u32 s6, s2, 0xffffffe8
	s_addc_u32 s7, s3, -1
	v_mov_b32_e32 v11, 0
	v_mov_b32_e32 v8, 0
	s_waitcnt vmcnt(0)
	v_mov_b32_e32 v6, 0
	v_mov_b32_e32 v0, v10
.LBB143_1561:                           ; =>This Inner Loop Header: Depth=1
	s_load_dwordx4 s[16:19], s[6:7], 0x1c
	s_load_dwordx2 s[10:11], s[6:7], 0x2c
	s_load_dwordx2 s[24:25], s[6:7], 0xec
	s_load_dwordx4 s[20:23], s[6:7], 0xdc
	s_add_u32 s6, s6, 24
	s_waitcnt lgkmcnt(0)
	v_mul_hi_u32 v1, s17, v0
	s_addc_u32 s7, s7, 0
	s_add_i32 s9, s9, -2
	s_cmp_lg_u32 s9, 0
	v_add_u32_e32 v1, v0, v1
	v_lshrrev_b32_e32 v1, s18, v1
	v_mul_lo_u32 v2, v1, s16
	v_mul_hi_u32 v3, s10, v1
	v_sub_u32_e32 v2, v0, v2
	v_add_u32_e32 v0, v1, v3
	v_lshrrev_b32_e32 v0, s11, v0
	v_mul_lo_u32 v5, v0, s19
	v_mul_lo_u32 v3, v2, s20
	;; [unrolled: 1-line block ×4, first 2 shown]
	v_sub_u32_e32 v1, v1, v5
	v_mul_lo_u32 v5, v1, s23
	v_mul_lo_u32 v7, v1, s24
	;; [unrolled: 1-line block ×3, first 2 shown]
	v_add3_u32 v6, v3, v6, v5
	v_add3_u32 v8, v4, v8, v7
	v_add3_u32 v11, v2, v11, v1
	s_cbranch_scc1 .LBB143_1561
; %bb.1562:
	s_bitcmp1_b32 s8, 0
	s_cselect_b64 s[8:9], -1, 0
	s_and_b64 vcc, exec, s[8:9]
	s_cbranch_vccnz .LBB143_1566
; %bb.1563:
	s_load_dwordx2 s[8:9], s[6:7], 0x1c
	s_load_dword s16, s[6:7], 0x24
	s_load_dwordx2 s[10:11], s[6:7], 0xdc
	s_waitcnt lgkmcnt(0)
	v_mul_hi_u32 v1, s9, v0
	v_add_u32_e32 v1, v0, v1
	v_lshrrev_b32_e32 v1, s16, v1
	v_mul_lo_u32 v1, v1, s8
	s_load_dword s8, s[6:7], 0xe4
	v_sub_u32_e32 v0, v0, v1
	v_mad_u64_u32 v[6:7], s[6:7], v0, s10, v[6:7]
	v_mad_u64_u32 v[8:9], s[6:7], v0, s11, v[8:9]
	s_waitcnt lgkmcnt(0)
	v_mad_u64_u32 v[11:12], s[6:7], v0, s8, v[11:12]
	s_cbranch_execz .LBB143_1567
	s_branch .LBB143_1569
.LBB143_1564:
                                        ; implicit-def: $vgpr6
                                        ; implicit-def: $vgpr8
                                        ; implicit-def: $vgpr11
	s_branch .LBB143_1567
.LBB143_1565:
	s_waitcnt vmcnt(0)
	v_mov_b32_e32 v6, 0
	v_mov_b32_e32 v8, 0
	v_mov_b32_e32 v11, 0
.LBB143_1566:
	s_cbranch_execnz .LBB143_1569
.LBB143_1567:
	s_load_dwordx4 s[8:11], s[2:3], 0x4
	s_load_dwordx4 s[16:19], s[2:3], 0xc4
	s_cmp_lt_u32 s33, 2
	s_waitcnt lgkmcnt(0)
	v_mul_hi_u32 v0, s9, v10
	v_add_u32_e32 v0, v10, v0
	v_lshrrev_b32_e32 v0, s10, v0
	s_waitcnt vmcnt(0)
	v_mul_lo_u32 v1, v0, s8
	v_sub_u32_e32 v1, v10, v1
	v_mul_lo_u32 v6, v1, s16
	v_mul_lo_u32 v8, v1, s17
	;; [unrolled: 1-line block ×3, first 2 shown]
	s_cbranch_scc1 .LBB143_1569
; %bb.1568:
	s_load_dwordx4 s[8:11], s[2:3], 0x10
	s_load_dwordx4 s[16:19], s[2:3], 0xd0
	s_waitcnt lgkmcnt(0)
	v_mul_hi_u32 v1, s9, v0
	v_add_u32_e32 v1, v0, v1
	v_lshrrev_b32_e32 v1, s10, v1
	v_mul_lo_u32 v1, v1, s8
	v_sub_u32_e32 v0, v0, v1
	v_mad_u64_u32 v[6:7], s[6:7], v0, s16, v[6:7]
	v_mad_u64_u32 v[8:9], s[6:7], v0, s17, v[8:9]
	;; [unrolled: 1-line block ×3, first 2 shown]
.LBB143_1569:
	s_and_b64 vcc, exec, s[0:1]
	v_add_u32_e32 v0, 0x80, v10
	s_cbranch_vccnz .LBB143_1575
; %bb.1570:
	s_cmp_lg_u32 s33, 0
	s_cbranch_scc0 .LBB143_1576
; %bb.1571:
	s_min_u32 s8, s68, 15
	s_add_i32 s6, s8, 1
	s_and_b32 s9, s6, 30
	s_add_u32 s6, s2, 0xffffffe8
	s_addc_u32 s7, s3, -1
	v_mov_b32_e32 v15, 0
	v_mov_b32_e32 v12, 0
	s_waitcnt vmcnt(0)
	v_mov_b32_e32 v4, 0
	v_mov_b32_e32 v1, v0
.LBB143_1572:                           ; =>This Inner Loop Header: Depth=1
	s_load_dwordx4 s[16:19], s[6:7], 0x1c
	s_load_dwordx2 s[10:11], s[6:7], 0x2c
	s_load_dwordx2 s[24:25], s[6:7], 0xec
	s_load_dwordx4 s[20:23], s[6:7], 0xdc
	s_add_u32 s6, s6, 24
	s_waitcnt lgkmcnt(0)
	v_mul_hi_u32 v2, s17, v1
	s_addc_u32 s7, s7, 0
	s_add_i32 s9, s9, -2
	s_cmp_lg_u32 s9, 0
	v_add_u32_e32 v2, v1, v2
	v_lshrrev_b32_e32 v2, s18, v2
	v_mul_lo_u32 v3, v2, s16
	v_mul_hi_u32 v5, s10, v2
	v_sub_u32_e32 v3, v1, v3
	v_add_u32_e32 v1, v2, v5
	v_lshrrev_b32_e32 v1, s11, v1
	v_mul_lo_u32 v9, v1, s19
	v_mul_lo_u32 v5, v3, s20
	;; [unrolled: 1-line block ×4, first 2 shown]
	v_sub_u32_e32 v2, v2, v9
	v_mul_lo_u32 v9, v2, s23
	v_mul_lo_u32 v13, v2, s24
	;; [unrolled: 1-line block ×3, first 2 shown]
	v_add3_u32 v4, v5, v4, v9
	v_add3_u32 v12, v7, v12, v13
	;; [unrolled: 1-line block ×3, first 2 shown]
	s_cbranch_scc1 .LBB143_1572
; %bb.1573:
	s_bitcmp1_b32 s8, 0
	s_cselect_b64 s[8:9], -1, 0
	s_and_b64 vcc, exec, s[8:9]
	s_cbranch_vccnz .LBB143_1577
; %bb.1574:
	s_load_dwordx2 s[8:9], s[6:7], 0x1c
	s_load_dword s16, s[6:7], 0x24
	s_load_dwordx2 s[10:11], s[6:7], 0xdc
	s_waitcnt lgkmcnt(0)
	v_mul_hi_u32 v2, s9, v1
	v_add_u32_e32 v2, v1, v2
	v_lshrrev_b32_e32 v2, s16, v2
	v_mul_lo_u32 v2, v2, s8
	s_load_dword s8, s[6:7], 0xe4
	v_sub_u32_e32 v1, v1, v2
	v_mad_u64_u32 v[4:5], s[6:7], v1, s10, v[4:5]
	v_mad_u64_u32 v[12:13], s[6:7], v1, s11, v[12:13]
	s_waitcnt lgkmcnt(0)
	v_mad_u64_u32 v[15:16], s[6:7], v1, s8, v[15:16]
	s_cbranch_execz .LBB143_1578
	s_branch .LBB143_1580
.LBB143_1575:
                                        ; implicit-def: $vgpr4
                                        ; implicit-def: $vgpr12
                                        ; implicit-def: $vgpr15
	s_branch .LBB143_1578
.LBB143_1576:
	s_waitcnt vmcnt(0)
	v_mov_b32_e32 v4, 0
	v_mov_b32_e32 v12, 0
	;; [unrolled: 1-line block ×3, first 2 shown]
.LBB143_1577:
	s_cbranch_execnz .LBB143_1580
.LBB143_1578:
	s_load_dwordx4 s[8:11], s[2:3], 0x4
	s_load_dwordx4 s[16:19], s[2:3], 0xc4
	s_cmp_lt_u32 s33, 2
	s_waitcnt vmcnt(0) lgkmcnt(0)
	v_mul_hi_u32 v1, s9, v0
	v_add_u32_e32 v1, v0, v1
	v_lshrrev_b32_e32 v1, s10, v1
	v_mul_lo_u32 v2, v1, s8
	v_sub_u32_e32 v0, v0, v2
	v_mul_lo_u32 v4, v0, s16
	v_mul_lo_u32 v12, v0, s17
	;; [unrolled: 1-line block ×3, first 2 shown]
	s_cbranch_scc1 .LBB143_1580
; %bb.1579:
	s_load_dwordx4 s[8:11], s[2:3], 0x10
	s_load_dwordx4 s[16:19], s[2:3], 0xd0
	s_waitcnt lgkmcnt(0)
	v_mul_hi_u32 v0, s9, v1
	v_add_u32_e32 v0, v1, v0
	v_lshrrev_b32_e32 v0, s10, v0
	v_mul_lo_u32 v0, v0, s8
	v_sub_u32_e32 v0, v1, v0
	v_mad_u64_u32 v[4:5], s[6:7], v0, s16, v[4:5]
	v_mad_u64_u32 v[12:13], s[6:7], v0, s17, v[12:13]
	;; [unrolled: 1-line block ×3, first 2 shown]
.LBB143_1580:
	s_and_b64 vcc, exec, s[0:1]
	v_add_u32_e32 v0, 0x100, v10
	s_cbranch_vccnz .LBB143_1586
; %bb.1581:
	s_cmp_lg_u32 s33, 0
	s_cbranch_scc0 .LBB143_1587
; %bb.1582:
	s_min_u32 s8, s68, 15
	s_add_i32 s6, s8, 1
	s_and_b32 s9, s6, 30
	s_add_u32 s6, s2, 0xffffffe8
	s_addc_u32 s7, s3, -1
	v_mov_b32_e32 v16, 0
	v_mov_b32_e32 v18, 0
	s_waitcnt vmcnt(0)
	v_mov_b32_e32 v2, 0
	v_mov_b32_e32 v1, v0
.LBB143_1583:                           ; =>This Inner Loop Header: Depth=1
	s_load_dwordx4 s[16:19], s[6:7], 0x1c
	s_load_dwordx2 s[10:11], s[6:7], 0x2c
	s_load_dwordx2 s[24:25], s[6:7], 0xec
	s_load_dwordx4 s[20:23], s[6:7], 0xdc
	s_add_u32 s6, s6, 24
	s_waitcnt lgkmcnt(0)
	v_mul_hi_u32 v3, s17, v1
	s_addc_u32 s7, s7, 0
	s_add_i32 s9, s9, -2
	s_cmp_lg_u32 s9, 0
	v_add_u32_e32 v3, v1, v3
	v_lshrrev_b32_e32 v3, s18, v3
	v_mul_lo_u32 v5, v3, s16
	v_mul_hi_u32 v7, s10, v3
	v_sub_u32_e32 v5, v1, v5
	v_add_u32_e32 v1, v3, v7
	v_lshrrev_b32_e32 v1, s11, v1
	v_mul_lo_u32 v10, v1, s19
	v_mul_lo_u32 v7, v5, s20
	;; [unrolled: 1-line block ×4, first 2 shown]
	v_sub_u32_e32 v3, v3, v10
	v_mul_lo_u32 v10, v3, s23
	v_mul_lo_u32 v13, v3, s24
	;; [unrolled: 1-line block ×3, first 2 shown]
	v_add3_u32 v2, v7, v2, v10
	v_add3_u32 v18, v9, v18, v13
	;; [unrolled: 1-line block ×3, first 2 shown]
	s_cbranch_scc1 .LBB143_1583
; %bb.1584:
	s_bitcmp1_b32 s8, 0
	s_cselect_b64 s[8:9], -1, 0
	s_and_b64 vcc, exec, s[8:9]
	s_cbranch_vccnz .LBB143_1588
; %bb.1585:
	s_load_dwordx2 s[8:9], s[6:7], 0x1c
	s_load_dword s16, s[6:7], 0x24
	s_load_dwordx2 s[10:11], s[6:7], 0xdc
	s_waitcnt lgkmcnt(0)
	v_mul_hi_u32 v3, s9, v1
	v_add_u32_e32 v3, v1, v3
	v_lshrrev_b32_e32 v3, s16, v3
	v_mul_lo_u32 v3, v3, s8
	s_load_dword s8, s[6:7], 0xe4
	v_sub_u32_e32 v1, v1, v3
	v_mad_u64_u32 v[2:3], s[6:7], v1, s10, v[2:3]
	v_mad_u64_u32 v[18:19], s[6:7], v1, s11, v[18:19]
	s_waitcnt lgkmcnt(0)
	v_mad_u64_u32 v[16:17], s[6:7], v1, s8, v[16:17]
	s_cbranch_execz .LBB143_1589
	s_branch .LBB143_1591
.LBB143_1586:
                                        ; implicit-def: $vgpr2
                                        ; implicit-def: $vgpr18
                                        ; implicit-def: $vgpr16
	s_branch .LBB143_1589
.LBB143_1587:
	s_waitcnt vmcnt(0)
	v_mov_b32_e32 v2, 0
	v_mov_b32_e32 v18, 0
	;; [unrolled: 1-line block ×3, first 2 shown]
.LBB143_1588:
	s_cbranch_execnz .LBB143_1591
.LBB143_1589:
	s_load_dwordx4 s[8:11], s[2:3], 0x4
	s_load_dwordx4 s[16:19], s[2:3], 0xc4
	s_cmp_lt_u32 s33, 2
	s_waitcnt vmcnt(0) lgkmcnt(0)
	v_mul_hi_u32 v1, s9, v0
	v_add_u32_e32 v1, v0, v1
	v_lshrrev_b32_e32 v1, s10, v1
	v_mul_lo_u32 v2, v1, s8
	v_sub_u32_e32 v0, v0, v2
	v_mul_lo_u32 v2, v0, s16
	v_mul_lo_u32 v18, v0, s17
	v_mul_lo_u32 v16, v0, s18
	s_cbranch_scc1 .LBB143_1591
; %bb.1590:
	s_load_dwordx4 s[8:11], s[2:3], 0x10
	s_load_dwordx4 s[16:19], s[2:3], 0xd0
	s_waitcnt lgkmcnt(0)
	v_mul_hi_u32 v0, s9, v1
	v_add_u32_e32 v0, v1, v0
	v_lshrrev_b32_e32 v0, s10, v0
	v_mul_lo_u32 v0, v0, s8
	v_sub_u32_e32 v0, v1, v0
	v_mad_u64_u32 v[2:3], s[6:7], v0, s16, v[2:3]
	v_mad_u64_u32 v[18:19], s[6:7], v0, s17, v[18:19]
	;; [unrolled: 1-line block ×3, first 2 shown]
.LBB143_1591:
	s_and_b64 vcc, exec, s[0:1]
	s_cbranch_vccnz .LBB143_1597
; %bb.1592:
	s_cmp_lg_u32 s33, 0
	s_cbranch_scc0 .LBB143_1598
; %bb.1593:
	s_min_u32 s6, s68, 15
	s_add_i32 s0, s6, 1
	s_and_b32 s7, s0, 30
	s_add_u32 s0, s2, 0xffffffe8
	s_addc_u32 s1, s3, -1
	v_mov_b32_e32 v9, 0
	v_mov_b32_e32 v13, 0
	;; [unrolled: 1-line block ×3, first 2 shown]
	s_waitcnt vmcnt(0)
	v_mov_b32_e32 v1, v20
.LBB143_1594:                           ; =>This Inner Loop Header: Depth=1
	s_load_dwordx4 s[8:11], s[0:1], 0x1c
	s_load_dwordx2 s[20:21], s[0:1], 0x2c
	s_load_dwordx2 s[22:23], s[0:1], 0xec
	s_load_dwordx4 s[16:19], s[0:1], 0xdc
	s_add_u32 s0, s0, 24
	s_waitcnt lgkmcnt(0)
	v_mul_hi_u32 v3, s9, v1
	s_addc_u32 s1, s1, 0
	s_add_i32 s7, s7, -2
	s_cmp_lg_u32 s7, 0
	v_add_u32_e32 v3, v1, v3
	v_lshrrev_b32_e32 v3, s10, v3
	v_mul_lo_u32 v5, v3, s8
	v_mul_hi_u32 v7, s20, v3
	v_sub_u32_e32 v5, v1, v5
	v_add_u32_e32 v1, v3, v7
	v_lshrrev_b32_e32 v1, s21, v1
	v_mul_lo_u32 v14, v1, s11
	v_mul_lo_u32 v7, v5, s16
	;; [unrolled: 1-line block ×4, first 2 shown]
	v_sub_u32_e32 v3, v3, v14
	v_mul_lo_u32 v14, v3, s19
	v_mul_lo_u32 v17, v3, s22
	v_mul_lo_u32 v3, v3, s23
	v_add3_u32 v0, v7, v0, v14
	v_add3_u32 v13, v10, v13, v17
	;; [unrolled: 1-line block ×3, first 2 shown]
	s_cbranch_scc1 .LBB143_1594
; %bb.1595:
	s_bitcmp1_b32 s6, 0
	s_cselect_b64 s[6:7], -1, 0
	s_and_b64 vcc, exec, s[6:7]
	s_cbranch_vccnz .LBB143_1599
; %bb.1596:
	s_load_dwordx2 s[6:7], s[0:1], 0x1c
	s_load_dword s10, s[0:1], 0x24
	s_load_dwordx2 s[8:9], s[0:1], 0xdc
	s_waitcnt lgkmcnt(0)
	v_mul_hi_u32 v3, s7, v1
	v_add_u32_e32 v3, v1, v3
	v_lshrrev_b32_e32 v3, s10, v3
	v_mul_lo_u32 v3, v3, s6
	s_load_dword s6, s[0:1], 0xe4
	v_sub_u32_e32 v3, v1, v3
	v_mad_u64_u32 v[0:1], s[0:1], v3, s8, v[0:1]
	v_mad_u64_u32 v[13:14], s[0:1], v3, s9, v[13:14]
	s_waitcnt lgkmcnt(0)
	v_mad_u64_u32 v[9:10], s[0:1], v3, s6, v[9:10]
	s_cbranch_execz .LBB143_1600
	s_branch .LBB143_1602
.LBB143_1597:
                                        ; implicit-def: $vgpr0
                                        ; implicit-def: $vgpr13
                                        ; implicit-def: $vgpr9
	s_branch .LBB143_1600
.LBB143_1598:
	v_mov_b32_e32 v0, 0
	v_mov_b32_e32 v13, 0
	;; [unrolled: 1-line block ×3, first 2 shown]
.LBB143_1599:
	s_cbranch_execnz .LBB143_1602
.LBB143_1600:
	s_load_dwordx4 s[8:11], s[2:3], 0x4
	s_load_dwordx4 s[16:19], s[2:3], 0xc4
	s_cmp_lt_u32 s33, 2
	s_waitcnt lgkmcnt(0)
	v_mul_hi_u32 v0, s9, v20
	v_add_u32_e32 v0, v20, v0
	s_waitcnt vmcnt(0)
	v_lshrrev_b32_e32 v1, s10, v0
	v_mul_lo_u32 v0, v1, s8
	v_sub_u32_e32 v3, v20, v0
	v_mul_lo_u32 v0, v3, s16
	v_mul_lo_u32 v13, v3, s17
	;; [unrolled: 1-line block ×3, first 2 shown]
	s_cbranch_scc1 .LBB143_1602
; %bb.1601:
	s_load_dwordx4 s[8:11], s[2:3], 0x10
	s_load_dwordx4 s[16:19], s[2:3], 0xd0
	s_waitcnt lgkmcnt(0)
	v_mul_hi_u32 v3, s9, v1
	v_add_u32_e32 v3, v1, v3
	v_lshrrev_b32_e32 v3, s10, v3
	v_mul_lo_u32 v3, v3, s8
	v_sub_u32_e32 v3, v1, v3
	v_mad_u64_u32 v[0:1], s[0:1], v3, s16, v[0:1]
	v_mad_u64_u32 v[13:14], s[0:1], v3, s17, v[13:14]
	;; [unrolled: 1-line block ×3, first 2 shown]
.LBB143_1602:
	s_load_dwordx4 s[8:11], s[2:3], 0x188
	s_load_dword s20, s[4:5], 0x1a8
	s_waitcnt vmcnt(0) lgkmcnt(0)
	v_mov_b32_e32 v1, s11
	s_bfe_u32 s18, s20, 0x80010
	v_add_co_u32_e32 v19, vcc, s10, v8
	s_cmp_lt_i32 s18, 11
	v_addc_co_u32_e32 v20, vcc, 0, v1, vcc
	s_cbranch_scc1 .LBB143_1609
; %bb.1603:
	s_and_b32 s19, 0xffff, s18
	s_cmp_gt_i32 s19, 25
	s_mov_b64 s[6:7], 0
	s_cbranch_scc0 .LBB143_1611
; %bb.1604:
	s_cmp_gt_i32 s19, 28
	s_cbranch_scc0 .LBB143_1612
; %bb.1605:
	s_cmp_gt_i32 s19, 43
	;; [unrolled: 3-line block ×3, first 2 shown]
	s_cbranch_scc0 .LBB143_1614
; %bb.1607:
	s_cmp_eq_u32 s19, 46
	s_mov_b64 s[4:5], 0
	s_cbranch_scc0 .LBB143_1617
; %bb.1608:
	global_load_dword v1, v[19:20], off
	s_mov_b32 s0, 0x2f800000
	s_mov_b32 s1, 0xcf800000
	s_mov_b64 s[16:17], -1
	s_waitcnt vmcnt(0)
	v_lshlrev_b32_e32 v1, 16, v1
	v_trunc_f32_e32 v1, v1
	v_mul_f32_e64 v3, |v1|, s0
	v_floor_f32_e32 v3, v3
	v_fma_f32 v3, v3, s1, |v1|
	v_cvt_u32_f32_e32 v3, v3
	v_ashrrev_i32_e32 v1, 31, v1
	s_mov_b64 s[0:1], 0
	v_xor_b32_e32 v3, v3, v1
	v_sub_u32_e32 v7, v3, v1
	s_branch .LBB143_1618
.LBB143_1609:
	s_mov_b64 s[16:17], 0
                                        ; implicit-def: $vgpr7
	s_mov_b64 s[4:5], s[12:13]
	s_cbranch_execnz .LBB143_1676
.LBB143_1610:
	s_andn2_b64 vcc, exec, s[16:17]
	s_cbranch_vccz .LBB143_1721
	s_branch .LBB143_3036
.LBB143_1611:
	s_mov_b64 s[16:17], 0
	s_mov_b64 s[0:1], 0
                                        ; implicit-def: $vgpr7
	s_cbranch_execnz .LBB143_1643
	s_branch .LBB143_1672
.LBB143_1612:
	s_mov_b64 s[16:17], 0
	s_mov_b64 s[0:1], 0
                                        ; implicit-def: $vgpr7
	s_cbranch_execz .LBB143_1642
	s_branch .LBB143_1627
.LBB143_1613:
	s_mov_b64 s[16:17], 0
	s_mov_b64 s[0:1], 0
                                        ; implicit-def: $vgpr7
	s_cbranch_execnz .LBB143_1623
	s_branch .LBB143_1626
.LBB143_1614:
	s_mov_b64 s[4:5], -1
	s_mov_b64 s[16:17], 0
	s_mov_b64 s[0:1], 0
                                        ; implicit-def: $vgpr7
	s_branch .LBB143_1618
.LBB143_1615:
	s_andn2_saveexec_b64 s[16:17], s[16:17]
	s_cbranch_execz .LBB143_1466
.LBB143_1616:
	v_add_f32_e32 v0, 0x46000000, v1
	v_and_b32_e32 v0, 0xff, v0
	v_cmp_ne_u32_e32 vcc, 0, v0
	s_andn2_b64 s[14:15], s[14:15], exec
	s_and_b64 s[18:19], vcc, exec
	s_or_b64 s[14:15], s[14:15], s[18:19]
	s_or_b64 exec, exec, s[16:17]
	v_mov_b32_e32 v5, 0
	s_and_saveexec_b64 s[16:17], s[14:15]
	s_cbranch_execnz .LBB143_1467
	s_branch .LBB143_1468
.LBB143_1617:
	s_mov_b64 s[0:1], -1
                                        ; implicit-def: $vgpr7
	s_mov_b64 s[16:17], 0
.LBB143_1618:
	s_and_b64 vcc, exec, s[4:5]
	s_cbranch_vccz .LBB143_1621
; %bb.1619:
	s_cmp_eq_u32 s19, 44
	s_cbranch_scc0 .LBB143_1622
; %bb.1620:
	global_load_ubyte v1, v[19:20], off
	s_mov_b32 s0, 0x2f800000
	s_mov_b32 s1, 0xcf800000
	s_mov_b64 s[16:17], -1
	s_waitcnt vmcnt(0)
	v_lshlrev_b32_e32 v3, 23, v1
	v_trunc_f32_e32 v3, v3
	v_mul_f32_e64 v5, |v3|, s0
	v_floor_f32_e32 v5, v5
	v_fma_f32 v5, v5, s1, |v3|
	v_cvt_u32_f32_e32 v5, v5
	v_ashrrev_i32_e32 v3, 31, v3
	v_cmp_ne_u32_e32 vcc, 0, v1
	s_mov_b64 s[0:1], 0
	v_xor_b32_e32 v5, v5, v3
	v_sub_u32_e32 v3, v5, v3
	v_cndmask_b32_e32 v7, 0, v3, vcc
.LBB143_1621:
	s_branch .LBB143_1626
.LBB143_1622:
	s_mov_b64 s[0:1], -1
                                        ; implicit-def: $vgpr7
	s_branch .LBB143_1626
.LBB143_1623:
	s_cmp_eq_u32 s19, 29
	s_cbranch_scc0 .LBB143_1625
; %bb.1624:
	global_load_dwordx2 v[7:8], v[19:20], off
	s_mov_b64 s[0:1], 0
	s_mov_b64 s[16:17], -1
	s_branch .LBB143_1626
.LBB143_1625:
	s_mov_b64 s[0:1], -1
                                        ; implicit-def: $vgpr7
.LBB143_1626:
	s_branch .LBB143_1642
.LBB143_1627:
	s_cmp_lt_i32 s19, 27
	s_cbranch_scc1 .LBB143_1630
; %bb.1628:
	s_cmp_gt_i32 s19, 27
	s_cbranch_scc0 .LBB143_1631
; %bb.1629:
	global_load_dword v7, v[19:20], off
	s_mov_b64 s[4:5], 0
	s_branch .LBB143_1632
.LBB143_1630:
	s_mov_b64 s[4:5], -1
                                        ; implicit-def: $vgpr7
	s_branch .LBB143_1635
.LBB143_1631:
	s_mov_b64 s[4:5], -1
                                        ; implicit-def: $vgpr7
.LBB143_1632:
	s_andn2_b64 vcc, exec, s[4:5]
	s_cbranch_vccnz .LBB143_1634
; %bb.1633:
	global_load_ushort v7, v[19:20], off
.LBB143_1634:
	s_mov_b64 s[4:5], 0
.LBB143_1635:
	s_andn2_b64 vcc, exec, s[4:5]
	s_cbranch_vccnz .LBB143_1641
; %bb.1636:
	global_load_ubyte v1, v[19:20], off
	s_movk_i32 s4, 0x7f
	s_mov_b64 s[16:17], 0
	s_waitcnt vmcnt(0)
	v_cmp_lt_i16_e32 vcc, s4, v1
	s_and_saveexec_b64 s[4:5], vcc
	s_xor_b64 s[4:5], exec, s[4:5]
	s_cbranch_execz .LBB143_1652
; %bb.1637:
	s_movk_i32 s16, 0x80
	v_cmp_ne_u16_e32 vcc, s16, v1
	s_and_b64 s[16:17], vcc, exec
	s_andn2_saveexec_b64 s[4:5], s[4:5]
	s_cbranch_execnz .LBB143_1653
.LBB143_1638:
	s_or_b64 exec, exec, s[4:5]
	v_mov_b32_e32 v7, 0
	s_and_saveexec_b64 s[4:5], s[16:17]
	s_cbranch_execz .LBB143_1640
.LBB143_1639:
	v_lshlrev_b32_e32 v3, 24, v1
	v_and_b32_e32 v1, 0xffff, v1
	v_and_b32_e32 v5, 7, v1
	v_ffbh_u32_e32 v8, v5
	v_min_u32_e32 v8, 32, v8
	v_subrev_u32_e32 v10, 28, v8
	v_bfe_u32 v7, v1, 3, 4
	v_lshlrev_b32_e32 v1, v10, v1
	v_sub_u32_e32 v8, 29, v8
	v_and_b32_e32 v1, 7, v1
	v_cmp_eq_u32_e32 vcc, 0, v7
	v_cndmask_b32_e32 v7, v7, v8, vcc
	v_cndmask_b32_e32 v1, v5, v1, vcc
	v_mov_b32_e32 v5, 0x3b800000
	v_lshlrev_b32_e32 v1, 20, v1
	v_and_b32_e32 v3, 0x80000000, v3
	v_lshl_add_u32 v5, v7, 23, v5
	v_or3_b32 v1, v3, v5, v1
	v_trunc_f32_e32 v1, v1
	s_mov_b32 s16, 0x2f800000
	v_mul_f32_e64 v3, |v1|, s16
	v_floor_f32_e32 v3, v3
	s_mov_b32 s16, 0xcf800000
	v_fma_f32 v3, v3, s16, |v1|
	v_cvt_u32_f32_e32 v3, v3
	v_ashrrev_i32_e32 v1, 31, v1
	v_xor_b32_e32 v3, v3, v1
	v_sub_u32_e32 v7, v3, v1
.LBB143_1640:
	s_or_b64 exec, exec, s[4:5]
.LBB143_1641:
	s_mov_b64 s[16:17], -1
.LBB143_1642:
	s_branch .LBB143_1672
.LBB143_1643:
	s_cmp_gt_i32 s19, 22
	s_cbranch_scc0 .LBB143_1651
; %bb.1644:
	s_cmp_lt_i32 s19, 24
	s_cbranch_scc1 .LBB143_1654
; %bb.1645:
	s_cmp_gt_i32 s19, 24
	s_cbranch_scc0 .LBB143_1655
; %bb.1646:
	global_load_ubyte v1, v[19:20], off
	s_movk_i32 s4, 0x7f
	s_waitcnt vmcnt(0)
	v_cmp_lt_i16_e32 vcc, s4, v1
	s_and_saveexec_b64 s[4:5], vcc
	s_xor_b64 s[4:5], exec, s[4:5]
	s_cbranch_execz .LBB143_1666
; %bb.1647:
	s_movk_i32 s6, 0x80
	v_cmp_ne_u16_e32 vcc, s6, v1
	s_and_b64 s[6:7], vcc, exec
	s_andn2_saveexec_b64 s[4:5], s[4:5]
	s_cbranch_execnz .LBB143_1667
.LBB143_1648:
	s_or_b64 exec, exec, s[4:5]
	v_mov_b32_e32 v7, 0
	s_and_saveexec_b64 s[4:5], s[6:7]
	s_cbranch_execz .LBB143_1650
.LBB143_1649:
	v_lshlrev_b32_e32 v3, 24, v1
	v_and_b32_e32 v1, 0xffff, v1
	v_and_b32_e32 v5, 3, v1
	v_ffbh_u32_e32 v8, v5
	v_min_u32_e32 v8, 32, v8
	v_subrev_u32_e32 v10, 29, v8
	v_bfe_u32 v7, v1, 2, 5
	v_lshlrev_b32_e32 v1, v10, v1
	v_sub_u32_e32 v8, 30, v8
	v_and_b32_e32 v1, 3, v1
	v_cmp_eq_u32_e32 vcc, 0, v7
	v_cndmask_b32_e32 v7, v7, v8, vcc
	v_cndmask_b32_e32 v1, v5, v1, vcc
	v_mov_b32_e32 v5, 0x37800000
	v_lshlrev_b32_e32 v1, 21, v1
	v_and_b32_e32 v3, 0x80000000, v3
	v_lshl_add_u32 v5, v7, 23, v5
	v_or3_b32 v1, v3, v5, v1
	v_trunc_f32_e32 v1, v1
	s_mov_b32 s6, 0x2f800000
	v_mul_f32_e64 v3, |v1|, s6
	v_floor_f32_e32 v3, v3
	s_mov_b32 s6, 0xcf800000
	v_fma_f32 v3, v3, s6, |v1|
	v_cvt_u32_f32_e32 v3, v3
	v_ashrrev_i32_e32 v1, 31, v1
	v_xor_b32_e32 v3, v3, v1
	v_sub_u32_e32 v7, v3, v1
.LBB143_1650:
	s_or_b64 exec, exec, s[4:5]
	s_mov_b64 s[4:5], 0
	s_branch .LBB143_1656
.LBB143_1651:
                                        ; implicit-def: $vgpr7
	s_mov_b64 s[6:7], 0
	s_branch .LBB143_1662
.LBB143_1652:
	s_andn2_saveexec_b64 s[4:5], s[4:5]
	s_cbranch_execz .LBB143_1638
.LBB143_1653:
	v_cmp_ne_u16_e32 vcc, 0, v1
	s_andn2_b64 s[16:17], s[16:17], exec
	s_and_b64 s[22:23], vcc, exec
	s_or_b64 s[16:17], s[16:17], s[22:23]
	s_or_b64 exec, exec, s[4:5]
	v_mov_b32_e32 v7, 0
	s_and_saveexec_b64 s[4:5], s[16:17]
	s_cbranch_execnz .LBB143_1639
	s_branch .LBB143_1640
.LBB143_1654:
	s_mov_b64 s[4:5], -1
                                        ; implicit-def: $vgpr7
	s_branch .LBB143_1659
.LBB143_1655:
	s_mov_b64 s[4:5], -1
                                        ; implicit-def: $vgpr7
.LBB143_1656:
	s_and_b64 vcc, exec, s[4:5]
	s_cbranch_vccz .LBB143_1658
; %bb.1657:
	global_load_ubyte v1, v[19:20], off
	s_mov_b32 s4, 0x7f800000
	s_brev_b32 s5, 1
	s_mov_b32 s6, 0x2f800000
	s_waitcnt vmcnt(0)
	v_lshlrev_b32_e32 v1, 24, v1
	v_and_b32_e32 v3, 0x7f000000, v1
	v_ffbh_u32_e32 v5, v3
	v_min_u32_e32 v5, 32, v5
	v_sub_u32_e64 v5, v5, 4 clamp
	v_lshlrev_b32_e32 v8, v5, v3
	v_lshlrev_b32_e32 v5, 23, v5
	v_lshrrev_b32_e32 v8, 4, v8
	v_add_u32_e32 v7, 0x1000000, v3
	v_sub_u32_e32 v5, v8, v5
	v_ashrrev_i32_e32 v7, 8, v7
	v_add_u32_e32 v5, 0x3c000000, v5
	v_and_or_b32 v5, v7, s4, v5
	v_cmp_ne_u32_e32 vcc, 0, v3
	v_cndmask_b32_e32 v3, 0, v5, vcc
	v_and_or_b32 v1, v1, s5, v3
	v_trunc_f32_e32 v1, v1
	v_mul_f32_e64 v3, |v1|, s6
	v_floor_f32_e32 v3, v3
	s_mov_b32 s4, 0xcf800000
	v_fma_f32 v3, v3, s4, |v1|
	v_cvt_u32_f32_e32 v3, v3
	v_ashrrev_i32_e32 v1, 31, v1
	v_xor_b32_e32 v3, v3, v1
	v_sub_u32_e32 v7, v3, v1
.LBB143_1658:
	s_mov_b64 s[4:5], 0
.LBB143_1659:
	s_andn2_b64 vcc, exec, s[4:5]
	s_cbranch_vccnz .LBB143_1661
; %bb.1660:
	global_load_ubyte v1, v[19:20], off
	s_movk_i32 s4, 0x7f00
	s_brev_b32 s5, 16
	s_brev_b32 s6, 1
	s_mov_b32 s7, 0x2f800000
	s_waitcnt vmcnt(0)
	v_lshlrev_b16_e32 v3, 8, v1
	v_lshlrev_b32_e32 v1, 25, v1
	v_lshrrev_b32_e32 v5, 4, v1
	v_and_or_b32 v7, v3, s4, 0.5
	v_or_b32_e32 v5, 0x70000000, v5
	v_add_f32_e32 v7, -0.5, v7
	v_mul_f32_e32 v5, 0x7800000, v5
	v_cmp_gt_u32_e32 vcc, s5, v1
	v_bfe_i32 v3, v3, 0, 16
	v_cndmask_b32_e32 v1, v5, v7, vcc
	v_and_or_b32 v1, v3, s6, v1
	v_trunc_f32_e32 v1, v1
	v_mul_f32_e64 v3, |v1|, s7
	v_floor_f32_e32 v3, v3
	s_mov_b32 s4, 0xcf800000
	v_fma_f32 v3, v3, s4, |v1|
	v_cvt_u32_f32_e32 v3, v3
	v_ashrrev_i32_e32 v1, 31, v1
	v_xor_b32_e32 v3, v3, v1
	v_sub_u32_e32 v7, v3, v1
.LBB143_1661:
	s_mov_b64 s[16:17], -1
	s_mov_b64 s[6:7], 0
	s_cbranch_execnz .LBB143_1672
.LBB143_1662:
	s_cmp_gt_i32 s19, 14
	s_cbranch_scc0 .LBB143_1665
; %bb.1663:
	s_cmp_eq_u32 s19, 15
	s_cbranch_scc0 .LBB143_1668
; %bb.1664:
	global_load_ushort v1, v[19:20], off
	s_mov_b32 s0, 0x2f800000
	s_mov_b32 s1, 0xcf800000
	s_mov_b64 s[16:17], -1
	s_waitcnt vmcnt(0)
	v_lshlrev_b32_e32 v1, 16, v1
	v_trunc_f32_e32 v1, v1
	v_mul_f32_e64 v3, |v1|, s0
	v_floor_f32_e32 v3, v3
	v_fma_f32 v3, v3, s1, |v1|
	v_cvt_u32_f32_e32 v3, v3
	v_ashrrev_i32_e32 v1, 31, v1
	s_mov_b64 s[0:1], 0
	v_xor_b32_e32 v3, v3, v1
	v_sub_u32_e32 v7, v3, v1
	s_branch .LBB143_1669
.LBB143_1665:
	s_mov_b64 s[4:5], -1
                                        ; implicit-def: $vgpr7
	s_branch .LBB143_1670
.LBB143_1666:
	s_andn2_saveexec_b64 s[4:5], s[4:5]
	s_cbranch_execz .LBB143_1648
.LBB143_1667:
	v_cmp_ne_u16_e32 vcc, 0, v1
	s_andn2_b64 s[6:7], s[6:7], exec
	s_and_b64 s[16:17], vcc, exec
	s_or_b64 s[6:7], s[6:7], s[16:17]
	s_or_b64 exec, exec, s[4:5]
	v_mov_b32_e32 v7, 0
	s_and_saveexec_b64 s[4:5], s[6:7]
	s_cbranch_execnz .LBB143_1649
	s_branch .LBB143_1650
.LBB143_1668:
	s_mov_b64 s[0:1], -1
                                        ; implicit-def: $vgpr7
.LBB143_1669:
	s_mov_b64 s[4:5], 0
.LBB143_1670:
	s_and_b64 vcc, exec, s[4:5]
	s_cbranch_vccz .LBB143_1672
; %bb.1671:
	s_cmp_lg_u32 s19, 11
	s_mov_b64 s[6:7], -1
	s_cselect_b64 s[0:1], -1, 0
.LBB143_1672:
	s_and_b64 vcc, exec, s[0:1]
	s_mov_b64 s[4:5], s[12:13]
	s_cbranch_vccnz .LBB143_1733
; %bb.1673:
	s_andn2_b64 vcc, exec, s[6:7]
	s_cbranch_vccnz .LBB143_1675
.LBB143_1674:
	global_load_ubyte v1, v[19:20], off
	s_mov_b64 s[16:17], -1
	s_waitcnt vmcnt(0)
	v_cmp_ne_u16_e32 vcc, 0, v1
	v_cndmask_b32_e64 v7, 0, 1, vcc
.LBB143_1675:
	s_branch .LBB143_1610
.LBB143_1676:
	s_and_b32 s6, 0xffff, s18
	s_cmp_lt_i32 s6, 5
	s_cbranch_scc1 .LBB143_1681
; %bb.1677:
	s_cmp_lt_i32 s6, 8
	s_cbranch_scc1 .LBB143_1682
; %bb.1678:
	;; [unrolled: 3-line block ×3, first 2 shown]
	s_cmp_gt_i32 s6, 9
	s_cbranch_scc0 .LBB143_1684
; %bb.1680:
	global_load_dwordx2 v[7:8], v[19:20], off
	s_movk_i32 s0, 0xffe0
	s_waitcnt vmcnt(0)
	v_trunc_f64_e32 v[7:8], v[7:8]
	v_ldexp_f64 v[21:22], v[7:8], s0
	s_mov_b32 s0, 0
	s_mov_b32 s1, 0xc1f00000
	v_floor_f64_e32 v[21:22], v[21:22]
	v_fma_f64 v[7:8], v[21:22], s[0:1], v[7:8]
	s_mov_b64 s[0:1], 0
	v_cvt_u32_f64_e32 v7, v[7:8]
	s_branch .LBB143_1685
.LBB143_1681:
                                        ; implicit-def: $vgpr7
	s_branch .LBB143_1702
.LBB143_1682:
                                        ; implicit-def: $vgpr7
	s_branch .LBB143_1691
.LBB143_1683:
	s_mov_b64 s[0:1], -1
                                        ; implicit-def: $vgpr7
	s_branch .LBB143_1688
.LBB143_1684:
	s_mov_b64 s[0:1], -1
                                        ; implicit-def: $vgpr7
.LBB143_1685:
	s_andn2_b64 vcc, exec, s[0:1]
	s_cbranch_vccnz .LBB143_1687
; %bb.1686:
	global_load_dword v1, v[19:20], off
	s_mov_b32 s0, 0x2f800000
	s_waitcnt vmcnt(0)
	v_trunc_f32_e32 v1, v1
	v_mul_f32_e64 v3, |v1|, s0
	v_floor_f32_e32 v3, v3
	s_mov_b32 s0, 0xcf800000
	v_fma_f32 v3, v3, s0, |v1|
	v_cvt_u32_f32_e32 v3, v3
	v_ashrrev_i32_e32 v1, 31, v1
	v_xor_b32_e32 v3, v3, v1
	v_sub_u32_e32 v7, v3, v1
.LBB143_1687:
	s_mov_b64 s[0:1], 0
.LBB143_1688:
	s_andn2_b64 vcc, exec, s[0:1]
	s_cbranch_vccnz .LBB143_1690
; %bb.1689:
	global_load_dword v1, v[19:20], off
	s_waitcnt vmcnt(0)
	v_cvt_f32_f16_e32 v1, v1
	v_cvt_i32_f32_e32 v7, v1
.LBB143_1690:
	s_cbranch_execnz .LBB143_1701
.LBB143_1691:
	s_cmp_lt_i32 s6, 6
	s_cbranch_scc1 .LBB143_1694
; %bb.1692:
	s_cmp_gt_i32 s6, 6
	s_cbranch_scc0 .LBB143_1695
; %bb.1693:
	global_load_dwordx2 v[7:8], v[19:20], off
	s_movk_i32 s0, 0xffe0
	s_waitcnt vmcnt(0)
	v_trunc_f64_e32 v[7:8], v[7:8]
	v_ldexp_f64 v[21:22], v[7:8], s0
	s_mov_b32 s0, 0
	s_mov_b32 s1, 0xc1f00000
	v_floor_f64_e32 v[21:22], v[21:22]
	v_fma_f64 v[7:8], v[21:22], s[0:1], v[7:8]
	s_mov_b64 s[0:1], 0
	v_cvt_u32_f64_e32 v7, v[7:8]
	s_branch .LBB143_1696
.LBB143_1694:
	s_mov_b64 s[0:1], -1
                                        ; implicit-def: $vgpr7
	s_branch .LBB143_1699
.LBB143_1695:
	s_mov_b64 s[0:1], -1
                                        ; implicit-def: $vgpr7
.LBB143_1696:
	s_andn2_b64 vcc, exec, s[0:1]
	s_cbranch_vccnz .LBB143_1698
; %bb.1697:
	global_load_dword v1, v[19:20], off
	s_mov_b32 s0, 0x2f800000
	s_waitcnt vmcnt(0)
	v_trunc_f32_e32 v1, v1
	v_mul_f32_e64 v3, |v1|, s0
	v_floor_f32_e32 v3, v3
	s_mov_b32 s0, 0xcf800000
	v_fma_f32 v3, v3, s0, |v1|
	v_cvt_u32_f32_e32 v3, v3
	v_ashrrev_i32_e32 v1, 31, v1
	v_xor_b32_e32 v3, v3, v1
	v_sub_u32_e32 v7, v3, v1
.LBB143_1698:
	s_mov_b64 s[0:1], 0
.LBB143_1699:
	s_andn2_b64 vcc, exec, s[0:1]
	s_cbranch_vccnz .LBB143_1701
; %bb.1700:
	global_load_ushort v1, v[19:20], off
	s_waitcnt vmcnt(0)
	v_cvt_f32_f16_e32 v1, v1
	v_cvt_i32_f32_e32 v7, v1
.LBB143_1701:
	s_cbranch_execnz .LBB143_1720
.LBB143_1702:
	s_cmp_lt_i32 s6, 2
	s_cbranch_scc1 .LBB143_1706
; %bb.1703:
	s_cmp_lt_i32 s6, 3
	s_cbranch_scc1 .LBB143_1707
; %bb.1704:
	s_cmp_gt_i32 s6, 3
	s_cbranch_scc0 .LBB143_1708
; %bb.1705:
	global_load_dwordx2 v[7:8], v[19:20], off
	s_mov_b64 s[0:1], 0
	s_branch .LBB143_1709
.LBB143_1706:
                                        ; implicit-def: $vgpr7
	s_branch .LBB143_1715
.LBB143_1707:
	s_mov_b64 s[0:1], -1
                                        ; implicit-def: $vgpr7
	s_branch .LBB143_1712
.LBB143_1708:
	s_mov_b64 s[0:1], -1
                                        ; implicit-def: $vgpr7
.LBB143_1709:
	s_andn2_b64 vcc, exec, s[0:1]
	s_cbranch_vccnz .LBB143_1711
; %bb.1710:
	global_load_dword v7, v[19:20], off
.LBB143_1711:
	s_mov_b64 s[0:1], 0
.LBB143_1712:
	s_andn2_b64 vcc, exec, s[0:1]
	s_cbranch_vccnz .LBB143_1714
; %bb.1713:
	global_load_ushort v7, v[19:20], off
.LBB143_1714:
	s_cbranch_execnz .LBB143_1720
.LBB143_1715:
	s_cmp_gt_i32 s6, 0
	s_cbranch_scc0 .LBB143_1717
; %bb.1716:
	global_load_ubyte v7, v[19:20], off
	s_mov_b64 s[0:1], 0
	s_branch .LBB143_1718
.LBB143_1717:
	s_mov_b64 s[0:1], -1
                                        ; implicit-def: $vgpr7
.LBB143_1718:
	s_andn2_b64 vcc, exec, s[0:1]
	s_cbranch_vccnz .LBB143_1720
; %bb.1719:
	global_load_ubyte v7, v[19:20], off
.LBB143_1720:
.LBB143_1721:
	s_load_dwordx2 s[0:1], s[2:3], 0x198
	s_lshr_b32 s21, s20, 24
	s_cmp_lt_i32 s21, 11
	s_waitcnt lgkmcnt(0)
	v_mov_b32_e32 v1, s1
	v_add_co_u32_e32 v19, vcc, s0, v11
	v_addc_co_u32_e32 v20, vcc, 0, v1, vcc
	s_cbranch_scc1 .LBB143_1728
; %bb.1722:
	s_and_b32 s22, 0xffff, s21
	s_cmp_gt_i32 s22, 25
	s_mov_b64 s[6:7], 0
	s_cbranch_scc0 .LBB143_1730
; %bb.1723:
	s_cmp_gt_i32 s22, 28
	s_cbranch_scc0 .LBB143_1731
; %bb.1724:
	s_cmp_gt_i32 s22, 43
	;; [unrolled: 3-line block ×3, first 2 shown]
	s_cbranch_scc0 .LBB143_1734
; %bb.1726:
	s_cmp_eq_u32 s22, 46
	s_mov_b64 s[18:19], 0
	s_cbranch_scc0 .LBB143_1737
; %bb.1727:
	global_load_dword v1, v[19:20], off
	s_mov_b32 s2, 0x2f800000
	s_mov_b32 s3, 0xcf800000
	s_mov_b64 s[16:17], -1
	s_waitcnt vmcnt(0)
	v_lshlrev_b32_e32 v1, 16, v1
	v_trunc_f32_e32 v1, v1
	v_mul_f32_e64 v3, |v1|, s2
	v_floor_f32_e32 v3, v3
	v_fma_f32 v3, v3, s3, |v1|
	v_cvt_u32_f32_e32 v3, v3
	v_ashrrev_i32_e32 v1, 31, v1
	s_mov_b64 s[2:3], 0
	v_xor_b32_e32 v3, v3, v1
	v_sub_u32_e32 v10, v3, v1
	s_branch .LBB143_1738
.LBB143_1728:
	s_mov_b64 s[16:17], 0
                                        ; implicit-def: $vgpr10
	s_cbranch_execnz .LBB143_1799
.LBB143_1729:
	s_andn2_b64 vcc, exec, s[16:17]
	s_cbranch_vccnz .LBB143_3036
	s_branch .LBB143_1846
.LBB143_1730:
	s_mov_b64 s[16:17], 0
	s_mov_b64 s[2:3], 0
                                        ; implicit-def: $vgpr10
	s_cbranch_execnz .LBB143_1765
	s_branch .LBB143_1795
.LBB143_1731:
	s_mov_b64 s[18:19], -1
	s_mov_b64 s[16:17], 0
	s_mov_b64 s[2:3], 0
                                        ; implicit-def: $vgpr10
	s_branch .LBB143_1748
.LBB143_1732:
	s_mov_b64 s[18:19], -1
	s_mov_b64 s[16:17], 0
	s_mov_b64 s[2:3], 0
                                        ; implicit-def: $vgpr10
	s_branch .LBB143_1743
.LBB143_1733:
	s_or_b64 s[4:5], s[12:13], exec
	s_trap 2
	s_cbranch_execz .LBB143_1674
	s_branch .LBB143_1675
.LBB143_1734:
	s_mov_b64 s[18:19], -1
	s_mov_b64 s[16:17], 0
	s_mov_b64 s[2:3], 0
                                        ; implicit-def: $vgpr10
	s_branch .LBB143_1738
.LBB143_1735:
	s_andn2_saveexec_b64 s[18:19], s[18:19]
	s_cbranch_execz .LBB143_1478
.LBB143_1736:
	v_add_f32_e32 v0, 0x42800000, v1
	v_and_b32_e32 v0, 0xff, v0
	v_cmp_ne_u32_e32 vcc, 0, v0
	s_andn2_b64 s[16:17], s[16:17], exec
	s_and_b64 s[26:27], vcc, exec
	s_or_b64 s[16:17], s[16:17], s[26:27]
	s_or_b64 exec, exec, s[18:19]
	v_mov_b32_e32 v5, 0
	s_and_saveexec_b64 s[18:19], s[16:17]
	s_cbranch_execnz .LBB143_1479
	s_branch .LBB143_1480
.LBB143_1737:
	s_mov_b64 s[2:3], -1
                                        ; implicit-def: $vgpr10
	s_mov_b64 s[16:17], 0
.LBB143_1738:
	s_and_b64 vcc, exec, s[18:19]
	s_cbranch_vccz .LBB143_1742
; %bb.1739:
	s_cmp_eq_u32 s22, 44
	s_cbranch_scc0 .LBB143_1741
; %bb.1740:
	global_load_ubyte v1, v[19:20], off
	s_mov_b32 s2, 0x2f800000
	s_mov_b32 s3, 0xcf800000
	s_mov_b64 s[16:17], -1
	s_waitcnt vmcnt(0)
	v_lshlrev_b32_e32 v3, 23, v1
	v_trunc_f32_e32 v3, v3
	v_mul_f32_e64 v5, |v3|, s2
	v_floor_f32_e32 v5, v5
	v_fma_f32 v5, v5, s3, |v3|
	v_cvt_u32_f32_e32 v5, v5
	v_ashrrev_i32_e32 v3, 31, v3
	v_cmp_ne_u32_e32 vcc, 0, v1
	s_mov_b64 s[2:3], 0
	v_xor_b32_e32 v5, v5, v3
	v_sub_u32_e32 v3, v5, v3
	v_cndmask_b32_e32 v10, 0, v3, vcc
	s_branch .LBB143_1742
.LBB143_1741:
	s_mov_b64 s[2:3], -1
                                        ; implicit-def: $vgpr10
.LBB143_1742:
	s_mov_b64 s[18:19], 0
.LBB143_1743:
	s_and_b64 vcc, exec, s[18:19]
	s_cbranch_vccz .LBB143_1747
; %bb.1744:
	s_cmp_eq_u32 s22, 29
	s_cbranch_scc0 .LBB143_1746
; %bb.1745:
	global_load_dwordx2 v[10:11], v[19:20], off
	s_mov_b64 s[2:3], 0
	s_mov_b64 s[16:17], -1
	s_branch .LBB143_1747
.LBB143_1746:
	s_mov_b64 s[2:3], -1
                                        ; implicit-def: $vgpr10
.LBB143_1747:
	s_mov_b64 s[18:19], 0
.LBB143_1748:
	s_and_b64 vcc, exec, s[18:19]
	s_cbranch_vccz .LBB143_1764
; %bb.1749:
	s_cmp_lt_i32 s22, 27
	s_cbranch_scc1 .LBB143_1752
; %bb.1750:
	s_cmp_gt_i32 s22, 27
	s_cbranch_scc0 .LBB143_1753
; %bb.1751:
	global_load_dword v10, v[19:20], off
	s_mov_b64 s[16:17], 0
	s_branch .LBB143_1754
.LBB143_1752:
	s_mov_b64 s[16:17], -1
                                        ; implicit-def: $vgpr10
	s_branch .LBB143_1757
.LBB143_1753:
	s_mov_b64 s[16:17], -1
                                        ; implicit-def: $vgpr10
.LBB143_1754:
	s_andn2_b64 vcc, exec, s[16:17]
	s_cbranch_vccnz .LBB143_1756
; %bb.1755:
	global_load_ushort v10, v[19:20], off
.LBB143_1756:
	s_mov_b64 s[16:17], 0
.LBB143_1757:
	s_andn2_b64 vcc, exec, s[16:17]
	s_cbranch_vccnz .LBB143_1763
; %bb.1758:
	global_load_ubyte v1, v[19:20], off
	s_movk_i32 s16, 0x7f
	s_mov_b64 s[18:19], 0
	s_waitcnt vmcnt(0)
	v_cmp_lt_i16_e32 vcc, s16, v1
	s_and_saveexec_b64 s[16:17], vcc
	s_xor_b64 s[16:17], exec, s[16:17]
	s_cbranch_execz .LBB143_1774
; %bb.1759:
	s_movk_i32 s18, 0x80
	v_cmp_ne_u16_e32 vcc, s18, v1
	s_and_b64 s[18:19], vcc, exec
	s_andn2_saveexec_b64 s[16:17], s[16:17]
	s_cbranch_execnz .LBB143_1775
.LBB143_1760:
	s_or_b64 exec, exec, s[16:17]
	v_mov_b32_e32 v10, 0
	s_and_saveexec_b64 s[16:17], s[18:19]
	s_cbranch_execz .LBB143_1762
.LBB143_1761:
	v_lshlrev_b32_e32 v3, 24, v1
	v_and_b32_e32 v1, 0xffff, v1
	v_and_b32_e32 v5, 7, v1
	v_ffbh_u32_e32 v10, v5
	v_min_u32_e32 v10, 32, v10
	v_subrev_u32_e32 v11, 28, v10
	v_bfe_u32 v8, v1, 3, 4
	v_lshlrev_b32_e32 v1, v11, v1
	v_sub_u32_e32 v10, 29, v10
	v_and_b32_e32 v1, 7, v1
	v_cmp_eq_u32_e32 vcc, 0, v8
	v_cndmask_b32_e32 v8, v8, v10, vcc
	v_cndmask_b32_e32 v1, v5, v1, vcc
	v_mov_b32_e32 v5, 0x3b800000
	v_lshlrev_b32_e32 v1, 20, v1
	v_and_b32_e32 v3, 0x80000000, v3
	v_lshl_add_u32 v5, v8, 23, v5
	v_or3_b32 v1, v3, v5, v1
	v_trunc_f32_e32 v1, v1
	s_mov_b32 s18, 0x2f800000
	v_mul_f32_e64 v3, |v1|, s18
	v_floor_f32_e32 v3, v3
	s_mov_b32 s18, 0xcf800000
	v_fma_f32 v3, v3, s18, |v1|
	v_cvt_u32_f32_e32 v3, v3
	v_ashrrev_i32_e32 v1, 31, v1
	v_xor_b32_e32 v3, v3, v1
	v_sub_u32_e32 v10, v3, v1
.LBB143_1762:
	s_or_b64 exec, exec, s[16:17]
.LBB143_1763:
	s_mov_b64 s[16:17], -1
.LBB143_1764:
	s_branch .LBB143_1795
.LBB143_1765:
	s_cmp_gt_i32 s22, 22
	s_cbranch_scc0 .LBB143_1773
; %bb.1766:
	s_cmp_lt_i32 s22, 24
	s_cbranch_scc1 .LBB143_1776
; %bb.1767:
	s_cmp_gt_i32 s22, 24
	s_cbranch_scc0 .LBB143_1777
; %bb.1768:
	global_load_ubyte v1, v[19:20], off
	s_movk_i32 s6, 0x7f
	s_mov_b64 s[16:17], 0
	s_waitcnt vmcnt(0)
	v_cmp_lt_i16_e32 vcc, s6, v1
	s_and_saveexec_b64 s[6:7], vcc
	s_xor_b64 s[6:7], exec, s[6:7]
	s_cbranch_execz .LBB143_1789
; %bb.1769:
	s_movk_i32 s16, 0x80
	v_cmp_ne_u16_e32 vcc, s16, v1
	s_and_b64 s[16:17], vcc, exec
	s_andn2_saveexec_b64 s[6:7], s[6:7]
	s_cbranch_execnz .LBB143_1790
.LBB143_1770:
	s_or_b64 exec, exec, s[6:7]
	v_mov_b32_e32 v10, 0
	s_and_saveexec_b64 s[6:7], s[16:17]
	s_cbranch_execz .LBB143_1772
.LBB143_1771:
	v_lshlrev_b32_e32 v3, 24, v1
	v_and_b32_e32 v1, 0xffff, v1
	v_and_b32_e32 v5, 3, v1
	v_ffbh_u32_e32 v10, v5
	v_min_u32_e32 v10, 32, v10
	v_subrev_u32_e32 v11, 29, v10
	v_bfe_u32 v8, v1, 2, 5
	v_lshlrev_b32_e32 v1, v11, v1
	v_sub_u32_e32 v10, 30, v10
	v_and_b32_e32 v1, 3, v1
	v_cmp_eq_u32_e32 vcc, 0, v8
	v_cndmask_b32_e32 v8, v8, v10, vcc
	v_cndmask_b32_e32 v1, v5, v1, vcc
	v_mov_b32_e32 v5, 0x37800000
	v_lshlrev_b32_e32 v1, 21, v1
	v_and_b32_e32 v3, 0x80000000, v3
	v_lshl_add_u32 v5, v8, 23, v5
	v_or3_b32 v1, v3, v5, v1
	v_trunc_f32_e32 v1, v1
	s_mov_b32 s16, 0x2f800000
	v_mul_f32_e64 v3, |v1|, s16
	v_floor_f32_e32 v3, v3
	s_mov_b32 s16, 0xcf800000
	v_fma_f32 v3, v3, s16, |v1|
	v_cvt_u32_f32_e32 v3, v3
	v_ashrrev_i32_e32 v1, 31, v1
	v_xor_b32_e32 v3, v3, v1
	v_sub_u32_e32 v10, v3, v1
.LBB143_1772:
	s_or_b64 exec, exec, s[6:7]
	s_mov_b64 s[6:7], 0
	s_branch .LBB143_1778
.LBB143_1773:
	s_mov_b64 s[6:7], -1
                                        ; implicit-def: $vgpr10
	s_branch .LBB143_1784
.LBB143_1774:
	s_andn2_saveexec_b64 s[16:17], s[16:17]
	s_cbranch_execz .LBB143_1760
.LBB143_1775:
	v_cmp_ne_u16_e32 vcc, 0, v1
	s_andn2_b64 s[18:19], s[18:19], exec
	s_and_b64 s[24:25], vcc, exec
	s_or_b64 s[18:19], s[18:19], s[24:25]
	s_or_b64 exec, exec, s[16:17]
	v_mov_b32_e32 v10, 0
	s_and_saveexec_b64 s[16:17], s[18:19]
	s_cbranch_execnz .LBB143_1761
	s_branch .LBB143_1762
.LBB143_1776:
	s_mov_b64 s[6:7], -1
                                        ; implicit-def: $vgpr10
	s_branch .LBB143_1781
.LBB143_1777:
	s_mov_b64 s[6:7], -1
                                        ; implicit-def: $vgpr10
.LBB143_1778:
	s_and_b64 vcc, exec, s[6:7]
	s_cbranch_vccz .LBB143_1780
; %bb.1779:
	global_load_ubyte v1, v[19:20], off
	s_mov_b32 s6, 0x7f800000
	s_brev_b32 s7, 1
	s_mov_b32 s16, 0x2f800000
	s_waitcnt vmcnt(0)
	v_lshlrev_b32_e32 v1, 24, v1
	v_and_b32_e32 v3, 0x7f000000, v1
	v_ffbh_u32_e32 v5, v3
	v_min_u32_e32 v5, 32, v5
	v_sub_u32_e64 v5, v5, 4 clamp
	v_lshlrev_b32_e32 v10, v5, v3
	v_lshlrev_b32_e32 v5, 23, v5
	v_lshrrev_b32_e32 v10, 4, v10
	v_add_u32_e32 v8, 0x1000000, v3
	v_sub_u32_e32 v5, v10, v5
	v_ashrrev_i32_e32 v8, 8, v8
	v_add_u32_e32 v5, 0x3c000000, v5
	v_and_or_b32 v5, v8, s6, v5
	v_cmp_ne_u32_e32 vcc, 0, v3
	v_cndmask_b32_e32 v3, 0, v5, vcc
	v_and_or_b32 v1, v1, s7, v3
	v_trunc_f32_e32 v1, v1
	v_mul_f32_e64 v3, |v1|, s16
	v_floor_f32_e32 v3, v3
	s_mov_b32 s6, 0xcf800000
	v_fma_f32 v3, v3, s6, |v1|
	v_cvt_u32_f32_e32 v3, v3
	v_ashrrev_i32_e32 v1, 31, v1
	v_xor_b32_e32 v3, v3, v1
	v_sub_u32_e32 v10, v3, v1
.LBB143_1780:
	s_mov_b64 s[6:7], 0
.LBB143_1781:
	s_andn2_b64 vcc, exec, s[6:7]
	s_cbranch_vccnz .LBB143_1783
; %bb.1782:
	global_load_ubyte v1, v[19:20], off
	s_movk_i32 s6, 0x7f00
	s_brev_b32 s7, 16
	s_brev_b32 s16, 1
	s_mov_b32 s17, 0x2f800000
	s_waitcnt vmcnt(0)
	v_lshlrev_b16_e32 v3, 8, v1
	v_lshlrev_b32_e32 v1, 25, v1
	v_lshrrev_b32_e32 v5, 4, v1
	v_and_or_b32 v8, v3, s6, 0.5
	v_or_b32_e32 v5, 0x70000000, v5
	v_add_f32_e32 v8, -0.5, v8
	v_mul_f32_e32 v5, 0x7800000, v5
	v_cmp_gt_u32_e32 vcc, s7, v1
	v_bfe_i32 v3, v3, 0, 16
	v_cndmask_b32_e32 v1, v5, v8, vcc
	v_and_or_b32 v1, v3, s16, v1
	v_trunc_f32_e32 v1, v1
	v_mul_f32_e64 v3, |v1|, s17
	v_floor_f32_e32 v3, v3
	s_mov_b32 s6, 0xcf800000
	v_fma_f32 v3, v3, s6, |v1|
	v_cvt_u32_f32_e32 v3, v3
	v_ashrrev_i32_e32 v1, 31, v1
	v_xor_b32_e32 v3, v3, v1
	v_sub_u32_e32 v10, v3, v1
.LBB143_1783:
	s_mov_b64 s[6:7], 0
	s_mov_b64 s[16:17], -1
.LBB143_1784:
	s_andn2_b64 vcc, exec, s[6:7]
	s_mov_b64 s[6:7], 0
	s_cbranch_vccnz .LBB143_1795
; %bb.1785:
	s_cmp_gt_i32 s22, 14
	s_cbranch_scc0 .LBB143_1788
; %bb.1786:
	s_cmp_eq_u32 s22, 15
	s_cbranch_scc0 .LBB143_1791
; %bb.1787:
	global_load_ushort v1, v[19:20], off
	s_mov_b32 s2, 0x2f800000
	s_mov_b32 s3, 0xcf800000
	s_mov_b64 s[16:17], -1
	s_waitcnt vmcnt(0)
	v_lshlrev_b32_e32 v1, 16, v1
	v_trunc_f32_e32 v1, v1
	v_mul_f32_e64 v3, |v1|, s2
	v_floor_f32_e32 v3, v3
	v_fma_f32 v3, v3, s3, |v1|
	v_cvt_u32_f32_e32 v3, v3
	v_ashrrev_i32_e32 v1, 31, v1
	s_mov_b64 s[2:3], 0
	v_xor_b32_e32 v3, v3, v1
	v_sub_u32_e32 v10, v3, v1
	s_branch .LBB143_1792
.LBB143_1788:
	s_mov_b64 s[18:19], -1
                                        ; implicit-def: $vgpr10
	s_branch .LBB143_1793
.LBB143_1789:
	s_andn2_saveexec_b64 s[6:7], s[6:7]
	s_cbranch_execz .LBB143_1770
.LBB143_1790:
	v_cmp_ne_u16_e32 vcc, 0, v1
	s_andn2_b64 s[16:17], s[16:17], exec
	s_and_b64 s[18:19], vcc, exec
	s_or_b64 s[16:17], s[16:17], s[18:19]
	s_or_b64 exec, exec, s[6:7]
	v_mov_b32_e32 v10, 0
	s_and_saveexec_b64 s[6:7], s[16:17]
	s_cbranch_execnz .LBB143_1771
	s_branch .LBB143_1772
.LBB143_1791:
	s_mov_b64 s[2:3], -1
                                        ; implicit-def: $vgpr10
.LBB143_1792:
	s_mov_b64 s[18:19], 0
.LBB143_1793:
	s_and_b64 vcc, exec, s[18:19]
	s_cbranch_vccz .LBB143_1795
; %bb.1794:
	s_cmp_lg_u32 s22, 11
	s_mov_b64 s[6:7], -1
	s_cselect_b64 s[2:3], -1, 0
.LBB143_1795:
	s_and_b64 vcc, exec, s[2:3]
	s_cbranch_vccnz .LBB143_1858
; %bb.1796:
	s_andn2_b64 vcc, exec, s[6:7]
	s_cbranch_vccnz .LBB143_1798
.LBB143_1797:
	global_load_ubyte v1, v[19:20], off
	s_mov_b64 s[16:17], -1
	s_waitcnt vmcnt(0)
	v_cmp_ne_u16_e32 vcc, 0, v1
	v_cndmask_b32_e64 v10, 0, 1, vcc
.LBB143_1798:
	s_branch .LBB143_1729
.LBB143_1799:
	s_and_b32 s6, 0xffff, s21
	s_cmp_lt_i32 s6, 5
	s_cbranch_scc1 .LBB143_1804
; %bb.1800:
	s_cmp_lt_i32 s6, 8
	s_cbranch_scc1 .LBB143_1805
; %bb.1801:
	;; [unrolled: 3-line block ×3, first 2 shown]
	s_cmp_gt_i32 s6, 9
	s_cbranch_scc0 .LBB143_1807
; %bb.1803:
	global_load_dwordx2 v[10:11], v[19:20], off
	s_movk_i32 s2, 0xffe0
	s_waitcnt vmcnt(0)
	v_trunc_f64_e32 v[10:11], v[10:11]
	v_ldexp_f64 v[21:22], v[10:11], s2
	s_mov_b32 s2, 0
	s_mov_b32 s3, 0xc1f00000
	v_floor_f64_e32 v[21:22], v[21:22]
	v_fma_f64 v[10:11], v[21:22], s[2:3], v[10:11]
	s_mov_b64 s[2:3], 0
	v_cvt_u32_f64_e32 v10, v[10:11]
	s_branch .LBB143_1808
.LBB143_1804:
                                        ; implicit-def: $vgpr10
	s_branch .LBB143_1826
.LBB143_1805:
	s_mov_b64 s[2:3], -1
                                        ; implicit-def: $vgpr10
	s_branch .LBB143_1814
.LBB143_1806:
	s_mov_b64 s[2:3], -1
                                        ; implicit-def: $vgpr10
	s_branch .LBB143_1811
.LBB143_1807:
	s_mov_b64 s[2:3], -1
                                        ; implicit-def: $vgpr10
.LBB143_1808:
	s_andn2_b64 vcc, exec, s[2:3]
	s_cbranch_vccnz .LBB143_1810
; %bb.1809:
	global_load_dword v1, v[19:20], off
	s_mov_b32 s2, 0x2f800000
	s_waitcnt vmcnt(0)
	v_trunc_f32_e32 v1, v1
	v_mul_f32_e64 v3, |v1|, s2
	v_floor_f32_e32 v3, v3
	s_mov_b32 s2, 0xcf800000
	v_fma_f32 v3, v3, s2, |v1|
	v_cvt_u32_f32_e32 v3, v3
	v_ashrrev_i32_e32 v1, 31, v1
	v_xor_b32_e32 v3, v3, v1
	v_sub_u32_e32 v10, v3, v1
.LBB143_1810:
	s_mov_b64 s[2:3], 0
.LBB143_1811:
	s_andn2_b64 vcc, exec, s[2:3]
	s_cbranch_vccnz .LBB143_1813
; %bb.1812:
	global_load_dword v1, v[19:20], off
	s_waitcnt vmcnt(0)
	v_cvt_f32_f16_e32 v1, v1
	v_cvt_i32_f32_e32 v10, v1
.LBB143_1813:
	s_mov_b64 s[2:3], 0
.LBB143_1814:
	s_andn2_b64 vcc, exec, s[2:3]
	s_cbranch_vccnz .LBB143_1825
; %bb.1815:
	s_cmp_lt_i32 s6, 6
	s_cbranch_scc1 .LBB143_1818
; %bb.1816:
	s_cmp_gt_i32 s6, 6
	s_cbranch_scc0 .LBB143_1819
; %bb.1817:
	global_load_dwordx2 v[10:11], v[19:20], off
	s_movk_i32 s2, 0xffe0
	s_waitcnt vmcnt(0)
	v_trunc_f64_e32 v[10:11], v[10:11]
	v_ldexp_f64 v[21:22], v[10:11], s2
	s_mov_b32 s2, 0
	s_mov_b32 s3, 0xc1f00000
	v_floor_f64_e32 v[21:22], v[21:22]
	v_fma_f64 v[10:11], v[21:22], s[2:3], v[10:11]
	s_mov_b64 s[2:3], 0
	v_cvt_u32_f64_e32 v10, v[10:11]
	s_branch .LBB143_1820
.LBB143_1818:
	s_mov_b64 s[2:3], -1
                                        ; implicit-def: $vgpr10
	s_branch .LBB143_1823
.LBB143_1819:
	s_mov_b64 s[2:3], -1
                                        ; implicit-def: $vgpr10
.LBB143_1820:
	s_andn2_b64 vcc, exec, s[2:3]
	s_cbranch_vccnz .LBB143_1822
; %bb.1821:
	global_load_dword v1, v[19:20], off
	s_mov_b32 s2, 0x2f800000
	s_waitcnt vmcnt(0)
	v_trunc_f32_e32 v1, v1
	v_mul_f32_e64 v3, |v1|, s2
	v_floor_f32_e32 v3, v3
	s_mov_b32 s2, 0xcf800000
	v_fma_f32 v3, v3, s2, |v1|
	v_cvt_u32_f32_e32 v3, v3
	v_ashrrev_i32_e32 v1, 31, v1
	v_xor_b32_e32 v3, v3, v1
	v_sub_u32_e32 v10, v3, v1
.LBB143_1822:
	s_mov_b64 s[2:3], 0
.LBB143_1823:
	s_andn2_b64 vcc, exec, s[2:3]
	s_cbranch_vccnz .LBB143_1825
; %bb.1824:
	global_load_ushort v1, v[19:20], off
	s_waitcnt vmcnt(0)
	v_cvt_f32_f16_e32 v1, v1
	v_cvt_i32_f32_e32 v10, v1
.LBB143_1825:
	s_cbranch_execnz .LBB143_1845
.LBB143_1826:
	s_cmp_lt_i32 s6, 2
	s_cbranch_scc1 .LBB143_1830
; %bb.1827:
	s_cmp_lt_i32 s6, 3
	s_cbranch_scc1 .LBB143_1831
; %bb.1828:
	s_cmp_gt_i32 s6, 3
	s_cbranch_scc0 .LBB143_1832
; %bb.1829:
	global_load_dwordx2 v[10:11], v[19:20], off
	s_mov_b64 s[2:3], 0
	s_branch .LBB143_1833
.LBB143_1830:
	s_mov_b64 s[2:3], -1
                                        ; implicit-def: $vgpr10
	s_branch .LBB143_1839
.LBB143_1831:
	s_mov_b64 s[2:3], -1
                                        ; implicit-def: $vgpr10
	s_branch .LBB143_1836
.LBB143_1832:
	s_mov_b64 s[2:3], -1
                                        ; implicit-def: $vgpr10
.LBB143_1833:
	s_andn2_b64 vcc, exec, s[2:3]
	s_cbranch_vccnz .LBB143_1835
; %bb.1834:
	global_load_dword v10, v[19:20], off
.LBB143_1835:
	s_mov_b64 s[2:3], 0
.LBB143_1836:
	s_andn2_b64 vcc, exec, s[2:3]
	s_cbranch_vccnz .LBB143_1838
; %bb.1837:
	global_load_ushort v10, v[19:20], off
.LBB143_1838:
	s_mov_b64 s[2:3], 0
.LBB143_1839:
	s_andn2_b64 vcc, exec, s[2:3]
	s_cbranch_vccnz .LBB143_1845
; %bb.1840:
	s_cmp_gt_i32 s6, 0
	s_cbranch_scc0 .LBB143_1842
; %bb.1841:
	global_load_ubyte v10, v[19:20], off
	s_mov_b64 s[2:3], 0
	s_branch .LBB143_1843
.LBB143_1842:
	s_mov_b64 s[2:3], -1
                                        ; implicit-def: $vgpr10
.LBB143_1843:
	s_andn2_b64 vcc, exec, s[2:3]
	s_cbranch_vccnz .LBB143_1845
; %bb.1844:
	global_load_ubyte v10, v[19:20], off
.LBB143_1845:
.LBB143_1846:
	s_lshr_b32 s2, s20, 16
	v_mov_b32_e32 v1, s11
	s_and_b32 s22, s2, 0xff
	v_add_co_u32_e32 v19, vcc, s10, v12
	s_cmp_lt_i32 s22, 11
	v_addc_co_u32_e32 v20, vcc, 0, v1, vcc
	s_cbranch_scc1 .LBB143_1853
; %bb.1847:
	s_and_b32 s23, 0xffff, s22
	s_cmp_gt_i32 s23, 25
	s_mov_b64 s[6:7], 0
	s_cbranch_scc0 .LBB143_1855
; %bb.1848:
	s_cmp_gt_i32 s23, 28
	s_cbranch_scc0 .LBB143_1856
; %bb.1849:
	s_cmp_gt_i32 s23, 43
	;; [unrolled: 3-line block ×3, first 2 shown]
	s_cbranch_scc0 .LBB143_1859
; %bb.1851:
	s_cmp_eq_u32 s23, 46
	s_mov_b64 s[18:19], 0
	s_cbranch_scc0 .LBB143_1860
; %bb.1852:
	global_load_dword v1, v[19:20], off
	s_mov_b32 s2, 0x2f800000
	s_mov_b32 s3, 0xcf800000
	s_mov_b64 s[16:17], -1
	s_waitcnt vmcnt(0)
	v_lshlrev_b32_e32 v1, 16, v1
	v_trunc_f32_e32 v1, v1
	v_mul_f32_e64 v3, |v1|, s2
	v_floor_f32_e32 v3, v3
	v_fma_f32 v3, v3, s3, |v1|
	v_cvt_u32_f32_e32 v3, v3
	v_ashrrev_i32_e32 v1, 31, v1
	s_mov_b64 s[2:3], 0
	v_xor_b32_e32 v3, v3, v1
	v_sub_u32_e32 v11, v3, v1
	s_branch .LBB143_1861
.LBB143_1853:
	s_mov_b64 s[16:17], 0
                                        ; implicit-def: $vgpr11
	s_cbranch_execnz .LBB143_1923
.LBB143_1854:
	s_andn2_b64 vcc, exec, s[16:17]
	s_cbranch_vccnz .LBB143_3036
	s_branch .LBB143_1971
.LBB143_1855:
	s_mov_b64 s[18:19], -1
	s_mov_b64 s[16:17], 0
	s_mov_b64 s[2:3], 0
                                        ; implicit-def: $vgpr11
	s_branch .LBB143_1888
.LBB143_1856:
	s_mov_b64 s[18:19], -1
	s_mov_b64 s[16:17], 0
	s_mov_b64 s[2:3], 0
                                        ; implicit-def: $vgpr11
	s_branch .LBB143_1871
.LBB143_1857:
	s_mov_b64 s[18:19], -1
	s_mov_b64 s[16:17], 0
	s_mov_b64 s[2:3], 0
                                        ; implicit-def: $vgpr11
	s_branch .LBB143_1866
.LBB143_1858:
	s_trap 2
	s_or_b64 s[4:5], s[4:5], exec
	s_cbranch_execz .LBB143_1797
	s_branch .LBB143_1798
.LBB143_1859:
	s_mov_b64 s[18:19], -1
	s_mov_b64 s[16:17], 0
	s_mov_b64 s[2:3], 0
                                        ; implicit-def: $vgpr11
	s_branch .LBB143_1861
.LBB143_1860:
	s_mov_b64 s[2:3], -1
                                        ; implicit-def: $vgpr11
	s_mov_b64 s[16:17], 0
.LBB143_1861:
	s_and_b64 vcc, exec, s[18:19]
	s_cbranch_vccz .LBB143_1865
; %bb.1862:
	s_cmp_eq_u32 s23, 44
	s_cbranch_scc0 .LBB143_1864
; %bb.1863:
	global_load_ubyte v1, v[19:20], off
	s_mov_b32 s2, 0x2f800000
	s_mov_b32 s3, 0xcf800000
	s_mov_b64 s[16:17], -1
	s_waitcnt vmcnt(0)
	v_lshlrev_b32_e32 v3, 23, v1
	v_trunc_f32_e32 v3, v3
	v_mul_f32_e64 v5, |v3|, s2
	v_floor_f32_e32 v5, v5
	v_fma_f32 v5, v5, s3, |v3|
	v_cvt_u32_f32_e32 v5, v5
	v_ashrrev_i32_e32 v3, 31, v3
	v_cmp_ne_u32_e32 vcc, 0, v1
	s_mov_b64 s[2:3], 0
	v_xor_b32_e32 v5, v5, v3
	v_sub_u32_e32 v3, v5, v3
	v_cndmask_b32_e32 v11, 0, v3, vcc
	s_branch .LBB143_1865
.LBB143_1864:
	s_mov_b64 s[2:3], -1
                                        ; implicit-def: $vgpr11
.LBB143_1865:
	s_mov_b64 s[18:19], 0
.LBB143_1866:
	s_and_b64 vcc, exec, s[18:19]
	s_cbranch_vccz .LBB143_1870
; %bb.1867:
	s_cmp_eq_u32 s23, 29
	s_cbranch_scc0 .LBB143_1869
; %bb.1868:
	global_load_dwordx2 v[11:12], v[19:20], off
	s_mov_b64 s[2:3], 0
	s_mov_b64 s[16:17], -1
	s_branch .LBB143_1870
.LBB143_1869:
	s_mov_b64 s[2:3], -1
                                        ; implicit-def: $vgpr11
.LBB143_1870:
	s_mov_b64 s[18:19], 0
.LBB143_1871:
	s_and_b64 vcc, exec, s[18:19]
	s_cbranch_vccz .LBB143_1887
; %bb.1872:
	s_cmp_lt_i32 s23, 27
	s_cbranch_scc1 .LBB143_1875
; %bb.1873:
	s_cmp_gt_i32 s23, 27
	s_cbranch_scc0 .LBB143_1876
; %bb.1874:
	global_load_dword v11, v[19:20], off
	s_mov_b64 s[16:17], 0
	s_branch .LBB143_1877
.LBB143_1875:
	s_mov_b64 s[16:17], -1
                                        ; implicit-def: $vgpr11
	s_branch .LBB143_1880
.LBB143_1876:
	s_mov_b64 s[16:17], -1
                                        ; implicit-def: $vgpr11
.LBB143_1877:
	s_andn2_b64 vcc, exec, s[16:17]
	s_cbranch_vccnz .LBB143_1879
; %bb.1878:
	global_load_ushort v11, v[19:20], off
.LBB143_1879:
	s_mov_b64 s[16:17], 0
.LBB143_1880:
	s_andn2_b64 vcc, exec, s[16:17]
	s_cbranch_vccnz .LBB143_1886
; %bb.1881:
	global_load_ubyte v1, v[19:20], off
	s_movk_i32 s16, 0x7f
	s_mov_b64 s[18:19], 0
	s_waitcnt vmcnt(0)
	v_cmp_lt_i16_e32 vcc, s16, v1
	s_and_saveexec_b64 s[16:17], vcc
	s_xor_b64 s[16:17], exec, s[16:17]
	s_cbranch_execz .LBB143_1898
; %bb.1882:
	s_movk_i32 s18, 0x80
	v_cmp_ne_u16_e32 vcc, s18, v1
	s_and_b64 s[18:19], vcc, exec
	s_andn2_saveexec_b64 s[16:17], s[16:17]
	s_cbranch_execnz .LBB143_1899
.LBB143_1883:
	s_or_b64 exec, exec, s[16:17]
	v_mov_b32_e32 v11, 0
	s_and_saveexec_b64 s[16:17], s[18:19]
	s_cbranch_execz .LBB143_1885
.LBB143_1884:
	v_lshlrev_b32_e32 v3, 24, v1
	v_and_b32_e32 v1, 0xffff, v1
	v_and_b32_e32 v5, 7, v1
	v_ffbh_u32_e32 v11, v5
	v_min_u32_e32 v11, 32, v11
	v_subrev_u32_e32 v12, 28, v11
	v_bfe_u32 v8, v1, 3, 4
	v_lshlrev_b32_e32 v1, v12, v1
	v_sub_u32_e32 v11, 29, v11
	v_and_b32_e32 v1, 7, v1
	v_cmp_eq_u32_e32 vcc, 0, v8
	v_cndmask_b32_e32 v8, v8, v11, vcc
	v_cndmask_b32_e32 v1, v5, v1, vcc
	v_mov_b32_e32 v5, 0x3b800000
	v_lshlrev_b32_e32 v1, 20, v1
	v_and_b32_e32 v3, 0x80000000, v3
	v_lshl_add_u32 v5, v8, 23, v5
	v_or3_b32 v1, v3, v5, v1
	v_trunc_f32_e32 v1, v1
	s_mov_b32 s18, 0x2f800000
	v_mul_f32_e64 v3, |v1|, s18
	v_floor_f32_e32 v3, v3
	s_mov_b32 s18, 0xcf800000
	v_fma_f32 v3, v3, s18, |v1|
	v_cvt_u32_f32_e32 v3, v3
	v_ashrrev_i32_e32 v1, 31, v1
	v_xor_b32_e32 v3, v3, v1
	v_sub_u32_e32 v11, v3, v1
.LBB143_1885:
	s_or_b64 exec, exec, s[16:17]
.LBB143_1886:
	s_mov_b64 s[16:17], -1
.LBB143_1887:
	s_mov_b64 s[18:19], 0
.LBB143_1888:
	s_and_b64 vcc, exec, s[18:19]
	s_cbranch_vccz .LBB143_1919
; %bb.1889:
	s_cmp_gt_i32 s23, 22
	s_cbranch_scc0 .LBB143_1897
; %bb.1890:
	s_cmp_lt_i32 s23, 24
	s_cbranch_scc1 .LBB143_1900
; %bb.1891:
	s_cmp_gt_i32 s23, 24
	s_cbranch_scc0 .LBB143_1901
; %bb.1892:
	global_load_ubyte v1, v[19:20], off
	s_movk_i32 s6, 0x7f
	s_mov_b64 s[16:17], 0
	s_waitcnt vmcnt(0)
	v_cmp_lt_i16_e32 vcc, s6, v1
	s_and_saveexec_b64 s[6:7], vcc
	s_xor_b64 s[6:7], exec, s[6:7]
	s_cbranch_execz .LBB143_1913
; %bb.1893:
	s_movk_i32 s16, 0x80
	v_cmp_ne_u16_e32 vcc, s16, v1
	s_and_b64 s[16:17], vcc, exec
	s_andn2_saveexec_b64 s[6:7], s[6:7]
	s_cbranch_execnz .LBB143_1914
.LBB143_1894:
	s_or_b64 exec, exec, s[6:7]
	v_mov_b32_e32 v11, 0
	s_and_saveexec_b64 s[6:7], s[16:17]
	s_cbranch_execz .LBB143_1896
.LBB143_1895:
	v_lshlrev_b32_e32 v3, 24, v1
	v_and_b32_e32 v1, 0xffff, v1
	v_and_b32_e32 v5, 3, v1
	v_ffbh_u32_e32 v11, v5
	v_min_u32_e32 v11, 32, v11
	v_subrev_u32_e32 v12, 29, v11
	v_bfe_u32 v8, v1, 2, 5
	v_lshlrev_b32_e32 v1, v12, v1
	v_sub_u32_e32 v11, 30, v11
	v_and_b32_e32 v1, 3, v1
	v_cmp_eq_u32_e32 vcc, 0, v8
	v_cndmask_b32_e32 v8, v8, v11, vcc
	v_cndmask_b32_e32 v1, v5, v1, vcc
	v_mov_b32_e32 v5, 0x37800000
	v_lshlrev_b32_e32 v1, 21, v1
	v_and_b32_e32 v3, 0x80000000, v3
	v_lshl_add_u32 v5, v8, 23, v5
	v_or3_b32 v1, v3, v5, v1
	v_trunc_f32_e32 v1, v1
	s_mov_b32 s16, 0x2f800000
	v_mul_f32_e64 v3, |v1|, s16
	v_floor_f32_e32 v3, v3
	s_mov_b32 s16, 0xcf800000
	v_fma_f32 v3, v3, s16, |v1|
	v_cvt_u32_f32_e32 v3, v3
	v_ashrrev_i32_e32 v1, 31, v1
	v_xor_b32_e32 v3, v3, v1
	v_sub_u32_e32 v11, v3, v1
.LBB143_1896:
	s_or_b64 exec, exec, s[6:7]
	s_mov_b64 s[6:7], 0
	s_branch .LBB143_1902
.LBB143_1897:
	s_mov_b64 s[6:7], -1
                                        ; implicit-def: $vgpr11
	s_branch .LBB143_1908
.LBB143_1898:
	s_andn2_saveexec_b64 s[16:17], s[16:17]
	s_cbranch_execz .LBB143_1883
.LBB143_1899:
	v_cmp_ne_u16_e32 vcc, 0, v1
	s_andn2_b64 s[18:19], s[18:19], exec
	s_and_b64 s[24:25], vcc, exec
	s_or_b64 s[18:19], s[18:19], s[24:25]
	s_or_b64 exec, exec, s[16:17]
	v_mov_b32_e32 v11, 0
	s_and_saveexec_b64 s[16:17], s[18:19]
	s_cbranch_execnz .LBB143_1884
	s_branch .LBB143_1885
.LBB143_1900:
	s_mov_b64 s[6:7], -1
                                        ; implicit-def: $vgpr11
	s_branch .LBB143_1905
.LBB143_1901:
	s_mov_b64 s[6:7], -1
                                        ; implicit-def: $vgpr11
.LBB143_1902:
	s_and_b64 vcc, exec, s[6:7]
	s_cbranch_vccz .LBB143_1904
; %bb.1903:
	global_load_ubyte v1, v[19:20], off
	s_mov_b32 s6, 0x7f800000
	s_brev_b32 s7, 1
	s_mov_b32 s16, 0x2f800000
	s_waitcnt vmcnt(0)
	v_lshlrev_b32_e32 v1, 24, v1
	v_and_b32_e32 v3, 0x7f000000, v1
	v_ffbh_u32_e32 v5, v3
	v_min_u32_e32 v5, 32, v5
	v_sub_u32_e64 v5, v5, 4 clamp
	v_lshlrev_b32_e32 v11, v5, v3
	v_lshlrev_b32_e32 v5, 23, v5
	v_lshrrev_b32_e32 v11, 4, v11
	v_add_u32_e32 v8, 0x1000000, v3
	v_sub_u32_e32 v5, v11, v5
	v_ashrrev_i32_e32 v8, 8, v8
	v_add_u32_e32 v5, 0x3c000000, v5
	v_and_or_b32 v5, v8, s6, v5
	v_cmp_ne_u32_e32 vcc, 0, v3
	v_cndmask_b32_e32 v3, 0, v5, vcc
	v_and_or_b32 v1, v1, s7, v3
	v_trunc_f32_e32 v1, v1
	v_mul_f32_e64 v3, |v1|, s16
	v_floor_f32_e32 v3, v3
	s_mov_b32 s6, 0xcf800000
	v_fma_f32 v3, v3, s6, |v1|
	v_cvt_u32_f32_e32 v3, v3
	v_ashrrev_i32_e32 v1, 31, v1
	v_xor_b32_e32 v3, v3, v1
	v_sub_u32_e32 v11, v3, v1
.LBB143_1904:
	s_mov_b64 s[6:7], 0
.LBB143_1905:
	s_andn2_b64 vcc, exec, s[6:7]
	s_cbranch_vccnz .LBB143_1907
; %bb.1906:
	global_load_ubyte v1, v[19:20], off
	s_movk_i32 s6, 0x7f00
	s_brev_b32 s7, 16
	s_brev_b32 s16, 1
	s_mov_b32 s17, 0x2f800000
	s_waitcnt vmcnt(0)
	v_lshlrev_b16_e32 v3, 8, v1
	v_lshlrev_b32_e32 v1, 25, v1
	v_lshrrev_b32_e32 v5, 4, v1
	v_and_or_b32 v8, v3, s6, 0.5
	v_or_b32_e32 v5, 0x70000000, v5
	v_add_f32_e32 v8, -0.5, v8
	v_mul_f32_e32 v5, 0x7800000, v5
	v_cmp_gt_u32_e32 vcc, s7, v1
	v_bfe_i32 v3, v3, 0, 16
	v_cndmask_b32_e32 v1, v5, v8, vcc
	v_and_or_b32 v1, v3, s16, v1
	v_trunc_f32_e32 v1, v1
	v_mul_f32_e64 v3, |v1|, s17
	v_floor_f32_e32 v3, v3
	s_mov_b32 s6, 0xcf800000
	v_fma_f32 v3, v3, s6, |v1|
	v_cvt_u32_f32_e32 v3, v3
	v_ashrrev_i32_e32 v1, 31, v1
	v_xor_b32_e32 v3, v3, v1
	v_sub_u32_e32 v11, v3, v1
.LBB143_1907:
	s_mov_b64 s[6:7], 0
	s_mov_b64 s[16:17], -1
.LBB143_1908:
	s_andn2_b64 vcc, exec, s[6:7]
	s_mov_b64 s[6:7], 0
	s_cbranch_vccnz .LBB143_1919
; %bb.1909:
	s_cmp_gt_i32 s23, 14
	s_cbranch_scc0 .LBB143_1912
; %bb.1910:
	s_cmp_eq_u32 s23, 15
	s_cbranch_scc0 .LBB143_1915
; %bb.1911:
	global_load_ushort v1, v[19:20], off
	s_mov_b32 s2, 0x2f800000
	s_mov_b32 s3, 0xcf800000
	s_mov_b64 s[16:17], -1
	s_waitcnt vmcnt(0)
	v_lshlrev_b32_e32 v1, 16, v1
	v_trunc_f32_e32 v1, v1
	v_mul_f32_e64 v3, |v1|, s2
	v_floor_f32_e32 v3, v3
	v_fma_f32 v3, v3, s3, |v1|
	v_cvt_u32_f32_e32 v3, v3
	v_ashrrev_i32_e32 v1, 31, v1
	s_mov_b64 s[2:3], 0
	v_xor_b32_e32 v3, v3, v1
	v_sub_u32_e32 v11, v3, v1
	s_branch .LBB143_1916
.LBB143_1912:
	s_mov_b64 s[18:19], -1
                                        ; implicit-def: $vgpr11
	s_branch .LBB143_1917
.LBB143_1913:
	s_andn2_saveexec_b64 s[6:7], s[6:7]
	s_cbranch_execz .LBB143_1894
.LBB143_1914:
	v_cmp_ne_u16_e32 vcc, 0, v1
	s_andn2_b64 s[16:17], s[16:17], exec
	s_and_b64 s[18:19], vcc, exec
	s_or_b64 s[16:17], s[16:17], s[18:19]
	s_or_b64 exec, exec, s[6:7]
	v_mov_b32_e32 v11, 0
	s_and_saveexec_b64 s[6:7], s[16:17]
	s_cbranch_execnz .LBB143_1895
	s_branch .LBB143_1896
.LBB143_1915:
	s_mov_b64 s[2:3], -1
                                        ; implicit-def: $vgpr11
.LBB143_1916:
	s_mov_b64 s[18:19], 0
.LBB143_1917:
	s_and_b64 vcc, exec, s[18:19]
	s_cbranch_vccz .LBB143_1919
; %bb.1918:
	s_cmp_lg_u32 s23, 11
	s_mov_b64 s[6:7], -1
	s_cselect_b64 s[2:3], -1, 0
.LBB143_1919:
	s_and_b64 vcc, exec, s[2:3]
	s_cbranch_vccnz .LBB143_1982
; %bb.1920:
	s_andn2_b64 vcc, exec, s[6:7]
	s_cbranch_vccnz .LBB143_1922
.LBB143_1921:
	global_load_ubyte v1, v[19:20], off
	s_mov_b64 s[16:17], -1
	s_waitcnt vmcnt(0)
	v_cmp_ne_u16_e32 vcc, 0, v1
	v_cndmask_b32_e64 v11, 0, 1, vcc
.LBB143_1922:
	s_branch .LBB143_1854
.LBB143_1923:
	s_and_b32 s6, 0xffff, s22
	s_cmp_lt_i32 s6, 5
	s_cbranch_scc1 .LBB143_1928
; %bb.1924:
	s_cmp_lt_i32 s6, 8
	s_cbranch_scc1 .LBB143_1929
; %bb.1925:
	;; [unrolled: 3-line block ×3, first 2 shown]
	s_cmp_gt_i32 s6, 9
	s_cbranch_scc0 .LBB143_1931
; %bb.1927:
	global_load_dwordx2 v[11:12], v[19:20], off
	s_movk_i32 s2, 0xffe0
	s_waitcnt vmcnt(0)
	v_trunc_f64_e32 v[11:12], v[11:12]
	v_ldexp_f64 v[21:22], v[11:12], s2
	s_mov_b32 s2, 0
	s_mov_b32 s3, 0xc1f00000
	v_floor_f64_e32 v[21:22], v[21:22]
	v_fma_f64 v[11:12], v[21:22], s[2:3], v[11:12]
	s_mov_b64 s[2:3], 0
	v_cvt_u32_f64_e32 v11, v[11:12]
	s_branch .LBB143_1932
.LBB143_1928:
	s_mov_b64 s[2:3], -1
                                        ; implicit-def: $vgpr11
	s_branch .LBB143_1950
.LBB143_1929:
	s_mov_b64 s[2:3], -1
                                        ; implicit-def: $vgpr11
	s_branch .LBB143_1938
.LBB143_1930:
	s_mov_b64 s[2:3], -1
                                        ; implicit-def: $vgpr11
	s_branch .LBB143_1935
.LBB143_1931:
	s_mov_b64 s[2:3], -1
                                        ; implicit-def: $vgpr11
.LBB143_1932:
	s_andn2_b64 vcc, exec, s[2:3]
	s_cbranch_vccnz .LBB143_1934
; %bb.1933:
	global_load_dword v1, v[19:20], off
	s_mov_b32 s2, 0x2f800000
	s_waitcnt vmcnt(0)
	v_trunc_f32_e32 v1, v1
	v_mul_f32_e64 v3, |v1|, s2
	v_floor_f32_e32 v3, v3
	s_mov_b32 s2, 0xcf800000
	v_fma_f32 v3, v3, s2, |v1|
	v_cvt_u32_f32_e32 v3, v3
	v_ashrrev_i32_e32 v1, 31, v1
	v_xor_b32_e32 v3, v3, v1
	v_sub_u32_e32 v11, v3, v1
.LBB143_1934:
	s_mov_b64 s[2:3], 0
.LBB143_1935:
	s_andn2_b64 vcc, exec, s[2:3]
	s_cbranch_vccnz .LBB143_1937
; %bb.1936:
	global_load_dword v1, v[19:20], off
	s_waitcnt vmcnt(0)
	v_cvt_f32_f16_e32 v1, v1
	v_cvt_i32_f32_e32 v11, v1
.LBB143_1937:
	s_mov_b64 s[2:3], 0
.LBB143_1938:
	s_andn2_b64 vcc, exec, s[2:3]
	s_cbranch_vccnz .LBB143_1949
; %bb.1939:
	s_cmp_lt_i32 s6, 6
	s_cbranch_scc1 .LBB143_1942
; %bb.1940:
	s_cmp_gt_i32 s6, 6
	s_cbranch_scc0 .LBB143_1943
; %bb.1941:
	global_load_dwordx2 v[11:12], v[19:20], off
	s_movk_i32 s2, 0xffe0
	s_waitcnt vmcnt(0)
	v_trunc_f64_e32 v[11:12], v[11:12]
	v_ldexp_f64 v[21:22], v[11:12], s2
	s_mov_b32 s2, 0
	s_mov_b32 s3, 0xc1f00000
	v_floor_f64_e32 v[21:22], v[21:22]
	v_fma_f64 v[11:12], v[21:22], s[2:3], v[11:12]
	s_mov_b64 s[2:3], 0
	v_cvt_u32_f64_e32 v11, v[11:12]
	s_branch .LBB143_1944
.LBB143_1942:
	s_mov_b64 s[2:3], -1
                                        ; implicit-def: $vgpr11
	s_branch .LBB143_1947
.LBB143_1943:
	s_mov_b64 s[2:3], -1
                                        ; implicit-def: $vgpr11
.LBB143_1944:
	s_andn2_b64 vcc, exec, s[2:3]
	s_cbranch_vccnz .LBB143_1946
; %bb.1945:
	global_load_dword v1, v[19:20], off
	s_mov_b32 s2, 0x2f800000
	s_waitcnt vmcnt(0)
	v_trunc_f32_e32 v1, v1
	v_mul_f32_e64 v3, |v1|, s2
	v_floor_f32_e32 v3, v3
	s_mov_b32 s2, 0xcf800000
	v_fma_f32 v3, v3, s2, |v1|
	v_cvt_u32_f32_e32 v3, v3
	v_ashrrev_i32_e32 v1, 31, v1
	v_xor_b32_e32 v3, v3, v1
	v_sub_u32_e32 v11, v3, v1
.LBB143_1946:
	s_mov_b64 s[2:3], 0
.LBB143_1947:
	s_andn2_b64 vcc, exec, s[2:3]
	s_cbranch_vccnz .LBB143_1949
; %bb.1948:
	global_load_ushort v1, v[19:20], off
	s_waitcnt vmcnt(0)
	v_cvt_f32_f16_e32 v1, v1
	v_cvt_i32_f32_e32 v11, v1
.LBB143_1949:
	s_mov_b64 s[2:3], 0
.LBB143_1950:
	s_andn2_b64 vcc, exec, s[2:3]
	s_cbranch_vccnz .LBB143_1970
; %bb.1951:
	s_cmp_lt_i32 s6, 2
	s_cbranch_scc1 .LBB143_1955
; %bb.1952:
	s_cmp_lt_i32 s6, 3
	s_cbranch_scc1 .LBB143_1956
; %bb.1953:
	s_cmp_gt_i32 s6, 3
	s_cbranch_scc0 .LBB143_1957
; %bb.1954:
	global_load_dwordx2 v[11:12], v[19:20], off
	s_mov_b64 s[2:3], 0
	s_branch .LBB143_1958
.LBB143_1955:
	s_mov_b64 s[2:3], -1
                                        ; implicit-def: $vgpr11
	s_branch .LBB143_1964
.LBB143_1956:
	s_mov_b64 s[2:3], -1
                                        ; implicit-def: $vgpr11
	s_branch .LBB143_1961
.LBB143_1957:
	s_mov_b64 s[2:3], -1
                                        ; implicit-def: $vgpr11
.LBB143_1958:
	s_andn2_b64 vcc, exec, s[2:3]
	s_cbranch_vccnz .LBB143_1960
; %bb.1959:
	global_load_dword v11, v[19:20], off
.LBB143_1960:
	s_mov_b64 s[2:3], 0
.LBB143_1961:
	s_andn2_b64 vcc, exec, s[2:3]
	s_cbranch_vccnz .LBB143_1963
; %bb.1962:
	global_load_ushort v11, v[19:20], off
.LBB143_1963:
	s_mov_b64 s[2:3], 0
.LBB143_1964:
	s_andn2_b64 vcc, exec, s[2:3]
	s_cbranch_vccnz .LBB143_1970
; %bb.1965:
	s_cmp_gt_i32 s6, 0
	s_cbranch_scc0 .LBB143_1967
; %bb.1966:
	global_load_ubyte v11, v[19:20], off
	s_mov_b64 s[2:3], 0
	s_branch .LBB143_1968
.LBB143_1967:
	s_mov_b64 s[2:3], -1
                                        ; implicit-def: $vgpr11
.LBB143_1968:
	s_andn2_b64 vcc, exec, s[2:3]
	s_cbranch_vccnz .LBB143_1970
; %bb.1969:
	global_load_ubyte v11, v[19:20], off
.LBB143_1970:
.LBB143_1971:
	v_mov_b32_e32 v1, s1
	s_and_b32 s21, 0xffff, s21
	v_add_co_u32_e32 v19, vcc, s0, v15
	s_cmp_lt_i32 s21, 11
	v_addc_co_u32_e32 v20, vcc, 0, v1, vcc
	s_cbranch_scc1 .LBB143_1978
; %bb.1972:
	s_cmp_gt_i32 s21, 25
	s_mov_b64 s[6:7], 0
	s_cbranch_scc0 .LBB143_1979
; %bb.1973:
	s_cmp_gt_i32 s21, 28
	s_cbranch_scc0 .LBB143_1980
; %bb.1974:
	s_cmp_gt_i32 s21, 43
	;; [unrolled: 3-line block ×3, first 2 shown]
	s_cbranch_scc0 .LBB143_1983
; %bb.1976:
	s_cmp_eq_u32 s21, 46
	s_mov_b64 s[18:19], 0
	s_cbranch_scc0 .LBB143_1984
; %bb.1977:
	global_load_dword v1, v[19:20], off
	s_mov_b32 s2, 0x2f800000
	s_mov_b32 s3, 0xcf800000
	s_mov_b64 s[16:17], -1
	s_waitcnt vmcnt(0)
	v_lshlrev_b32_e32 v1, 16, v1
	v_trunc_f32_e32 v1, v1
	v_mul_f32_e64 v3, |v1|, s2
	v_floor_f32_e32 v3, v3
	v_fma_f32 v3, v3, s3, |v1|
	v_cvt_u32_f32_e32 v3, v3
	v_ashrrev_i32_e32 v1, 31, v1
	s_mov_b64 s[2:3], 0
	v_xor_b32_e32 v3, v3, v1
	v_sub_u32_e32 v14, v3, v1
	s_branch .LBB143_1985
.LBB143_1978:
	s_mov_b64 s[2:3], -1
	s_mov_b64 s[16:17], 0
                                        ; implicit-def: $vgpr14
	s_branch .LBB143_2047
.LBB143_1979:
	s_mov_b64 s[18:19], -1
	s_mov_b64 s[16:17], 0
	s_mov_b64 s[2:3], 0
                                        ; implicit-def: $vgpr14
	s_branch .LBB143_2012
.LBB143_1980:
	s_mov_b64 s[18:19], -1
	s_mov_b64 s[16:17], 0
	s_mov_b64 s[2:3], 0
                                        ; implicit-def: $vgpr14
	s_branch .LBB143_1995
.LBB143_1981:
	s_mov_b64 s[18:19], -1
	s_mov_b64 s[16:17], 0
	s_mov_b64 s[2:3], 0
                                        ; implicit-def: $vgpr14
	s_branch .LBB143_1990
.LBB143_1982:
	s_trap 2
	s_or_b64 s[4:5], s[4:5], exec
	s_cbranch_execz .LBB143_1921
	s_branch .LBB143_1922
.LBB143_1983:
	s_mov_b64 s[18:19], -1
	s_mov_b64 s[16:17], 0
	s_mov_b64 s[2:3], 0
                                        ; implicit-def: $vgpr14
	s_branch .LBB143_1985
.LBB143_1984:
	s_mov_b64 s[2:3], -1
                                        ; implicit-def: $vgpr14
	s_mov_b64 s[16:17], 0
.LBB143_1985:
	s_and_b64 vcc, exec, s[18:19]
	s_cbranch_vccz .LBB143_1989
; %bb.1986:
	s_cmp_eq_u32 s21, 44
	s_cbranch_scc0 .LBB143_1988
; %bb.1987:
	global_load_ubyte v1, v[19:20], off
	s_mov_b32 s2, 0x2f800000
	s_mov_b32 s3, 0xcf800000
	s_mov_b64 s[16:17], -1
	s_waitcnt vmcnt(0)
	v_lshlrev_b32_e32 v3, 23, v1
	v_trunc_f32_e32 v3, v3
	v_mul_f32_e64 v5, |v3|, s2
	v_floor_f32_e32 v5, v5
	v_fma_f32 v5, v5, s3, |v3|
	v_cvt_u32_f32_e32 v5, v5
	v_ashrrev_i32_e32 v3, 31, v3
	v_cmp_ne_u32_e32 vcc, 0, v1
	s_mov_b64 s[2:3], 0
	v_xor_b32_e32 v5, v5, v3
	v_sub_u32_e32 v3, v5, v3
	v_cndmask_b32_e32 v14, 0, v3, vcc
	s_branch .LBB143_1989
.LBB143_1988:
	s_mov_b64 s[2:3], -1
                                        ; implicit-def: $vgpr14
.LBB143_1989:
	s_mov_b64 s[18:19], 0
.LBB143_1990:
	s_and_b64 vcc, exec, s[18:19]
	s_cbranch_vccz .LBB143_1994
; %bb.1991:
	s_cmp_eq_u32 s21, 29
	s_cbranch_scc0 .LBB143_1993
; %bb.1992:
	global_load_dwordx2 v[14:15], v[19:20], off
	s_mov_b64 s[2:3], 0
	s_mov_b64 s[16:17], -1
	s_branch .LBB143_1994
.LBB143_1993:
	s_mov_b64 s[2:3], -1
                                        ; implicit-def: $vgpr14
.LBB143_1994:
	s_mov_b64 s[18:19], 0
.LBB143_1995:
	s_and_b64 vcc, exec, s[18:19]
	s_cbranch_vccz .LBB143_2011
; %bb.1996:
	s_cmp_lt_i32 s21, 27
	s_cbranch_scc1 .LBB143_1999
; %bb.1997:
	s_cmp_gt_i32 s21, 27
	s_cbranch_scc0 .LBB143_2000
; %bb.1998:
	global_load_dword v14, v[19:20], off
	s_mov_b64 s[16:17], 0
	s_branch .LBB143_2001
.LBB143_1999:
	s_mov_b64 s[16:17], -1
                                        ; implicit-def: $vgpr14
	s_branch .LBB143_2004
.LBB143_2000:
	s_mov_b64 s[16:17], -1
                                        ; implicit-def: $vgpr14
.LBB143_2001:
	s_andn2_b64 vcc, exec, s[16:17]
	s_cbranch_vccnz .LBB143_2003
; %bb.2002:
	global_load_ushort v14, v[19:20], off
.LBB143_2003:
	s_mov_b64 s[16:17], 0
.LBB143_2004:
	s_andn2_b64 vcc, exec, s[16:17]
	s_cbranch_vccnz .LBB143_2010
; %bb.2005:
	global_load_ubyte v1, v[19:20], off
	s_movk_i32 s16, 0x7f
	s_mov_b64 s[18:19], 0
	s_waitcnt vmcnt(0)
	v_cmp_lt_i16_e32 vcc, s16, v1
	s_and_saveexec_b64 s[16:17], vcc
	s_xor_b64 s[16:17], exec, s[16:17]
	s_cbranch_execz .LBB143_2022
; %bb.2006:
	s_movk_i32 s18, 0x80
	v_cmp_ne_u16_e32 vcc, s18, v1
	s_and_b64 s[18:19], vcc, exec
	s_andn2_saveexec_b64 s[16:17], s[16:17]
	s_cbranch_execnz .LBB143_2023
.LBB143_2007:
	s_or_b64 exec, exec, s[16:17]
	v_mov_b32_e32 v14, 0
	s_and_saveexec_b64 s[16:17], s[18:19]
	s_cbranch_execz .LBB143_2009
.LBB143_2008:
	v_lshlrev_b32_e32 v3, 24, v1
	v_and_b32_e32 v1, 0xffff, v1
	v_and_b32_e32 v5, 7, v1
	v_ffbh_u32_e32 v12, v5
	v_min_u32_e32 v12, 32, v12
	v_subrev_u32_e32 v14, 28, v12
	v_bfe_u32 v8, v1, 3, 4
	v_lshlrev_b32_e32 v1, v14, v1
	v_sub_u32_e32 v12, 29, v12
	v_and_b32_e32 v1, 7, v1
	v_cmp_eq_u32_e32 vcc, 0, v8
	v_cndmask_b32_e32 v8, v8, v12, vcc
	v_cndmask_b32_e32 v1, v5, v1, vcc
	v_mov_b32_e32 v5, 0x3b800000
	v_lshlrev_b32_e32 v1, 20, v1
	v_and_b32_e32 v3, 0x80000000, v3
	v_lshl_add_u32 v5, v8, 23, v5
	v_or3_b32 v1, v3, v5, v1
	v_trunc_f32_e32 v1, v1
	s_mov_b32 s18, 0x2f800000
	v_mul_f32_e64 v3, |v1|, s18
	v_floor_f32_e32 v3, v3
	s_mov_b32 s18, 0xcf800000
	v_fma_f32 v3, v3, s18, |v1|
	v_cvt_u32_f32_e32 v3, v3
	v_ashrrev_i32_e32 v1, 31, v1
	v_xor_b32_e32 v3, v3, v1
	v_sub_u32_e32 v14, v3, v1
.LBB143_2009:
	s_or_b64 exec, exec, s[16:17]
.LBB143_2010:
	s_mov_b64 s[16:17], -1
.LBB143_2011:
	s_mov_b64 s[18:19], 0
.LBB143_2012:
	s_and_b64 vcc, exec, s[18:19]
	s_cbranch_vccz .LBB143_2043
; %bb.2013:
	s_cmp_gt_i32 s21, 22
	s_cbranch_scc0 .LBB143_2021
; %bb.2014:
	s_cmp_lt_i32 s21, 24
	s_cbranch_scc1 .LBB143_2024
; %bb.2015:
	s_cmp_gt_i32 s21, 24
	s_cbranch_scc0 .LBB143_2025
; %bb.2016:
	global_load_ubyte v1, v[19:20], off
	s_movk_i32 s6, 0x7f
	s_mov_b64 s[16:17], 0
	s_waitcnt vmcnt(0)
	v_cmp_lt_i16_e32 vcc, s6, v1
	s_and_saveexec_b64 s[6:7], vcc
	s_xor_b64 s[6:7], exec, s[6:7]
	s_cbranch_execz .LBB143_2037
; %bb.2017:
	s_movk_i32 s16, 0x80
	v_cmp_ne_u16_e32 vcc, s16, v1
	s_and_b64 s[16:17], vcc, exec
	s_andn2_saveexec_b64 s[6:7], s[6:7]
	s_cbranch_execnz .LBB143_2038
.LBB143_2018:
	s_or_b64 exec, exec, s[6:7]
	v_mov_b32_e32 v14, 0
	s_and_saveexec_b64 s[6:7], s[16:17]
	s_cbranch_execz .LBB143_2020
.LBB143_2019:
	v_lshlrev_b32_e32 v3, 24, v1
	v_and_b32_e32 v1, 0xffff, v1
	v_and_b32_e32 v5, 3, v1
	v_ffbh_u32_e32 v12, v5
	v_min_u32_e32 v12, 32, v12
	v_subrev_u32_e32 v14, 29, v12
	v_bfe_u32 v8, v1, 2, 5
	v_lshlrev_b32_e32 v1, v14, v1
	v_sub_u32_e32 v12, 30, v12
	v_and_b32_e32 v1, 3, v1
	v_cmp_eq_u32_e32 vcc, 0, v8
	v_cndmask_b32_e32 v8, v8, v12, vcc
	v_cndmask_b32_e32 v1, v5, v1, vcc
	v_mov_b32_e32 v5, 0x37800000
	v_lshlrev_b32_e32 v1, 21, v1
	v_and_b32_e32 v3, 0x80000000, v3
	v_lshl_add_u32 v5, v8, 23, v5
	v_or3_b32 v1, v3, v5, v1
	v_trunc_f32_e32 v1, v1
	s_mov_b32 s16, 0x2f800000
	v_mul_f32_e64 v3, |v1|, s16
	v_floor_f32_e32 v3, v3
	s_mov_b32 s16, 0xcf800000
	v_fma_f32 v3, v3, s16, |v1|
	v_cvt_u32_f32_e32 v3, v3
	v_ashrrev_i32_e32 v1, 31, v1
	v_xor_b32_e32 v3, v3, v1
	v_sub_u32_e32 v14, v3, v1
.LBB143_2020:
	s_or_b64 exec, exec, s[6:7]
	s_mov_b64 s[6:7], 0
	s_branch .LBB143_2026
.LBB143_2021:
	s_mov_b64 s[6:7], -1
                                        ; implicit-def: $vgpr14
	s_branch .LBB143_2032
.LBB143_2022:
	s_andn2_saveexec_b64 s[16:17], s[16:17]
	s_cbranch_execz .LBB143_2007
.LBB143_2023:
	v_cmp_ne_u16_e32 vcc, 0, v1
	s_andn2_b64 s[18:19], s[18:19], exec
	s_and_b64 s[24:25], vcc, exec
	s_or_b64 s[18:19], s[18:19], s[24:25]
	s_or_b64 exec, exec, s[16:17]
	v_mov_b32_e32 v14, 0
	s_and_saveexec_b64 s[16:17], s[18:19]
	s_cbranch_execnz .LBB143_2008
	s_branch .LBB143_2009
.LBB143_2024:
	s_mov_b64 s[6:7], -1
                                        ; implicit-def: $vgpr14
	s_branch .LBB143_2029
.LBB143_2025:
	s_mov_b64 s[6:7], -1
                                        ; implicit-def: $vgpr14
.LBB143_2026:
	s_and_b64 vcc, exec, s[6:7]
	s_cbranch_vccz .LBB143_2028
; %bb.2027:
	global_load_ubyte v1, v[19:20], off
	s_mov_b32 s6, 0x7f800000
	s_brev_b32 s7, 1
	s_mov_b32 s16, 0x2f800000
	s_waitcnt vmcnt(0)
	v_lshlrev_b32_e32 v1, 24, v1
	v_and_b32_e32 v3, 0x7f000000, v1
	v_ffbh_u32_e32 v5, v3
	v_min_u32_e32 v5, 32, v5
	v_sub_u32_e64 v5, v5, 4 clamp
	v_lshlrev_b32_e32 v12, v5, v3
	v_lshlrev_b32_e32 v5, 23, v5
	v_lshrrev_b32_e32 v12, 4, v12
	v_add_u32_e32 v8, 0x1000000, v3
	v_sub_u32_e32 v5, v12, v5
	v_ashrrev_i32_e32 v8, 8, v8
	v_add_u32_e32 v5, 0x3c000000, v5
	v_and_or_b32 v5, v8, s6, v5
	v_cmp_ne_u32_e32 vcc, 0, v3
	v_cndmask_b32_e32 v3, 0, v5, vcc
	v_and_or_b32 v1, v1, s7, v3
	v_trunc_f32_e32 v1, v1
	v_mul_f32_e64 v3, |v1|, s16
	v_floor_f32_e32 v3, v3
	s_mov_b32 s6, 0xcf800000
	v_fma_f32 v3, v3, s6, |v1|
	v_cvt_u32_f32_e32 v3, v3
	v_ashrrev_i32_e32 v1, 31, v1
	v_xor_b32_e32 v3, v3, v1
	v_sub_u32_e32 v14, v3, v1
.LBB143_2028:
	s_mov_b64 s[6:7], 0
.LBB143_2029:
	s_andn2_b64 vcc, exec, s[6:7]
	s_cbranch_vccnz .LBB143_2031
; %bb.2030:
	global_load_ubyte v1, v[19:20], off
	s_movk_i32 s6, 0x7f00
	s_brev_b32 s7, 16
	s_brev_b32 s16, 1
	s_mov_b32 s17, 0x2f800000
	s_waitcnt vmcnt(0)
	v_lshlrev_b16_e32 v3, 8, v1
	v_lshlrev_b32_e32 v1, 25, v1
	v_lshrrev_b32_e32 v5, 4, v1
	v_and_or_b32 v8, v3, s6, 0.5
	v_or_b32_e32 v5, 0x70000000, v5
	v_add_f32_e32 v8, -0.5, v8
	v_mul_f32_e32 v5, 0x7800000, v5
	v_cmp_gt_u32_e32 vcc, s7, v1
	v_bfe_i32 v3, v3, 0, 16
	v_cndmask_b32_e32 v1, v5, v8, vcc
	v_and_or_b32 v1, v3, s16, v1
	v_trunc_f32_e32 v1, v1
	v_mul_f32_e64 v3, |v1|, s17
	v_floor_f32_e32 v3, v3
	s_mov_b32 s6, 0xcf800000
	v_fma_f32 v3, v3, s6, |v1|
	v_cvt_u32_f32_e32 v3, v3
	v_ashrrev_i32_e32 v1, 31, v1
	v_xor_b32_e32 v3, v3, v1
	v_sub_u32_e32 v14, v3, v1
.LBB143_2031:
	s_mov_b64 s[6:7], 0
	s_mov_b64 s[16:17], -1
.LBB143_2032:
	s_andn2_b64 vcc, exec, s[6:7]
	s_mov_b64 s[6:7], 0
	s_cbranch_vccnz .LBB143_2043
; %bb.2033:
	s_cmp_gt_i32 s21, 14
	s_cbranch_scc0 .LBB143_2036
; %bb.2034:
	s_cmp_eq_u32 s21, 15
	s_cbranch_scc0 .LBB143_2039
; %bb.2035:
	global_load_ushort v1, v[19:20], off
	s_mov_b32 s2, 0x2f800000
	s_mov_b32 s3, 0xcf800000
	s_mov_b64 s[16:17], -1
	s_waitcnt vmcnt(0)
	v_lshlrev_b32_e32 v1, 16, v1
	v_trunc_f32_e32 v1, v1
	v_mul_f32_e64 v3, |v1|, s2
	v_floor_f32_e32 v3, v3
	v_fma_f32 v3, v3, s3, |v1|
	v_cvt_u32_f32_e32 v3, v3
	v_ashrrev_i32_e32 v1, 31, v1
	s_mov_b64 s[2:3], 0
	v_xor_b32_e32 v3, v3, v1
	v_sub_u32_e32 v14, v3, v1
	s_branch .LBB143_2040
.LBB143_2036:
	s_mov_b64 s[18:19], -1
                                        ; implicit-def: $vgpr14
	s_branch .LBB143_2041
.LBB143_2037:
	s_andn2_saveexec_b64 s[6:7], s[6:7]
	s_cbranch_execz .LBB143_2018
.LBB143_2038:
	v_cmp_ne_u16_e32 vcc, 0, v1
	s_andn2_b64 s[16:17], s[16:17], exec
	s_and_b64 s[18:19], vcc, exec
	s_or_b64 s[16:17], s[16:17], s[18:19]
	s_or_b64 exec, exec, s[6:7]
	v_mov_b32_e32 v14, 0
	s_and_saveexec_b64 s[6:7], s[16:17]
	s_cbranch_execnz .LBB143_2019
	s_branch .LBB143_2020
.LBB143_2039:
	s_mov_b64 s[2:3], -1
                                        ; implicit-def: $vgpr14
.LBB143_2040:
	s_mov_b64 s[18:19], 0
.LBB143_2041:
	s_and_b64 vcc, exec, s[18:19]
	s_cbranch_vccz .LBB143_2043
; %bb.2042:
	s_cmp_lg_u32 s21, 11
	s_mov_b64 s[6:7], -1
	s_cselect_b64 s[2:3], -1, 0
.LBB143_2043:
	s_and_b64 vcc, exec, s[2:3]
	s_cbranch_vccnz .LBB143_2108
; %bb.2044:
	s_andn2_b64 vcc, exec, s[6:7]
	s_cbranch_vccnz .LBB143_2046
.LBB143_2045:
	global_load_ubyte v1, v[19:20], off
	s_mov_b64 s[16:17], -1
	s_waitcnt vmcnt(0)
	v_cmp_ne_u16_e32 vcc, 0, v1
	v_cndmask_b32_e64 v14, 0, 1, vcc
.LBB143_2046:
	s_mov_b64 s[2:3], 0
.LBB143_2047:
	s_and_b64 vcc, exec, s[2:3]
	s_cbranch_vccz .LBB143_2096
; %bb.2048:
	s_cmp_lt_i32 s21, 5
	s_cbranch_scc1 .LBB143_2053
; %bb.2049:
	s_cmp_lt_i32 s21, 8
	s_cbranch_scc1 .LBB143_2054
	;; [unrolled: 3-line block ×3, first 2 shown]
; %bb.2051:
	s_cmp_gt_i32 s21, 9
	s_cbranch_scc0 .LBB143_2056
; %bb.2052:
	global_load_dwordx2 v[14:15], v[19:20], off
	s_movk_i32 s2, 0xffe0
	s_waitcnt vmcnt(0)
	v_trunc_f64_e32 v[14:15], v[14:15]
	v_ldexp_f64 v[21:22], v[14:15], s2
	s_mov_b32 s2, 0
	s_mov_b32 s3, 0xc1f00000
	v_floor_f64_e32 v[21:22], v[21:22]
	v_fma_f64 v[14:15], v[21:22], s[2:3], v[14:15]
	s_mov_b64 s[2:3], 0
	v_cvt_u32_f64_e32 v14, v[14:15]
	s_branch .LBB143_2057
.LBB143_2053:
	s_mov_b64 s[2:3], -1
                                        ; implicit-def: $vgpr14
	s_branch .LBB143_2075
.LBB143_2054:
	s_mov_b64 s[2:3], -1
                                        ; implicit-def: $vgpr14
	s_branch .LBB143_2063
.LBB143_2055:
	s_mov_b64 s[2:3], -1
                                        ; implicit-def: $vgpr14
	s_branch .LBB143_2060
.LBB143_2056:
	s_mov_b64 s[2:3], -1
                                        ; implicit-def: $vgpr14
.LBB143_2057:
	s_andn2_b64 vcc, exec, s[2:3]
	s_cbranch_vccnz .LBB143_2059
; %bb.2058:
	global_load_dword v1, v[19:20], off
	s_mov_b32 s2, 0x2f800000
	s_waitcnt vmcnt(0)
	v_trunc_f32_e32 v1, v1
	v_mul_f32_e64 v3, |v1|, s2
	v_floor_f32_e32 v3, v3
	s_mov_b32 s2, 0xcf800000
	v_fma_f32 v3, v3, s2, |v1|
	v_cvt_u32_f32_e32 v3, v3
	v_ashrrev_i32_e32 v1, 31, v1
	v_xor_b32_e32 v3, v3, v1
	v_sub_u32_e32 v14, v3, v1
.LBB143_2059:
	s_mov_b64 s[2:3], 0
.LBB143_2060:
	s_andn2_b64 vcc, exec, s[2:3]
	s_cbranch_vccnz .LBB143_2062
; %bb.2061:
	global_load_dword v1, v[19:20], off
	s_waitcnt vmcnt(0)
	v_cvt_f32_f16_e32 v1, v1
	v_cvt_i32_f32_e32 v14, v1
.LBB143_2062:
	s_mov_b64 s[2:3], 0
.LBB143_2063:
	s_andn2_b64 vcc, exec, s[2:3]
	s_cbranch_vccnz .LBB143_2074
; %bb.2064:
	s_cmp_lt_i32 s21, 6
	s_cbranch_scc1 .LBB143_2067
; %bb.2065:
	s_cmp_gt_i32 s21, 6
	s_cbranch_scc0 .LBB143_2068
; %bb.2066:
	global_load_dwordx2 v[14:15], v[19:20], off
	s_movk_i32 s2, 0xffe0
	s_waitcnt vmcnt(0)
	v_trunc_f64_e32 v[14:15], v[14:15]
	v_ldexp_f64 v[21:22], v[14:15], s2
	s_mov_b32 s2, 0
	s_mov_b32 s3, 0xc1f00000
	v_floor_f64_e32 v[21:22], v[21:22]
	v_fma_f64 v[14:15], v[21:22], s[2:3], v[14:15]
	s_mov_b64 s[2:3], 0
	v_cvt_u32_f64_e32 v14, v[14:15]
	s_branch .LBB143_2069
.LBB143_2067:
	s_mov_b64 s[2:3], -1
                                        ; implicit-def: $vgpr14
	s_branch .LBB143_2072
.LBB143_2068:
	s_mov_b64 s[2:3], -1
                                        ; implicit-def: $vgpr14
.LBB143_2069:
	s_andn2_b64 vcc, exec, s[2:3]
	s_cbranch_vccnz .LBB143_2071
; %bb.2070:
	global_load_dword v1, v[19:20], off
	s_mov_b32 s2, 0x2f800000
	s_waitcnt vmcnt(0)
	v_trunc_f32_e32 v1, v1
	v_mul_f32_e64 v3, |v1|, s2
	v_floor_f32_e32 v3, v3
	s_mov_b32 s2, 0xcf800000
	v_fma_f32 v3, v3, s2, |v1|
	v_cvt_u32_f32_e32 v3, v3
	v_ashrrev_i32_e32 v1, 31, v1
	v_xor_b32_e32 v3, v3, v1
	v_sub_u32_e32 v14, v3, v1
.LBB143_2071:
	s_mov_b64 s[2:3], 0
.LBB143_2072:
	s_andn2_b64 vcc, exec, s[2:3]
	s_cbranch_vccnz .LBB143_2074
; %bb.2073:
	global_load_ushort v1, v[19:20], off
	s_waitcnt vmcnt(0)
	v_cvt_f32_f16_e32 v1, v1
	v_cvt_i32_f32_e32 v14, v1
.LBB143_2074:
	s_mov_b64 s[2:3], 0
.LBB143_2075:
	s_andn2_b64 vcc, exec, s[2:3]
	s_cbranch_vccnz .LBB143_2095
; %bb.2076:
	s_cmp_lt_i32 s21, 2
	s_cbranch_scc1 .LBB143_2080
; %bb.2077:
	s_cmp_lt_i32 s21, 3
	s_cbranch_scc1 .LBB143_2081
; %bb.2078:
	s_cmp_gt_i32 s21, 3
	s_cbranch_scc0 .LBB143_2082
; %bb.2079:
	global_load_dwordx2 v[14:15], v[19:20], off
	s_mov_b64 s[2:3], 0
	s_branch .LBB143_2083
.LBB143_2080:
	s_mov_b64 s[2:3], -1
                                        ; implicit-def: $vgpr14
	s_branch .LBB143_2089
.LBB143_2081:
	s_mov_b64 s[2:3], -1
                                        ; implicit-def: $vgpr14
	s_branch .LBB143_2086
.LBB143_2082:
	s_mov_b64 s[2:3], -1
                                        ; implicit-def: $vgpr14
.LBB143_2083:
	s_andn2_b64 vcc, exec, s[2:3]
	s_cbranch_vccnz .LBB143_2085
; %bb.2084:
	global_load_dword v14, v[19:20], off
.LBB143_2085:
	s_mov_b64 s[2:3], 0
.LBB143_2086:
	s_andn2_b64 vcc, exec, s[2:3]
	s_cbranch_vccnz .LBB143_2088
; %bb.2087:
	global_load_ushort v14, v[19:20], off
.LBB143_2088:
	s_mov_b64 s[2:3], 0
.LBB143_2089:
	s_andn2_b64 vcc, exec, s[2:3]
	s_cbranch_vccnz .LBB143_2095
; %bb.2090:
	s_cmp_gt_i32 s21, 0
	s_cbranch_scc0 .LBB143_2092
; %bb.2091:
	global_load_ubyte v14, v[19:20], off
	s_mov_b64 s[2:3], 0
	s_branch .LBB143_2093
.LBB143_2092:
	s_mov_b64 s[2:3], -1
                                        ; implicit-def: $vgpr14
.LBB143_2093:
	s_andn2_b64 vcc, exec, s[2:3]
	s_cbranch_vccnz .LBB143_2095
; %bb.2094:
	global_load_ubyte v14, v[19:20], off
.LBB143_2095:
	s_mov_b64 s[16:17], -1
.LBB143_2096:
	s_andn2_b64 vcc, exec, s[16:17]
	s_cbranch_vccnz .LBB143_3036
; %bb.2097:
	v_mov_b32_e32 v1, s11
	v_add_co_u32_e32 v19, vcc, s10, v18
	s_cmp_lt_i32 s22, 11
	v_addc_co_u32_e32 v20, vcc, 0, v1, vcc
	s_cbranch_scc1 .LBB143_2104
; %bb.2098:
	s_and_b32 s23, 0xffff, s22
	s_cmp_gt_i32 s23, 25
	s_mov_b64 s[6:7], 0
	s_cbranch_scc0 .LBB143_2105
; %bb.2099:
	s_cmp_gt_i32 s23, 28
	s_cbranch_scc0 .LBB143_2106
; %bb.2100:
	s_cmp_gt_i32 s23, 43
	;; [unrolled: 3-line block ×3, first 2 shown]
	s_cbranch_scc0 .LBB143_2109
; %bb.2102:
	s_cmp_eq_u32 s23, 46
	s_mov_b64 s[18:19], 0
	s_cbranch_scc0 .LBB143_2110
; %bb.2103:
	global_load_dword v1, v[19:20], off
	s_mov_b32 s2, 0x2f800000
	s_mov_b32 s3, 0xcf800000
	s_mov_b64 s[16:17], -1
	s_waitcnt vmcnt(0)
	v_lshlrev_b32_e32 v1, 16, v1
	v_trunc_f32_e32 v1, v1
	v_mul_f32_e64 v3, |v1|, s2
	v_floor_f32_e32 v3, v3
	v_fma_f32 v3, v3, s3, |v1|
	v_cvt_u32_f32_e32 v3, v3
	v_ashrrev_i32_e32 v1, 31, v1
	s_mov_b64 s[2:3], 0
	v_xor_b32_e32 v3, v3, v1
	v_sub_u32_e32 v17, v3, v1
	s_branch .LBB143_2111
.LBB143_2104:
	s_mov_b64 s[2:3], -1
	s_mov_b64 s[16:17], 0
                                        ; implicit-def: $vgpr17
	s_branch .LBB143_2173
.LBB143_2105:
	s_mov_b64 s[18:19], -1
	s_mov_b64 s[16:17], 0
	s_mov_b64 s[2:3], 0
                                        ; implicit-def: $vgpr17
	s_branch .LBB143_2138
.LBB143_2106:
	s_mov_b64 s[18:19], -1
	s_mov_b64 s[16:17], 0
	s_mov_b64 s[2:3], 0
                                        ; implicit-def: $vgpr17
	s_branch .LBB143_2121
.LBB143_2107:
	s_mov_b64 s[18:19], -1
	s_mov_b64 s[16:17], 0
	s_mov_b64 s[2:3], 0
                                        ; implicit-def: $vgpr17
	s_branch .LBB143_2116
.LBB143_2108:
	s_trap 2
	s_or_b64 s[4:5], s[4:5], exec
	s_cbranch_execz .LBB143_2045
	s_branch .LBB143_2046
.LBB143_2109:
	s_mov_b64 s[18:19], -1
	s_mov_b64 s[16:17], 0
	s_mov_b64 s[2:3], 0
                                        ; implicit-def: $vgpr17
	s_branch .LBB143_2111
.LBB143_2110:
	s_mov_b64 s[2:3], -1
                                        ; implicit-def: $vgpr17
	s_mov_b64 s[16:17], 0
.LBB143_2111:
	s_and_b64 vcc, exec, s[18:19]
	s_cbranch_vccz .LBB143_2115
; %bb.2112:
	s_cmp_eq_u32 s23, 44
	s_cbranch_scc0 .LBB143_2114
; %bb.2113:
	global_load_ubyte v1, v[19:20], off
	s_mov_b32 s2, 0x2f800000
	s_mov_b32 s3, 0xcf800000
	s_mov_b64 s[16:17], -1
	s_waitcnt vmcnt(0)
	v_lshlrev_b32_e32 v3, 23, v1
	v_trunc_f32_e32 v3, v3
	v_mul_f32_e64 v5, |v3|, s2
	v_floor_f32_e32 v5, v5
	v_fma_f32 v5, v5, s3, |v3|
	v_cvt_u32_f32_e32 v5, v5
	v_ashrrev_i32_e32 v3, 31, v3
	v_cmp_ne_u32_e32 vcc, 0, v1
	s_mov_b64 s[2:3], 0
	v_xor_b32_e32 v5, v5, v3
	v_sub_u32_e32 v3, v5, v3
	v_cndmask_b32_e32 v17, 0, v3, vcc
	s_branch .LBB143_2115
.LBB143_2114:
	s_mov_b64 s[2:3], -1
                                        ; implicit-def: $vgpr17
.LBB143_2115:
	s_mov_b64 s[18:19], 0
.LBB143_2116:
	s_and_b64 vcc, exec, s[18:19]
	s_cbranch_vccz .LBB143_2120
; %bb.2117:
	s_cmp_eq_u32 s23, 29
	s_cbranch_scc0 .LBB143_2119
; %bb.2118:
	global_load_dwordx2 v[17:18], v[19:20], off
	s_mov_b64 s[2:3], 0
	s_mov_b64 s[16:17], -1
	s_branch .LBB143_2120
.LBB143_2119:
	s_mov_b64 s[2:3], -1
                                        ; implicit-def: $vgpr17
.LBB143_2120:
	s_mov_b64 s[18:19], 0
.LBB143_2121:
	s_and_b64 vcc, exec, s[18:19]
	s_cbranch_vccz .LBB143_2137
; %bb.2122:
	s_cmp_lt_i32 s23, 27
	s_cbranch_scc1 .LBB143_2125
; %bb.2123:
	s_cmp_gt_i32 s23, 27
	s_cbranch_scc0 .LBB143_2126
; %bb.2124:
	global_load_dword v17, v[19:20], off
	s_mov_b64 s[16:17], 0
	s_branch .LBB143_2127
.LBB143_2125:
	s_mov_b64 s[16:17], -1
                                        ; implicit-def: $vgpr17
	s_branch .LBB143_2130
.LBB143_2126:
	s_mov_b64 s[16:17], -1
                                        ; implicit-def: $vgpr17
.LBB143_2127:
	s_andn2_b64 vcc, exec, s[16:17]
	s_cbranch_vccnz .LBB143_2129
; %bb.2128:
	global_load_ushort v17, v[19:20], off
.LBB143_2129:
	s_mov_b64 s[16:17], 0
.LBB143_2130:
	s_andn2_b64 vcc, exec, s[16:17]
	s_cbranch_vccnz .LBB143_2136
; %bb.2131:
	global_load_ubyte v1, v[19:20], off
	s_movk_i32 s16, 0x7f
	s_mov_b64 s[18:19], 0
	s_waitcnt vmcnt(0)
	v_cmp_lt_i16_e32 vcc, s16, v1
	s_and_saveexec_b64 s[16:17], vcc
	s_xor_b64 s[16:17], exec, s[16:17]
	s_cbranch_execz .LBB143_2148
; %bb.2132:
	s_movk_i32 s18, 0x80
	v_cmp_ne_u16_e32 vcc, s18, v1
	s_and_b64 s[18:19], vcc, exec
	s_andn2_saveexec_b64 s[16:17], s[16:17]
	s_cbranch_execnz .LBB143_2149
.LBB143_2133:
	s_or_b64 exec, exec, s[16:17]
	v_mov_b32_e32 v17, 0
	s_and_saveexec_b64 s[16:17], s[18:19]
	s_cbranch_execz .LBB143_2135
.LBB143_2134:
	v_lshlrev_b32_e32 v3, 24, v1
	v_and_b32_e32 v1, 0xffff, v1
	v_and_b32_e32 v5, 7, v1
	v_ffbh_u32_e32 v12, v5
	v_min_u32_e32 v12, 32, v12
	v_subrev_u32_e32 v15, 28, v12
	v_bfe_u32 v8, v1, 3, 4
	v_lshlrev_b32_e32 v1, v15, v1
	v_sub_u32_e32 v12, 29, v12
	v_and_b32_e32 v1, 7, v1
	v_cmp_eq_u32_e32 vcc, 0, v8
	v_cndmask_b32_e32 v8, v8, v12, vcc
	v_cndmask_b32_e32 v1, v5, v1, vcc
	v_mov_b32_e32 v5, 0x3b800000
	v_lshlrev_b32_e32 v1, 20, v1
	v_and_b32_e32 v3, 0x80000000, v3
	v_lshl_add_u32 v5, v8, 23, v5
	v_or3_b32 v1, v3, v5, v1
	v_trunc_f32_e32 v1, v1
	s_mov_b32 s18, 0x2f800000
	v_mul_f32_e64 v3, |v1|, s18
	v_floor_f32_e32 v3, v3
	s_mov_b32 s18, 0xcf800000
	v_fma_f32 v3, v3, s18, |v1|
	v_cvt_u32_f32_e32 v3, v3
	v_ashrrev_i32_e32 v1, 31, v1
	v_xor_b32_e32 v3, v3, v1
	v_sub_u32_e32 v17, v3, v1
.LBB143_2135:
	s_or_b64 exec, exec, s[16:17]
.LBB143_2136:
	s_mov_b64 s[16:17], -1
.LBB143_2137:
	s_mov_b64 s[18:19], 0
.LBB143_2138:
	s_and_b64 vcc, exec, s[18:19]
	s_cbranch_vccz .LBB143_2169
; %bb.2139:
	s_cmp_gt_i32 s23, 22
	s_cbranch_scc0 .LBB143_2147
; %bb.2140:
	s_cmp_lt_i32 s23, 24
	s_cbranch_scc1 .LBB143_2150
; %bb.2141:
	s_cmp_gt_i32 s23, 24
	s_cbranch_scc0 .LBB143_2151
; %bb.2142:
	global_load_ubyte v1, v[19:20], off
	s_movk_i32 s6, 0x7f
	s_mov_b64 s[16:17], 0
	s_waitcnt vmcnt(0)
	v_cmp_lt_i16_e32 vcc, s6, v1
	s_and_saveexec_b64 s[6:7], vcc
	s_xor_b64 s[6:7], exec, s[6:7]
	s_cbranch_execz .LBB143_2163
; %bb.2143:
	s_movk_i32 s16, 0x80
	v_cmp_ne_u16_e32 vcc, s16, v1
	s_and_b64 s[16:17], vcc, exec
	s_andn2_saveexec_b64 s[6:7], s[6:7]
	s_cbranch_execnz .LBB143_2164
.LBB143_2144:
	s_or_b64 exec, exec, s[6:7]
	v_mov_b32_e32 v17, 0
	s_and_saveexec_b64 s[6:7], s[16:17]
	s_cbranch_execz .LBB143_2146
.LBB143_2145:
	v_lshlrev_b32_e32 v3, 24, v1
	v_and_b32_e32 v1, 0xffff, v1
	v_and_b32_e32 v5, 3, v1
	v_ffbh_u32_e32 v12, v5
	v_min_u32_e32 v12, 32, v12
	v_subrev_u32_e32 v15, 29, v12
	v_bfe_u32 v8, v1, 2, 5
	v_lshlrev_b32_e32 v1, v15, v1
	v_sub_u32_e32 v12, 30, v12
	v_and_b32_e32 v1, 3, v1
	v_cmp_eq_u32_e32 vcc, 0, v8
	v_cndmask_b32_e32 v8, v8, v12, vcc
	v_cndmask_b32_e32 v1, v5, v1, vcc
	v_mov_b32_e32 v5, 0x37800000
	v_lshlrev_b32_e32 v1, 21, v1
	v_and_b32_e32 v3, 0x80000000, v3
	v_lshl_add_u32 v5, v8, 23, v5
	v_or3_b32 v1, v3, v5, v1
	v_trunc_f32_e32 v1, v1
	s_mov_b32 s16, 0x2f800000
	v_mul_f32_e64 v3, |v1|, s16
	v_floor_f32_e32 v3, v3
	s_mov_b32 s16, 0xcf800000
	v_fma_f32 v3, v3, s16, |v1|
	v_cvt_u32_f32_e32 v3, v3
	v_ashrrev_i32_e32 v1, 31, v1
	v_xor_b32_e32 v3, v3, v1
	v_sub_u32_e32 v17, v3, v1
.LBB143_2146:
	s_or_b64 exec, exec, s[6:7]
	s_mov_b64 s[6:7], 0
	s_branch .LBB143_2152
.LBB143_2147:
	s_mov_b64 s[6:7], -1
                                        ; implicit-def: $vgpr17
	s_branch .LBB143_2158
.LBB143_2148:
	s_andn2_saveexec_b64 s[16:17], s[16:17]
	s_cbranch_execz .LBB143_2133
.LBB143_2149:
	v_cmp_ne_u16_e32 vcc, 0, v1
	s_andn2_b64 s[18:19], s[18:19], exec
	s_and_b64 s[24:25], vcc, exec
	s_or_b64 s[18:19], s[18:19], s[24:25]
	s_or_b64 exec, exec, s[16:17]
	v_mov_b32_e32 v17, 0
	s_and_saveexec_b64 s[16:17], s[18:19]
	s_cbranch_execnz .LBB143_2134
	s_branch .LBB143_2135
.LBB143_2150:
	s_mov_b64 s[6:7], -1
                                        ; implicit-def: $vgpr17
	s_branch .LBB143_2155
.LBB143_2151:
	s_mov_b64 s[6:7], -1
                                        ; implicit-def: $vgpr17
.LBB143_2152:
	s_and_b64 vcc, exec, s[6:7]
	s_cbranch_vccz .LBB143_2154
; %bb.2153:
	global_load_ubyte v1, v[19:20], off
	s_mov_b32 s6, 0x7f800000
	s_brev_b32 s7, 1
	s_mov_b32 s16, 0x2f800000
	s_waitcnt vmcnt(0)
	v_lshlrev_b32_e32 v1, 24, v1
	v_and_b32_e32 v3, 0x7f000000, v1
	v_ffbh_u32_e32 v5, v3
	v_min_u32_e32 v5, 32, v5
	v_sub_u32_e64 v5, v5, 4 clamp
	v_lshlrev_b32_e32 v12, v5, v3
	v_lshlrev_b32_e32 v5, 23, v5
	v_lshrrev_b32_e32 v12, 4, v12
	v_add_u32_e32 v8, 0x1000000, v3
	v_sub_u32_e32 v5, v12, v5
	v_ashrrev_i32_e32 v8, 8, v8
	v_add_u32_e32 v5, 0x3c000000, v5
	v_and_or_b32 v5, v8, s6, v5
	v_cmp_ne_u32_e32 vcc, 0, v3
	v_cndmask_b32_e32 v3, 0, v5, vcc
	v_and_or_b32 v1, v1, s7, v3
	v_trunc_f32_e32 v1, v1
	v_mul_f32_e64 v3, |v1|, s16
	v_floor_f32_e32 v3, v3
	s_mov_b32 s6, 0xcf800000
	v_fma_f32 v3, v3, s6, |v1|
	v_cvt_u32_f32_e32 v3, v3
	v_ashrrev_i32_e32 v1, 31, v1
	v_xor_b32_e32 v3, v3, v1
	v_sub_u32_e32 v17, v3, v1
.LBB143_2154:
	s_mov_b64 s[6:7], 0
.LBB143_2155:
	s_andn2_b64 vcc, exec, s[6:7]
	s_cbranch_vccnz .LBB143_2157
; %bb.2156:
	global_load_ubyte v1, v[19:20], off
	s_movk_i32 s6, 0x7f00
	s_brev_b32 s7, 16
	s_brev_b32 s16, 1
	s_mov_b32 s17, 0x2f800000
	s_waitcnt vmcnt(0)
	v_lshlrev_b16_e32 v3, 8, v1
	v_lshlrev_b32_e32 v1, 25, v1
	v_lshrrev_b32_e32 v5, 4, v1
	v_and_or_b32 v8, v3, s6, 0.5
	v_or_b32_e32 v5, 0x70000000, v5
	v_add_f32_e32 v8, -0.5, v8
	v_mul_f32_e32 v5, 0x7800000, v5
	v_cmp_gt_u32_e32 vcc, s7, v1
	v_bfe_i32 v3, v3, 0, 16
	v_cndmask_b32_e32 v1, v5, v8, vcc
	v_and_or_b32 v1, v3, s16, v1
	v_trunc_f32_e32 v1, v1
	v_mul_f32_e64 v3, |v1|, s17
	v_floor_f32_e32 v3, v3
	s_mov_b32 s6, 0xcf800000
	v_fma_f32 v3, v3, s6, |v1|
	v_cvt_u32_f32_e32 v3, v3
	v_ashrrev_i32_e32 v1, 31, v1
	v_xor_b32_e32 v3, v3, v1
	v_sub_u32_e32 v17, v3, v1
.LBB143_2157:
	s_mov_b64 s[6:7], 0
	s_mov_b64 s[16:17], -1
.LBB143_2158:
	s_andn2_b64 vcc, exec, s[6:7]
	s_mov_b64 s[6:7], 0
	s_cbranch_vccnz .LBB143_2169
; %bb.2159:
	s_cmp_gt_i32 s23, 14
	s_cbranch_scc0 .LBB143_2162
; %bb.2160:
	s_cmp_eq_u32 s23, 15
	s_cbranch_scc0 .LBB143_2165
; %bb.2161:
	global_load_ushort v1, v[19:20], off
	s_mov_b32 s2, 0x2f800000
	s_mov_b32 s3, 0xcf800000
	s_mov_b64 s[16:17], -1
	s_waitcnt vmcnt(0)
	v_lshlrev_b32_e32 v1, 16, v1
	v_trunc_f32_e32 v1, v1
	v_mul_f32_e64 v3, |v1|, s2
	v_floor_f32_e32 v3, v3
	v_fma_f32 v3, v3, s3, |v1|
	v_cvt_u32_f32_e32 v3, v3
	v_ashrrev_i32_e32 v1, 31, v1
	s_mov_b64 s[2:3], 0
	v_xor_b32_e32 v3, v3, v1
	v_sub_u32_e32 v17, v3, v1
	s_branch .LBB143_2166
.LBB143_2162:
	s_mov_b64 s[18:19], -1
                                        ; implicit-def: $vgpr17
	s_branch .LBB143_2167
.LBB143_2163:
	s_andn2_saveexec_b64 s[6:7], s[6:7]
	s_cbranch_execz .LBB143_2144
.LBB143_2164:
	v_cmp_ne_u16_e32 vcc, 0, v1
	s_andn2_b64 s[16:17], s[16:17], exec
	s_and_b64 s[18:19], vcc, exec
	s_or_b64 s[16:17], s[16:17], s[18:19]
	s_or_b64 exec, exec, s[6:7]
	v_mov_b32_e32 v17, 0
	s_and_saveexec_b64 s[6:7], s[16:17]
	s_cbranch_execnz .LBB143_2145
	s_branch .LBB143_2146
.LBB143_2165:
	s_mov_b64 s[2:3], -1
                                        ; implicit-def: $vgpr17
.LBB143_2166:
	s_mov_b64 s[18:19], 0
.LBB143_2167:
	s_and_b64 vcc, exec, s[18:19]
	s_cbranch_vccz .LBB143_2169
; %bb.2168:
	s_cmp_lg_u32 s23, 11
	s_mov_b64 s[6:7], -1
	s_cselect_b64 s[2:3], -1, 0
.LBB143_2169:
	s_and_b64 vcc, exec, s[2:3]
	s_cbranch_vccnz .LBB143_2234
; %bb.2170:
	s_andn2_b64 vcc, exec, s[6:7]
	s_cbranch_vccnz .LBB143_2172
.LBB143_2171:
	global_load_ubyte v1, v[19:20], off
	s_mov_b64 s[16:17], -1
	s_waitcnt vmcnt(0)
	v_cmp_ne_u16_e32 vcc, 0, v1
	v_cndmask_b32_e64 v17, 0, 1, vcc
.LBB143_2172:
	s_mov_b64 s[2:3], 0
.LBB143_2173:
	s_and_b64 vcc, exec, s[2:3]
	s_cbranch_vccz .LBB143_2222
; %bb.2174:
	s_and_b32 s6, 0xffff, s22
	s_cmp_lt_i32 s6, 5
	s_cbranch_scc1 .LBB143_2179
; %bb.2175:
	s_cmp_lt_i32 s6, 8
	s_cbranch_scc1 .LBB143_2180
; %bb.2176:
	;; [unrolled: 3-line block ×3, first 2 shown]
	s_cmp_gt_i32 s6, 9
	s_cbranch_scc0 .LBB143_2182
; %bb.2178:
	global_load_dwordx2 v[17:18], v[19:20], off
	s_movk_i32 s2, 0xffe0
	s_waitcnt vmcnt(0)
	v_trunc_f64_e32 v[17:18], v[17:18]
	v_ldexp_f64 v[21:22], v[17:18], s2
	s_mov_b32 s2, 0
	s_mov_b32 s3, 0xc1f00000
	v_floor_f64_e32 v[21:22], v[21:22]
	v_fma_f64 v[17:18], v[21:22], s[2:3], v[17:18]
	s_mov_b64 s[2:3], 0
	v_cvt_u32_f64_e32 v17, v[17:18]
	s_branch .LBB143_2183
.LBB143_2179:
	s_mov_b64 s[2:3], -1
                                        ; implicit-def: $vgpr17
	s_branch .LBB143_2201
.LBB143_2180:
	s_mov_b64 s[2:3], -1
                                        ; implicit-def: $vgpr17
	s_branch .LBB143_2189
.LBB143_2181:
	s_mov_b64 s[2:3], -1
                                        ; implicit-def: $vgpr17
	s_branch .LBB143_2186
.LBB143_2182:
	s_mov_b64 s[2:3], -1
                                        ; implicit-def: $vgpr17
.LBB143_2183:
	s_andn2_b64 vcc, exec, s[2:3]
	s_cbranch_vccnz .LBB143_2185
; %bb.2184:
	global_load_dword v1, v[19:20], off
	s_mov_b32 s2, 0x2f800000
	s_waitcnt vmcnt(0)
	v_trunc_f32_e32 v1, v1
	v_mul_f32_e64 v3, |v1|, s2
	v_floor_f32_e32 v3, v3
	s_mov_b32 s2, 0xcf800000
	v_fma_f32 v3, v3, s2, |v1|
	v_cvt_u32_f32_e32 v3, v3
	v_ashrrev_i32_e32 v1, 31, v1
	v_xor_b32_e32 v3, v3, v1
	v_sub_u32_e32 v17, v3, v1
.LBB143_2185:
	s_mov_b64 s[2:3], 0
.LBB143_2186:
	s_andn2_b64 vcc, exec, s[2:3]
	s_cbranch_vccnz .LBB143_2188
; %bb.2187:
	global_load_dword v1, v[19:20], off
	s_waitcnt vmcnt(0)
	v_cvt_f32_f16_e32 v1, v1
	v_cvt_i32_f32_e32 v17, v1
.LBB143_2188:
	s_mov_b64 s[2:3], 0
.LBB143_2189:
	s_andn2_b64 vcc, exec, s[2:3]
	s_cbranch_vccnz .LBB143_2200
; %bb.2190:
	s_cmp_lt_i32 s6, 6
	s_cbranch_scc1 .LBB143_2193
; %bb.2191:
	s_cmp_gt_i32 s6, 6
	s_cbranch_scc0 .LBB143_2194
; %bb.2192:
	global_load_dwordx2 v[17:18], v[19:20], off
	s_movk_i32 s2, 0xffe0
	s_waitcnt vmcnt(0)
	v_trunc_f64_e32 v[17:18], v[17:18]
	v_ldexp_f64 v[21:22], v[17:18], s2
	s_mov_b32 s2, 0
	s_mov_b32 s3, 0xc1f00000
	v_floor_f64_e32 v[21:22], v[21:22]
	v_fma_f64 v[17:18], v[21:22], s[2:3], v[17:18]
	s_mov_b64 s[2:3], 0
	v_cvt_u32_f64_e32 v17, v[17:18]
	s_branch .LBB143_2195
.LBB143_2193:
	s_mov_b64 s[2:3], -1
                                        ; implicit-def: $vgpr17
	s_branch .LBB143_2198
.LBB143_2194:
	s_mov_b64 s[2:3], -1
                                        ; implicit-def: $vgpr17
.LBB143_2195:
	s_andn2_b64 vcc, exec, s[2:3]
	s_cbranch_vccnz .LBB143_2197
; %bb.2196:
	global_load_dword v1, v[19:20], off
	s_mov_b32 s2, 0x2f800000
	s_waitcnt vmcnt(0)
	v_trunc_f32_e32 v1, v1
	v_mul_f32_e64 v3, |v1|, s2
	v_floor_f32_e32 v3, v3
	s_mov_b32 s2, 0xcf800000
	v_fma_f32 v3, v3, s2, |v1|
	v_cvt_u32_f32_e32 v3, v3
	v_ashrrev_i32_e32 v1, 31, v1
	v_xor_b32_e32 v3, v3, v1
	v_sub_u32_e32 v17, v3, v1
.LBB143_2197:
	s_mov_b64 s[2:3], 0
.LBB143_2198:
	s_andn2_b64 vcc, exec, s[2:3]
	s_cbranch_vccnz .LBB143_2200
; %bb.2199:
	global_load_ushort v1, v[19:20], off
	s_waitcnt vmcnt(0)
	v_cvt_f32_f16_e32 v1, v1
	v_cvt_i32_f32_e32 v17, v1
.LBB143_2200:
	s_mov_b64 s[2:3], 0
.LBB143_2201:
	s_andn2_b64 vcc, exec, s[2:3]
	s_cbranch_vccnz .LBB143_2221
; %bb.2202:
	s_cmp_lt_i32 s6, 2
	s_cbranch_scc1 .LBB143_2206
; %bb.2203:
	s_cmp_lt_i32 s6, 3
	s_cbranch_scc1 .LBB143_2207
; %bb.2204:
	s_cmp_gt_i32 s6, 3
	s_cbranch_scc0 .LBB143_2208
; %bb.2205:
	global_load_dwordx2 v[17:18], v[19:20], off
	s_mov_b64 s[2:3], 0
	s_branch .LBB143_2209
.LBB143_2206:
	s_mov_b64 s[2:3], -1
                                        ; implicit-def: $vgpr17
	s_branch .LBB143_2215
.LBB143_2207:
	s_mov_b64 s[2:3], -1
                                        ; implicit-def: $vgpr17
	s_branch .LBB143_2212
.LBB143_2208:
	s_mov_b64 s[2:3], -1
                                        ; implicit-def: $vgpr17
.LBB143_2209:
	s_andn2_b64 vcc, exec, s[2:3]
	s_cbranch_vccnz .LBB143_2211
; %bb.2210:
	global_load_dword v17, v[19:20], off
.LBB143_2211:
	s_mov_b64 s[2:3], 0
.LBB143_2212:
	s_andn2_b64 vcc, exec, s[2:3]
	s_cbranch_vccnz .LBB143_2214
; %bb.2213:
	global_load_ushort v17, v[19:20], off
.LBB143_2214:
	s_mov_b64 s[2:3], 0
.LBB143_2215:
	s_andn2_b64 vcc, exec, s[2:3]
	s_cbranch_vccnz .LBB143_2221
; %bb.2216:
	s_cmp_gt_i32 s6, 0
	s_cbranch_scc0 .LBB143_2218
; %bb.2217:
	global_load_ubyte v17, v[19:20], off
	s_mov_b64 s[2:3], 0
	s_branch .LBB143_2219
.LBB143_2218:
	s_mov_b64 s[2:3], -1
                                        ; implicit-def: $vgpr17
.LBB143_2219:
	s_andn2_b64 vcc, exec, s[2:3]
	s_cbranch_vccnz .LBB143_2221
; %bb.2220:
	global_load_ubyte v17, v[19:20], off
.LBB143_2221:
	s_mov_b64 s[16:17], -1
.LBB143_2222:
	s_andn2_b64 vcc, exec, s[16:17]
	s_cbranch_vccnz .LBB143_3036
; %bb.2223:
	v_mov_b32_e32 v1, s1
	s_waitcnt vmcnt(0)
	v_add_co_u32_e32 v18, vcc, s0, v16
	s_cmp_lt_i32 s21, 11
	v_addc_co_u32_e32 v19, vcc, 0, v1, vcc
	s_cbranch_scc1 .LBB143_2230
; %bb.2224:
	s_cmp_gt_i32 s21, 25
	s_mov_b64 s[6:7], 0
	s_cbranch_scc0 .LBB143_2231
; %bb.2225:
	s_cmp_gt_i32 s21, 28
	s_cbranch_scc0 .LBB143_2232
; %bb.2226:
	s_cmp_gt_i32 s21, 43
	;; [unrolled: 3-line block ×3, first 2 shown]
	s_cbranch_scc0 .LBB143_2235
; %bb.2228:
	s_cmp_eq_u32 s21, 46
	s_mov_b64 s[18:19], 0
	s_cbranch_scc0 .LBB143_2238
; %bb.2229:
	global_load_dword v1, v[18:19], off
	s_mov_b32 s2, 0x2f800000
	s_mov_b32 s3, 0xcf800000
	s_mov_b64 s[16:17], -1
	s_waitcnt vmcnt(0)
	v_lshlrev_b32_e32 v1, 16, v1
	v_trunc_f32_e32 v1, v1
	v_mul_f32_e64 v3, |v1|, s2
	v_floor_f32_e32 v3, v3
	v_fma_f32 v3, v3, s3, |v1|
	v_cvt_u32_f32_e32 v3, v3
	v_ashrrev_i32_e32 v1, 31, v1
	s_mov_b64 s[2:3], 0
	v_xor_b32_e32 v3, v3, v1
	v_sub_u32_e32 v15, v3, v1
	s_branch .LBB143_2239
.LBB143_2230:
	s_mov_b64 s[2:3], -1
	s_mov_b64 s[16:17], 0
                                        ; implicit-def: $vgpr15
	s_branch .LBB143_2301
.LBB143_2231:
	s_mov_b64 s[18:19], -1
	s_mov_b64 s[16:17], 0
	s_mov_b64 s[2:3], 0
                                        ; implicit-def: $vgpr15
	s_branch .LBB143_2266
.LBB143_2232:
	s_mov_b64 s[18:19], -1
	s_mov_b64 s[16:17], 0
	s_mov_b64 s[2:3], 0
                                        ; implicit-def: $vgpr15
	s_branch .LBB143_2249
.LBB143_2233:
	s_mov_b64 s[18:19], -1
	s_mov_b64 s[16:17], 0
	s_mov_b64 s[2:3], 0
                                        ; implicit-def: $vgpr15
	s_branch .LBB143_2244
.LBB143_2234:
	s_trap 2
	s_or_b64 s[4:5], s[4:5], exec
	s_cbranch_execz .LBB143_2171
	s_branch .LBB143_2172
.LBB143_2235:
	s_mov_b64 s[18:19], -1
	s_mov_b64 s[16:17], 0
	s_mov_b64 s[2:3], 0
                                        ; implicit-def: $vgpr15
	s_branch .LBB143_2239
.LBB143_2236:
	s_andn2_saveexec_b64 s[62:63], s[62:63]
	s_cbranch_execz .LBB143_1095
.LBB143_2237:
	v_add_f32_e32 v3, 0x42800000, v4
	v_and_b32_e32 v3, 0xff, v3
	v_cmp_ne_u32_e32 vcc, 0, v3
	s_andn2_b64 s[60:61], s[60:61], exec
	s_and_b64 s[74:75], vcc, exec
	s_or_b64 s[60:61], s[60:61], s[74:75]
	s_or_b64 exec, exec, s[62:63]
	v_mov_b32_e32 v5, 0
	s_and_saveexec_b64 s[62:63], s[60:61]
	s_cbranch_execnz .LBB143_1096
	s_branch .LBB143_1097
.LBB143_2238:
	s_mov_b64 s[2:3], -1
                                        ; implicit-def: $vgpr15
	s_mov_b64 s[16:17], 0
.LBB143_2239:
	s_and_b64 vcc, exec, s[18:19]
	s_cbranch_vccz .LBB143_2243
; %bb.2240:
	s_cmp_eq_u32 s21, 44
	s_cbranch_scc0 .LBB143_2242
; %bb.2241:
	global_load_ubyte v1, v[18:19], off
	s_mov_b32 s2, 0x2f800000
	s_mov_b32 s3, 0xcf800000
	s_mov_b64 s[16:17], -1
	s_waitcnt vmcnt(0)
	v_lshlrev_b32_e32 v3, 23, v1
	v_trunc_f32_e32 v3, v3
	v_mul_f32_e64 v5, |v3|, s2
	v_floor_f32_e32 v5, v5
	v_fma_f32 v5, v5, s3, |v3|
	v_cvt_u32_f32_e32 v5, v5
	v_ashrrev_i32_e32 v3, 31, v3
	v_cmp_ne_u32_e32 vcc, 0, v1
	s_mov_b64 s[2:3], 0
	v_xor_b32_e32 v5, v5, v3
	v_sub_u32_e32 v3, v5, v3
	v_cndmask_b32_e32 v15, 0, v3, vcc
	s_branch .LBB143_2243
.LBB143_2242:
	s_mov_b64 s[2:3], -1
                                        ; implicit-def: $vgpr15
.LBB143_2243:
	s_mov_b64 s[18:19], 0
.LBB143_2244:
	s_and_b64 vcc, exec, s[18:19]
	s_cbranch_vccz .LBB143_2248
; %bb.2245:
	s_cmp_eq_u32 s21, 29
	s_cbranch_scc0 .LBB143_2247
; %bb.2246:
	global_load_dwordx2 v[15:16], v[18:19], off
	s_mov_b64 s[2:3], 0
	s_mov_b64 s[16:17], -1
	s_branch .LBB143_2248
.LBB143_2247:
	s_mov_b64 s[2:3], -1
                                        ; implicit-def: $vgpr15
.LBB143_2248:
	s_mov_b64 s[18:19], 0
.LBB143_2249:
	s_and_b64 vcc, exec, s[18:19]
	s_cbranch_vccz .LBB143_2265
; %bb.2250:
	s_cmp_lt_i32 s21, 27
	s_cbranch_scc1 .LBB143_2253
; %bb.2251:
	s_cmp_gt_i32 s21, 27
	s_cbranch_scc0 .LBB143_2254
; %bb.2252:
	global_load_dword v15, v[18:19], off
	s_mov_b64 s[16:17], 0
	s_branch .LBB143_2255
.LBB143_2253:
	s_mov_b64 s[16:17], -1
                                        ; implicit-def: $vgpr15
	s_branch .LBB143_2258
.LBB143_2254:
	s_mov_b64 s[16:17], -1
                                        ; implicit-def: $vgpr15
.LBB143_2255:
	s_andn2_b64 vcc, exec, s[16:17]
	s_cbranch_vccnz .LBB143_2257
; %bb.2256:
	global_load_ushort v15, v[18:19], off
.LBB143_2257:
	s_mov_b64 s[16:17], 0
.LBB143_2258:
	s_andn2_b64 vcc, exec, s[16:17]
	s_cbranch_vccnz .LBB143_2264
; %bb.2259:
	global_load_ubyte v1, v[18:19], off
	s_movk_i32 s16, 0x7f
	s_mov_b64 s[18:19], 0
	s_waitcnt vmcnt(0)
	v_cmp_lt_i16_e32 vcc, s16, v1
	s_and_saveexec_b64 s[16:17], vcc
	s_xor_b64 s[16:17], exec, s[16:17]
	s_cbranch_execz .LBB143_2276
; %bb.2260:
	s_movk_i32 s18, 0x80
	v_cmp_ne_u16_e32 vcc, s18, v1
	s_and_b64 s[18:19], vcc, exec
	s_andn2_saveexec_b64 s[16:17], s[16:17]
	s_cbranch_execnz .LBB143_2277
.LBB143_2261:
	s_or_b64 exec, exec, s[16:17]
	v_mov_b32_e32 v15, 0
	s_and_saveexec_b64 s[16:17], s[18:19]
	s_cbranch_execz .LBB143_2263
.LBB143_2262:
	v_lshlrev_b32_e32 v3, 24, v1
	v_and_b32_e32 v1, 0xffff, v1
	v_and_b32_e32 v5, 7, v1
	v_ffbh_u32_e32 v12, v5
	v_min_u32_e32 v12, 32, v12
	v_subrev_u32_e32 v15, 28, v12
	v_bfe_u32 v8, v1, 3, 4
	v_lshlrev_b32_e32 v1, v15, v1
	v_sub_u32_e32 v12, 29, v12
	v_and_b32_e32 v1, 7, v1
	v_cmp_eq_u32_e32 vcc, 0, v8
	v_cndmask_b32_e32 v8, v8, v12, vcc
	v_cndmask_b32_e32 v1, v5, v1, vcc
	v_mov_b32_e32 v5, 0x3b800000
	v_lshlrev_b32_e32 v1, 20, v1
	v_and_b32_e32 v3, 0x80000000, v3
	v_lshl_add_u32 v5, v8, 23, v5
	v_or3_b32 v1, v3, v5, v1
	v_trunc_f32_e32 v1, v1
	s_mov_b32 s18, 0x2f800000
	v_mul_f32_e64 v3, |v1|, s18
	v_floor_f32_e32 v3, v3
	s_mov_b32 s18, 0xcf800000
	v_fma_f32 v3, v3, s18, |v1|
	v_cvt_u32_f32_e32 v3, v3
	v_ashrrev_i32_e32 v1, 31, v1
	v_xor_b32_e32 v3, v3, v1
	v_sub_u32_e32 v15, v3, v1
.LBB143_2263:
	s_or_b64 exec, exec, s[16:17]
.LBB143_2264:
	s_mov_b64 s[16:17], -1
.LBB143_2265:
	s_mov_b64 s[18:19], 0
.LBB143_2266:
	s_and_b64 vcc, exec, s[18:19]
	s_cbranch_vccz .LBB143_2297
; %bb.2267:
	s_cmp_gt_i32 s21, 22
	s_cbranch_scc0 .LBB143_2275
; %bb.2268:
	s_cmp_lt_i32 s21, 24
	s_cbranch_scc1 .LBB143_2278
; %bb.2269:
	s_cmp_gt_i32 s21, 24
	s_cbranch_scc0 .LBB143_2279
; %bb.2270:
	global_load_ubyte v1, v[18:19], off
	s_movk_i32 s6, 0x7f
	s_mov_b64 s[16:17], 0
	s_waitcnt vmcnt(0)
	v_cmp_lt_i16_e32 vcc, s6, v1
	s_and_saveexec_b64 s[6:7], vcc
	s_xor_b64 s[6:7], exec, s[6:7]
	s_cbranch_execz .LBB143_2291
; %bb.2271:
	s_movk_i32 s16, 0x80
	v_cmp_ne_u16_e32 vcc, s16, v1
	s_and_b64 s[16:17], vcc, exec
	s_andn2_saveexec_b64 s[6:7], s[6:7]
	s_cbranch_execnz .LBB143_2292
.LBB143_2272:
	s_or_b64 exec, exec, s[6:7]
	v_mov_b32_e32 v15, 0
	s_and_saveexec_b64 s[6:7], s[16:17]
	s_cbranch_execz .LBB143_2274
.LBB143_2273:
	v_lshlrev_b32_e32 v3, 24, v1
	v_and_b32_e32 v1, 0xffff, v1
	v_and_b32_e32 v5, 3, v1
	v_ffbh_u32_e32 v12, v5
	v_min_u32_e32 v12, 32, v12
	v_subrev_u32_e32 v15, 29, v12
	v_bfe_u32 v8, v1, 2, 5
	v_lshlrev_b32_e32 v1, v15, v1
	v_sub_u32_e32 v12, 30, v12
	v_and_b32_e32 v1, 3, v1
	v_cmp_eq_u32_e32 vcc, 0, v8
	v_cndmask_b32_e32 v8, v8, v12, vcc
	v_cndmask_b32_e32 v1, v5, v1, vcc
	v_mov_b32_e32 v5, 0x37800000
	v_lshlrev_b32_e32 v1, 21, v1
	v_and_b32_e32 v3, 0x80000000, v3
	v_lshl_add_u32 v5, v8, 23, v5
	v_or3_b32 v1, v3, v5, v1
	v_trunc_f32_e32 v1, v1
	s_mov_b32 s16, 0x2f800000
	v_mul_f32_e64 v3, |v1|, s16
	v_floor_f32_e32 v3, v3
	s_mov_b32 s16, 0xcf800000
	v_fma_f32 v3, v3, s16, |v1|
	v_cvt_u32_f32_e32 v3, v3
	v_ashrrev_i32_e32 v1, 31, v1
	v_xor_b32_e32 v3, v3, v1
	v_sub_u32_e32 v15, v3, v1
.LBB143_2274:
	s_or_b64 exec, exec, s[6:7]
	s_mov_b64 s[6:7], 0
	s_branch .LBB143_2280
.LBB143_2275:
	s_mov_b64 s[6:7], -1
                                        ; implicit-def: $vgpr15
	s_branch .LBB143_2286
.LBB143_2276:
	s_andn2_saveexec_b64 s[16:17], s[16:17]
	s_cbranch_execz .LBB143_2261
.LBB143_2277:
	v_cmp_ne_u16_e32 vcc, 0, v1
	s_andn2_b64 s[18:19], s[18:19], exec
	s_and_b64 s[24:25], vcc, exec
	s_or_b64 s[18:19], s[18:19], s[24:25]
	s_or_b64 exec, exec, s[16:17]
	v_mov_b32_e32 v15, 0
	s_and_saveexec_b64 s[16:17], s[18:19]
	s_cbranch_execnz .LBB143_2262
	s_branch .LBB143_2263
.LBB143_2278:
	s_mov_b64 s[6:7], -1
                                        ; implicit-def: $vgpr15
	s_branch .LBB143_2283
.LBB143_2279:
	s_mov_b64 s[6:7], -1
                                        ; implicit-def: $vgpr15
.LBB143_2280:
	s_and_b64 vcc, exec, s[6:7]
	s_cbranch_vccz .LBB143_2282
; %bb.2281:
	global_load_ubyte v1, v[18:19], off
	s_mov_b32 s6, 0x7f800000
	s_brev_b32 s7, 1
	s_mov_b32 s16, 0x2f800000
	s_waitcnt vmcnt(0)
	v_lshlrev_b32_e32 v1, 24, v1
	v_and_b32_e32 v3, 0x7f000000, v1
	v_ffbh_u32_e32 v5, v3
	v_min_u32_e32 v5, 32, v5
	v_sub_u32_e64 v5, v5, 4 clamp
	v_lshlrev_b32_e32 v12, v5, v3
	v_lshlrev_b32_e32 v5, 23, v5
	v_lshrrev_b32_e32 v12, 4, v12
	v_add_u32_e32 v8, 0x1000000, v3
	v_sub_u32_e32 v5, v12, v5
	v_ashrrev_i32_e32 v8, 8, v8
	v_add_u32_e32 v5, 0x3c000000, v5
	v_and_or_b32 v5, v8, s6, v5
	v_cmp_ne_u32_e32 vcc, 0, v3
	v_cndmask_b32_e32 v3, 0, v5, vcc
	v_and_or_b32 v1, v1, s7, v3
	v_trunc_f32_e32 v1, v1
	v_mul_f32_e64 v3, |v1|, s16
	v_floor_f32_e32 v3, v3
	s_mov_b32 s6, 0xcf800000
	v_fma_f32 v3, v3, s6, |v1|
	v_cvt_u32_f32_e32 v3, v3
	v_ashrrev_i32_e32 v1, 31, v1
	v_xor_b32_e32 v3, v3, v1
	v_sub_u32_e32 v15, v3, v1
.LBB143_2282:
	s_mov_b64 s[6:7], 0
.LBB143_2283:
	s_andn2_b64 vcc, exec, s[6:7]
	s_cbranch_vccnz .LBB143_2285
; %bb.2284:
	global_load_ubyte v1, v[18:19], off
	s_movk_i32 s6, 0x7f00
	s_brev_b32 s7, 16
	s_brev_b32 s16, 1
	s_mov_b32 s17, 0x2f800000
	s_waitcnt vmcnt(0)
	v_lshlrev_b16_e32 v3, 8, v1
	v_lshlrev_b32_e32 v1, 25, v1
	v_lshrrev_b32_e32 v5, 4, v1
	v_and_or_b32 v8, v3, s6, 0.5
	v_or_b32_e32 v5, 0x70000000, v5
	v_add_f32_e32 v8, -0.5, v8
	v_mul_f32_e32 v5, 0x7800000, v5
	v_cmp_gt_u32_e32 vcc, s7, v1
	v_bfe_i32 v3, v3, 0, 16
	v_cndmask_b32_e32 v1, v5, v8, vcc
	v_and_or_b32 v1, v3, s16, v1
	v_trunc_f32_e32 v1, v1
	v_mul_f32_e64 v3, |v1|, s17
	v_floor_f32_e32 v3, v3
	s_mov_b32 s6, 0xcf800000
	v_fma_f32 v3, v3, s6, |v1|
	v_cvt_u32_f32_e32 v3, v3
	v_ashrrev_i32_e32 v1, 31, v1
	v_xor_b32_e32 v3, v3, v1
	v_sub_u32_e32 v15, v3, v1
.LBB143_2285:
	s_mov_b64 s[6:7], 0
	s_mov_b64 s[16:17], -1
.LBB143_2286:
	s_andn2_b64 vcc, exec, s[6:7]
	s_mov_b64 s[6:7], 0
	s_cbranch_vccnz .LBB143_2297
; %bb.2287:
	s_cmp_gt_i32 s21, 14
	s_cbranch_scc0 .LBB143_2290
; %bb.2288:
	s_cmp_eq_u32 s21, 15
	s_cbranch_scc0 .LBB143_2293
; %bb.2289:
	global_load_ushort v1, v[18:19], off
	s_mov_b32 s2, 0x2f800000
	s_mov_b32 s3, 0xcf800000
	s_mov_b64 s[16:17], -1
	s_waitcnt vmcnt(0)
	v_lshlrev_b32_e32 v1, 16, v1
	v_trunc_f32_e32 v1, v1
	v_mul_f32_e64 v3, |v1|, s2
	v_floor_f32_e32 v3, v3
	v_fma_f32 v3, v3, s3, |v1|
	v_cvt_u32_f32_e32 v3, v3
	v_ashrrev_i32_e32 v1, 31, v1
	s_mov_b64 s[2:3], 0
	v_xor_b32_e32 v3, v3, v1
	v_sub_u32_e32 v15, v3, v1
	s_branch .LBB143_2294
.LBB143_2290:
	s_mov_b64 s[18:19], -1
                                        ; implicit-def: $vgpr15
	s_branch .LBB143_2295
.LBB143_2291:
	s_andn2_saveexec_b64 s[6:7], s[6:7]
	s_cbranch_execz .LBB143_2272
.LBB143_2292:
	v_cmp_ne_u16_e32 vcc, 0, v1
	s_andn2_b64 s[16:17], s[16:17], exec
	s_and_b64 s[18:19], vcc, exec
	s_or_b64 s[16:17], s[16:17], s[18:19]
	s_or_b64 exec, exec, s[6:7]
	v_mov_b32_e32 v15, 0
	s_and_saveexec_b64 s[6:7], s[16:17]
	s_cbranch_execnz .LBB143_2273
	s_branch .LBB143_2274
.LBB143_2293:
	s_mov_b64 s[2:3], -1
                                        ; implicit-def: $vgpr15
.LBB143_2294:
	s_mov_b64 s[18:19], 0
.LBB143_2295:
	s_and_b64 vcc, exec, s[18:19]
	s_cbranch_vccz .LBB143_2297
; %bb.2296:
	s_cmp_lg_u32 s21, 11
	s_mov_b64 s[6:7], -1
	s_cselect_b64 s[2:3], -1, 0
.LBB143_2297:
	s_and_b64 vcc, exec, s[2:3]
	s_cbranch_vccnz .LBB143_2362
; %bb.2298:
	s_andn2_b64 vcc, exec, s[6:7]
	s_cbranch_vccnz .LBB143_2300
.LBB143_2299:
	global_load_ubyte v1, v[18:19], off
	s_mov_b64 s[16:17], -1
	s_waitcnt vmcnt(0)
	v_cmp_ne_u16_e32 vcc, 0, v1
	v_cndmask_b32_e64 v15, 0, 1, vcc
.LBB143_2300:
	s_mov_b64 s[2:3], 0
.LBB143_2301:
	s_and_b64 vcc, exec, s[2:3]
	s_cbranch_vccz .LBB143_2350
; %bb.2302:
	s_cmp_lt_i32 s21, 5
	s_cbranch_scc1 .LBB143_2307
; %bb.2303:
	s_cmp_lt_i32 s21, 8
	s_cbranch_scc1 .LBB143_2308
	;; [unrolled: 3-line block ×3, first 2 shown]
; %bb.2305:
	s_cmp_gt_i32 s21, 9
	s_cbranch_scc0 .LBB143_2310
; %bb.2306:
	global_load_dwordx2 v[15:16], v[18:19], off
	s_movk_i32 s2, 0xffe0
	s_waitcnt vmcnt(0)
	v_trunc_f64_e32 v[15:16], v[15:16]
	v_ldexp_f64 v[20:21], v[15:16], s2
	s_mov_b32 s2, 0
	s_mov_b32 s3, 0xc1f00000
	v_floor_f64_e32 v[20:21], v[20:21]
	v_fma_f64 v[15:16], v[20:21], s[2:3], v[15:16]
	s_mov_b64 s[2:3], 0
	v_cvt_u32_f64_e32 v15, v[15:16]
	s_branch .LBB143_2311
.LBB143_2307:
	s_mov_b64 s[2:3], -1
                                        ; implicit-def: $vgpr15
	s_branch .LBB143_2329
.LBB143_2308:
	s_mov_b64 s[2:3], -1
                                        ; implicit-def: $vgpr15
	s_branch .LBB143_2317
.LBB143_2309:
	s_mov_b64 s[2:3], -1
                                        ; implicit-def: $vgpr15
	s_branch .LBB143_2314
.LBB143_2310:
	s_mov_b64 s[2:3], -1
                                        ; implicit-def: $vgpr15
.LBB143_2311:
	s_andn2_b64 vcc, exec, s[2:3]
	s_cbranch_vccnz .LBB143_2313
; %bb.2312:
	global_load_dword v1, v[18:19], off
	s_mov_b32 s2, 0x2f800000
	s_waitcnt vmcnt(0)
	v_trunc_f32_e32 v1, v1
	v_mul_f32_e64 v3, |v1|, s2
	v_floor_f32_e32 v3, v3
	s_mov_b32 s2, 0xcf800000
	v_fma_f32 v3, v3, s2, |v1|
	v_cvt_u32_f32_e32 v3, v3
	v_ashrrev_i32_e32 v1, 31, v1
	v_xor_b32_e32 v3, v3, v1
	v_sub_u32_e32 v15, v3, v1
.LBB143_2313:
	s_mov_b64 s[2:3], 0
.LBB143_2314:
	s_andn2_b64 vcc, exec, s[2:3]
	s_cbranch_vccnz .LBB143_2316
; %bb.2315:
	global_load_dword v1, v[18:19], off
	s_waitcnt vmcnt(0)
	v_cvt_f32_f16_e32 v1, v1
	v_cvt_i32_f32_e32 v15, v1
.LBB143_2316:
	s_mov_b64 s[2:3], 0
.LBB143_2317:
	s_andn2_b64 vcc, exec, s[2:3]
	s_cbranch_vccnz .LBB143_2328
; %bb.2318:
	s_cmp_lt_i32 s21, 6
	s_cbranch_scc1 .LBB143_2321
; %bb.2319:
	s_cmp_gt_i32 s21, 6
	s_cbranch_scc0 .LBB143_2322
; %bb.2320:
	global_load_dwordx2 v[15:16], v[18:19], off
	s_movk_i32 s2, 0xffe0
	s_waitcnt vmcnt(0)
	v_trunc_f64_e32 v[15:16], v[15:16]
	v_ldexp_f64 v[20:21], v[15:16], s2
	s_mov_b32 s2, 0
	s_mov_b32 s3, 0xc1f00000
	v_floor_f64_e32 v[20:21], v[20:21]
	v_fma_f64 v[15:16], v[20:21], s[2:3], v[15:16]
	s_mov_b64 s[2:3], 0
	v_cvt_u32_f64_e32 v15, v[15:16]
	s_branch .LBB143_2323
.LBB143_2321:
	s_mov_b64 s[2:3], -1
                                        ; implicit-def: $vgpr15
	s_branch .LBB143_2326
.LBB143_2322:
	s_mov_b64 s[2:3], -1
                                        ; implicit-def: $vgpr15
.LBB143_2323:
	s_andn2_b64 vcc, exec, s[2:3]
	s_cbranch_vccnz .LBB143_2325
; %bb.2324:
	global_load_dword v1, v[18:19], off
	s_mov_b32 s2, 0x2f800000
	s_waitcnt vmcnt(0)
	v_trunc_f32_e32 v1, v1
	v_mul_f32_e64 v3, |v1|, s2
	v_floor_f32_e32 v3, v3
	s_mov_b32 s2, 0xcf800000
	v_fma_f32 v3, v3, s2, |v1|
	v_cvt_u32_f32_e32 v3, v3
	v_ashrrev_i32_e32 v1, 31, v1
	v_xor_b32_e32 v3, v3, v1
	v_sub_u32_e32 v15, v3, v1
.LBB143_2325:
	s_mov_b64 s[2:3], 0
.LBB143_2326:
	s_andn2_b64 vcc, exec, s[2:3]
	s_cbranch_vccnz .LBB143_2328
; %bb.2327:
	global_load_ushort v1, v[18:19], off
	s_waitcnt vmcnt(0)
	v_cvt_f32_f16_e32 v1, v1
	v_cvt_i32_f32_e32 v15, v1
.LBB143_2328:
	s_mov_b64 s[2:3], 0
.LBB143_2329:
	s_andn2_b64 vcc, exec, s[2:3]
	s_cbranch_vccnz .LBB143_2349
; %bb.2330:
	s_cmp_lt_i32 s21, 2
	s_cbranch_scc1 .LBB143_2334
; %bb.2331:
	s_cmp_lt_i32 s21, 3
	s_cbranch_scc1 .LBB143_2335
; %bb.2332:
	s_cmp_gt_i32 s21, 3
	s_cbranch_scc0 .LBB143_2336
; %bb.2333:
	global_load_dwordx2 v[15:16], v[18:19], off
	s_mov_b64 s[2:3], 0
	s_branch .LBB143_2337
.LBB143_2334:
	s_mov_b64 s[2:3], -1
                                        ; implicit-def: $vgpr15
	s_branch .LBB143_2343
.LBB143_2335:
	s_mov_b64 s[2:3], -1
                                        ; implicit-def: $vgpr15
	s_branch .LBB143_2340
.LBB143_2336:
	s_mov_b64 s[2:3], -1
                                        ; implicit-def: $vgpr15
.LBB143_2337:
	s_andn2_b64 vcc, exec, s[2:3]
	s_cbranch_vccnz .LBB143_2339
; %bb.2338:
	global_load_dword v15, v[18:19], off
.LBB143_2339:
	s_mov_b64 s[2:3], 0
.LBB143_2340:
	s_andn2_b64 vcc, exec, s[2:3]
	s_cbranch_vccnz .LBB143_2342
; %bb.2341:
	global_load_ushort v15, v[18:19], off
.LBB143_2342:
	s_mov_b64 s[2:3], 0
.LBB143_2343:
	s_andn2_b64 vcc, exec, s[2:3]
	s_cbranch_vccnz .LBB143_2349
; %bb.2344:
	s_cmp_gt_i32 s21, 0
	s_cbranch_scc0 .LBB143_2346
; %bb.2345:
	global_load_ubyte v15, v[18:19], off
	s_mov_b64 s[2:3], 0
	s_branch .LBB143_2347
.LBB143_2346:
	s_mov_b64 s[2:3], -1
                                        ; implicit-def: $vgpr15
.LBB143_2347:
	s_andn2_b64 vcc, exec, s[2:3]
	s_cbranch_vccnz .LBB143_2349
; %bb.2348:
	global_load_ubyte v15, v[18:19], off
.LBB143_2349:
	s_mov_b64 s[16:17], -1
.LBB143_2350:
	s_andn2_b64 vcc, exec, s[16:17]
	s_cbranch_vccnz .LBB143_3036
; %bb.2351:
	v_mov_b32_e32 v1, s11
	v_add_co_u32_e32 v18, vcc, s10, v13
	s_cmp_lt_i32 s22, 11
	v_addc_co_u32_e32 v19, vcc, 0, v1, vcc
	s_cbranch_scc1 .LBB143_2358
; %bb.2352:
	s_and_b32 s18, 0xffff, s22
	s_cmp_gt_i32 s18, 25
	s_mov_b64 s[6:7], 0
	s_cbranch_scc0 .LBB143_2359
; %bb.2353:
	s_cmp_gt_i32 s18, 28
	s_cbranch_scc0 .LBB143_2360
; %bb.2354:
	s_cmp_gt_i32 s18, 43
	;; [unrolled: 3-line block ×3, first 2 shown]
	s_cbranch_scc0 .LBB143_2363
; %bb.2356:
	s_cmp_eq_u32 s18, 46
	s_mov_b64 s[16:17], 0
	s_cbranch_scc0 .LBB143_2364
; %bb.2357:
	global_load_dword v1, v[18:19], off
	s_mov_b32 s2, 0x2f800000
	s_mov_b32 s3, 0xcf800000
	s_mov_b64 s[10:11], -1
	s_waitcnt vmcnt(0)
	v_lshlrev_b32_e32 v1, 16, v1
	v_trunc_f32_e32 v1, v1
	v_mul_f32_e64 v3, |v1|, s2
	v_floor_f32_e32 v3, v3
	v_fma_f32 v3, v3, s3, |v1|
	v_cvt_u32_f32_e32 v3, v3
	v_ashrrev_i32_e32 v1, 31, v1
	s_mov_b64 s[2:3], 0
	v_xor_b32_e32 v3, v3, v1
	v_sub_u32_e32 v12, v3, v1
	s_branch .LBB143_2365
.LBB143_2358:
	s_mov_b64 s[2:3], -1
	s_mov_b64 s[10:11], 0
                                        ; implicit-def: $vgpr12
	s_branch .LBB143_2427
.LBB143_2359:
	s_mov_b64 s[16:17], -1
	s_mov_b64 s[10:11], 0
	s_mov_b64 s[2:3], 0
                                        ; implicit-def: $vgpr12
	s_branch .LBB143_2392
.LBB143_2360:
	s_mov_b64 s[16:17], -1
	s_mov_b64 s[10:11], 0
	s_mov_b64 s[2:3], 0
                                        ; implicit-def: $vgpr12
	s_branch .LBB143_2375
.LBB143_2361:
	s_mov_b64 s[16:17], -1
	s_mov_b64 s[10:11], 0
	s_mov_b64 s[2:3], 0
                                        ; implicit-def: $vgpr12
	s_branch .LBB143_2370
.LBB143_2362:
	s_trap 2
	s_or_b64 s[4:5], s[4:5], exec
	s_cbranch_execz .LBB143_2299
	s_branch .LBB143_2300
.LBB143_2363:
	s_mov_b64 s[16:17], -1
	s_mov_b64 s[10:11], 0
	s_mov_b64 s[2:3], 0
                                        ; implicit-def: $vgpr12
	s_branch .LBB143_2365
.LBB143_2364:
	s_mov_b64 s[2:3], -1
                                        ; implicit-def: $vgpr12
	s_mov_b64 s[10:11], 0
.LBB143_2365:
	s_and_b64 vcc, exec, s[16:17]
	s_cbranch_vccz .LBB143_2369
; %bb.2366:
	s_cmp_eq_u32 s18, 44
	s_cbranch_scc0 .LBB143_2368
; %bb.2367:
	global_load_ubyte v1, v[18:19], off
	s_mov_b32 s2, 0x2f800000
	s_mov_b32 s3, 0xcf800000
	s_mov_b64 s[10:11], -1
	s_waitcnt vmcnt(0)
	v_lshlrev_b32_e32 v3, 23, v1
	v_trunc_f32_e32 v3, v3
	v_mul_f32_e64 v5, |v3|, s2
	v_floor_f32_e32 v5, v5
	v_fma_f32 v5, v5, s3, |v3|
	v_cvt_u32_f32_e32 v5, v5
	v_ashrrev_i32_e32 v3, 31, v3
	v_cmp_ne_u32_e32 vcc, 0, v1
	s_mov_b64 s[2:3], 0
	v_xor_b32_e32 v5, v5, v3
	v_sub_u32_e32 v3, v5, v3
	v_cndmask_b32_e32 v12, 0, v3, vcc
	s_branch .LBB143_2369
.LBB143_2368:
	s_mov_b64 s[2:3], -1
                                        ; implicit-def: $vgpr12
.LBB143_2369:
	s_mov_b64 s[16:17], 0
.LBB143_2370:
	s_and_b64 vcc, exec, s[16:17]
	s_cbranch_vccz .LBB143_2374
; %bb.2371:
	s_cmp_eq_u32 s18, 29
	s_cbranch_scc0 .LBB143_2373
; %bb.2372:
	global_load_dwordx2 v[12:13], v[18:19], off
	s_mov_b64 s[2:3], 0
	s_mov_b64 s[10:11], -1
	s_branch .LBB143_2374
.LBB143_2373:
	s_mov_b64 s[2:3], -1
                                        ; implicit-def: $vgpr12
.LBB143_2374:
	s_mov_b64 s[16:17], 0
.LBB143_2375:
	s_and_b64 vcc, exec, s[16:17]
	s_cbranch_vccz .LBB143_2391
; %bb.2376:
	s_cmp_lt_i32 s18, 27
	s_cbranch_scc1 .LBB143_2379
; %bb.2377:
	s_cmp_gt_i32 s18, 27
	s_cbranch_scc0 .LBB143_2380
; %bb.2378:
	global_load_dword v12, v[18:19], off
	s_mov_b64 s[10:11], 0
	s_branch .LBB143_2381
.LBB143_2379:
	s_mov_b64 s[10:11], -1
                                        ; implicit-def: $vgpr12
	s_branch .LBB143_2384
.LBB143_2380:
	s_mov_b64 s[10:11], -1
                                        ; implicit-def: $vgpr12
.LBB143_2381:
	s_andn2_b64 vcc, exec, s[10:11]
	s_cbranch_vccnz .LBB143_2383
; %bb.2382:
	global_load_ushort v12, v[18:19], off
.LBB143_2383:
	s_mov_b64 s[10:11], 0
.LBB143_2384:
	s_andn2_b64 vcc, exec, s[10:11]
	s_cbranch_vccnz .LBB143_2390
; %bb.2385:
	global_load_ubyte v1, v[18:19], off
	s_movk_i32 s10, 0x7f
	s_mov_b64 s[16:17], 0
	s_waitcnt vmcnt(0)
	v_cmp_lt_i16_e32 vcc, s10, v1
	s_and_saveexec_b64 s[10:11], vcc
	s_xor_b64 s[10:11], exec, s[10:11]
	s_cbranch_execz .LBB143_2402
; %bb.2386:
	s_movk_i32 s16, 0x80
	v_cmp_ne_u16_e32 vcc, s16, v1
	s_and_b64 s[16:17], vcc, exec
	s_andn2_saveexec_b64 s[10:11], s[10:11]
	s_cbranch_execnz .LBB143_2403
.LBB143_2387:
	s_or_b64 exec, exec, s[10:11]
	v_mov_b32_e32 v12, 0
	s_and_saveexec_b64 s[10:11], s[16:17]
	s_cbranch_execz .LBB143_2389
.LBB143_2388:
	v_lshlrev_b32_e32 v3, 24, v1
	v_and_b32_e32 v1, 0xffff, v1
	v_and_b32_e32 v5, 7, v1
	v_ffbh_u32_e32 v12, v5
	v_min_u32_e32 v12, 32, v12
	v_subrev_u32_e32 v13, 28, v12
	v_bfe_u32 v8, v1, 3, 4
	v_lshlrev_b32_e32 v1, v13, v1
	v_sub_u32_e32 v12, 29, v12
	v_and_b32_e32 v1, 7, v1
	v_cmp_eq_u32_e32 vcc, 0, v8
	v_cndmask_b32_e32 v8, v8, v12, vcc
	v_cndmask_b32_e32 v1, v5, v1, vcc
	v_mov_b32_e32 v5, 0x3b800000
	v_lshlrev_b32_e32 v1, 20, v1
	v_and_b32_e32 v3, 0x80000000, v3
	v_lshl_add_u32 v5, v8, 23, v5
	v_or3_b32 v1, v3, v5, v1
	v_trunc_f32_e32 v1, v1
	s_mov_b32 s16, 0x2f800000
	v_mul_f32_e64 v3, |v1|, s16
	v_floor_f32_e32 v3, v3
	s_mov_b32 s16, 0xcf800000
	v_fma_f32 v3, v3, s16, |v1|
	v_cvt_u32_f32_e32 v3, v3
	v_ashrrev_i32_e32 v1, 31, v1
	v_xor_b32_e32 v3, v3, v1
	v_sub_u32_e32 v12, v3, v1
.LBB143_2389:
	s_or_b64 exec, exec, s[10:11]
.LBB143_2390:
	s_mov_b64 s[10:11], -1
.LBB143_2391:
	s_mov_b64 s[16:17], 0
.LBB143_2392:
	s_and_b64 vcc, exec, s[16:17]
	s_cbranch_vccz .LBB143_2423
; %bb.2393:
	s_cmp_gt_i32 s18, 22
	s_cbranch_scc0 .LBB143_2401
; %bb.2394:
	s_cmp_lt_i32 s18, 24
	s_cbranch_scc1 .LBB143_2404
; %bb.2395:
	s_cmp_gt_i32 s18, 24
	s_cbranch_scc0 .LBB143_2405
; %bb.2396:
	global_load_ubyte v1, v[18:19], off
	s_movk_i32 s6, 0x7f
	s_mov_b64 s[10:11], 0
	s_waitcnt vmcnt(0)
	v_cmp_lt_i16_e32 vcc, s6, v1
	s_and_saveexec_b64 s[6:7], vcc
	s_xor_b64 s[6:7], exec, s[6:7]
	s_cbranch_execz .LBB143_2417
; %bb.2397:
	s_movk_i32 s10, 0x80
	v_cmp_ne_u16_e32 vcc, s10, v1
	s_and_b64 s[10:11], vcc, exec
	s_andn2_saveexec_b64 s[6:7], s[6:7]
	s_cbranch_execnz .LBB143_2418
.LBB143_2398:
	s_or_b64 exec, exec, s[6:7]
	v_mov_b32_e32 v12, 0
	s_and_saveexec_b64 s[6:7], s[10:11]
	s_cbranch_execz .LBB143_2400
.LBB143_2399:
	v_lshlrev_b32_e32 v3, 24, v1
	v_and_b32_e32 v1, 0xffff, v1
	v_and_b32_e32 v5, 3, v1
	v_ffbh_u32_e32 v12, v5
	v_min_u32_e32 v12, 32, v12
	v_subrev_u32_e32 v13, 29, v12
	v_bfe_u32 v8, v1, 2, 5
	v_lshlrev_b32_e32 v1, v13, v1
	v_sub_u32_e32 v12, 30, v12
	v_and_b32_e32 v1, 3, v1
	v_cmp_eq_u32_e32 vcc, 0, v8
	v_cndmask_b32_e32 v8, v8, v12, vcc
	v_cndmask_b32_e32 v1, v5, v1, vcc
	v_mov_b32_e32 v5, 0x37800000
	v_lshlrev_b32_e32 v1, 21, v1
	v_and_b32_e32 v3, 0x80000000, v3
	v_lshl_add_u32 v5, v8, 23, v5
	v_or3_b32 v1, v3, v5, v1
	v_trunc_f32_e32 v1, v1
	s_mov_b32 s10, 0x2f800000
	v_mul_f32_e64 v3, |v1|, s10
	v_floor_f32_e32 v3, v3
	s_mov_b32 s10, 0xcf800000
	v_fma_f32 v3, v3, s10, |v1|
	v_cvt_u32_f32_e32 v3, v3
	v_ashrrev_i32_e32 v1, 31, v1
	v_xor_b32_e32 v3, v3, v1
	v_sub_u32_e32 v12, v3, v1
.LBB143_2400:
	s_or_b64 exec, exec, s[6:7]
	s_mov_b64 s[6:7], 0
	s_branch .LBB143_2406
.LBB143_2401:
	s_mov_b64 s[6:7], -1
                                        ; implicit-def: $vgpr12
	s_branch .LBB143_2412
.LBB143_2402:
	s_andn2_saveexec_b64 s[10:11], s[10:11]
	s_cbranch_execz .LBB143_2387
.LBB143_2403:
	v_cmp_ne_u16_e32 vcc, 0, v1
	s_andn2_b64 s[16:17], s[16:17], exec
	s_and_b64 s[24:25], vcc, exec
	s_or_b64 s[16:17], s[16:17], s[24:25]
	s_or_b64 exec, exec, s[10:11]
	v_mov_b32_e32 v12, 0
	s_and_saveexec_b64 s[10:11], s[16:17]
	s_cbranch_execnz .LBB143_2388
	s_branch .LBB143_2389
.LBB143_2404:
	s_mov_b64 s[6:7], -1
                                        ; implicit-def: $vgpr12
	s_branch .LBB143_2409
.LBB143_2405:
	s_mov_b64 s[6:7], -1
                                        ; implicit-def: $vgpr12
.LBB143_2406:
	s_and_b64 vcc, exec, s[6:7]
	s_cbranch_vccz .LBB143_2408
; %bb.2407:
	global_load_ubyte v1, v[18:19], off
	s_mov_b32 s6, 0x7f800000
	s_brev_b32 s7, 1
	s_mov_b32 s10, 0x2f800000
	s_waitcnt vmcnt(0)
	v_lshlrev_b32_e32 v1, 24, v1
	v_and_b32_e32 v3, 0x7f000000, v1
	v_ffbh_u32_e32 v5, v3
	v_min_u32_e32 v5, 32, v5
	v_sub_u32_e64 v5, v5, 4 clamp
	v_lshlrev_b32_e32 v12, v5, v3
	v_lshlrev_b32_e32 v5, 23, v5
	v_lshrrev_b32_e32 v12, 4, v12
	v_add_u32_e32 v8, 0x1000000, v3
	v_sub_u32_e32 v5, v12, v5
	v_ashrrev_i32_e32 v8, 8, v8
	v_add_u32_e32 v5, 0x3c000000, v5
	v_and_or_b32 v5, v8, s6, v5
	v_cmp_ne_u32_e32 vcc, 0, v3
	v_cndmask_b32_e32 v3, 0, v5, vcc
	v_and_or_b32 v1, v1, s7, v3
	v_trunc_f32_e32 v1, v1
	v_mul_f32_e64 v3, |v1|, s10
	v_floor_f32_e32 v3, v3
	s_mov_b32 s6, 0xcf800000
	v_fma_f32 v3, v3, s6, |v1|
	v_cvt_u32_f32_e32 v3, v3
	v_ashrrev_i32_e32 v1, 31, v1
	v_xor_b32_e32 v3, v3, v1
	v_sub_u32_e32 v12, v3, v1
.LBB143_2408:
	s_mov_b64 s[6:7], 0
.LBB143_2409:
	s_andn2_b64 vcc, exec, s[6:7]
	s_cbranch_vccnz .LBB143_2411
; %bb.2410:
	global_load_ubyte v1, v[18:19], off
	s_movk_i32 s6, 0x7f00
	s_brev_b32 s7, 16
	s_brev_b32 s10, 1
	s_mov_b32 s11, 0x2f800000
	s_waitcnt vmcnt(0)
	v_lshlrev_b16_e32 v3, 8, v1
	v_lshlrev_b32_e32 v1, 25, v1
	v_lshrrev_b32_e32 v5, 4, v1
	v_and_or_b32 v8, v3, s6, 0.5
	v_or_b32_e32 v5, 0x70000000, v5
	v_add_f32_e32 v8, -0.5, v8
	v_mul_f32_e32 v5, 0x7800000, v5
	v_cmp_gt_u32_e32 vcc, s7, v1
	v_bfe_i32 v3, v3, 0, 16
	v_cndmask_b32_e32 v1, v5, v8, vcc
	v_and_or_b32 v1, v3, s10, v1
	v_trunc_f32_e32 v1, v1
	v_mul_f32_e64 v3, |v1|, s11
	v_floor_f32_e32 v3, v3
	s_mov_b32 s6, 0xcf800000
	v_fma_f32 v3, v3, s6, |v1|
	v_cvt_u32_f32_e32 v3, v3
	v_ashrrev_i32_e32 v1, 31, v1
	v_xor_b32_e32 v3, v3, v1
	v_sub_u32_e32 v12, v3, v1
.LBB143_2411:
	s_mov_b64 s[6:7], 0
	s_mov_b64 s[10:11], -1
.LBB143_2412:
	s_andn2_b64 vcc, exec, s[6:7]
	s_mov_b64 s[6:7], 0
	s_cbranch_vccnz .LBB143_2423
; %bb.2413:
	s_cmp_gt_i32 s18, 14
	s_cbranch_scc0 .LBB143_2416
; %bb.2414:
	s_cmp_eq_u32 s18, 15
	s_cbranch_scc0 .LBB143_2419
; %bb.2415:
	global_load_ushort v1, v[18:19], off
	s_mov_b32 s2, 0x2f800000
	s_mov_b32 s3, 0xcf800000
	s_mov_b64 s[10:11], -1
	s_waitcnt vmcnt(0)
	v_lshlrev_b32_e32 v1, 16, v1
	v_trunc_f32_e32 v1, v1
	v_mul_f32_e64 v3, |v1|, s2
	v_floor_f32_e32 v3, v3
	v_fma_f32 v3, v3, s3, |v1|
	v_cvt_u32_f32_e32 v3, v3
	v_ashrrev_i32_e32 v1, 31, v1
	s_mov_b64 s[2:3], 0
	v_xor_b32_e32 v3, v3, v1
	v_sub_u32_e32 v12, v3, v1
	s_branch .LBB143_2420
.LBB143_2416:
	s_mov_b64 s[16:17], -1
                                        ; implicit-def: $vgpr12
	s_branch .LBB143_2421
.LBB143_2417:
	s_andn2_saveexec_b64 s[6:7], s[6:7]
	s_cbranch_execz .LBB143_2398
.LBB143_2418:
	v_cmp_ne_u16_e32 vcc, 0, v1
	s_andn2_b64 s[10:11], s[10:11], exec
	s_and_b64 s[16:17], vcc, exec
	s_or_b64 s[10:11], s[10:11], s[16:17]
	s_or_b64 exec, exec, s[6:7]
	v_mov_b32_e32 v12, 0
	s_and_saveexec_b64 s[6:7], s[10:11]
	s_cbranch_execnz .LBB143_2399
	s_branch .LBB143_2400
.LBB143_2419:
	s_mov_b64 s[2:3], -1
                                        ; implicit-def: $vgpr12
.LBB143_2420:
	s_mov_b64 s[16:17], 0
.LBB143_2421:
	s_and_b64 vcc, exec, s[16:17]
	s_cbranch_vccz .LBB143_2423
; %bb.2422:
	s_cmp_lg_u32 s18, 11
	s_mov_b64 s[6:7], -1
	s_cselect_b64 s[2:3], -1, 0
.LBB143_2423:
	s_and_b64 vcc, exec, s[2:3]
	s_cbranch_vccnz .LBB143_2488
; %bb.2424:
	s_andn2_b64 vcc, exec, s[6:7]
	s_cbranch_vccnz .LBB143_2426
.LBB143_2425:
	global_load_ubyte v1, v[18:19], off
	s_mov_b64 s[10:11], -1
	s_waitcnt vmcnt(0)
	v_cmp_ne_u16_e32 vcc, 0, v1
	v_cndmask_b32_e64 v12, 0, 1, vcc
.LBB143_2426:
	s_mov_b64 s[2:3], 0
.LBB143_2427:
	s_and_b64 vcc, exec, s[2:3]
	s_cbranch_vccz .LBB143_2476
; %bb.2428:
	s_and_b32 s6, 0xffff, s22
	s_cmp_lt_i32 s6, 5
	s_cbranch_scc1 .LBB143_2433
; %bb.2429:
	s_cmp_lt_i32 s6, 8
	s_cbranch_scc1 .LBB143_2434
; %bb.2430:
	;; [unrolled: 3-line block ×3, first 2 shown]
	s_cmp_gt_i32 s6, 9
	s_cbranch_scc0 .LBB143_2436
; %bb.2432:
	global_load_dwordx2 v[12:13], v[18:19], off
	s_movk_i32 s2, 0xffe0
	s_waitcnt vmcnt(0)
	v_trunc_f64_e32 v[12:13], v[12:13]
	v_ldexp_f64 v[20:21], v[12:13], s2
	s_mov_b32 s2, 0
	s_mov_b32 s3, 0xc1f00000
	v_floor_f64_e32 v[20:21], v[20:21]
	v_fma_f64 v[12:13], v[20:21], s[2:3], v[12:13]
	s_mov_b64 s[2:3], 0
	v_cvt_u32_f64_e32 v12, v[12:13]
	s_branch .LBB143_2437
.LBB143_2433:
	s_mov_b64 s[2:3], -1
                                        ; implicit-def: $vgpr12
	s_branch .LBB143_2455
.LBB143_2434:
	s_mov_b64 s[2:3], -1
                                        ; implicit-def: $vgpr12
	s_branch .LBB143_2443
.LBB143_2435:
	s_mov_b64 s[2:3], -1
                                        ; implicit-def: $vgpr12
	s_branch .LBB143_2440
.LBB143_2436:
	s_mov_b64 s[2:3], -1
                                        ; implicit-def: $vgpr12
.LBB143_2437:
	s_andn2_b64 vcc, exec, s[2:3]
	s_cbranch_vccnz .LBB143_2439
; %bb.2438:
	global_load_dword v1, v[18:19], off
	s_mov_b32 s2, 0x2f800000
	s_waitcnt vmcnt(0)
	v_trunc_f32_e32 v1, v1
	v_mul_f32_e64 v3, |v1|, s2
	v_floor_f32_e32 v3, v3
	s_mov_b32 s2, 0xcf800000
	v_fma_f32 v3, v3, s2, |v1|
	v_cvt_u32_f32_e32 v3, v3
	v_ashrrev_i32_e32 v1, 31, v1
	v_xor_b32_e32 v3, v3, v1
	v_sub_u32_e32 v12, v3, v1
.LBB143_2439:
	s_mov_b64 s[2:3], 0
.LBB143_2440:
	s_andn2_b64 vcc, exec, s[2:3]
	s_cbranch_vccnz .LBB143_2442
; %bb.2441:
	global_load_dword v1, v[18:19], off
	s_waitcnt vmcnt(0)
	v_cvt_f32_f16_e32 v1, v1
	v_cvt_i32_f32_e32 v12, v1
.LBB143_2442:
	s_mov_b64 s[2:3], 0
.LBB143_2443:
	s_andn2_b64 vcc, exec, s[2:3]
	s_cbranch_vccnz .LBB143_2454
; %bb.2444:
	s_cmp_lt_i32 s6, 6
	s_cbranch_scc1 .LBB143_2447
; %bb.2445:
	s_cmp_gt_i32 s6, 6
	s_cbranch_scc0 .LBB143_2448
; %bb.2446:
	global_load_dwordx2 v[12:13], v[18:19], off
	s_movk_i32 s2, 0xffe0
	s_waitcnt vmcnt(0)
	v_trunc_f64_e32 v[12:13], v[12:13]
	v_ldexp_f64 v[20:21], v[12:13], s2
	s_mov_b32 s2, 0
	s_mov_b32 s3, 0xc1f00000
	v_floor_f64_e32 v[20:21], v[20:21]
	v_fma_f64 v[12:13], v[20:21], s[2:3], v[12:13]
	s_mov_b64 s[2:3], 0
	v_cvt_u32_f64_e32 v12, v[12:13]
	s_branch .LBB143_2449
.LBB143_2447:
	s_mov_b64 s[2:3], -1
                                        ; implicit-def: $vgpr12
	s_branch .LBB143_2452
.LBB143_2448:
	s_mov_b64 s[2:3], -1
                                        ; implicit-def: $vgpr12
.LBB143_2449:
	s_andn2_b64 vcc, exec, s[2:3]
	s_cbranch_vccnz .LBB143_2451
; %bb.2450:
	global_load_dword v1, v[18:19], off
	s_mov_b32 s2, 0x2f800000
	s_waitcnt vmcnt(0)
	v_trunc_f32_e32 v1, v1
	v_mul_f32_e64 v3, |v1|, s2
	v_floor_f32_e32 v3, v3
	s_mov_b32 s2, 0xcf800000
	v_fma_f32 v3, v3, s2, |v1|
	v_cvt_u32_f32_e32 v3, v3
	v_ashrrev_i32_e32 v1, 31, v1
	v_xor_b32_e32 v3, v3, v1
	v_sub_u32_e32 v12, v3, v1
.LBB143_2451:
	s_mov_b64 s[2:3], 0
.LBB143_2452:
	s_andn2_b64 vcc, exec, s[2:3]
	s_cbranch_vccnz .LBB143_2454
; %bb.2453:
	global_load_ushort v1, v[18:19], off
	s_waitcnt vmcnt(0)
	v_cvt_f32_f16_e32 v1, v1
	v_cvt_i32_f32_e32 v12, v1
.LBB143_2454:
	s_mov_b64 s[2:3], 0
.LBB143_2455:
	s_andn2_b64 vcc, exec, s[2:3]
	s_cbranch_vccnz .LBB143_2475
; %bb.2456:
	s_cmp_lt_i32 s6, 2
	s_cbranch_scc1 .LBB143_2460
; %bb.2457:
	s_cmp_lt_i32 s6, 3
	s_cbranch_scc1 .LBB143_2461
; %bb.2458:
	s_cmp_gt_i32 s6, 3
	s_cbranch_scc0 .LBB143_2462
; %bb.2459:
	global_load_dwordx2 v[12:13], v[18:19], off
	s_mov_b64 s[2:3], 0
	s_branch .LBB143_2463
.LBB143_2460:
	s_mov_b64 s[2:3], -1
                                        ; implicit-def: $vgpr12
	s_branch .LBB143_2469
.LBB143_2461:
	s_mov_b64 s[2:3], -1
                                        ; implicit-def: $vgpr12
	s_branch .LBB143_2466
.LBB143_2462:
	s_mov_b64 s[2:3], -1
                                        ; implicit-def: $vgpr12
.LBB143_2463:
	s_andn2_b64 vcc, exec, s[2:3]
	s_cbranch_vccnz .LBB143_2465
; %bb.2464:
	global_load_dword v12, v[18:19], off
.LBB143_2465:
	s_mov_b64 s[2:3], 0
.LBB143_2466:
	s_andn2_b64 vcc, exec, s[2:3]
	s_cbranch_vccnz .LBB143_2468
; %bb.2467:
	global_load_ushort v12, v[18:19], off
.LBB143_2468:
	s_mov_b64 s[2:3], 0
.LBB143_2469:
	s_andn2_b64 vcc, exec, s[2:3]
	s_cbranch_vccnz .LBB143_2475
; %bb.2470:
	s_cmp_gt_i32 s6, 0
	s_cbranch_scc0 .LBB143_2472
; %bb.2471:
	global_load_ubyte v12, v[18:19], off
	s_mov_b64 s[2:3], 0
	s_branch .LBB143_2473
.LBB143_2472:
	s_mov_b64 s[2:3], -1
                                        ; implicit-def: $vgpr12
.LBB143_2473:
	s_andn2_b64 vcc, exec, s[2:3]
	s_cbranch_vccnz .LBB143_2475
; %bb.2474:
	global_load_ubyte v12, v[18:19], off
.LBB143_2475:
	s_mov_b64 s[10:11], -1
.LBB143_2476:
	s_andn2_b64 vcc, exec, s[10:11]
	s_cbranch_vccnz .LBB143_3036
; %bb.2477:
	v_mov_b32_e32 v1, s1
	v_add_co_u32_e32 v18, vcc, s0, v9
	s_cmp_lt_i32 s21, 11
	v_addc_co_u32_e32 v19, vcc, 0, v1, vcc
	s_cbranch_scc1 .LBB143_2484
; %bb.2478:
	s_cmp_gt_i32 s21, 25
	s_mov_b64 s[2:3], 0
	s_cbranch_scc0 .LBB143_2485
; %bb.2479:
	s_cmp_gt_i32 s21, 28
	s_cbranch_scc0 .LBB143_2486
; %bb.2480:
	s_cmp_gt_i32 s21, 43
	;; [unrolled: 3-line block ×3, first 2 shown]
	s_cbranch_scc0 .LBB143_2489
; %bb.2482:
	s_cmp_eq_u32 s21, 46
	s_mov_b64 s[10:11], 0
	s_cbranch_scc0 .LBB143_2490
; %bb.2483:
	global_load_dword v1, v[18:19], off
	s_mov_b32 s0, 0x2f800000
	s_mov_b32 s1, 0xcf800000
	s_mov_b64 s[6:7], -1
	s_waitcnt vmcnt(0)
	v_lshlrev_b32_e32 v1, 16, v1
	v_trunc_f32_e32 v1, v1
	v_mul_f32_e64 v3, |v1|, s0
	v_floor_f32_e32 v3, v3
	v_fma_f32 v3, v3, s1, |v1|
	v_cvt_u32_f32_e32 v3, v3
	v_ashrrev_i32_e32 v1, 31, v1
	s_mov_b64 s[0:1], 0
	v_xor_b32_e32 v3, v3, v1
	v_sub_u32_e32 v8, v3, v1
	s_branch .LBB143_2491
.LBB143_2484:
	s_mov_b64 s[0:1], -1
	s_mov_b64 s[6:7], 0
                                        ; implicit-def: $vgpr8
	s_branch .LBB143_2553
.LBB143_2485:
	s_mov_b64 s[10:11], -1
	s_mov_b64 s[6:7], 0
	s_mov_b64 s[0:1], 0
                                        ; implicit-def: $vgpr8
	s_branch .LBB143_2518
.LBB143_2486:
	s_mov_b64 s[10:11], -1
	s_mov_b64 s[6:7], 0
	s_mov_b64 s[0:1], 0
                                        ; implicit-def: $vgpr8
	s_branch .LBB143_2501
.LBB143_2487:
	s_mov_b64 s[10:11], -1
	s_mov_b64 s[6:7], 0
	s_mov_b64 s[0:1], 0
                                        ; implicit-def: $vgpr8
	s_branch .LBB143_2496
.LBB143_2488:
	s_trap 2
	s_or_b64 s[4:5], s[4:5], exec
	s_cbranch_execz .LBB143_2425
	s_branch .LBB143_2426
.LBB143_2489:
	s_mov_b64 s[10:11], -1
	s_mov_b64 s[6:7], 0
	s_mov_b64 s[0:1], 0
                                        ; implicit-def: $vgpr8
	s_branch .LBB143_2491
.LBB143_2490:
	s_mov_b64 s[0:1], -1
                                        ; implicit-def: $vgpr8
	s_mov_b64 s[6:7], 0
.LBB143_2491:
	s_and_b64 vcc, exec, s[10:11]
	s_cbranch_vccz .LBB143_2495
; %bb.2492:
	s_cmp_eq_u32 s21, 44
	s_cbranch_scc0 .LBB143_2494
; %bb.2493:
	global_load_ubyte v1, v[18:19], off
	s_mov_b32 s0, 0x2f800000
	s_mov_b32 s1, 0xcf800000
	s_mov_b64 s[6:7], -1
	s_waitcnt vmcnt(0)
	v_lshlrev_b32_e32 v3, 23, v1
	v_trunc_f32_e32 v3, v3
	v_mul_f32_e64 v5, |v3|, s0
	v_floor_f32_e32 v5, v5
	v_fma_f32 v5, v5, s1, |v3|
	v_cvt_u32_f32_e32 v5, v5
	v_ashrrev_i32_e32 v3, 31, v3
	v_cmp_ne_u32_e32 vcc, 0, v1
	s_mov_b64 s[0:1], 0
	v_xor_b32_e32 v5, v5, v3
	v_sub_u32_e32 v3, v5, v3
	v_cndmask_b32_e32 v8, 0, v3, vcc
	s_branch .LBB143_2495
.LBB143_2494:
	s_mov_b64 s[0:1], -1
                                        ; implicit-def: $vgpr8
.LBB143_2495:
	s_mov_b64 s[10:11], 0
.LBB143_2496:
	s_and_b64 vcc, exec, s[10:11]
	s_cbranch_vccz .LBB143_2500
; %bb.2497:
	s_cmp_eq_u32 s21, 29
	s_cbranch_scc0 .LBB143_2499
; %bb.2498:
	global_load_dwordx2 v[8:9], v[18:19], off
	s_mov_b64 s[0:1], 0
	s_mov_b64 s[6:7], -1
	s_branch .LBB143_2500
.LBB143_2499:
	s_mov_b64 s[0:1], -1
                                        ; implicit-def: $vgpr8
.LBB143_2500:
	s_mov_b64 s[10:11], 0
.LBB143_2501:
	s_and_b64 vcc, exec, s[10:11]
	s_cbranch_vccz .LBB143_2517
; %bb.2502:
	s_cmp_lt_i32 s21, 27
	s_cbranch_scc1 .LBB143_2505
; %bb.2503:
	s_cmp_gt_i32 s21, 27
	s_cbranch_scc0 .LBB143_2506
; %bb.2504:
	global_load_dword v8, v[18:19], off
	s_mov_b64 s[6:7], 0
	s_branch .LBB143_2507
.LBB143_2505:
	s_mov_b64 s[6:7], -1
                                        ; implicit-def: $vgpr8
	s_branch .LBB143_2510
.LBB143_2506:
	s_mov_b64 s[6:7], -1
                                        ; implicit-def: $vgpr8
.LBB143_2507:
	s_andn2_b64 vcc, exec, s[6:7]
	s_cbranch_vccnz .LBB143_2509
; %bb.2508:
	global_load_ushort v8, v[18:19], off
.LBB143_2509:
	s_mov_b64 s[6:7], 0
.LBB143_2510:
	s_andn2_b64 vcc, exec, s[6:7]
	s_cbranch_vccnz .LBB143_2516
; %bb.2511:
	global_load_ubyte v1, v[18:19], off
	s_movk_i32 s6, 0x7f
	s_mov_b64 s[10:11], 0
	s_waitcnt vmcnt(0)
	v_cmp_lt_i16_e32 vcc, s6, v1
	s_and_saveexec_b64 s[6:7], vcc
	s_xor_b64 s[6:7], exec, s[6:7]
	s_cbranch_execz .LBB143_2528
; %bb.2512:
	s_movk_i32 s10, 0x80
	v_cmp_ne_u16_e32 vcc, s10, v1
	s_and_b64 s[10:11], vcc, exec
	s_andn2_saveexec_b64 s[6:7], s[6:7]
	s_cbranch_execnz .LBB143_2529
.LBB143_2513:
	s_or_b64 exec, exec, s[6:7]
	v_mov_b32_e32 v8, 0
	s_and_saveexec_b64 s[6:7], s[10:11]
	s_cbranch_execz .LBB143_2515
.LBB143_2514:
	v_lshlrev_b32_e32 v3, 24, v1
	v_and_b32_e32 v1, 0xffff, v1
	v_and_b32_e32 v5, 7, v1
	v_ffbh_u32_e32 v9, v5
	v_min_u32_e32 v9, 32, v9
	v_subrev_u32_e32 v13, 28, v9
	v_bfe_u32 v8, v1, 3, 4
	v_lshlrev_b32_e32 v1, v13, v1
	v_sub_u32_e32 v9, 29, v9
	v_and_b32_e32 v1, 7, v1
	v_cmp_eq_u32_e32 vcc, 0, v8
	v_cndmask_b32_e32 v8, v8, v9, vcc
	v_cndmask_b32_e32 v1, v5, v1, vcc
	v_mov_b32_e32 v5, 0x3b800000
	v_lshlrev_b32_e32 v1, 20, v1
	v_and_b32_e32 v3, 0x80000000, v3
	v_lshl_add_u32 v5, v8, 23, v5
	v_or3_b32 v1, v3, v5, v1
	v_trunc_f32_e32 v1, v1
	s_mov_b32 s10, 0x2f800000
	v_mul_f32_e64 v3, |v1|, s10
	v_floor_f32_e32 v3, v3
	s_mov_b32 s10, 0xcf800000
	v_fma_f32 v3, v3, s10, |v1|
	v_cvt_u32_f32_e32 v3, v3
	v_ashrrev_i32_e32 v1, 31, v1
	v_xor_b32_e32 v3, v3, v1
	v_sub_u32_e32 v8, v3, v1
.LBB143_2515:
	s_or_b64 exec, exec, s[6:7]
.LBB143_2516:
	s_mov_b64 s[6:7], -1
.LBB143_2517:
	s_mov_b64 s[10:11], 0
.LBB143_2518:
	s_and_b64 vcc, exec, s[10:11]
	s_cbranch_vccz .LBB143_2549
; %bb.2519:
	s_cmp_gt_i32 s21, 22
	s_cbranch_scc0 .LBB143_2527
; %bb.2520:
	s_cmp_lt_i32 s21, 24
	s_cbranch_scc1 .LBB143_2530
; %bb.2521:
	s_cmp_gt_i32 s21, 24
	s_cbranch_scc0 .LBB143_2531
; %bb.2522:
	global_load_ubyte v1, v[18:19], off
	s_movk_i32 s2, 0x7f
	s_mov_b64 s[6:7], 0
	s_waitcnt vmcnt(0)
	v_cmp_lt_i16_e32 vcc, s2, v1
	s_and_saveexec_b64 s[2:3], vcc
	s_xor_b64 s[2:3], exec, s[2:3]
	s_cbranch_execz .LBB143_2543
; %bb.2523:
	s_movk_i32 s6, 0x80
	v_cmp_ne_u16_e32 vcc, s6, v1
	s_and_b64 s[6:7], vcc, exec
	s_andn2_saveexec_b64 s[2:3], s[2:3]
	s_cbranch_execnz .LBB143_2544
.LBB143_2524:
	s_or_b64 exec, exec, s[2:3]
	v_mov_b32_e32 v8, 0
	s_and_saveexec_b64 s[2:3], s[6:7]
	s_cbranch_execz .LBB143_2526
.LBB143_2525:
	v_lshlrev_b32_e32 v3, 24, v1
	v_and_b32_e32 v1, 0xffff, v1
	v_and_b32_e32 v5, 3, v1
	v_ffbh_u32_e32 v9, v5
	v_min_u32_e32 v9, 32, v9
	v_subrev_u32_e32 v13, 29, v9
	v_bfe_u32 v8, v1, 2, 5
	v_lshlrev_b32_e32 v1, v13, v1
	v_sub_u32_e32 v9, 30, v9
	v_and_b32_e32 v1, 3, v1
	v_cmp_eq_u32_e32 vcc, 0, v8
	v_cndmask_b32_e32 v8, v8, v9, vcc
	v_cndmask_b32_e32 v1, v5, v1, vcc
	v_mov_b32_e32 v5, 0x37800000
	v_lshlrev_b32_e32 v1, 21, v1
	v_and_b32_e32 v3, 0x80000000, v3
	v_lshl_add_u32 v5, v8, 23, v5
	v_or3_b32 v1, v3, v5, v1
	v_trunc_f32_e32 v1, v1
	s_mov_b32 s6, 0x2f800000
	v_mul_f32_e64 v3, |v1|, s6
	v_floor_f32_e32 v3, v3
	s_mov_b32 s6, 0xcf800000
	v_fma_f32 v3, v3, s6, |v1|
	v_cvt_u32_f32_e32 v3, v3
	v_ashrrev_i32_e32 v1, 31, v1
	v_xor_b32_e32 v3, v3, v1
	v_sub_u32_e32 v8, v3, v1
.LBB143_2526:
	s_or_b64 exec, exec, s[2:3]
	s_mov_b64 s[2:3], 0
	s_branch .LBB143_2532
.LBB143_2527:
	s_mov_b64 s[2:3], -1
                                        ; implicit-def: $vgpr8
	s_branch .LBB143_2538
.LBB143_2528:
	s_andn2_saveexec_b64 s[6:7], s[6:7]
	s_cbranch_execz .LBB143_2513
.LBB143_2529:
	v_cmp_ne_u16_e32 vcc, 0, v1
	s_andn2_b64 s[10:11], s[10:11], exec
	s_and_b64 s[16:17], vcc, exec
	s_or_b64 s[10:11], s[10:11], s[16:17]
	s_or_b64 exec, exec, s[6:7]
	v_mov_b32_e32 v8, 0
	s_and_saveexec_b64 s[6:7], s[10:11]
	s_cbranch_execnz .LBB143_2514
	s_branch .LBB143_2515
.LBB143_2530:
	s_mov_b64 s[2:3], -1
                                        ; implicit-def: $vgpr8
	s_branch .LBB143_2535
.LBB143_2531:
	s_mov_b64 s[2:3], -1
                                        ; implicit-def: $vgpr8
.LBB143_2532:
	s_and_b64 vcc, exec, s[2:3]
	s_cbranch_vccz .LBB143_2534
; %bb.2533:
	global_load_ubyte v1, v[18:19], off
	s_mov_b32 s2, 0x7f800000
	s_brev_b32 s3, 1
	s_mov_b32 s6, 0x2f800000
	s_waitcnt vmcnt(0)
	v_lshlrev_b32_e32 v1, 24, v1
	v_and_b32_e32 v3, 0x7f000000, v1
	v_ffbh_u32_e32 v5, v3
	v_min_u32_e32 v5, 32, v5
	v_sub_u32_e64 v5, v5, 4 clamp
	v_lshlrev_b32_e32 v9, v5, v3
	v_lshlrev_b32_e32 v5, 23, v5
	v_lshrrev_b32_e32 v9, 4, v9
	v_add_u32_e32 v8, 0x1000000, v3
	v_sub_u32_e32 v5, v9, v5
	v_ashrrev_i32_e32 v8, 8, v8
	v_add_u32_e32 v5, 0x3c000000, v5
	v_and_or_b32 v5, v8, s2, v5
	v_cmp_ne_u32_e32 vcc, 0, v3
	v_cndmask_b32_e32 v3, 0, v5, vcc
	v_and_or_b32 v1, v1, s3, v3
	v_trunc_f32_e32 v1, v1
	v_mul_f32_e64 v3, |v1|, s6
	v_floor_f32_e32 v3, v3
	s_mov_b32 s2, 0xcf800000
	v_fma_f32 v3, v3, s2, |v1|
	v_cvt_u32_f32_e32 v3, v3
	v_ashrrev_i32_e32 v1, 31, v1
	v_xor_b32_e32 v3, v3, v1
	v_sub_u32_e32 v8, v3, v1
.LBB143_2534:
	s_mov_b64 s[2:3], 0
.LBB143_2535:
	s_andn2_b64 vcc, exec, s[2:3]
	s_cbranch_vccnz .LBB143_2537
; %bb.2536:
	global_load_ubyte v1, v[18:19], off
	s_movk_i32 s2, 0x7f00
	s_brev_b32 s3, 16
	s_brev_b32 s6, 1
	s_mov_b32 s7, 0x2f800000
	s_waitcnt vmcnt(0)
	v_lshlrev_b16_e32 v3, 8, v1
	v_lshlrev_b32_e32 v1, 25, v1
	v_lshrrev_b32_e32 v5, 4, v1
	v_and_or_b32 v8, v3, s2, 0.5
	v_or_b32_e32 v5, 0x70000000, v5
	v_add_f32_e32 v8, -0.5, v8
	v_mul_f32_e32 v5, 0x7800000, v5
	v_cmp_gt_u32_e32 vcc, s3, v1
	v_bfe_i32 v3, v3, 0, 16
	v_cndmask_b32_e32 v1, v5, v8, vcc
	v_and_or_b32 v1, v3, s6, v1
	v_trunc_f32_e32 v1, v1
	v_mul_f32_e64 v3, |v1|, s7
	v_floor_f32_e32 v3, v3
	s_mov_b32 s2, 0xcf800000
	v_fma_f32 v3, v3, s2, |v1|
	v_cvt_u32_f32_e32 v3, v3
	v_ashrrev_i32_e32 v1, 31, v1
	v_xor_b32_e32 v3, v3, v1
	v_sub_u32_e32 v8, v3, v1
.LBB143_2537:
	s_mov_b64 s[2:3], 0
	s_mov_b64 s[6:7], -1
.LBB143_2538:
	s_andn2_b64 vcc, exec, s[2:3]
	s_mov_b64 s[2:3], 0
	s_cbranch_vccnz .LBB143_2549
; %bb.2539:
	s_cmp_gt_i32 s21, 14
	s_cbranch_scc0 .LBB143_2542
; %bb.2540:
	s_cmp_eq_u32 s21, 15
	s_cbranch_scc0 .LBB143_2545
; %bb.2541:
	global_load_ushort v1, v[18:19], off
	s_mov_b32 s0, 0x2f800000
	s_mov_b32 s1, 0xcf800000
	s_mov_b64 s[6:7], -1
	s_waitcnt vmcnt(0)
	v_lshlrev_b32_e32 v1, 16, v1
	v_trunc_f32_e32 v1, v1
	v_mul_f32_e64 v3, |v1|, s0
	v_floor_f32_e32 v3, v3
	v_fma_f32 v3, v3, s1, |v1|
	v_cvt_u32_f32_e32 v3, v3
	v_ashrrev_i32_e32 v1, 31, v1
	s_mov_b64 s[0:1], 0
	v_xor_b32_e32 v3, v3, v1
	v_sub_u32_e32 v8, v3, v1
	s_branch .LBB143_2546
.LBB143_2542:
	s_mov_b64 s[10:11], -1
                                        ; implicit-def: $vgpr8
	s_branch .LBB143_2547
.LBB143_2543:
	s_andn2_saveexec_b64 s[2:3], s[2:3]
	s_cbranch_execz .LBB143_2524
.LBB143_2544:
	v_cmp_ne_u16_e32 vcc, 0, v1
	s_andn2_b64 s[6:7], s[6:7], exec
	s_and_b64 s[10:11], vcc, exec
	s_or_b64 s[6:7], s[6:7], s[10:11]
	s_or_b64 exec, exec, s[2:3]
	v_mov_b32_e32 v8, 0
	s_and_saveexec_b64 s[2:3], s[6:7]
	s_cbranch_execnz .LBB143_2525
	s_branch .LBB143_2526
.LBB143_2545:
	s_mov_b64 s[0:1], -1
                                        ; implicit-def: $vgpr8
.LBB143_2546:
	s_mov_b64 s[10:11], 0
.LBB143_2547:
	s_and_b64 vcc, exec, s[10:11]
	s_cbranch_vccz .LBB143_2549
; %bb.2548:
	s_cmp_lg_u32 s21, 11
	s_mov_b64 s[2:3], -1
	s_cselect_b64 s[0:1], -1, 0
.LBB143_2549:
	s_and_b64 vcc, exec, s[0:1]
	s_cbranch_vccnz .LBB143_3082
; %bb.2550:
	s_andn2_b64 vcc, exec, s[2:3]
	s_cbranch_vccnz .LBB143_2552
.LBB143_2551:
	global_load_ubyte v1, v[18:19], off
	s_mov_b64 s[6:7], -1
	s_waitcnt vmcnt(0)
	v_cmp_ne_u16_e32 vcc, 0, v1
	v_cndmask_b32_e64 v8, 0, 1, vcc
.LBB143_2552:
	s_mov_b64 s[0:1], 0
.LBB143_2553:
	s_and_b64 vcc, exec, s[0:1]
	s_cbranch_vccz .LBB143_2602
; %bb.2554:
	s_cmp_lt_i32 s21, 5
	s_cbranch_scc1 .LBB143_2559
; %bb.2555:
	s_cmp_lt_i32 s21, 8
	s_cbranch_scc1 .LBB143_2560
	;; [unrolled: 3-line block ×3, first 2 shown]
; %bb.2557:
	s_cmp_gt_i32 s21, 9
	s_cbranch_scc0 .LBB143_2562
; %bb.2558:
	global_load_dwordx2 v[8:9], v[18:19], off
	s_movk_i32 s0, 0xffe0
	s_waitcnt vmcnt(0)
	v_trunc_f64_e32 v[8:9], v[8:9]
	v_ldexp_f64 v[20:21], v[8:9], s0
	s_mov_b32 s0, 0
	s_mov_b32 s1, 0xc1f00000
	v_floor_f64_e32 v[20:21], v[20:21]
	v_fma_f64 v[8:9], v[20:21], s[0:1], v[8:9]
	s_mov_b64 s[0:1], 0
	v_cvt_u32_f64_e32 v8, v[8:9]
	s_branch .LBB143_2563
.LBB143_2559:
	s_mov_b64 s[0:1], -1
                                        ; implicit-def: $vgpr8
	s_branch .LBB143_2581
.LBB143_2560:
	s_mov_b64 s[0:1], -1
                                        ; implicit-def: $vgpr8
	s_branch .LBB143_2569
.LBB143_2561:
	s_mov_b64 s[0:1], -1
                                        ; implicit-def: $vgpr8
	s_branch .LBB143_2566
.LBB143_2562:
	s_mov_b64 s[0:1], -1
                                        ; implicit-def: $vgpr8
.LBB143_2563:
	s_andn2_b64 vcc, exec, s[0:1]
	s_cbranch_vccnz .LBB143_2565
; %bb.2564:
	global_load_dword v1, v[18:19], off
	s_mov_b32 s0, 0x2f800000
	s_waitcnt vmcnt(0)
	v_trunc_f32_e32 v1, v1
	v_mul_f32_e64 v3, |v1|, s0
	v_floor_f32_e32 v3, v3
	s_mov_b32 s0, 0xcf800000
	v_fma_f32 v3, v3, s0, |v1|
	v_cvt_u32_f32_e32 v3, v3
	v_ashrrev_i32_e32 v1, 31, v1
	v_xor_b32_e32 v3, v3, v1
	v_sub_u32_e32 v8, v3, v1
.LBB143_2565:
	s_mov_b64 s[0:1], 0
.LBB143_2566:
	s_andn2_b64 vcc, exec, s[0:1]
	s_cbranch_vccnz .LBB143_2568
; %bb.2567:
	global_load_dword v1, v[18:19], off
	s_waitcnt vmcnt(0)
	v_cvt_f32_f16_e32 v1, v1
	v_cvt_i32_f32_e32 v8, v1
.LBB143_2568:
	s_mov_b64 s[0:1], 0
.LBB143_2569:
	s_andn2_b64 vcc, exec, s[0:1]
	s_cbranch_vccnz .LBB143_2580
; %bb.2570:
	s_cmp_lt_i32 s21, 6
	s_cbranch_scc1 .LBB143_2573
; %bb.2571:
	s_cmp_gt_i32 s21, 6
	s_cbranch_scc0 .LBB143_2574
; %bb.2572:
	global_load_dwordx2 v[8:9], v[18:19], off
	s_movk_i32 s0, 0xffe0
	s_waitcnt vmcnt(0)
	v_trunc_f64_e32 v[8:9], v[8:9]
	v_ldexp_f64 v[20:21], v[8:9], s0
	s_mov_b32 s0, 0
	s_mov_b32 s1, 0xc1f00000
	v_floor_f64_e32 v[20:21], v[20:21]
	v_fma_f64 v[8:9], v[20:21], s[0:1], v[8:9]
	s_mov_b64 s[0:1], 0
	v_cvt_u32_f64_e32 v8, v[8:9]
	s_branch .LBB143_2575
.LBB143_2573:
	s_mov_b64 s[0:1], -1
                                        ; implicit-def: $vgpr8
	s_branch .LBB143_2578
.LBB143_2574:
	s_mov_b64 s[0:1], -1
                                        ; implicit-def: $vgpr8
.LBB143_2575:
	s_andn2_b64 vcc, exec, s[0:1]
	s_cbranch_vccnz .LBB143_2577
; %bb.2576:
	global_load_dword v1, v[18:19], off
	s_mov_b32 s0, 0x2f800000
	s_waitcnt vmcnt(0)
	v_trunc_f32_e32 v1, v1
	v_mul_f32_e64 v3, |v1|, s0
	v_floor_f32_e32 v3, v3
	s_mov_b32 s0, 0xcf800000
	v_fma_f32 v3, v3, s0, |v1|
	v_cvt_u32_f32_e32 v3, v3
	v_ashrrev_i32_e32 v1, 31, v1
	v_xor_b32_e32 v3, v3, v1
	v_sub_u32_e32 v8, v3, v1
.LBB143_2577:
	s_mov_b64 s[0:1], 0
.LBB143_2578:
	s_andn2_b64 vcc, exec, s[0:1]
	s_cbranch_vccnz .LBB143_2580
; %bb.2579:
	global_load_ushort v1, v[18:19], off
	s_waitcnt vmcnt(0)
	v_cvt_f32_f16_e32 v1, v1
	v_cvt_i32_f32_e32 v8, v1
.LBB143_2580:
	s_mov_b64 s[0:1], 0
.LBB143_2581:
	s_andn2_b64 vcc, exec, s[0:1]
	s_cbranch_vccnz .LBB143_2601
; %bb.2582:
	s_cmp_lt_i32 s21, 2
	s_cbranch_scc1 .LBB143_2586
; %bb.2583:
	s_cmp_lt_i32 s21, 3
	s_cbranch_scc1 .LBB143_2587
; %bb.2584:
	s_cmp_gt_i32 s21, 3
	s_cbranch_scc0 .LBB143_2588
; %bb.2585:
	global_load_dwordx2 v[8:9], v[18:19], off
	s_mov_b64 s[0:1], 0
	s_branch .LBB143_2589
.LBB143_2586:
	s_mov_b64 s[0:1], -1
                                        ; implicit-def: $vgpr8
	s_branch .LBB143_2595
.LBB143_2587:
	s_mov_b64 s[0:1], -1
                                        ; implicit-def: $vgpr8
	s_branch .LBB143_2592
.LBB143_2588:
	s_mov_b64 s[0:1], -1
                                        ; implicit-def: $vgpr8
.LBB143_2589:
	s_andn2_b64 vcc, exec, s[0:1]
	s_cbranch_vccnz .LBB143_2591
; %bb.2590:
	global_load_dword v8, v[18:19], off
.LBB143_2591:
	s_mov_b64 s[0:1], 0
.LBB143_2592:
	s_andn2_b64 vcc, exec, s[0:1]
	s_cbranch_vccnz .LBB143_2594
; %bb.2593:
	global_load_ushort v8, v[18:19], off
.LBB143_2594:
	s_mov_b64 s[0:1], 0
.LBB143_2595:
	s_andn2_b64 vcc, exec, s[0:1]
	s_cbranch_vccnz .LBB143_2601
; %bb.2596:
	s_cmp_gt_i32 s21, 0
	s_cbranch_scc0 .LBB143_2598
; %bb.2597:
	global_load_ubyte v8, v[18:19], off
	s_mov_b64 s[0:1], 0
	s_branch .LBB143_2599
.LBB143_2598:
	s_mov_b64 s[0:1], -1
                                        ; implicit-def: $vgpr8
.LBB143_2599:
	s_andn2_b64 vcc, exec, s[0:1]
	s_cbranch_vccnz .LBB143_2601
; %bb.2600:
	global_load_ubyte v8, v[18:19], off
.LBB143_2601:
	s_mov_b64 s[6:7], -1
.LBB143_2602:
	s_andn2_b64 vcc, exec, s[6:7]
	s_cbranch_vccnz .LBB143_3036
; %bb.2603:
	v_mov_b32_e32 v3, 8
	v_lshrrev_b16_sdwa v1, v10, v7 dst_sel:DWORD dst_unused:UNUSED_PAD src0_sel:BYTE_0 src1_sel:BYTE_0
	v_cmp_lt_u16_sdwa vcc, v10, v3 src0_sel:BYTE_0 src1_sel:DWORD
	s_bfe_u32 s18, s20, 0x80008
	v_cndmask_b32_e32 v1, 0, v1, vcc
	v_mov_b32_e32 v3, s9
	v_add_co_u32_e32 v5, vcc, s8, v6
	s_cmp_lt_i32 s18, 11
	v_addc_co_u32_e32 v6, vcc, 0, v3, vcc
	s_cbranch_scc1 .LBB143_2681
; %bb.2604:
	s_and_b32 s19, 0xffff, s18
	s_mov_b64 s[10:11], -1
	s_mov_b64 s[2:3], 0
	s_cmp_gt_i32 s19, 25
	s_mov_b64 s[6:7], 0
	s_mov_b64 s[0:1], 0
	s_cbranch_scc0 .LBB143_2637
; %bb.2605:
	s_cmp_gt_i32 s19, 28
	s_cbranch_scc0 .LBB143_2620
; %bb.2606:
	s_cmp_gt_i32 s19, 43
	s_cbranch_scc0 .LBB143_2616
; %bb.2607:
	s_cmp_gt_i32 s19, 45
	s_cbranch_scc0 .LBB143_2610
; %bb.2608:
	s_mov_b64 s[0:1], -1
	s_mov_b64 s[10:11], 0
	s_cmp_eq_u32 s19, 46
	s_cbranch_scc0 .LBB143_2610
; %bb.2609:
	v_cvt_f32_ubyte0_e32 v3, v1
	v_bfe_u32 v7, v3, 16, 1
	s_movk_i32 s0, 0x7fff
	v_add3_u32 v3, v3, v7, s0
	v_lshrrev_b32_e32 v3, 16, v3
	global_store_dword v[5:6], v3, off
	s_mov_b64 s[0:1], 0
	s_mov_b64 s[6:7], -1
.LBB143_2610:
	s_and_b64 vcc, exec, s[10:11]
	s_cbranch_vccz .LBB143_2615
; %bb.2611:
	s_cmp_eq_u32 s19, 44
	s_mov_b64 s[0:1], -1
	s_cbranch_scc0 .LBB143_2615
; %bb.2612:
	v_cvt_f32_ubyte0_e32 v7, v1
	v_lshrrev_b32_e32 v3, 23, v7
	s_movk_i32 s0, 0xff
	v_cmp_ne_u32_e32 vcc, s0, v3
	s_waitcnt vmcnt(0)
	v_mov_b32_e32 v9, 0xff
	s_and_saveexec_b64 s[6:7], vcc
; %bb.2613:
	s_mov_b32 s0, 0x3fffff
	v_and_b32_e32 v9, 0x400000, v7
	v_and_or_b32 v7, v7, s0, v3
	v_cmp_ne_u32_e32 vcc, 0, v9
	v_cmp_ne_u32_e64 s[0:1], 0, v7
	s_and_b64 s[0:1], vcc, s[0:1]
	v_cndmask_b32_e64 v7, 0, 1, s[0:1]
	v_add_u32_e32 v9, v3, v7
; %bb.2614:
	s_or_b64 exec, exec, s[6:7]
	s_mov_b64 s[0:1], 0
	s_mov_b64 s[6:7], -1
	global_store_byte v[5:6], v9, off
.LBB143_2615:
	s_mov_b64 s[10:11], 0
.LBB143_2616:
	s_and_b64 vcc, exec, s[10:11]
	s_cbranch_vccz .LBB143_2619
; %bb.2617:
	s_cmp_eq_u32 s19, 29
	s_mov_b64 s[0:1], -1
	s_cbranch_scc0 .LBB143_2619
; %bb.2618:
	s_mov_b32 s0, 0
	s_waitcnt vmcnt(0)
	v_and_b32_e32 v9, 0xffff, v1
	v_mov_b32_e32 v10, s0
	global_store_dwordx2 v[5:6], v[9:10], off
	s_mov_b64 s[0:1], 0
	s_mov_b64 s[6:7], -1
.LBB143_2619:
	s_mov_b64 s[10:11], 0
.LBB143_2620:
	s_and_b64 vcc, exec, s[10:11]
	s_cbranch_vccz .LBB143_2636
; %bb.2621:
	s_cmp_lt_i32 s19, 27
	s_mov_b64 s[6:7], -1
	s_cbranch_scc1 .LBB143_2627
; %bb.2622:
	s_cmp_gt_i32 s19, 27
	s_cbranch_scc0 .LBB143_2624
; %bb.2623:
	v_and_b32_e32 v3, 0xffff, v1
	s_mov_b64 s[6:7], 0
	global_store_dword v[5:6], v3, off
.LBB143_2624:
	s_andn2_b64 vcc, exec, s[6:7]
	s_cbranch_vccnz .LBB143_2626
; %bb.2625:
	global_store_short v[5:6], v1, off
.LBB143_2626:
	s_mov_b64 s[6:7], 0
.LBB143_2627:
	s_andn2_b64 vcc, exec, s[6:7]
	s_cbranch_vccnz .LBB143_2635
; %bb.2628:
	v_cvt_f32_ubyte0_e32 v7, v1
	s_mov_b32 s6, 0x43800000
	v_cmp_gt_u32_e32 vcc, s6, v7
	s_waitcnt vmcnt(0)
	v_mov_b32_e32 v9, 0x80
	s_and_saveexec_b64 s[6:7], vcc
	s_cbranch_execz .LBB143_2634
; %bb.2629:
	s_mov_b32 s10, 0x3bffffff
	v_cmp_lt_u32_e32 vcc, s10, v7
	s_mov_b64 s[10:11], 0
                                        ; implicit-def: $vgpr3
	s_and_saveexec_b64 s[16:17], vcc
	s_xor_b64 s[16:17], exec, s[16:17]
	s_cbranch_execz .LBB143_3083
; %bb.2630:
	v_bfe_u32 v3, v7, 20, 1
	s_mov_b32 s21, 0x487ffff
	v_add3_u32 v3, v7, v3, s21
	s_mov_b64 s[10:11], exec
	v_lshrrev_b32_e32 v3, 20, v3
                                        ; implicit-def: $vgpr7
	s_andn2_saveexec_b64 s[16:17], s[16:17]
	s_cbranch_execnz .LBB143_3084
.LBB143_2631:
	s_or_b64 exec, exec, s[16:17]
	v_mov_b32_e32 v9, 0
	s_and_saveexec_b64 s[16:17], s[10:11]
.LBB143_2632:
	v_mov_b32_e32 v9, v3
.LBB143_2633:
	s_or_b64 exec, exec, s[16:17]
.LBB143_2634:
	s_or_b64 exec, exec, s[6:7]
	global_store_byte v[5:6], v9, off
.LBB143_2635:
	s_mov_b64 s[6:7], -1
.LBB143_2636:
	s_mov_b64 s[10:11], 0
.LBB143_2637:
	s_and_b64 vcc, exec, s[10:11]
	s_cbranch_vccz .LBB143_2677
; %bb.2638:
	s_cmp_gt_i32 s19, 22
	s_mov_b64 s[2:3], -1
	s_cbranch_scc0 .LBB143_2670
; %bb.2639:
	s_cmp_lt_i32 s19, 24
	s_cbranch_scc1 .LBB143_2659
; %bb.2640:
	s_cmp_gt_i32 s19, 24
	s_cbranch_scc0 .LBB143_2648
; %bb.2641:
	v_cvt_f32_ubyte0_e32 v7, v1
	s_mov_b32 s2, 0x47800000
	v_cmp_gt_u32_e32 vcc, s2, v7
	s_waitcnt vmcnt(0)
	v_mov_b32_e32 v9, 0x80
	s_and_saveexec_b64 s[2:3], vcc
	s_cbranch_execz .LBB143_2647
; %bb.2642:
	s_mov_b32 s6, 0x37ffffff
	v_cmp_lt_u32_e32 vcc, s6, v7
	s_mov_b64 s[6:7], 0
                                        ; implicit-def: $vgpr3
	s_and_saveexec_b64 s[10:11], vcc
	s_xor_b64 s[10:11], exec, s[10:11]
	s_cbranch_execz .LBB143_3086
; %bb.2643:
	v_bfe_u32 v3, v7, 21, 1
	s_mov_b32 s16, 0x88fffff
	v_add3_u32 v3, v7, v3, s16
	s_mov_b64 s[6:7], exec
	v_lshrrev_b32_e32 v3, 21, v3
                                        ; implicit-def: $vgpr7
	s_andn2_saveexec_b64 s[10:11], s[10:11]
	s_cbranch_execnz .LBB143_3087
.LBB143_2644:
	s_or_b64 exec, exec, s[10:11]
	v_mov_b32_e32 v9, 0
	s_and_saveexec_b64 s[10:11], s[6:7]
.LBB143_2645:
	v_mov_b32_e32 v9, v3
.LBB143_2646:
	s_or_b64 exec, exec, s[10:11]
.LBB143_2647:
	s_or_b64 exec, exec, s[2:3]
	s_mov_b64 s[2:3], 0
	global_store_byte v[5:6], v9, off
.LBB143_2648:
	s_and_b64 vcc, exec, s[2:3]
	s_cbranch_vccz .LBB143_2658
; %bb.2649:
	v_cvt_f32_ubyte0_e32 v3, v1
	s_mov_b32 s2, 0x43f00000
	v_cmp_gt_u32_e32 vcc, s2, v3
                                        ; implicit-def: $vgpr7
	s_and_saveexec_b64 s[2:3], vcc
	s_xor_b64 s[2:3], exec, s[2:3]
	s_cbranch_execz .LBB143_2655
; %bb.2650:
	s_mov_b32 s6, 0x3c7fffff
	v_cmp_lt_u32_e32 vcc, s6, v3
                                        ; implicit-def: $vgpr7
	s_and_saveexec_b64 s[6:7], vcc
	s_xor_b64 s[6:7], exec, s[6:7]
	s_cbranch_execz .LBB143_2652
; %bb.2651:
	v_bfe_u32 v7, v3, 20, 1
	s_mov_b32 s10, 0x407ffff
	v_add3_u32 v3, v3, v7, s10
	v_lshrrev_b32_e32 v7, 20, v3
	v_and_b32_e32 v3, 0xff00000, v3
	s_mov_b32 s10, 0x7f00000
	s_waitcnt vmcnt(0)
	v_mov_b32_e32 v9, 0x7e
	v_cmp_ne_u32_e32 vcc, s10, v3
	v_cndmask_b32_e32 v7, v9, v7, vcc
                                        ; implicit-def: $vgpr3
.LBB143_2652:
	s_andn2_saveexec_b64 s[6:7], s[6:7]
; %bb.2653:
	v_add_f32_e32 v7, 0x46800000, v3
; %bb.2654:
	s_or_b64 exec, exec, s[6:7]
                                        ; implicit-def: $vgpr3
.LBB143_2655:
	s_andn2_saveexec_b64 s[2:3], s[2:3]
	s_cbranch_execz .LBB143_2657
; %bb.2656:
	s_mov_b32 s6, 0x7f800000
	v_mov_b32_e32 v7, 0x7e
	s_waitcnt vmcnt(0)
	v_mov_b32_e32 v9, 0x7f
	v_cmp_lt_u32_e32 vcc, s6, v3
	v_cndmask_b32_e32 v7, v7, v9, vcc
.LBB143_2657:
	s_or_b64 exec, exec, s[2:3]
	global_store_byte v[5:6], v7, off
.LBB143_2658:
	s_mov_b64 s[2:3], 0
.LBB143_2659:
	s_andn2_b64 vcc, exec, s[2:3]
	s_cbranch_vccnz .LBB143_2669
; %bb.2660:
	v_cvt_f32_ubyte0_e32 v3, v1
	s_mov_b32 s2, 0x47800000
	v_cmp_gt_u32_e32 vcc, s2, v3
                                        ; implicit-def: $vgpr7
	s_and_saveexec_b64 s[2:3], vcc
	s_xor_b64 s[2:3], exec, s[2:3]
	s_cbranch_execz .LBB143_2666
; %bb.2661:
	s_mov_b32 s6, 0x387fffff
	v_cmp_lt_u32_e32 vcc, s6, v3
                                        ; implicit-def: $vgpr7
	s_and_saveexec_b64 s[6:7], vcc
	s_xor_b64 s[6:7], exec, s[6:7]
; %bb.2662:
	v_bfe_u32 v7, v3, 21, 1
	s_mov_b32 s10, 0x80fffff
	v_add3_u32 v3, v3, v7, s10
	v_lshrrev_b32_e32 v7, 21, v3
                                        ; implicit-def: $vgpr3
; %bb.2663:
	s_andn2_saveexec_b64 s[6:7], s[6:7]
; %bb.2664:
	v_add_f32_e32 v7, 0x43000000, v3
; %bb.2665:
	s_or_b64 exec, exec, s[6:7]
                                        ; implicit-def: $vgpr3
.LBB143_2666:
	s_andn2_saveexec_b64 s[2:3], s[2:3]
	s_cbranch_execz .LBB143_2668
; %bb.2667:
	s_mov_b32 s6, 0x7f800000
	v_mov_b32_e32 v7, 0x7c
	s_waitcnt vmcnt(0)
	v_mov_b32_e32 v9, 0x7f
	v_cmp_lt_u32_e32 vcc, s6, v3
	v_cndmask_b32_e32 v7, v7, v9, vcc
.LBB143_2668:
	s_or_b64 exec, exec, s[2:3]
	global_store_byte v[5:6], v7, off
.LBB143_2669:
	s_mov_b64 s[2:3], 0
	s_mov_b64 s[6:7], -1
.LBB143_2670:
	s_andn2_b64 vcc, exec, s[2:3]
	s_mov_b64 s[2:3], 0
	s_cbranch_vccnz .LBB143_2677
; %bb.2671:
	s_cmp_gt_i32 s19, 14
	s_mov_b64 s[10:11], -1
	s_cbranch_scc0 .LBB143_2675
; %bb.2672:
	s_cmp_eq_u32 s19, 15
	s_mov_b64 s[0:1], -1
	s_cbranch_scc0 .LBB143_2674
; %bb.2673:
	v_cvt_f32_ubyte0_e32 v3, v1
	v_bfe_u32 v7, v3, 16, 1
	s_movk_i32 s0, 0x7fff
	v_add3_u32 v3, v3, v7, s0
	global_store_short_d16_hi v[5:6], v3, off
	s_mov_b64 s[0:1], 0
	s_mov_b64 s[6:7], -1
.LBB143_2674:
	s_mov_b64 s[10:11], 0
.LBB143_2675:
	s_and_b64 vcc, exec, s[10:11]
	s_cbranch_vccz .LBB143_2677
; %bb.2676:
	s_cmp_lg_u32 s19, 11
	s_mov_b64 s[2:3], -1
	s_cselect_b64 s[0:1], -1, 0
.LBB143_2677:
	s_and_b64 vcc, exec, s[0:1]
	s_cbranch_vccnz .LBB143_3085
; %bb.2678:
	s_andn2_b64 vcc, exec, s[2:3]
	s_cbranch_vccnz .LBB143_2680
.LBB143_2679:
	v_cmp_ne_u16_e32 vcc, 0, v1
	v_cndmask_b32_e64 v3, 0, 1, vcc
	s_mov_b64 s[6:7], -1
	global_store_byte v[5:6], v3, off
.LBB143_2680:
	s_mov_b64 s[0:1], 0
	s_branch .LBB143_2682
.LBB143_2681:
	s_mov_b64 s[0:1], -1
	s_mov_b64 s[6:7], 0
.LBB143_2682:
	s_and_b64 vcc, exec, s[0:1]
	s_cbranch_vccz .LBB143_2721
; %bb.2683:
	s_and_b32 s2, 0xffff, s18
	s_cmp_lt_i32 s2, 5
	s_mov_b64 s[0:1], -1
	s_cbranch_scc1 .LBB143_2704
; %bb.2684:
	s_cmp_lt_i32 s2, 8
	s_cbranch_scc1 .LBB143_2694
; %bb.2685:
	s_cmp_lt_i32 s2, 9
	s_cbranch_scc1 .LBB143_2691
; %bb.2686:
	s_cmp_gt_i32 s2, 9
	s_cbranch_scc0 .LBB143_2688
; %bb.2687:
	v_and_b32_e32 v3, 0xffff, v1
	v_cvt_f64_u32_e32 v[18:19], v3
	v_mov_b32_e32 v20, 0
	v_mov_b32_e32 v21, v20
	s_mov_b64 s[0:1], 0
	global_store_dwordx4 v[5:6], v[18:21], off
.LBB143_2688:
	s_andn2_b64 vcc, exec, s[0:1]
	s_cbranch_vccnz .LBB143_2690
; %bb.2689:
	s_waitcnt vmcnt(0)
	v_cvt_f32_ubyte0_e32 v9, v1
	v_mov_b32_e32 v10, 0
	global_store_dwordx2 v[5:6], v[9:10], off
.LBB143_2690:
	s_mov_b64 s[0:1], 0
.LBB143_2691:
	s_andn2_b64 vcc, exec, s[0:1]
	s_cbranch_vccnz .LBB143_2693
; %bb.2692:
	v_cvt_f16_u16_e32 v3, v1
	global_store_dword v[5:6], v3, off
.LBB143_2693:
	s_mov_b64 s[0:1], 0
.LBB143_2694:
	s_andn2_b64 vcc, exec, s[0:1]
	s_cbranch_vccnz .LBB143_2703
; %bb.2695:
	s_cmp_lt_i32 s2, 6
	s_mov_b64 s[0:1], -1
	s_cbranch_scc1 .LBB143_2701
; %bb.2696:
	s_cmp_gt_i32 s2, 6
	s_cbranch_scc0 .LBB143_2698
; %bb.2697:
	v_and_b32_e32 v3, 0xffff, v1
	s_waitcnt vmcnt(0)
	v_cvt_f64_u32_e32 v[9:10], v3
	s_mov_b64 s[0:1], 0
	global_store_dwordx2 v[5:6], v[9:10], off
.LBB143_2698:
	s_andn2_b64 vcc, exec, s[0:1]
	s_cbranch_vccnz .LBB143_2700
; %bb.2699:
	v_cvt_f32_ubyte0_e32 v3, v1
	global_store_dword v[5:6], v3, off
.LBB143_2700:
	s_mov_b64 s[0:1], 0
.LBB143_2701:
	s_andn2_b64 vcc, exec, s[0:1]
	s_cbranch_vccnz .LBB143_2703
; %bb.2702:
	v_cvt_f16_u16_e32 v3, v1
	global_store_short v[5:6], v3, off
.LBB143_2703:
	s_mov_b64 s[0:1], 0
.LBB143_2704:
	s_andn2_b64 vcc, exec, s[0:1]
	s_cbranch_vccnz .LBB143_2720
; %bb.2705:
	s_cmp_lt_i32 s2, 2
	s_mov_b64 s[0:1], -1
	s_cbranch_scc1 .LBB143_2715
; %bb.2706:
	s_cmp_lt_i32 s2, 3
	s_cbranch_scc1 .LBB143_2712
; %bb.2707:
	s_cmp_gt_i32 s2, 3
	s_cbranch_scc0 .LBB143_2709
; %bb.2708:
	s_mov_b32 s0, 0
	s_waitcnt vmcnt(0)
	v_and_b32_e32 v9, 0xffff, v1
	v_mov_b32_e32 v10, s0
	global_store_dwordx2 v[5:6], v[9:10], off
	s_mov_b64 s[0:1], 0
.LBB143_2709:
	s_andn2_b64 vcc, exec, s[0:1]
	s_cbranch_vccnz .LBB143_2711
; %bb.2710:
	v_and_b32_e32 v3, 0xffff, v1
	global_store_dword v[5:6], v3, off
.LBB143_2711:
	s_mov_b64 s[0:1], 0
.LBB143_2712:
	s_andn2_b64 vcc, exec, s[0:1]
	s_cbranch_vccnz .LBB143_2714
; %bb.2713:
	global_store_short v[5:6], v1, off
.LBB143_2714:
	s_mov_b64 s[0:1], 0
.LBB143_2715:
	s_andn2_b64 vcc, exec, s[0:1]
	s_cbranch_vccnz .LBB143_2720
; %bb.2716:
	s_cmp_gt_i32 s2, 0
	s_mov_b64 s[0:1], -1
	s_cbranch_scc0 .LBB143_2718
; %bb.2717:
	global_store_byte v[5:6], v1, off
	s_mov_b64 s[0:1], 0
.LBB143_2718:
	s_andn2_b64 vcc, exec, s[0:1]
	s_cbranch_vccnz .LBB143_2720
; %bb.2719:
	global_store_byte v[5:6], v1, off
.LBB143_2720:
	s_mov_b64 s[6:7], -1
.LBB143_2721:
	s_andn2_b64 vcc, exec, s[6:7]
	s_cbranch_vccnz .LBB143_3036
; %bb.2722:
	v_mov_b32_e32 v3, 8
	s_lshr_b32 s0, s20, 8
	v_lshrrev_b16_sdwa v1, v14, v11 dst_sel:DWORD dst_unused:UNUSED_PAD src0_sel:BYTE_0 src1_sel:BYTE_0
	v_cmp_lt_u16_sdwa vcc, v14, v3 src0_sel:BYTE_0 src1_sel:DWORD
	s_and_b32 s18, s0, 0xff
	v_cndmask_b32_e32 v1, 0, v1, vcc
	v_mov_b32_e32 v5, s9
	v_add_co_u32_e32 v3, vcc, s8, v4
	s_cmp_lt_i32 s18, 11
	v_addc_co_u32_e32 v4, vcc, 0, v5, vcc
	s_cbranch_scc1 .LBB143_2800
; %bb.2723:
	s_and_b32 s19, 0xffff, s18
	s_mov_b64 s[10:11], -1
	s_mov_b64 s[2:3], 0
	s_cmp_gt_i32 s19, 25
	s_mov_b64 s[6:7], 0
	s_mov_b64 s[0:1], 0
	s_cbranch_scc0 .LBB143_2756
; %bb.2724:
	s_cmp_gt_i32 s19, 28
	s_cbranch_scc0 .LBB143_2739
; %bb.2725:
	s_cmp_gt_i32 s19, 43
	;; [unrolled: 3-line block ×3, first 2 shown]
	s_cbranch_scc0 .LBB143_2729
; %bb.2727:
	s_mov_b64 s[0:1], -1
	s_mov_b64 s[10:11], 0
	s_cmp_eq_u32 s19, 46
	s_cbranch_scc0 .LBB143_2729
; %bb.2728:
	v_cvt_f32_ubyte0_e32 v5, v1
	v_bfe_u32 v6, v5, 16, 1
	s_movk_i32 s0, 0x7fff
	v_add3_u32 v5, v5, v6, s0
	v_lshrrev_b32_e32 v5, 16, v5
	global_store_dword v[3:4], v5, off
	s_mov_b64 s[0:1], 0
	s_mov_b64 s[6:7], -1
.LBB143_2729:
	s_and_b64 vcc, exec, s[10:11]
	s_cbranch_vccz .LBB143_2734
; %bb.2730:
	s_cmp_eq_u32 s19, 44
	s_mov_b64 s[0:1], -1
	s_cbranch_scc0 .LBB143_2734
; %bb.2731:
	v_cvt_f32_ubyte0_e32 v6, v1
	v_lshrrev_b32_e32 v5, 23, v6
	s_movk_i32 s0, 0xff
	v_cmp_ne_u32_e32 vcc, s0, v5
	v_mov_b32_e32 v7, 0xff
	s_and_saveexec_b64 s[6:7], vcc
; %bb.2732:
	s_mov_b32 s0, 0x3fffff
	v_and_b32_e32 v7, 0x400000, v6
	v_and_or_b32 v6, v6, s0, v5
	v_cmp_ne_u32_e32 vcc, 0, v7
	v_cmp_ne_u32_e64 s[0:1], 0, v6
	s_and_b64 s[0:1], vcc, s[0:1]
	v_cndmask_b32_e64 v6, 0, 1, s[0:1]
	v_add_u32_e32 v7, v5, v6
; %bb.2733:
	s_or_b64 exec, exec, s[6:7]
	s_mov_b64 s[0:1], 0
	s_mov_b64 s[6:7], -1
	global_store_byte v[3:4], v7, off
.LBB143_2734:
	s_mov_b64 s[10:11], 0
.LBB143_2735:
	s_and_b64 vcc, exec, s[10:11]
	s_cbranch_vccz .LBB143_2738
; %bb.2736:
	s_cmp_eq_u32 s19, 29
	s_mov_b64 s[0:1], -1
	s_cbranch_scc0 .LBB143_2738
; %bb.2737:
	s_mov_b32 s0, 0
	v_and_b32_e32 v5, 0xffff, v1
	v_mov_b32_e32 v6, s0
	global_store_dwordx2 v[3:4], v[5:6], off
	s_mov_b64 s[0:1], 0
	s_mov_b64 s[6:7], -1
.LBB143_2738:
	s_mov_b64 s[10:11], 0
.LBB143_2739:
	s_and_b64 vcc, exec, s[10:11]
	s_cbranch_vccz .LBB143_2755
; %bb.2740:
	s_cmp_lt_i32 s19, 27
	s_mov_b64 s[6:7], -1
	s_cbranch_scc1 .LBB143_2746
; %bb.2741:
	s_cmp_gt_i32 s19, 27
	s_cbranch_scc0 .LBB143_2743
; %bb.2742:
	v_and_b32_e32 v5, 0xffff, v1
	s_mov_b64 s[6:7], 0
	global_store_dword v[3:4], v5, off
.LBB143_2743:
	s_andn2_b64 vcc, exec, s[6:7]
	s_cbranch_vccnz .LBB143_2745
; %bb.2744:
	global_store_short v[3:4], v1, off
.LBB143_2745:
	s_mov_b64 s[6:7], 0
.LBB143_2746:
	s_andn2_b64 vcc, exec, s[6:7]
	s_cbranch_vccnz .LBB143_2754
; %bb.2747:
	v_cvt_f32_ubyte0_e32 v6, v1
	s_mov_b32 s6, 0x43800000
	v_cmp_gt_u32_e32 vcc, s6, v6
	v_mov_b32_e32 v7, 0x80
	s_and_saveexec_b64 s[6:7], vcc
	s_cbranch_execz .LBB143_2753
; %bb.2748:
	s_mov_b32 s10, 0x3bffffff
	v_cmp_lt_u32_e32 vcc, s10, v6
	s_mov_b64 s[10:11], 0
                                        ; implicit-def: $vgpr5
	s_and_saveexec_b64 s[16:17], vcc
	s_xor_b64 s[16:17], exec, s[16:17]
	s_cbranch_execz .LBB143_3088
; %bb.2749:
	v_bfe_u32 v5, v6, 20, 1
	s_mov_b32 s20, 0x487ffff
	v_add3_u32 v5, v6, v5, s20
	s_mov_b64 s[10:11], exec
	v_lshrrev_b32_e32 v5, 20, v5
                                        ; implicit-def: $vgpr6
	s_andn2_saveexec_b64 s[16:17], s[16:17]
	s_cbranch_execnz .LBB143_3089
.LBB143_2750:
	s_or_b64 exec, exec, s[16:17]
	v_mov_b32_e32 v7, 0
	s_and_saveexec_b64 s[16:17], s[10:11]
.LBB143_2751:
	v_mov_b32_e32 v7, v5
.LBB143_2752:
	s_or_b64 exec, exec, s[16:17]
.LBB143_2753:
	s_or_b64 exec, exec, s[6:7]
	global_store_byte v[3:4], v7, off
.LBB143_2754:
	s_mov_b64 s[6:7], -1
.LBB143_2755:
	s_mov_b64 s[10:11], 0
.LBB143_2756:
	s_and_b64 vcc, exec, s[10:11]
	s_cbranch_vccz .LBB143_2796
; %bb.2757:
	s_cmp_gt_i32 s19, 22
	s_mov_b64 s[2:3], -1
	s_cbranch_scc0 .LBB143_2789
; %bb.2758:
	s_cmp_lt_i32 s19, 24
	s_cbranch_scc1 .LBB143_2778
; %bb.2759:
	s_cmp_gt_i32 s19, 24
	s_cbranch_scc0 .LBB143_2767
; %bb.2760:
	v_cvt_f32_ubyte0_e32 v6, v1
	s_mov_b32 s2, 0x47800000
	v_cmp_gt_u32_e32 vcc, s2, v6
	v_mov_b32_e32 v7, 0x80
	s_and_saveexec_b64 s[2:3], vcc
	s_cbranch_execz .LBB143_2766
; %bb.2761:
	s_mov_b32 s6, 0x37ffffff
	v_cmp_lt_u32_e32 vcc, s6, v6
	s_mov_b64 s[6:7], 0
                                        ; implicit-def: $vgpr5
	s_and_saveexec_b64 s[10:11], vcc
	s_xor_b64 s[10:11], exec, s[10:11]
	s_cbranch_execz .LBB143_3091
; %bb.2762:
	v_bfe_u32 v5, v6, 21, 1
	s_mov_b32 s16, 0x88fffff
	v_add3_u32 v5, v6, v5, s16
	s_mov_b64 s[6:7], exec
	v_lshrrev_b32_e32 v5, 21, v5
                                        ; implicit-def: $vgpr6
	s_andn2_saveexec_b64 s[10:11], s[10:11]
	s_cbranch_execnz .LBB143_3092
.LBB143_2763:
	s_or_b64 exec, exec, s[10:11]
	v_mov_b32_e32 v7, 0
	s_and_saveexec_b64 s[10:11], s[6:7]
.LBB143_2764:
	v_mov_b32_e32 v7, v5
.LBB143_2765:
	s_or_b64 exec, exec, s[10:11]
.LBB143_2766:
	s_or_b64 exec, exec, s[2:3]
	s_mov_b64 s[2:3], 0
	global_store_byte v[3:4], v7, off
.LBB143_2767:
	s_and_b64 vcc, exec, s[2:3]
	s_cbranch_vccz .LBB143_2777
; %bb.2768:
	v_cvt_f32_ubyte0_e32 v5, v1
	s_mov_b32 s2, 0x43f00000
	v_cmp_gt_u32_e32 vcc, s2, v5
                                        ; implicit-def: $vgpr6
	s_and_saveexec_b64 s[2:3], vcc
	s_xor_b64 s[2:3], exec, s[2:3]
	s_cbranch_execz .LBB143_2774
; %bb.2769:
	s_mov_b32 s6, 0x3c7fffff
	v_cmp_lt_u32_e32 vcc, s6, v5
                                        ; implicit-def: $vgpr6
	s_and_saveexec_b64 s[6:7], vcc
	s_xor_b64 s[6:7], exec, s[6:7]
; %bb.2770:
	v_bfe_u32 v6, v5, 20, 1
	s_mov_b32 s10, 0x407ffff
	v_add3_u32 v5, v5, v6, s10
	v_lshrrev_b32_e32 v6, 20, v5
	v_and_b32_e32 v5, 0xff00000, v5
	s_mov_b32 s10, 0x7f00000
	v_mov_b32_e32 v7, 0x7e
	v_cmp_ne_u32_e32 vcc, s10, v5
	v_cndmask_b32_e32 v6, v7, v6, vcc
                                        ; implicit-def: $vgpr5
; %bb.2771:
	s_andn2_saveexec_b64 s[6:7], s[6:7]
; %bb.2772:
	v_add_f32_e32 v6, 0x46800000, v5
; %bb.2773:
	s_or_b64 exec, exec, s[6:7]
                                        ; implicit-def: $vgpr5
.LBB143_2774:
	s_andn2_saveexec_b64 s[2:3], s[2:3]
; %bb.2775:
	s_mov_b32 s6, 0x7f800000
	v_mov_b32_e32 v6, 0x7e
	v_mov_b32_e32 v7, 0x7f
	v_cmp_lt_u32_e32 vcc, s6, v5
	v_cndmask_b32_e32 v6, v6, v7, vcc
; %bb.2776:
	s_or_b64 exec, exec, s[2:3]
	global_store_byte v[3:4], v6, off
.LBB143_2777:
	s_mov_b64 s[2:3], 0
.LBB143_2778:
	s_andn2_b64 vcc, exec, s[2:3]
	s_cbranch_vccnz .LBB143_2788
; %bb.2779:
	v_cvt_f32_ubyte0_e32 v5, v1
	s_mov_b32 s2, 0x47800000
	v_cmp_gt_u32_e32 vcc, s2, v5
                                        ; implicit-def: $vgpr6
	s_and_saveexec_b64 s[2:3], vcc
	s_xor_b64 s[2:3], exec, s[2:3]
	s_cbranch_execz .LBB143_2785
; %bb.2780:
	s_mov_b32 s6, 0x387fffff
	v_cmp_lt_u32_e32 vcc, s6, v5
                                        ; implicit-def: $vgpr6
	s_and_saveexec_b64 s[6:7], vcc
	s_xor_b64 s[6:7], exec, s[6:7]
; %bb.2781:
	v_bfe_u32 v6, v5, 21, 1
	s_mov_b32 s10, 0x80fffff
	v_add3_u32 v5, v5, v6, s10
	v_lshrrev_b32_e32 v6, 21, v5
                                        ; implicit-def: $vgpr5
; %bb.2782:
	s_andn2_saveexec_b64 s[6:7], s[6:7]
; %bb.2783:
	v_add_f32_e32 v6, 0x43000000, v5
; %bb.2784:
	s_or_b64 exec, exec, s[6:7]
                                        ; implicit-def: $vgpr5
.LBB143_2785:
	s_andn2_saveexec_b64 s[2:3], s[2:3]
; %bb.2786:
	s_mov_b32 s6, 0x7f800000
	v_mov_b32_e32 v6, 0x7c
	v_mov_b32_e32 v7, 0x7f
	v_cmp_lt_u32_e32 vcc, s6, v5
	v_cndmask_b32_e32 v6, v6, v7, vcc
; %bb.2787:
	s_or_b64 exec, exec, s[2:3]
	global_store_byte v[3:4], v6, off
.LBB143_2788:
	s_mov_b64 s[2:3], 0
	s_mov_b64 s[6:7], -1
.LBB143_2789:
	s_andn2_b64 vcc, exec, s[2:3]
	s_mov_b64 s[2:3], 0
	s_cbranch_vccnz .LBB143_2796
; %bb.2790:
	s_cmp_gt_i32 s19, 14
	s_mov_b64 s[10:11], -1
	s_cbranch_scc0 .LBB143_2794
; %bb.2791:
	s_cmp_eq_u32 s19, 15
	s_mov_b64 s[0:1], -1
	s_cbranch_scc0 .LBB143_2793
; %bb.2792:
	v_cvt_f32_ubyte0_e32 v5, v1
	v_bfe_u32 v6, v5, 16, 1
	s_movk_i32 s0, 0x7fff
	v_add3_u32 v5, v5, v6, s0
	global_store_short_d16_hi v[3:4], v5, off
	s_mov_b64 s[0:1], 0
	s_mov_b64 s[6:7], -1
.LBB143_2793:
	s_mov_b64 s[10:11], 0
.LBB143_2794:
	s_and_b64 vcc, exec, s[10:11]
	s_cbranch_vccz .LBB143_2796
; %bb.2795:
	s_cmp_lg_u32 s19, 11
	s_mov_b64 s[2:3], -1
	s_cselect_b64 s[0:1], -1, 0
.LBB143_2796:
	s_and_b64 vcc, exec, s[0:1]
	s_cbranch_vccnz .LBB143_3090
; %bb.2797:
	s_andn2_b64 vcc, exec, s[2:3]
	s_cbranch_vccnz .LBB143_2799
.LBB143_2798:
	v_cmp_ne_u16_e32 vcc, 0, v1
	v_cndmask_b32_e64 v5, 0, 1, vcc
	s_mov_b64 s[6:7], -1
	global_store_byte v[3:4], v5, off
.LBB143_2799:
	s_mov_b64 s[0:1], 0
	s_branch .LBB143_2801
.LBB143_2800:
	s_mov_b64 s[0:1], -1
	s_mov_b64 s[6:7], 0
.LBB143_2801:
	s_and_b64 vcc, exec, s[0:1]
	s_cbranch_vccz .LBB143_2840
; %bb.2802:
	s_and_b32 s2, 0xffff, s18
	s_cmp_lt_i32 s2, 5
	s_mov_b64 s[0:1], -1
	s_cbranch_scc1 .LBB143_2823
; %bb.2803:
	s_cmp_lt_i32 s2, 8
	s_cbranch_scc1 .LBB143_2813
; %bb.2804:
	s_cmp_lt_i32 s2, 9
	s_cbranch_scc1 .LBB143_2810
; %bb.2805:
	s_cmp_gt_i32 s2, 9
	s_cbranch_scc0 .LBB143_2807
; %bb.2806:
	v_and_b32_e32 v5, 0xffff, v1
	v_cvt_f64_u32_e32 v[18:19], v5
	v_mov_b32_e32 v20, 0
	v_mov_b32_e32 v21, v20
	s_mov_b64 s[0:1], 0
	global_store_dwordx4 v[3:4], v[18:21], off
.LBB143_2807:
	s_andn2_b64 vcc, exec, s[0:1]
	s_cbranch_vccnz .LBB143_2809
; %bb.2808:
	v_cvt_f32_ubyte0_e32 v5, v1
	v_mov_b32_e32 v6, 0
	global_store_dwordx2 v[3:4], v[5:6], off
.LBB143_2809:
	s_mov_b64 s[0:1], 0
.LBB143_2810:
	s_andn2_b64 vcc, exec, s[0:1]
	s_cbranch_vccnz .LBB143_2812
; %bb.2811:
	v_cvt_f16_u16_e32 v5, v1
	global_store_dword v[3:4], v5, off
.LBB143_2812:
	s_mov_b64 s[0:1], 0
.LBB143_2813:
	s_andn2_b64 vcc, exec, s[0:1]
	s_cbranch_vccnz .LBB143_2822
; %bb.2814:
	s_cmp_lt_i32 s2, 6
	s_mov_b64 s[0:1], -1
	s_cbranch_scc1 .LBB143_2820
; %bb.2815:
	s_cmp_gt_i32 s2, 6
	s_cbranch_scc0 .LBB143_2817
; %bb.2816:
	v_and_b32_e32 v5, 0xffff, v1
	v_cvt_f64_u32_e32 v[5:6], v5
	s_mov_b64 s[0:1], 0
	global_store_dwordx2 v[3:4], v[5:6], off
.LBB143_2817:
	s_andn2_b64 vcc, exec, s[0:1]
	s_cbranch_vccnz .LBB143_2819
; %bb.2818:
	v_cvt_f32_ubyte0_e32 v5, v1
	global_store_dword v[3:4], v5, off
.LBB143_2819:
	s_mov_b64 s[0:1], 0
.LBB143_2820:
	s_andn2_b64 vcc, exec, s[0:1]
	s_cbranch_vccnz .LBB143_2822
; %bb.2821:
	v_cvt_f16_u16_e32 v5, v1
	global_store_short v[3:4], v5, off
.LBB143_2822:
	s_mov_b64 s[0:1], 0
.LBB143_2823:
	s_andn2_b64 vcc, exec, s[0:1]
	s_cbranch_vccnz .LBB143_2839
; %bb.2824:
	s_cmp_lt_i32 s2, 2
	s_mov_b64 s[0:1], -1
	s_cbranch_scc1 .LBB143_2834
; %bb.2825:
	s_cmp_lt_i32 s2, 3
	s_cbranch_scc1 .LBB143_2831
; %bb.2826:
	s_cmp_gt_i32 s2, 3
	s_cbranch_scc0 .LBB143_2828
; %bb.2827:
	s_mov_b32 s0, 0
	v_and_b32_e32 v5, 0xffff, v1
	v_mov_b32_e32 v6, s0
	global_store_dwordx2 v[3:4], v[5:6], off
	s_mov_b64 s[0:1], 0
.LBB143_2828:
	s_andn2_b64 vcc, exec, s[0:1]
	s_cbranch_vccnz .LBB143_2830
; %bb.2829:
	v_and_b32_e32 v5, 0xffff, v1
	global_store_dword v[3:4], v5, off
.LBB143_2830:
	s_mov_b64 s[0:1], 0
.LBB143_2831:
	s_andn2_b64 vcc, exec, s[0:1]
	s_cbranch_vccnz .LBB143_2833
; %bb.2832:
	global_store_short v[3:4], v1, off
.LBB143_2833:
	s_mov_b64 s[0:1], 0
.LBB143_2834:
	s_andn2_b64 vcc, exec, s[0:1]
	s_cbranch_vccnz .LBB143_2839
; %bb.2835:
	s_cmp_gt_i32 s2, 0
	s_mov_b64 s[0:1], -1
	s_cbranch_scc0 .LBB143_2837
; %bb.2836:
	global_store_byte v[3:4], v1, off
	s_mov_b64 s[0:1], 0
.LBB143_2837:
	s_andn2_b64 vcc, exec, s[0:1]
	s_cbranch_vccnz .LBB143_2839
; %bb.2838:
	global_store_byte v[3:4], v1, off
.LBB143_2839:
	s_mov_b64 s[6:7], -1
.LBB143_2840:
	s_andn2_b64 vcc, exec, s[6:7]
	s_cbranch_vccnz .LBB143_3036
; %bb.2841:
	v_mov_b32_e32 v3, 8
	s_waitcnt vmcnt(0)
	v_lshrrev_b16_sdwa v1, v15, v17 dst_sel:DWORD dst_unused:UNUSED_PAD src0_sel:BYTE_0 src1_sel:BYTE_0
	v_cmp_lt_u16_sdwa vcc, v15, v3 src0_sel:BYTE_0 src1_sel:DWORD
	v_cndmask_b32_e32 v3, 0, v1, vcc
	v_mov_b32_e32 v4, s9
	v_add_co_u32_e32 v1, vcc, s8, v2
	s_cmp_lt_i32 s18, 11
	v_addc_co_u32_e32 v2, vcc, 0, v4, vcc
	s_cbranch_scc1 .LBB143_2919
; %bb.2842:
	s_and_b32 s19, 0xffff, s18
	s_mov_b64 s[10:11], -1
	s_mov_b64 s[2:3], 0
	s_cmp_gt_i32 s19, 25
	s_mov_b64 s[6:7], 0
	s_mov_b64 s[0:1], 0
	s_cbranch_scc0 .LBB143_2875
; %bb.2843:
	s_cmp_gt_i32 s19, 28
	s_cbranch_scc0 .LBB143_2858
; %bb.2844:
	s_cmp_gt_i32 s19, 43
	;; [unrolled: 3-line block ×3, first 2 shown]
	s_cbranch_scc0 .LBB143_2848
; %bb.2846:
	s_mov_b64 s[0:1], -1
	s_mov_b64 s[10:11], 0
	s_cmp_eq_u32 s19, 46
	s_cbranch_scc0 .LBB143_2848
; %bb.2847:
	v_cvt_f32_ubyte0_e32 v4, v3
	v_bfe_u32 v5, v4, 16, 1
	s_movk_i32 s0, 0x7fff
	v_add3_u32 v4, v4, v5, s0
	v_lshrrev_b32_e32 v4, 16, v4
	global_store_dword v[1:2], v4, off
	s_mov_b64 s[0:1], 0
	s_mov_b64 s[6:7], -1
.LBB143_2848:
	s_and_b64 vcc, exec, s[10:11]
	s_cbranch_vccz .LBB143_2853
; %bb.2849:
	s_cmp_eq_u32 s19, 44
	s_mov_b64 s[0:1], -1
	s_cbranch_scc0 .LBB143_2853
; %bb.2850:
	v_cvt_f32_ubyte0_e32 v5, v3
	v_lshrrev_b32_e32 v4, 23, v5
	s_movk_i32 s0, 0xff
	v_cmp_ne_u32_e32 vcc, s0, v4
	v_mov_b32_e32 v6, 0xff
	s_and_saveexec_b64 s[6:7], vcc
; %bb.2851:
	s_mov_b32 s0, 0x3fffff
	v_and_b32_e32 v6, 0x400000, v5
	v_and_or_b32 v5, v5, s0, v4
	v_cmp_ne_u32_e32 vcc, 0, v6
	v_cmp_ne_u32_e64 s[0:1], 0, v5
	s_and_b64 s[0:1], vcc, s[0:1]
	v_cndmask_b32_e64 v5, 0, 1, s[0:1]
	v_add_u32_e32 v6, v4, v5
; %bb.2852:
	s_or_b64 exec, exec, s[6:7]
	s_mov_b64 s[0:1], 0
	s_mov_b64 s[6:7], -1
	global_store_byte v[1:2], v6, off
.LBB143_2853:
	s_mov_b64 s[10:11], 0
.LBB143_2854:
	s_and_b64 vcc, exec, s[10:11]
	s_cbranch_vccz .LBB143_2857
; %bb.2855:
	s_cmp_eq_u32 s19, 29
	s_mov_b64 s[0:1], -1
	s_cbranch_scc0 .LBB143_2857
; %bb.2856:
	s_mov_b32 s0, 0
	v_and_b32_e32 v4, 0xffff, v3
	v_mov_b32_e32 v5, s0
	global_store_dwordx2 v[1:2], v[4:5], off
	s_mov_b64 s[0:1], 0
	s_mov_b64 s[6:7], -1
.LBB143_2857:
	s_mov_b64 s[10:11], 0
.LBB143_2858:
	s_and_b64 vcc, exec, s[10:11]
	s_cbranch_vccz .LBB143_2874
; %bb.2859:
	s_cmp_lt_i32 s19, 27
	s_mov_b64 s[6:7], -1
	s_cbranch_scc1 .LBB143_2865
; %bb.2860:
	s_cmp_gt_i32 s19, 27
	s_cbranch_scc0 .LBB143_2862
; %bb.2861:
	v_and_b32_e32 v4, 0xffff, v3
	s_mov_b64 s[6:7], 0
	global_store_dword v[1:2], v4, off
.LBB143_2862:
	s_andn2_b64 vcc, exec, s[6:7]
	s_cbranch_vccnz .LBB143_2864
; %bb.2863:
	global_store_short v[1:2], v3, off
.LBB143_2864:
	s_mov_b64 s[6:7], 0
.LBB143_2865:
	s_andn2_b64 vcc, exec, s[6:7]
	s_cbranch_vccnz .LBB143_2873
; %bb.2866:
	v_cvt_f32_ubyte0_e32 v5, v3
	s_mov_b32 s6, 0x43800000
	v_cmp_gt_u32_e32 vcc, s6, v5
	v_mov_b32_e32 v6, 0x80
	s_and_saveexec_b64 s[6:7], vcc
	s_cbranch_execz .LBB143_2872
; %bb.2867:
	s_mov_b32 s10, 0x3bffffff
	v_cmp_lt_u32_e32 vcc, s10, v5
	s_mov_b64 s[10:11], 0
                                        ; implicit-def: $vgpr4
	s_and_saveexec_b64 s[16:17], vcc
	s_xor_b64 s[16:17], exec, s[16:17]
	s_cbranch_execz .LBB143_3093
; %bb.2868:
	v_bfe_u32 v4, v5, 20, 1
	s_mov_b32 s20, 0x487ffff
	v_add3_u32 v4, v5, v4, s20
	s_mov_b64 s[10:11], exec
	v_lshrrev_b32_e32 v4, 20, v4
                                        ; implicit-def: $vgpr5
	s_andn2_saveexec_b64 s[16:17], s[16:17]
	s_cbranch_execnz .LBB143_3094
.LBB143_2869:
	s_or_b64 exec, exec, s[16:17]
	v_mov_b32_e32 v6, 0
	s_and_saveexec_b64 s[16:17], s[10:11]
.LBB143_2870:
	v_mov_b32_e32 v6, v4
.LBB143_2871:
	s_or_b64 exec, exec, s[16:17]
.LBB143_2872:
	s_or_b64 exec, exec, s[6:7]
	global_store_byte v[1:2], v6, off
.LBB143_2873:
	s_mov_b64 s[6:7], -1
.LBB143_2874:
	s_mov_b64 s[10:11], 0
.LBB143_2875:
	s_and_b64 vcc, exec, s[10:11]
	s_cbranch_vccz .LBB143_2915
; %bb.2876:
	s_cmp_gt_i32 s19, 22
	s_mov_b64 s[2:3], -1
	s_cbranch_scc0 .LBB143_2908
; %bb.2877:
	s_cmp_lt_i32 s19, 24
	s_cbranch_scc1 .LBB143_2897
; %bb.2878:
	s_cmp_gt_i32 s19, 24
	s_cbranch_scc0 .LBB143_2886
; %bb.2879:
	v_cvt_f32_ubyte0_e32 v5, v3
	s_mov_b32 s2, 0x47800000
	v_cmp_gt_u32_e32 vcc, s2, v5
	v_mov_b32_e32 v6, 0x80
	s_and_saveexec_b64 s[2:3], vcc
	s_cbranch_execz .LBB143_2885
; %bb.2880:
	s_mov_b32 s6, 0x37ffffff
	v_cmp_lt_u32_e32 vcc, s6, v5
	s_mov_b64 s[6:7], 0
                                        ; implicit-def: $vgpr4
	s_and_saveexec_b64 s[10:11], vcc
	s_xor_b64 s[10:11], exec, s[10:11]
	s_cbranch_execz .LBB143_3096
; %bb.2881:
	v_bfe_u32 v4, v5, 21, 1
	s_mov_b32 s16, 0x88fffff
	v_add3_u32 v4, v5, v4, s16
	s_mov_b64 s[6:7], exec
	v_lshrrev_b32_e32 v4, 21, v4
                                        ; implicit-def: $vgpr5
	s_andn2_saveexec_b64 s[10:11], s[10:11]
	s_cbranch_execnz .LBB143_3097
.LBB143_2882:
	s_or_b64 exec, exec, s[10:11]
	v_mov_b32_e32 v6, 0
	s_and_saveexec_b64 s[10:11], s[6:7]
.LBB143_2883:
	v_mov_b32_e32 v6, v4
.LBB143_2884:
	s_or_b64 exec, exec, s[10:11]
.LBB143_2885:
	s_or_b64 exec, exec, s[2:3]
	s_mov_b64 s[2:3], 0
	global_store_byte v[1:2], v6, off
.LBB143_2886:
	s_and_b64 vcc, exec, s[2:3]
	s_cbranch_vccz .LBB143_2896
; %bb.2887:
	v_cvt_f32_ubyte0_e32 v4, v3
	s_mov_b32 s2, 0x43f00000
	v_cmp_gt_u32_e32 vcc, s2, v4
                                        ; implicit-def: $vgpr5
	s_and_saveexec_b64 s[2:3], vcc
	s_xor_b64 s[2:3], exec, s[2:3]
	s_cbranch_execz .LBB143_2893
; %bb.2888:
	s_mov_b32 s6, 0x3c7fffff
	v_cmp_lt_u32_e32 vcc, s6, v4
                                        ; implicit-def: $vgpr5
	s_and_saveexec_b64 s[6:7], vcc
	s_xor_b64 s[6:7], exec, s[6:7]
; %bb.2889:
	v_bfe_u32 v5, v4, 20, 1
	s_mov_b32 s10, 0x407ffff
	v_add3_u32 v4, v4, v5, s10
	v_lshrrev_b32_e32 v5, 20, v4
	v_and_b32_e32 v4, 0xff00000, v4
	s_mov_b32 s10, 0x7f00000
	v_mov_b32_e32 v6, 0x7e
	v_cmp_ne_u32_e32 vcc, s10, v4
	v_cndmask_b32_e32 v5, v6, v5, vcc
                                        ; implicit-def: $vgpr4
; %bb.2890:
	s_andn2_saveexec_b64 s[6:7], s[6:7]
; %bb.2891:
	v_add_f32_e32 v5, 0x46800000, v4
; %bb.2892:
	s_or_b64 exec, exec, s[6:7]
                                        ; implicit-def: $vgpr4
.LBB143_2893:
	s_andn2_saveexec_b64 s[2:3], s[2:3]
; %bb.2894:
	s_mov_b32 s6, 0x7f800000
	v_mov_b32_e32 v5, 0x7e
	v_mov_b32_e32 v6, 0x7f
	v_cmp_lt_u32_e32 vcc, s6, v4
	v_cndmask_b32_e32 v5, v5, v6, vcc
; %bb.2895:
	s_or_b64 exec, exec, s[2:3]
	global_store_byte v[1:2], v5, off
.LBB143_2896:
	s_mov_b64 s[2:3], 0
.LBB143_2897:
	s_andn2_b64 vcc, exec, s[2:3]
	s_cbranch_vccnz .LBB143_2907
; %bb.2898:
	v_cvt_f32_ubyte0_e32 v4, v3
	s_mov_b32 s2, 0x47800000
	v_cmp_gt_u32_e32 vcc, s2, v4
                                        ; implicit-def: $vgpr5
	s_and_saveexec_b64 s[2:3], vcc
	s_xor_b64 s[2:3], exec, s[2:3]
	s_cbranch_execz .LBB143_2904
; %bb.2899:
	s_mov_b32 s6, 0x387fffff
	v_cmp_lt_u32_e32 vcc, s6, v4
                                        ; implicit-def: $vgpr5
	s_and_saveexec_b64 s[6:7], vcc
	s_xor_b64 s[6:7], exec, s[6:7]
; %bb.2900:
	v_bfe_u32 v5, v4, 21, 1
	s_mov_b32 s10, 0x80fffff
	v_add3_u32 v4, v4, v5, s10
	v_lshrrev_b32_e32 v5, 21, v4
                                        ; implicit-def: $vgpr4
; %bb.2901:
	s_andn2_saveexec_b64 s[6:7], s[6:7]
; %bb.2902:
	v_add_f32_e32 v5, 0x43000000, v4
; %bb.2903:
	s_or_b64 exec, exec, s[6:7]
                                        ; implicit-def: $vgpr4
.LBB143_2904:
	s_andn2_saveexec_b64 s[2:3], s[2:3]
; %bb.2905:
	s_mov_b32 s6, 0x7f800000
	v_mov_b32_e32 v5, 0x7c
	v_mov_b32_e32 v6, 0x7f
	v_cmp_lt_u32_e32 vcc, s6, v4
	v_cndmask_b32_e32 v5, v5, v6, vcc
; %bb.2906:
	s_or_b64 exec, exec, s[2:3]
	global_store_byte v[1:2], v5, off
.LBB143_2907:
	s_mov_b64 s[2:3], 0
	s_mov_b64 s[6:7], -1
.LBB143_2908:
	s_andn2_b64 vcc, exec, s[2:3]
	s_mov_b64 s[2:3], 0
	s_cbranch_vccnz .LBB143_2915
; %bb.2909:
	s_cmp_gt_i32 s19, 14
	s_mov_b64 s[10:11], -1
	s_cbranch_scc0 .LBB143_2913
; %bb.2910:
	s_cmp_eq_u32 s19, 15
	s_mov_b64 s[0:1], -1
	s_cbranch_scc0 .LBB143_2912
; %bb.2911:
	v_cvt_f32_ubyte0_e32 v4, v3
	v_bfe_u32 v5, v4, 16, 1
	s_movk_i32 s0, 0x7fff
	v_add3_u32 v4, v4, v5, s0
	global_store_short_d16_hi v[1:2], v4, off
	s_mov_b64 s[0:1], 0
	s_mov_b64 s[6:7], -1
.LBB143_2912:
	s_mov_b64 s[10:11], 0
.LBB143_2913:
	s_and_b64 vcc, exec, s[10:11]
	s_cbranch_vccz .LBB143_2915
; %bb.2914:
	s_cmp_lg_u32 s19, 11
	s_mov_b64 s[2:3], -1
	s_cselect_b64 s[0:1], -1, 0
.LBB143_2915:
	s_and_b64 vcc, exec, s[0:1]
	s_cbranch_vccnz .LBB143_3095
; %bb.2916:
	s_andn2_b64 vcc, exec, s[2:3]
	s_cbranch_vccnz .LBB143_2918
.LBB143_2917:
	v_cmp_ne_u16_e32 vcc, 0, v3
	v_cndmask_b32_e64 v4, 0, 1, vcc
	s_mov_b64 s[6:7], -1
	global_store_byte v[1:2], v4, off
.LBB143_2918:
	s_mov_b64 s[0:1], 0
	s_branch .LBB143_2920
.LBB143_2919:
	s_mov_b64 s[0:1], -1
	s_mov_b64 s[6:7], 0
.LBB143_2920:
	s_and_b64 vcc, exec, s[0:1]
	s_cbranch_vccz .LBB143_2959
; %bb.2921:
	s_and_b32 s2, 0xffff, s18
	s_cmp_lt_i32 s2, 5
	s_mov_b64 s[0:1], -1
	s_cbranch_scc1 .LBB143_2942
; %bb.2922:
	s_cmp_lt_i32 s2, 8
	s_cbranch_scc1 .LBB143_2932
; %bb.2923:
	s_cmp_lt_i32 s2, 9
	s_cbranch_scc1 .LBB143_2929
; %bb.2924:
	s_cmp_gt_i32 s2, 9
	s_cbranch_scc0 .LBB143_2926
; %bb.2925:
	v_and_b32_e32 v4, 0xffff, v3
	v_cvt_f64_u32_e32 v[4:5], v4
	v_mov_b32_e32 v6, 0
	v_mov_b32_e32 v7, v6
	s_mov_b64 s[0:1], 0
	global_store_dwordx4 v[1:2], v[4:7], off
.LBB143_2926:
	s_andn2_b64 vcc, exec, s[0:1]
	s_cbranch_vccnz .LBB143_2928
; %bb.2927:
	v_cvt_f32_ubyte0_e32 v4, v3
	v_mov_b32_e32 v5, 0
	global_store_dwordx2 v[1:2], v[4:5], off
.LBB143_2928:
	s_mov_b64 s[0:1], 0
.LBB143_2929:
	s_andn2_b64 vcc, exec, s[0:1]
	s_cbranch_vccnz .LBB143_2931
; %bb.2930:
	v_cvt_f16_u16_e32 v4, v3
	global_store_dword v[1:2], v4, off
.LBB143_2931:
	s_mov_b64 s[0:1], 0
.LBB143_2932:
	s_andn2_b64 vcc, exec, s[0:1]
	s_cbranch_vccnz .LBB143_2941
; %bb.2933:
	s_cmp_lt_i32 s2, 6
	s_mov_b64 s[0:1], -1
	s_cbranch_scc1 .LBB143_2939
; %bb.2934:
	s_cmp_gt_i32 s2, 6
	s_cbranch_scc0 .LBB143_2936
; %bb.2935:
	v_and_b32_e32 v4, 0xffff, v3
	v_cvt_f64_u32_e32 v[4:5], v4
	s_mov_b64 s[0:1], 0
	global_store_dwordx2 v[1:2], v[4:5], off
.LBB143_2936:
	s_andn2_b64 vcc, exec, s[0:1]
	s_cbranch_vccnz .LBB143_2938
; %bb.2937:
	v_cvt_f32_ubyte0_e32 v4, v3
	global_store_dword v[1:2], v4, off
.LBB143_2938:
	s_mov_b64 s[0:1], 0
.LBB143_2939:
	s_andn2_b64 vcc, exec, s[0:1]
	s_cbranch_vccnz .LBB143_2941
; %bb.2940:
	v_cvt_f16_u16_e32 v4, v3
	global_store_short v[1:2], v4, off
.LBB143_2941:
	s_mov_b64 s[0:1], 0
.LBB143_2942:
	s_andn2_b64 vcc, exec, s[0:1]
	s_cbranch_vccnz .LBB143_2958
; %bb.2943:
	s_cmp_lt_i32 s2, 2
	s_mov_b64 s[0:1], -1
	s_cbranch_scc1 .LBB143_2953
; %bb.2944:
	s_cmp_lt_i32 s2, 3
	s_cbranch_scc1 .LBB143_2950
; %bb.2945:
	s_cmp_gt_i32 s2, 3
	s_cbranch_scc0 .LBB143_2947
; %bb.2946:
	s_mov_b32 s0, 0
	v_and_b32_e32 v4, 0xffff, v3
	v_mov_b32_e32 v5, s0
	global_store_dwordx2 v[1:2], v[4:5], off
	s_mov_b64 s[0:1], 0
.LBB143_2947:
	s_andn2_b64 vcc, exec, s[0:1]
	s_cbranch_vccnz .LBB143_2949
; %bb.2948:
	v_and_b32_e32 v4, 0xffff, v3
	global_store_dword v[1:2], v4, off
.LBB143_2949:
	s_mov_b64 s[0:1], 0
.LBB143_2950:
	s_andn2_b64 vcc, exec, s[0:1]
	s_cbranch_vccnz .LBB143_2952
; %bb.2951:
	global_store_short v[1:2], v3, off
.LBB143_2952:
	s_mov_b64 s[0:1], 0
.LBB143_2953:
	s_andn2_b64 vcc, exec, s[0:1]
	s_cbranch_vccnz .LBB143_2958
; %bb.2954:
	s_cmp_gt_i32 s2, 0
	s_mov_b64 s[0:1], -1
	s_cbranch_scc0 .LBB143_2956
; %bb.2955:
	global_store_byte v[1:2], v3, off
	s_mov_b64 s[0:1], 0
.LBB143_2956:
	s_andn2_b64 vcc, exec, s[0:1]
	s_cbranch_vccnz .LBB143_2958
; %bb.2957:
	global_store_byte v[1:2], v3, off
.LBB143_2958:
	s_mov_b64 s[6:7], -1
.LBB143_2959:
	s_andn2_b64 vcc, exec, s[6:7]
	s_cbranch_vccnz .LBB143_3036
; %bb.2960:
	v_mov_b32_e32 v2, 8
	v_lshrrev_b16_sdwa v1, v8, v12 dst_sel:DWORD dst_unused:UNUSED_PAD src0_sel:BYTE_0 src1_sel:BYTE_0
	v_cmp_lt_u16_sdwa vcc, v8, v2 src0_sel:BYTE_0 src1_sel:DWORD
	v_cndmask_b32_e32 v2, 0, v1, vcc
	v_mov_b32_e32 v1, s9
	v_add_co_u32_e32 v0, vcc, s8, v0
	s_cmp_lt_i32 s18, 11
	v_addc_co_u32_e32 v1, vcc, 0, v1, vcc
	s_cbranch_scc1 .LBB143_3081
; %bb.2961:
	s_and_b32 s16, 0xffff, s18
	s_mov_b64 s[6:7], -1
	s_mov_b64 s[2:3], 0
	s_cmp_gt_i32 s16, 25
	s_mov_b64 s[0:1], 0
	s_cbranch_scc0 .LBB143_2994
; %bb.2962:
	s_cmp_gt_i32 s16, 28
	s_cbranch_scc0 .LBB143_2978
; %bb.2963:
	s_cmp_gt_i32 s16, 43
	;; [unrolled: 3-line block ×3, first 2 shown]
	s_cbranch_scc0 .LBB143_2968
; %bb.2965:
	s_cmp_eq_u32 s16, 46
	s_mov_b64 s[0:1], -1
	s_cbranch_scc0 .LBB143_2967
; %bb.2966:
	v_cvt_f32_ubyte0_e32 v3, v2
	v_bfe_u32 v4, v3, 16, 1
	s_movk_i32 s0, 0x7fff
	v_add3_u32 v3, v3, v4, s0
	v_lshrrev_b32_e32 v3, 16, v3
	global_store_dword v[0:1], v3, off
	s_mov_b64 s[0:1], 0
.LBB143_2967:
	s_mov_b64 s[6:7], 0
.LBB143_2968:
	s_and_b64 vcc, exec, s[6:7]
	s_cbranch_vccz .LBB143_2973
; %bb.2969:
	s_cmp_eq_u32 s16, 44
	s_mov_b64 s[0:1], -1
	s_cbranch_scc0 .LBB143_2973
; %bb.2970:
	v_cvt_f32_ubyte0_e32 v4, v2
	v_lshrrev_b32_e32 v3, 23, v4
	s_movk_i32 s0, 0xff
	v_cmp_ne_u32_e32 vcc, s0, v3
	v_mov_b32_e32 v5, 0xff
	s_and_saveexec_b64 s[6:7], vcc
; %bb.2971:
	s_mov_b32 s0, 0x3fffff
	v_and_b32_e32 v5, 0x400000, v4
	v_and_or_b32 v4, v4, s0, v3
	v_cmp_ne_u32_e32 vcc, 0, v5
	v_cmp_ne_u32_e64 s[0:1], 0, v4
	s_and_b64 s[0:1], vcc, s[0:1]
	v_cndmask_b32_e64 v4, 0, 1, s[0:1]
	v_add_u32_e32 v5, v3, v4
; %bb.2972:
	s_or_b64 exec, exec, s[6:7]
	s_mov_b64 s[0:1], 0
	global_store_byte v[0:1], v5, off
.LBB143_2973:
	s_mov_b64 s[6:7], 0
.LBB143_2974:
	s_and_b64 vcc, exec, s[6:7]
	s_cbranch_vccz .LBB143_2977
; %bb.2975:
	s_cmp_eq_u32 s16, 29
	s_mov_b64 s[0:1], -1
	s_cbranch_scc0 .LBB143_2977
; %bb.2976:
	s_mov_b32 s0, 0
	v_and_b32_e32 v3, 0xffff, v2
	v_mov_b32_e32 v4, s0
	global_store_dwordx2 v[0:1], v[3:4], off
	s_mov_b64 s[0:1], 0
.LBB143_2977:
	s_mov_b64 s[6:7], 0
.LBB143_2978:
	s_and_b64 vcc, exec, s[6:7]
	s_cbranch_vccz .LBB143_2993
; %bb.2979:
	s_cmp_lt_i32 s16, 27
	s_mov_b64 s[6:7], -1
	s_cbranch_scc1 .LBB143_2985
; %bb.2980:
	s_cmp_gt_i32 s16, 27
	s_cbranch_scc0 .LBB143_2982
; %bb.2981:
	v_and_b32_e32 v3, 0xffff, v2
	global_store_dword v[0:1], v3, off
	s_mov_b64 s[6:7], 0
.LBB143_2982:
	s_andn2_b64 vcc, exec, s[6:7]
	s_cbranch_vccnz .LBB143_2984
; %bb.2983:
	global_store_short v[0:1], v2, off
.LBB143_2984:
	s_mov_b64 s[6:7], 0
.LBB143_2985:
	s_andn2_b64 vcc, exec, s[6:7]
	s_cbranch_vccnz .LBB143_2993
; %bb.2986:
	v_cvt_f32_ubyte0_e32 v4, v2
	s_mov_b32 s6, 0x43800000
	v_cmp_gt_u32_e32 vcc, s6, v4
	v_mov_b32_e32 v5, 0x80
	s_and_saveexec_b64 s[6:7], vcc
	s_cbranch_execz .LBB143_2992
; %bb.2987:
	s_mov_b32 s8, 0x3bffffff
	v_cmp_lt_u32_e32 vcc, s8, v4
	s_mov_b64 s[8:9], 0
                                        ; implicit-def: $vgpr3
	s_and_saveexec_b64 s[10:11], vcc
	s_xor_b64 s[10:11], exec, s[10:11]
	s_cbranch_execz .LBB143_3098
; %bb.2988:
	v_bfe_u32 v3, v4, 20, 1
	s_mov_b32 s17, 0x487ffff
	v_add3_u32 v3, v4, v3, s17
	s_mov_b64 s[8:9], exec
	v_lshrrev_b32_e32 v3, 20, v3
                                        ; implicit-def: $vgpr4
	s_andn2_saveexec_b64 s[10:11], s[10:11]
	s_cbranch_execnz .LBB143_3099
.LBB143_2989:
	s_or_b64 exec, exec, s[10:11]
	v_mov_b32_e32 v5, 0
	s_and_saveexec_b64 s[10:11], s[8:9]
.LBB143_2990:
	v_mov_b32_e32 v5, v3
.LBB143_2991:
	s_or_b64 exec, exec, s[10:11]
.LBB143_2992:
	s_or_b64 exec, exec, s[6:7]
	global_store_byte v[0:1], v5, off
.LBB143_2993:
	s_mov_b64 s[6:7], 0
.LBB143_2994:
	s_and_b64 vcc, exec, s[6:7]
	s_cbranch_vccz .LBB143_3034
; %bb.2995:
	s_cmp_gt_i32 s16, 22
	s_mov_b64 s[2:3], -1
	s_cbranch_scc0 .LBB143_3027
; %bb.2996:
	s_cmp_lt_i32 s16, 24
	s_cbranch_scc1 .LBB143_3016
; %bb.2997:
	s_cmp_gt_i32 s16, 24
	s_cbranch_scc0 .LBB143_3005
; %bb.2998:
	v_cvt_f32_ubyte0_e32 v4, v2
	s_mov_b32 s2, 0x47800000
	v_cmp_gt_u32_e32 vcc, s2, v4
	v_mov_b32_e32 v5, 0x80
	s_and_saveexec_b64 s[2:3], vcc
	s_cbranch_execz .LBB143_3004
; %bb.2999:
	s_mov_b32 s6, 0x37ffffff
	v_cmp_lt_u32_e32 vcc, s6, v4
	s_mov_b64 s[6:7], 0
                                        ; implicit-def: $vgpr3
	s_and_saveexec_b64 s[8:9], vcc
	s_xor_b64 s[8:9], exec, s[8:9]
	s_cbranch_execz .LBB143_3101
; %bb.3000:
	v_bfe_u32 v3, v4, 21, 1
	s_mov_b32 s10, 0x88fffff
	v_add3_u32 v3, v4, v3, s10
	s_mov_b64 s[6:7], exec
	v_lshrrev_b32_e32 v3, 21, v3
                                        ; implicit-def: $vgpr4
	s_andn2_saveexec_b64 s[8:9], s[8:9]
	s_cbranch_execnz .LBB143_3102
.LBB143_3001:
	s_or_b64 exec, exec, s[8:9]
	v_mov_b32_e32 v5, 0
	s_and_saveexec_b64 s[8:9], s[6:7]
.LBB143_3002:
	v_mov_b32_e32 v5, v3
.LBB143_3003:
	s_or_b64 exec, exec, s[8:9]
.LBB143_3004:
	s_or_b64 exec, exec, s[2:3]
	s_mov_b64 s[2:3], 0
	global_store_byte v[0:1], v5, off
.LBB143_3005:
	s_and_b64 vcc, exec, s[2:3]
	s_cbranch_vccz .LBB143_3015
; %bb.3006:
	v_cvt_f32_ubyte0_e32 v3, v2
	s_mov_b32 s2, 0x43f00000
	v_cmp_gt_u32_e32 vcc, s2, v3
                                        ; implicit-def: $vgpr4
	s_and_saveexec_b64 s[2:3], vcc
	s_xor_b64 s[2:3], exec, s[2:3]
	s_cbranch_execz .LBB143_3012
; %bb.3007:
	s_mov_b32 s6, 0x3c7fffff
	v_cmp_lt_u32_e32 vcc, s6, v3
                                        ; implicit-def: $vgpr4
	s_and_saveexec_b64 s[6:7], vcc
	s_xor_b64 s[6:7], exec, s[6:7]
; %bb.3008:
	v_bfe_u32 v4, v3, 20, 1
	s_mov_b32 s8, 0x407ffff
	v_add3_u32 v3, v3, v4, s8
	v_lshrrev_b32_e32 v4, 20, v3
	v_and_b32_e32 v3, 0xff00000, v3
	s_mov_b32 s8, 0x7f00000
	v_mov_b32_e32 v5, 0x7e
	v_cmp_ne_u32_e32 vcc, s8, v3
	v_cndmask_b32_e32 v4, v5, v4, vcc
                                        ; implicit-def: $vgpr3
; %bb.3009:
	s_andn2_saveexec_b64 s[6:7], s[6:7]
; %bb.3010:
	v_add_f32_e32 v4, 0x46800000, v3
; %bb.3011:
	s_or_b64 exec, exec, s[6:7]
                                        ; implicit-def: $vgpr3
.LBB143_3012:
	s_andn2_saveexec_b64 s[2:3], s[2:3]
; %bb.3013:
	s_mov_b32 s6, 0x7f800000
	v_mov_b32_e32 v4, 0x7e
	v_mov_b32_e32 v5, 0x7f
	v_cmp_lt_u32_e32 vcc, s6, v3
	v_cndmask_b32_e32 v4, v4, v5, vcc
; %bb.3014:
	s_or_b64 exec, exec, s[2:3]
	global_store_byte v[0:1], v4, off
.LBB143_3015:
	s_mov_b64 s[2:3], 0
.LBB143_3016:
	s_andn2_b64 vcc, exec, s[2:3]
	s_cbranch_vccnz .LBB143_3026
; %bb.3017:
	v_cvt_f32_ubyte0_e32 v3, v2
	s_mov_b32 s2, 0x47800000
	v_cmp_gt_u32_e32 vcc, s2, v3
                                        ; implicit-def: $vgpr4
	s_and_saveexec_b64 s[2:3], vcc
	s_xor_b64 s[2:3], exec, s[2:3]
	s_cbranch_execz .LBB143_3023
; %bb.3018:
	s_mov_b32 s6, 0x387fffff
	v_cmp_lt_u32_e32 vcc, s6, v3
                                        ; implicit-def: $vgpr4
	s_and_saveexec_b64 s[6:7], vcc
	s_xor_b64 s[6:7], exec, s[6:7]
; %bb.3019:
	v_bfe_u32 v4, v3, 21, 1
	s_mov_b32 s8, 0x80fffff
	v_add3_u32 v3, v3, v4, s8
	v_lshrrev_b32_e32 v4, 21, v3
                                        ; implicit-def: $vgpr3
; %bb.3020:
	s_andn2_saveexec_b64 s[6:7], s[6:7]
; %bb.3021:
	v_add_f32_e32 v4, 0x43000000, v3
; %bb.3022:
	s_or_b64 exec, exec, s[6:7]
                                        ; implicit-def: $vgpr3
.LBB143_3023:
	s_andn2_saveexec_b64 s[2:3], s[2:3]
; %bb.3024:
	s_mov_b32 s6, 0x7f800000
	v_mov_b32_e32 v4, 0x7c
	v_mov_b32_e32 v5, 0x7f
	v_cmp_lt_u32_e32 vcc, s6, v3
	v_cndmask_b32_e32 v4, v4, v5, vcc
; %bb.3025:
	s_or_b64 exec, exec, s[2:3]
	global_store_byte v[0:1], v4, off
.LBB143_3026:
	s_mov_b64 s[2:3], 0
.LBB143_3027:
	s_andn2_b64 vcc, exec, s[2:3]
	s_mov_b64 s[2:3], 0
	s_cbranch_vccnz .LBB143_3034
; %bb.3028:
	s_cmp_gt_i32 s16, 14
	s_mov_b64 s[6:7], -1
	s_cbranch_scc0 .LBB143_3032
; %bb.3029:
	s_cmp_eq_u32 s16, 15
	s_mov_b64 s[0:1], -1
	s_cbranch_scc0 .LBB143_3031
; %bb.3030:
	v_cvt_f32_ubyte0_e32 v3, v2
	v_bfe_u32 v4, v3, 16, 1
	s_movk_i32 s0, 0x7fff
	v_add3_u32 v3, v3, v4, s0
	global_store_short_d16_hi v[0:1], v3, off
	s_mov_b64 s[0:1], 0
.LBB143_3031:
	s_mov_b64 s[6:7], 0
.LBB143_3032:
	s_and_b64 vcc, exec, s[6:7]
	s_cbranch_vccz .LBB143_3034
; %bb.3033:
	s_cmp_lg_u32 s16, 11
	s_mov_b64 s[2:3], -1
	s_cselect_b64 s[0:1], -1, 0
.LBB143_3034:
	s_and_b64 vcc, exec, s[0:1]
	s_cbranch_vccnz .LBB143_3100
.LBB143_3035:
	s_mov_b64 s[0:1], 0
	s_branch .LBB143_3037
.LBB143_3036:
	s_mov_b64 s[0:1], 0
	s_mov_b64 s[2:3], 0
                                        ; implicit-def: $vgpr0_vgpr1
                                        ; implicit-def: $sgpr18
                                        ; implicit-def: $vgpr2
.LBB143_3037:
	s_and_b64 s[6:7], s[2:3], exec
	s_andn2_b64 s[2:3], s[12:13], exec
	s_and_b64 s[4:5], s[4:5], exec
	s_and_b64 s[0:1], s[0:1], exec
	s_or_b64 s[12:13], s[2:3], s[4:5]
.LBB143_3038:
	s_or_b64 exec, exec, s[14:15]
	s_and_saveexec_b64 s[2:3], s[12:13]
	s_cbranch_execz .LBB143_3041
; %bb.3039:
	; divergent unreachable
	s_or_b64 exec, exec, s[2:3]
	s_and_saveexec_b64 s[2:3], s[6:7]
	s_xor_b64 s[2:3], exec, s[2:3]
	s_cbranch_execnz .LBB143_3042
.LBB143_3040:
	s_or_b64 exec, exec, s[2:3]
	s_and_saveexec_b64 s[2:3], s[0:1]
	s_cbranch_execnz .LBB143_3043
	s_branch .LBB143_3080
.LBB143_3041:
	s_or_b64 exec, exec, s[2:3]
	s_and_saveexec_b64 s[2:3], s[6:7]
	s_xor_b64 s[2:3], exec, s[2:3]
	s_cbranch_execz .LBB143_3040
.LBB143_3042:
	v_mov_b32_e32 v3, 0
	s_waitcnt vmcnt(0)
	v_cmp_ne_u16_sdwa s[4:5], v2, v3 src0_sel:BYTE_0 src1_sel:DWORD
	v_cndmask_b32_e64 v3, 0, 1, s[4:5]
	global_store_byte v[0:1], v3, off
	s_or_b64 exec, exec, s[2:3]
	s_and_saveexec_b64 s[2:3], s[0:1]
	s_cbranch_execz .LBB143_3080
.LBB143_3043:
	s_sext_i32_i16 s2, s18
	s_cmp_lt_i32 s2, 5
	s_mov_b64 s[0:1], -1
	s_cbranch_scc1 .LBB143_3064
; %bb.3044:
	s_cmp_lt_i32 s2, 8
	s_cbranch_scc1 .LBB143_3054
; %bb.3045:
	s_cmp_lt_i32 s2, 9
	s_cbranch_scc1 .LBB143_3051
; %bb.3046:
	s_cmp_gt_i32 s2, 9
	s_cbranch_scc0 .LBB143_3048
; %bb.3047:
	s_mov_b32 s0, 0xffff
	s_waitcnt vmcnt(0)
	v_and_b32_sdwa v3, s0, v2 dst_sel:DWORD dst_unused:UNUSED_PAD src0_sel:DWORD src1_sel:BYTE_0
	v_cvt_f64_u32_e32 v[3:4], v3
	v_mov_b32_e32 v5, 0
	v_mov_b32_e32 v6, v5
	s_mov_b64 s[0:1], 0
	global_store_dwordx4 v[0:1], v[3:6], off
.LBB143_3048:
	s_andn2_b64 vcc, exec, s[0:1]
	s_cbranch_vccnz .LBB143_3050
; %bb.3049:
	s_waitcnt vmcnt(0)
	v_cvt_f32_ubyte0_e32 v3, v2
	v_mov_b32_e32 v4, 0
	global_store_dwordx2 v[0:1], v[3:4], off
.LBB143_3050:
	s_mov_b64 s[0:1], 0
.LBB143_3051:
	s_andn2_b64 vcc, exec, s[0:1]
	s_cbranch_vccnz .LBB143_3053
; %bb.3052:
	s_waitcnt vmcnt(0)
	v_cvt_f16_u16_sdwa v3, v2 dst_sel:DWORD dst_unused:UNUSED_PAD src0_sel:BYTE_0
	global_store_dword v[0:1], v3, off
.LBB143_3053:
	s_mov_b64 s[0:1], 0
.LBB143_3054:
	s_andn2_b64 vcc, exec, s[0:1]
	s_cbranch_vccnz .LBB143_3063
; %bb.3055:
	s_sext_i32_i16 s2, s18
	s_cmp_lt_i32 s2, 6
	s_mov_b64 s[0:1], -1
	s_cbranch_scc1 .LBB143_3061
; %bb.3056:
	s_cmp_gt_i32 s2, 6
	s_cbranch_scc0 .LBB143_3058
; %bb.3057:
	s_mov_b32 s0, 0xffff
	s_waitcnt vmcnt(0)
	v_and_b32_sdwa v3, s0, v2 dst_sel:DWORD dst_unused:UNUSED_PAD src0_sel:DWORD src1_sel:BYTE_0
	v_cvt_f64_u32_e32 v[3:4], v3
	s_mov_b64 s[0:1], 0
	global_store_dwordx2 v[0:1], v[3:4], off
.LBB143_3058:
	s_andn2_b64 vcc, exec, s[0:1]
	s_cbranch_vccnz .LBB143_3060
; %bb.3059:
	s_waitcnt vmcnt(0)
	v_cvt_f32_ubyte0_e32 v3, v2
	global_store_dword v[0:1], v3, off
.LBB143_3060:
	s_mov_b64 s[0:1], 0
.LBB143_3061:
	s_andn2_b64 vcc, exec, s[0:1]
	s_cbranch_vccnz .LBB143_3063
; %bb.3062:
	s_waitcnt vmcnt(0)
	v_cvt_f16_u16_sdwa v3, v2 dst_sel:DWORD dst_unused:UNUSED_PAD src0_sel:BYTE_0
	global_store_short v[0:1], v3, off
.LBB143_3063:
	s_mov_b64 s[0:1], 0
.LBB143_3064:
	s_andn2_b64 vcc, exec, s[0:1]
	s_cbranch_vccnz .LBB143_3080
; %bb.3065:
	s_sext_i32_i16 s2, s18
	s_cmp_lt_i32 s2, 2
	s_mov_b64 s[0:1], -1
	s_cbranch_scc1 .LBB143_3075
; %bb.3066:
	s_cmp_lt_i32 s2, 3
	s_cbranch_scc1 .LBB143_3072
; %bb.3067:
	s_cmp_gt_i32 s2, 3
	s_cbranch_scc0 .LBB143_3069
; %bb.3068:
	s_waitcnt vmcnt(0)
	v_and_b32_e32 v3, 0xff, v2
	v_mov_b32_e32 v4, 0
	global_store_dwordx2 v[0:1], v[3:4], off
	s_mov_b64 s[0:1], 0
.LBB143_3069:
	s_andn2_b64 vcc, exec, s[0:1]
	s_cbranch_vccnz .LBB143_3071
; %bb.3070:
	s_waitcnt vmcnt(0)
	v_and_b32_e32 v3, 0xff, v2
	global_store_dword v[0:1], v3, off
.LBB143_3071:
	s_mov_b64 s[0:1], 0
.LBB143_3072:
	s_andn2_b64 vcc, exec, s[0:1]
	s_cbranch_vccnz .LBB143_3074
; %bb.3073:
	s_waitcnt vmcnt(0)
	v_and_b32_e32 v3, 0xff, v2
	global_store_short v[0:1], v3, off
.LBB143_3074:
	s_mov_b64 s[0:1], 0
.LBB143_3075:
	s_andn2_b64 vcc, exec, s[0:1]
	s_cbranch_vccnz .LBB143_3080
; %bb.3076:
	s_sext_i32_i16 s0, s18
	s_cmp_gt_i32 s0, 0
	s_mov_b64 s[0:1], -1
	s_cbranch_scc0 .LBB143_3078
; %bb.3077:
	s_waitcnt vmcnt(0)
	global_store_byte v[0:1], v2, off
	s_mov_b64 s[0:1], 0
.LBB143_3078:
	s_andn2_b64 vcc, exec, s[0:1]
	s_cbranch_vccnz .LBB143_3080
; %bb.3079:
	s_waitcnt vmcnt(0)
	global_store_byte v[0:1], v2, off
	s_endpgm
.LBB143_3080:
	s_endpgm
.LBB143_3081:
	s_mov_b64 s[2:3], 0
	s_mov_b64 s[0:1], -1
	s_branch .LBB143_3037
.LBB143_3082:
	s_trap 2
	s_or_b64 s[4:5], s[4:5], exec
	s_cbranch_execz .LBB143_2551
	s_branch .LBB143_2552
.LBB143_3083:
	s_andn2_saveexec_b64 s[16:17], s[16:17]
	s_cbranch_execz .LBB143_2631
.LBB143_3084:
	v_add_f32_e32 v3, 0x46000000, v7
	v_and_b32_e32 v3, 0xff, v3
	v_cmp_ne_u32_e32 vcc, 0, v3
	s_andn2_b64 s[10:11], s[10:11], exec
	s_and_b64 s[22:23], vcc, exec
	s_or_b64 s[10:11], s[10:11], s[22:23]
	s_or_b64 exec, exec, s[16:17]
	v_mov_b32_e32 v9, 0
	s_and_saveexec_b64 s[16:17], s[10:11]
	s_cbranch_execnz .LBB143_2632
	s_branch .LBB143_2633
.LBB143_3085:
	s_trap 2
	s_or_b64 s[4:5], s[4:5], exec
	s_cbranch_execz .LBB143_2679
	s_branch .LBB143_2680
.LBB143_3086:
	s_andn2_saveexec_b64 s[10:11], s[10:11]
	s_cbranch_execz .LBB143_2644
.LBB143_3087:
	v_add_f32_e32 v3, 0x42800000, v7
	v_and_b32_e32 v3, 0xff, v3
	v_cmp_ne_u32_e32 vcc, 0, v3
	s_andn2_b64 s[6:7], s[6:7], exec
	s_and_b64 s[16:17], vcc, exec
	s_or_b64 s[6:7], s[6:7], s[16:17]
	s_or_b64 exec, exec, s[10:11]
	v_mov_b32_e32 v9, 0
	s_and_saveexec_b64 s[10:11], s[6:7]
	s_cbranch_execnz .LBB143_2645
	s_branch .LBB143_2646
.LBB143_3088:
	s_andn2_saveexec_b64 s[16:17], s[16:17]
	s_cbranch_execz .LBB143_2750
.LBB143_3089:
	v_add_f32_e32 v5, 0x46000000, v6
	v_and_b32_e32 v5, 0xff, v5
	v_cmp_ne_u32_e32 vcc, 0, v5
	s_andn2_b64 s[10:11], s[10:11], exec
	s_and_b64 s[20:21], vcc, exec
	s_or_b64 s[10:11], s[10:11], s[20:21]
	s_or_b64 exec, exec, s[16:17]
	v_mov_b32_e32 v7, 0
	s_and_saveexec_b64 s[16:17], s[10:11]
	s_cbranch_execnz .LBB143_2751
	s_branch .LBB143_2752
.LBB143_3090:
	s_trap 2
	s_or_b64 s[4:5], s[4:5], exec
	s_cbranch_execz .LBB143_2798
	s_branch .LBB143_2799
.LBB143_3091:
	s_andn2_saveexec_b64 s[10:11], s[10:11]
	s_cbranch_execz .LBB143_2763
.LBB143_3092:
	v_add_f32_e32 v5, 0x42800000, v6
	v_and_b32_e32 v5, 0xff, v5
	v_cmp_ne_u32_e32 vcc, 0, v5
	s_andn2_b64 s[6:7], s[6:7], exec
	s_and_b64 s[16:17], vcc, exec
	s_or_b64 s[6:7], s[6:7], s[16:17]
	s_or_b64 exec, exec, s[10:11]
	v_mov_b32_e32 v7, 0
	s_and_saveexec_b64 s[10:11], s[6:7]
	s_cbranch_execnz .LBB143_2764
	s_branch .LBB143_2765
.LBB143_3093:
	s_andn2_saveexec_b64 s[16:17], s[16:17]
	s_cbranch_execz .LBB143_2869
.LBB143_3094:
	v_add_f32_e32 v4, 0x46000000, v5
	v_and_b32_e32 v4, 0xff, v4
	v_cmp_ne_u32_e32 vcc, 0, v4
	s_andn2_b64 s[10:11], s[10:11], exec
	s_and_b64 s[20:21], vcc, exec
	s_or_b64 s[10:11], s[10:11], s[20:21]
	s_or_b64 exec, exec, s[16:17]
	v_mov_b32_e32 v6, 0
	s_and_saveexec_b64 s[16:17], s[10:11]
	s_cbranch_execnz .LBB143_2870
	s_branch .LBB143_2871
.LBB143_3095:
	s_trap 2
	s_or_b64 s[4:5], s[4:5], exec
	s_cbranch_execz .LBB143_2917
	s_branch .LBB143_2918
.LBB143_3096:
	s_andn2_saveexec_b64 s[10:11], s[10:11]
	s_cbranch_execz .LBB143_2882
.LBB143_3097:
	v_add_f32_e32 v4, 0x42800000, v5
	v_and_b32_e32 v4, 0xff, v4
	v_cmp_ne_u32_e32 vcc, 0, v4
	s_andn2_b64 s[6:7], s[6:7], exec
	s_and_b64 s[16:17], vcc, exec
	s_or_b64 s[6:7], s[6:7], s[16:17]
	s_or_b64 exec, exec, s[10:11]
	v_mov_b32_e32 v6, 0
	s_and_saveexec_b64 s[10:11], s[6:7]
	s_cbranch_execnz .LBB143_2883
	s_branch .LBB143_2884
.LBB143_3098:
	s_andn2_saveexec_b64 s[10:11], s[10:11]
	s_cbranch_execz .LBB143_2989
.LBB143_3099:
	v_add_f32_e32 v3, 0x46000000, v4
	v_and_b32_e32 v3, 0xff, v3
	v_cmp_ne_u32_e32 vcc, 0, v3
	s_andn2_b64 s[8:9], s[8:9], exec
	s_and_b64 s[20:21], vcc, exec
	s_or_b64 s[8:9], s[8:9], s[20:21]
	s_or_b64 exec, exec, s[10:11]
	v_mov_b32_e32 v5, 0
	s_and_saveexec_b64 s[10:11], s[8:9]
	s_cbranch_execnz .LBB143_2990
	s_branch .LBB143_2991
.LBB143_3100:
	s_mov_b64 s[2:3], 0
	s_or_b64 s[4:5], s[4:5], exec
	s_trap 2
	s_branch .LBB143_3035
.LBB143_3101:
	s_andn2_saveexec_b64 s[8:9], s[8:9]
	s_cbranch_execz .LBB143_3001
.LBB143_3102:
	v_add_f32_e32 v3, 0x42800000, v4
	v_and_b32_e32 v3, 0xff, v3
	v_cmp_ne_u32_e32 vcc, 0, v3
	s_andn2_b64 s[6:7], s[6:7], exec
	s_and_b64 s[10:11], vcc, exec
	s_or_b64 s[6:7], s[6:7], s[10:11]
	s_or_b64 exec, exec, s[8:9]
	v_mov_b32_e32 v5, 0
	s_and_saveexec_b64 s[8:9], s[6:7]
	s_cbranch_execnz .LBB143_3002
	s_branch .LBB143_3003
	.section	.rodata,"a",@progbits
	.p2align	6, 0x0
	.amdhsa_kernel _ZN2at6native32elementwise_kernel_manual_unrollILi128ELi4EZNS0_15gpu_kernel_implINS0_13BinaryFunctorIhhhZZZNS0_18rshift_kernel_cudaERNS_18TensorIteratorBaseEENKUlvE_clEvENKUlvE_clEvEUlhhE_EEEEvS5_RKT_EUlibE0_EEviT1_
		.amdhsa_group_segment_fixed_size 0
		.amdhsa_private_segment_fixed_size 0
		.amdhsa_kernarg_size 432
		.amdhsa_user_sgpr_count 6
		.amdhsa_user_sgpr_private_segment_buffer 1
		.amdhsa_user_sgpr_dispatch_ptr 0
		.amdhsa_user_sgpr_queue_ptr 0
		.amdhsa_user_sgpr_kernarg_segment_ptr 1
		.amdhsa_user_sgpr_dispatch_id 0
		.amdhsa_user_sgpr_flat_scratch_init 0
		.amdhsa_user_sgpr_private_segment_size 0
		.amdhsa_uses_dynamic_stack 0
		.amdhsa_system_sgpr_private_segment_wavefront_offset 0
		.amdhsa_system_sgpr_workgroup_id_x 1
		.amdhsa_system_sgpr_workgroup_id_y 0
		.amdhsa_system_sgpr_workgroup_id_z 0
		.amdhsa_system_sgpr_workgroup_info 0
		.amdhsa_system_vgpr_workitem_id 0
		.amdhsa_next_free_vgpr 23
		.amdhsa_next_free_sgpr 80
		.amdhsa_reserve_vcc 1
		.amdhsa_reserve_flat_scratch 0
		.amdhsa_float_round_mode_32 0
		.amdhsa_float_round_mode_16_64 0
		.amdhsa_float_denorm_mode_32 3
		.amdhsa_float_denorm_mode_16_64 3
		.amdhsa_dx10_clamp 1
		.amdhsa_ieee_mode 1
		.amdhsa_fp16_overflow 0
		.amdhsa_exception_fp_ieee_invalid_op 0
		.amdhsa_exception_fp_denorm_src 0
		.amdhsa_exception_fp_ieee_div_zero 0
		.amdhsa_exception_fp_ieee_overflow 0
		.amdhsa_exception_fp_ieee_underflow 0
		.amdhsa_exception_fp_ieee_inexact 0
		.amdhsa_exception_int_div_zero 0
	.end_amdhsa_kernel
	.section	.text._ZN2at6native32elementwise_kernel_manual_unrollILi128ELi4EZNS0_15gpu_kernel_implINS0_13BinaryFunctorIhhhZZZNS0_18rshift_kernel_cudaERNS_18TensorIteratorBaseEENKUlvE_clEvENKUlvE_clEvEUlhhE_EEEEvS5_RKT_EUlibE0_EEviT1_,"axG",@progbits,_ZN2at6native32elementwise_kernel_manual_unrollILi128ELi4EZNS0_15gpu_kernel_implINS0_13BinaryFunctorIhhhZZZNS0_18rshift_kernel_cudaERNS_18TensorIteratorBaseEENKUlvE_clEvENKUlvE_clEvEUlhhE_EEEEvS5_RKT_EUlibE0_EEviT1_,comdat
.Lfunc_end143:
	.size	_ZN2at6native32elementwise_kernel_manual_unrollILi128ELi4EZNS0_15gpu_kernel_implINS0_13BinaryFunctorIhhhZZZNS0_18rshift_kernel_cudaERNS_18TensorIteratorBaseEENKUlvE_clEvENKUlvE_clEvEUlhhE_EEEEvS5_RKT_EUlibE0_EEviT1_, .Lfunc_end143-_ZN2at6native32elementwise_kernel_manual_unrollILi128ELi4EZNS0_15gpu_kernel_implINS0_13BinaryFunctorIhhhZZZNS0_18rshift_kernel_cudaERNS_18TensorIteratorBaseEENKUlvE_clEvENKUlvE_clEvEUlhhE_EEEEvS5_RKT_EUlibE0_EEviT1_
                                        ; -- End function
	.set _ZN2at6native32elementwise_kernel_manual_unrollILi128ELi4EZNS0_15gpu_kernel_implINS0_13BinaryFunctorIhhhZZZNS0_18rshift_kernel_cudaERNS_18TensorIteratorBaseEENKUlvE_clEvENKUlvE_clEvEUlhhE_EEEEvS5_RKT_EUlibE0_EEviT1_.num_vgpr, 23
	.set _ZN2at6native32elementwise_kernel_manual_unrollILi128ELi4EZNS0_15gpu_kernel_implINS0_13BinaryFunctorIhhhZZZNS0_18rshift_kernel_cudaERNS_18TensorIteratorBaseEENKUlvE_clEvENKUlvE_clEvEUlhhE_EEEEvS5_RKT_EUlibE0_EEviT1_.num_agpr, 0
	.set _ZN2at6native32elementwise_kernel_manual_unrollILi128ELi4EZNS0_15gpu_kernel_implINS0_13BinaryFunctorIhhhZZZNS0_18rshift_kernel_cudaERNS_18TensorIteratorBaseEENKUlvE_clEvENKUlvE_clEvEUlhhE_EEEEvS5_RKT_EUlibE0_EEviT1_.numbered_sgpr, 80
	.set _ZN2at6native32elementwise_kernel_manual_unrollILi128ELi4EZNS0_15gpu_kernel_implINS0_13BinaryFunctorIhhhZZZNS0_18rshift_kernel_cudaERNS_18TensorIteratorBaseEENKUlvE_clEvENKUlvE_clEvEUlhhE_EEEEvS5_RKT_EUlibE0_EEviT1_.num_named_barrier, 0
	.set _ZN2at6native32elementwise_kernel_manual_unrollILi128ELi4EZNS0_15gpu_kernel_implINS0_13BinaryFunctorIhhhZZZNS0_18rshift_kernel_cudaERNS_18TensorIteratorBaseEENKUlvE_clEvENKUlvE_clEvEUlhhE_EEEEvS5_RKT_EUlibE0_EEviT1_.private_seg_size, 0
	.set _ZN2at6native32elementwise_kernel_manual_unrollILi128ELi4EZNS0_15gpu_kernel_implINS0_13BinaryFunctorIhhhZZZNS0_18rshift_kernel_cudaERNS_18TensorIteratorBaseEENKUlvE_clEvENKUlvE_clEvEUlhhE_EEEEvS5_RKT_EUlibE0_EEviT1_.uses_vcc, 1
	.set _ZN2at6native32elementwise_kernel_manual_unrollILi128ELi4EZNS0_15gpu_kernel_implINS0_13BinaryFunctorIhhhZZZNS0_18rshift_kernel_cudaERNS_18TensorIteratorBaseEENKUlvE_clEvENKUlvE_clEvEUlhhE_EEEEvS5_RKT_EUlibE0_EEviT1_.uses_flat_scratch, 0
	.set _ZN2at6native32elementwise_kernel_manual_unrollILi128ELi4EZNS0_15gpu_kernel_implINS0_13BinaryFunctorIhhhZZZNS0_18rshift_kernel_cudaERNS_18TensorIteratorBaseEENKUlvE_clEvENKUlvE_clEvEUlhhE_EEEEvS5_RKT_EUlibE0_EEviT1_.has_dyn_sized_stack, 0
	.set _ZN2at6native32elementwise_kernel_manual_unrollILi128ELi4EZNS0_15gpu_kernel_implINS0_13BinaryFunctorIhhhZZZNS0_18rshift_kernel_cudaERNS_18TensorIteratorBaseEENKUlvE_clEvENKUlvE_clEvEUlhhE_EEEEvS5_RKT_EUlibE0_EEviT1_.has_recursion, 0
	.set _ZN2at6native32elementwise_kernel_manual_unrollILi128ELi4EZNS0_15gpu_kernel_implINS0_13BinaryFunctorIhhhZZZNS0_18rshift_kernel_cudaERNS_18TensorIteratorBaseEENKUlvE_clEvENKUlvE_clEvEUlhhE_EEEEvS5_RKT_EUlibE0_EEviT1_.has_indirect_call, 0
	.section	.AMDGPU.csdata,"",@progbits
; Kernel info:
; codeLenInByte = 56168
; TotalNumSgprs: 84
; NumVgprs: 23
; ScratchSize: 0
; MemoryBound: 1
; FloatMode: 240
; IeeeMode: 1
; LDSByteSize: 0 bytes/workgroup (compile time only)
; SGPRBlocks: 10
; VGPRBlocks: 5
; NumSGPRsForWavesPerEU: 84
; NumVGPRsForWavesPerEU: 23
; Occupancy: 9
; WaveLimiterHint : 1
; COMPUTE_PGM_RSRC2:SCRATCH_EN: 0
; COMPUTE_PGM_RSRC2:USER_SGPR: 6
; COMPUTE_PGM_RSRC2:TRAP_HANDLER: 0
; COMPUTE_PGM_RSRC2:TGID_X_EN: 1
; COMPUTE_PGM_RSRC2:TGID_Y_EN: 0
; COMPUTE_PGM_RSRC2:TGID_Z_EN: 0
; COMPUTE_PGM_RSRC2:TIDIG_COMP_CNT: 0
	.section	.text._ZN2at6native29vectorized_elementwise_kernelILi16ENS0_13AUnaryFunctorIaaaZZZNS0_18rshift_kernel_cudaERNS_18TensorIteratorBaseEENKUlvE_clEvENKUlvE0_clEvEUlaaE_EESt5arrayIPcLm2EEEEviT0_T1_,"axG",@progbits,_ZN2at6native29vectorized_elementwise_kernelILi16ENS0_13AUnaryFunctorIaaaZZZNS0_18rshift_kernel_cudaERNS_18TensorIteratorBaseEENKUlvE_clEvENKUlvE0_clEvEUlaaE_EESt5arrayIPcLm2EEEEviT0_T1_,comdat
	.globl	_ZN2at6native29vectorized_elementwise_kernelILi16ENS0_13AUnaryFunctorIaaaZZZNS0_18rshift_kernel_cudaERNS_18TensorIteratorBaseEENKUlvE_clEvENKUlvE0_clEvEUlaaE_EESt5arrayIPcLm2EEEEviT0_T1_ ; -- Begin function _ZN2at6native29vectorized_elementwise_kernelILi16ENS0_13AUnaryFunctorIaaaZZZNS0_18rshift_kernel_cudaERNS_18TensorIteratorBaseEENKUlvE_clEvENKUlvE0_clEvEUlaaE_EESt5arrayIPcLm2EEEEviT0_T1_
	.p2align	8
	.type	_ZN2at6native29vectorized_elementwise_kernelILi16ENS0_13AUnaryFunctorIaaaZZZNS0_18rshift_kernel_cudaERNS_18TensorIteratorBaseEENKUlvE_clEvENKUlvE0_clEvEUlaaE_EESt5arrayIPcLm2EEEEviT0_T1_,@function
_ZN2at6native29vectorized_elementwise_kernelILi16ENS0_13AUnaryFunctorIaaaZZZNS0_18rshift_kernel_cudaERNS_18TensorIteratorBaseEENKUlvE_clEvENKUlvE0_clEvEUlaaE_EESt5arrayIPcLm2EEEEviT0_T1_: ; @_ZN2at6native29vectorized_elementwise_kernelILi16ENS0_13AUnaryFunctorIaaaZZZNS0_18rshift_kernel_cudaERNS_18TensorIteratorBaseEENKUlvE_clEvENKUlvE0_clEvEUlaaE_EESt5arrayIPcLm2EEEEviT0_T1_
; %bb.0:
	v_mov_b32_e32 v1, 0
	global_load_ushort v3, v1, s[4:5] offset:4
	s_load_dword s0, s[4:5], 0x0
	s_load_dwordx4 s[16:19], s[4:5], 0x8
	s_lshl_b32 s33, s6, 12
	s_waitcnt lgkmcnt(0)
	s_sub_i32 s38, s0, s33
	s_cmpk_gt_i32 s38, 0xfff
	s_mov_b64 s[0:1], -1
	s_cbranch_scc0 .LBB144_2
; %bb.1:
	s_ashr_i32 s2, s33, 31
	s_add_u32 s0, s18, s33
	s_addc_u32 s1, s19, s2
	v_lshlrev_b32_e32 v1, 4, v0
	global_load_dwordx4 v[4:7], v1, s[0:1]
	s_movk_i32 s0, 0xff
	v_mov_b32_e32 v2, 15
	s_waitcnt vmcnt(1)
	v_lshrrev_b32_sdwa v2, v2, sext(v3) dst_sel:DWORD dst_unused:UNUSED_PAD src0_sel:DWORD src1_sel:WORD_0
	s_add_u32 s14, s16, s33
	s_addc_u32 s15, s17, s2
	s_waitcnt vmcnt(0)
	v_and_b32_sdwa v9, v4, s0 dst_sel:DWORD dst_unused:UNUSED_PAD src0_sel:WORD_1 src1_sel:DWORD
	v_cmp_lt_u16_e32 vcc, 6, v9
	v_mov_b32_e32 v9, 6
	v_and_b32_sdwa v8, v5, s0 dst_sel:DWORD dst_unused:UNUSED_PAD src0_sel:WORD_1 src1_sel:DWORD
	v_cmp_gt_u16_sdwa s[10:11], v5, v9 src0_sel:BYTE_1 src1_sel:DWORD
	v_ashrrev_i32_sdwa v12, v5, sext(v3) dst_sel:DWORD dst_unused:UNUSED_PAD src0_sel:BYTE_1 src1_sel:BYTE_1
	v_cmp_lt_u16_e64 s[6:7], 6, v8
	v_cmp_gt_u16_sdwa s[12:13], v5, v9 src0_sel:BYTE_0 src1_sel:DWORD
	v_ashrrev_i32_sdwa v8, v5, sext(v3) dst_sel:DWORD dst_unused:UNUSED_PAD src0_sel:DWORD src1_sel:BYTE_1
	v_cndmask_b32_e64 v12, v12, v2, s[10:11]
	v_cmp_gt_u16_sdwa s[8:9], v5, v9 src0_sel:BYTE_3 src1_sel:DWORD
	v_ashrrev_i32_sdwa v13, v5, sext(v3) dst_sel:DWORD dst_unused:UNUSED_PAD src0_sel:BYTE_3 src1_sel:BYTE_1
	v_cndmask_b32_e64 v8, v8, v2, s[12:13]
	v_lshlrev_b16_e32 v12, 8, v12
	v_ashrrev_i32_sdwa v5, v5, sext(v3) dst_sel:DWORD dst_unused:UNUSED_PAD src0_sel:WORD_1 src1_sel:BYTE_1
	v_or_b32_sdwa v8, v8, v12 dst_sel:DWORD dst_unused:UNUSED_PAD src0_sel:BYTE_0 src1_sel:DWORD
	v_cndmask_b32_e64 v12, v13, v2, s[8:9]
	v_cmp_gt_u16_sdwa s[2:3], v4, v9 src0_sel:BYTE_1 src1_sel:DWORD
	v_ashrrev_i32_sdwa v15, v4, sext(v3) dst_sel:DWORD dst_unused:UNUSED_PAD src0_sel:BYTE_1 src1_sel:BYTE_1
	v_lshlrev_b16_e32 v12, 8, v12
	v_cndmask_b32_e64 v5, v5, v2, s[6:7]
	v_cmp_gt_u16_sdwa s[4:5], v4, v9 src0_sel:BYTE_0 src1_sel:DWORD
	v_ashrrev_i32_sdwa v14, v4, sext(v3) dst_sel:DWORD dst_unused:UNUSED_PAD src0_sel:DWORD src1_sel:BYTE_1
	v_or_b32_sdwa v5, v5, v12 dst_sel:WORD_1 dst_unused:UNUSED_PAD src0_sel:BYTE_0 src1_sel:DWORD
	v_cndmask_b32_e64 v12, v15, v2, s[2:3]
	v_and_b32_sdwa v10, v7, s0 dst_sel:DWORD dst_unused:UNUSED_PAD src0_sel:WORD_1 src1_sel:DWORD
	v_and_b32_sdwa v11, v6, s0 dst_sel:DWORD dst_unused:UNUSED_PAD src0_sel:WORD_1 src1_sel:DWORD
	v_cmp_gt_u16_sdwa s[0:1], v4, v9 src0_sel:BYTE_3 src1_sel:DWORD
	v_ashrrev_i32_sdwa v16, v4, sext(v3) dst_sel:DWORD dst_unused:UNUSED_PAD src0_sel:BYTE_3 src1_sel:BYTE_1
	v_or_b32_sdwa v5, v8, v5 dst_sel:DWORD dst_unused:UNUSED_PAD src0_sel:WORD_0 src1_sel:DWORD
	v_cndmask_b32_e64 v8, v14, v2, s[4:5]
	v_lshlrev_b16_e32 v12, 8, v12
	v_ashrrev_i32_sdwa v4, v4, sext(v3) dst_sel:DWORD dst_unused:UNUSED_PAD src0_sel:WORD_1 src1_sel:BYTE_1
	v_or_b32_sdwa v8, v8, v12 dst_sel:DWORD dst_unused:UNUSED_PAD src0_sel:BYTE_0 src1_sel:DWORD
	v_cndmask_b32_e64 v12, v16, v2, s[0:1]
	v_lshlrev_b16_e32 v12, 8, v12
	v_cndmask_b32_e32 v4, v4, v2, vcc
	v_or_b32_sdwa v4, v4, v12 dst_sel:WORD_1 dst_unused:UNUSED_PAD src0_sel:BYTE_0 src1_sel:DWORD
	v_or_b32_sdwa v4, v8, v4 dst_sel:DWORD dst_unused:UNUSED_PAD src0_sel:WORD_0 src1_sel:DWORD
	v_cmp_gt_u16_sdwa s[2:3], v6, v9 src0_sel:BYTE_3 src1_sel:DWORD
	v_cmp_gt_u16_sdwa s[4:5], v6, v9 src0_sel:BYTE_1 src1_sel:DWORD
	v_cmp_gt_u16_sdwa s[6:7], v6, v9 src0_sel:BYTE_0 src1_sel:DWORD
	v_cmp_gt_u16_sdwa s[10:11], v7, v9 src0_sel:BYTE_3 src1_sel:DWORD
	v_cmp_gt_u16_sdwa vcc, v7, v9 src0_sel:BYTE_1 src1_sel:DWORD
	v_cmp_gt_u16_sdwa s[12:13], v7, v9 src0_sel:BYTE_0 src1_sel:DWORD
	v_ashrrev_i32_sdwa v8, v7, sext(v3) dst_sel:DWORD dst_unused:UNUSED_PAD src0_sel:DWORD src1_sel:BYTE_1
	v_ashrrev_i32_sdwa v9, v7, sext(v3) dst_sel:DWORD dst_unused:UNUSED_PAD src0_sel:BYTE_1 src1_sel:BYTE_1
	v_cmp_lt_u16_e64 s[8:9], 6, v10
	v_ashrrev_i32_sdwa v10, v7, sext(v3) dst_sel:DWORD dst_unused:UNUSED_PAD src0_sel:BYTE_3 src1_sel:BYTE_1
	v_ashrrev_i32_sdwa v7, v7, sext(v3) dst_sel:DWORD dst_unused:UNUSED_PAD src0_sel:WORD_1 src1_sel:BYTE_1
	v_cndmask_b32_e64 v8, v8, v2, s[12:13]
	v_cndmask_b32_sdwa v9, v9, v2, vcc dst_sel:BYTE_1 dst_unused:UNUSED_PAD src0_sel:DWORD src1_sel:DWORD
	s_mov_b64 vcc, s[10:11]
	v_or_b32_sdwa v8, v8, v9 dst_sel:DWORD dst_unused:UNUSED_PAD src0_sel:BYTE_0 src1_sel:DWORD
	v_cndmask_b32_sdwa v9, v10, v2, vcc dst_sel:BYTE_1 dst_unused:UNUSED_PAD src0_sel:DWORD src1_sel:DWORD
	v_cndmask_b32_e64 v7, v7, v2, s[8:9]
	v_cmp_lt_u16_e64 s[0:1], 6, v11
	v_ashrrev_i32_sdwa v11, v6, sext(v3) dst_sel:DWORD dst_unused:UNUSED_PAD src0_sel:DWORD src1_sel:BYTE_1
	v_ashrrev_i32_sdwa v12, v6, sext(v3) dst_sel:DWORD dst_unused:UNUSED_PAD src0_sel:BYTE_1 src1_sel:BYTE_1
	v_or_b32_sdwa v7, v7, v9 dst_sel:WORD_1 dst_unused:UNUSED_PAD src0_sel:BYTE_0 src1_sel:DWORD
	s_mov_b64 vcc, s[4:5]
	v_ashrrev_i32_sdwa v13, v6, sext(v3) dst_sel:DWORD dst_unused:UNUSED_PAD src0_sel:BYTE_3 src1_sel:BYTE_1
	v_ashrrev_i32_sdwa v6, v6, sext(v3) dst_sel:DWORD dst_unused:UNUSED_PAD src0_sel:WORD_1 src1_sel:BYTE_1
	v_or_b32_sdwa v7, v8, v7 dst_sel:DWORD dst_unused:UNUSED_PAD src0_sel:WORD_0 src1_sel:DWORD
	v_cndmask_b32_e64 v8, v11, v2, s[6:7]
	v_cndmask_b32_sdwa v9, v12, v2, vcc dst_sel:BYTE_1 dst_unused:UNUSED_PAD src0_sel:DWORD src1_sel:DWORD
	s_mov_b64 vcc, s[2:3]
	v_or_b32_sdwa v8, v8, v9 dst_sel:DWORD dst_unused:UNUSED_PAD src0_sel:BYTE_0 src1_sel:DWORD
	v_cndmask_b32_sdwa v9, v13, v2, vcc dst_sel:BYTE_1 dst_unused:UNUSED_PAD src0_sel:DWORD src1_sel:DWORD
	v_cndmask_b32_e64 v2, v6, v2, s[0:1]
	v_or_b32_sdwa v2, v2, v9 dst_sel:WORD_1 dst_unused:UNUSED_PAD src0_sel:BYTE_0 src1_sel:DWORD
	v_or_b32_sdwa v6, v8, v2 dst_sel:DWORD dst_unused:UNUSED_PAD src0_sel:WORD_0 src1_sel:DWORD
	global_store_dwordx4 v1, v[4:7], s[14:15]
	s_mov_b64 s[0:1], 0
.LBB144_2:
	s_andn2_b64 vcc, exec, s[0:1]
	s_cbranch_vccnz .LBB144_52
; %bb.3:
	v_cmp_gt_i32_e64 s[0:1], s38, v0
	v_or_b32_e32 v4, 0x100, v0
	v_mov_b32_e32 v21, 0
	v_or_b32_e32 v5, s33, v0
	v_mov_b32_e32 v20, 0
	v_mov_b32_e32 v19, 0
	;; [unrolled: 1-line block ×15, first 2 shown]
	s_and_saveexec_b64 s[2:3], s[0:1]
	s_cbranch_execz .LBB144_35
; %bb.4:
	global_load_ubyte v14, v5, s[18:19]
	v_cmp_gt_u32_e32 vcc, s38, v4
	v_mov_b32_e32 v17, 0
	v_mov_b32_e32 v15, 0
	v_mov_b32_e32 v12, 0
	v_mov_b32_e32 v9, 0
	v_mov_b32_e32 v10, 0
	v_mov_b32_e32 v6, 0
	v_mov_b32_e32 v7, 0
	v_mov_b32_e32 v8, 0
	v_mov_b32_e32 v11, 0
	v_mov_b32_e32 v13, 0
	v_mov_b32_e32 v16, 0
	v_mov_b32_e32 v18, 0
	v_mov_b32_e32 v19, 0
	v_mov_b32_e32 v20, 0
	v_mov_b32_e32 v21, 0
	s_and_saveexec_b64 s[4:5], vcc
	s_cbranch_execz .LBB144_34
; %bb.5:
	v_add_u32_e32 v1, s33, v0
	global_load_ubyte v17, v1, s[18:19] offset:256
	v_or_b32_e32 v2, 0x200, v0
	v_mov_b32_e32 v15, 0
	v_cmp_gt_u32_e32 vcc, s38, v2
	v_mov_b32_e32 v12, 0
	v_mov_b32_e32 v9, 0
	;; [unrolled: 1-line block ×13, first 2 shown]
	s_and_saveexec_b64 s[6:7], vcc
	s_cbranch_execz .LBB144_33
; %bb.6:
	v_mov_b32_e32 v2, s19
	v_add_co_u32_e32 v1, vcc, s18, v1
	v_addc_co_u32_e32 v2, vcc, 0, v2, vcc
	global_load_ubyte v15, v[1:2], off offset:512
	v_or_b32_e32 v6, 0x300, v0
	v_cmp_gt_u32_e32 vcc, s38, v6
	v_mov_b32_e32 v12, 0
	v_mov_b32_e32 v9, 0
	v_mov_b32_e32 v10, 0
	v_mov_b32_e32 v6, 0
	v_mov_b32_e32 v7, 0
	v_mov_b32_e32 v8, 0
	v_mov_b32_e32 v11, 0
	v_mov_b32_e32 v13, 0
	v_mov_b32_e32 v16, 0
	v_mov_b32_e32 v18, 0
	v_mov_b32_e32 v19, 0
	v_mov_b32_e32 v20, 0
	v_mov_b32_e32 v21, 0
	s_and_saveexec_b64 s[8:9], vcc
	s_cbranch_execz .LBB144_32
; %bb.7:
	global_load_ubyte v12, v[1:2], off offset:768
	v_or_b32_e32 v6, 0x400, v0
	v_cmp_gt_u32_e32 vcc, s38, v6
	v_mov_b32_e32 v9, 0
	v_mov_b32_e32 v10, 0
	;; [unrolled: 1-line block ×12, first 2 shown]
	s_and_saveexec_b64 s[10:11], vcc
	s_cbranch_execz .LBB144_31
; %bb.8:
	global_load_ubyte v9, v[1:2], off offset:1024
	v_or_b32_e32 v6, 0x500, v0
	v_cmp_gt_u32_e32 vcc, s38, v6
	v_mov_b32_e32 v10, 0
	v_mov_b32_e32 v6, 0
	;; [unrolled: 1-line block ×11, first 2 shown]
	s_and_saveexec_b64 s[12:13], vcc
	s_cbranch_execz .LBB144_30
; %bb.9:
	global_load_ubyte v10, v[1:2], off offset:1280
	v_or_b32_e32 v6, 0x600, v0
	v_cmp_gt_u32_e32 vcc, s38, v6
	v_mov_b32_e32 v6, 0
	v_mov_b32_e32 v7, 0
	;; [unrolled: 1-line block ×10, first 2 shown]
	s_and_saveexec_b64 s[14:15], vcc
	s_cbranch_execz .LBB144_29
; %bb.10:
	global_load_ubyte v6, v[1:2], off offset:1536
	v_or_b32_e32 v7, 0x700, v0
	v_cmp_gt_u32_e32 vcc, s38, v7
	v_mov_b32_e32 v7, 0
	v_mov_b32_e32 v8, 0
	;; [unrolled: 1-line block ×9, first 2 shown]
	s_and_saveexec_b64 s[18:19], vcc
	s_cbranch_execz .LBB144_28
; %bb.11:
	global_load_ubyte v7, v[1:2], off offset:1792
	v_or_b32_e32 v8, 0x800, v0
	v_cmp_gt_u32_e32 vcc, s38, v8
	v_mov_b32_e32 v8, 0
	v_mov_b32_e32 v11, 0
	;; [unrolled: 1-line block ×8, first 2 shown]
	s_and_saveexec_b64 s[20:21], vcc
	s_cbranch_execz .LBB144_27
; %bb.12:
	global_load_ubyte v8, v[1:2], off offset:2048
	v_or_b32_e32 v11, 0x900, v0
	v_cmp_gt_u32_e32 vcc, s38, v11
	v_mov_b32_e32 v11, 0
	v_mov_b32_e32 v13, 0
	;; [unrolled: 1-line block ×7, first 2 shown]
	s_and_saveexec_b64 s[22:23], vcc
	s_cbranch_execz .LBB144_26
; %bb.13:
	global_load_ubyte v11, v[1:2], off offset:2304
	v_or_b32_e32 v13, 0xa00, v0
	v_cmp_gt_u32_e32 vcc, s38, v13
	v_mov_b32_e32 v13, 0
	v_mov_b32_e32 v16, 0
	;; [unrolled: 1-line block ×6, first 2 shown]
	s_and_saveexec_b64 s[24:25], vcc
	s_cbranch_execz .LBB144_25
; %bb.14:
	global_load_ubyte v13, v[1:2], off offset:2560
	v_or_b32_e32 v16, 0xb00, v0
	v_cmp_gt_u32_e32 vcc, s38, v16
	v_mov_b32_e32 v16, 0
	v_mov_b32_e32 v18, 0
	;; [unrolled: 1-line block ×5, first 2 shown]
	s_and_saveexec_b64 s[26:27], vcc
	s_cbranch_execz .LBB144_24
; %bb.15:
	global_load_ubyte v16, v[1:2], off offset:2816
	v_or_b32_e32 v18, 0xc00, v0
	v_cmp_gt_u32_e32 vcc, s38, v18
	v_mov_b32_e32 v18, 0
	v_mov_b32_e32 v19, 0
	;; [unrolled: 1-line block ×4, first 2 shown]
	s_and_saveexec_b64 s[28:29], vcc
	s_cbranch_execz .LBB144_23
; %bb.16:
	global_load_ubyte v18, v[1:2], off offset:3072
	v_or_b32_e32 v19, 0xd00, v0
	v_cmp_gt_u32_e32 vcc, s38, v19
	v_mov_b32_e32 v19, 0
	v_mov_b32_e32 v20, 0
	;; [unrolled: 1-line block ×3, first 2 shown]
	s_and_saveexec_b64 s[30:31], vcc
	s_cbranch_execz .LBB144_22
; %bb.17:
	global_load_ubyte v19, v[1:2], off offset:3328
	v_or_b32_e32 v20, 0xe00, v0
	v_cmp_gt_u32_e32 vcc, s38, v20
	v_mov_b32_e32 v20, 0
	v_mov_b32_e32 v21, 0
	s_and_saveexec_b64 s[34:35], vcc
	s_cbranch_execz .LBB144_21
; %bb.18:
	global_load_ubyte v20, v[1:2], off offset:3584
	v_or_b32_e32 v21, 0xf00, v0
	v_cmp_gt_u32_e32 vcc, s38, v21
	v_mov_b32_e32 v21, 0
	s_and_saveexec_b64 s[36:37], vcc
	s_cbranch_execz .LBB144_20
; %bb.19:
	global_load_ubyte v21, v[1:2], off offset:3840
.LBB144_20:
	s_or_b64 exec, exec, s[36:37]
.LBB144_21:
	s_or_b64 exec, exec, s[34:35]
.LBB144_22:
	s_or_b64 exec, exec, s[30:31]
.LBB144_23:
	s_or_b64 exec, exec, s[28:29]
.LBB144_24:
	s_or_b64 exec, exec, s[26:27]
.LBB144_25:
	s_or_b64 exec, exec, s[24:25]
.LBB144_26:
	s_or_b64 exec, exec, s[22:23]
.LBB144_27:
	s_or_b64 exec, exec, s[20:21]
.LBB144_28:
	s_or_b64 exec, exec, s[18:19]
.LBB144_29:
	s_or_b64 exec, exec, s[14:15]
.LBB144_30:
	s_or_b64 exec, exec, s[12:13]
.LBB144_31:
	s_or_b64 exec, exec, s[10:11]
.LBB144_32:
	s_or_b64 exec, exec, s[8:9]
.LBB144_33:
	s_or_b64 exec, exec, s[6:7]
.LBB144_34:
	s_or_b64 exec, exec, s[4:5]
.LBB144_35:
	s_or_b64 exec, exec, s[2:3]
	v_mov_b32_e32 v1, 15
	v_mov_b32_e32 v22, 6
	s_waitcnt vmcnt(0)
	v_lshrrev_b32_sdwa v1, v1, sext(v3) dst_sel:DWORD dst_unused:UNUSED_PAD src0_sel:DWORD src1_sel:WORD_0
	v_ashrrev_i32_sdwa v2, v17, sext(v3) dst_sel:DWORD dst_unused:UNUSED_PAD src0_sel:DWORD src1_sel:BYTE_1
	v_cmp_gt_u16_sdwa vcc, v17, v22 src0_sel:BYTE_0 src1_sel:DWORD
	v_ashrrev_i32_sdwa v17, v14, sext(v3) dst_sel:DWORD dst_unused:UNUSED_PAD src0_sel:DWORD src1_sel:BYTE_1
	v_cmp_gt_u16_sdwa s[2:3], v14, v22 src0_sel:BYTE_0 src1_sel:DWORD
	v_cndmask_b32_e64 v14, v17, v1, s[2:3]
	s_mov_b32 s2, 0xffff
	v_and_b32_sdwa v14, s2, v14 dst_sel:DWORD dst_unused:UNUSED_PAD src0_sel:DWORD src1_sel:BYTE_0
	v_cndmask_b32_e32 v2, v2, v1, vcc
	v_cndmask_b32_e64 v14, 0, v14, s[0:1]
	v_lshlrev_b16_e32 v2, 8, v2
	v_or_b32_e32 v2, v14, v2
	v_and_b32_e32 v2, 0xffff, v2
	v_cmp_gt_i32_e32 vcc, s38, v4
	v_cndmask_b32_e32 v2, v14, v2, vcc
	v_ashrrev_i32_sdwa v14, v15, sext(v3) dst_sel:DWORD dst_unused:UNUSED_PAD src0_sel:DWORD src1_sel:BYTE_1
	v_cmp_gt_u16_sdwa vcc, v15, v22 src0_sel:BYTE_0 src1_sel:DWORD
	v_cndmask_b32_e32 v14, v14, v1, vcc
	s_mov_b32 s3, 0xc0c0304
	v_perm_b32 v14, v14, v2, s3
	v_or_b32_e32 v15, 0x200, v0
	v_lshl_or_b32 v14, v14, 16, v2
	v_cmp_gt_i32_e32 vcc, s38, v15
	v_cndmask_b32_e32 v2, v2, v14, vcc
	v_ashrrev_i32_sdwa v14, v12, sext(v3) dst_sel:DWORD dst_unused:UNUSED_PAD src0_sel:DWORD src1_sel:BYTE_1
	v_cmp_gt_u16_sdwa vcc, v12, v22 src0_sel:BYTE_0 src1_sel:DWORD
	s_movk_i32 s4, 0xff
	v_cndmask_b32_e32 v14, v14, v1, vcc
	v_and_b32_sdwa v12, v2, s4 dst_sel:DWORD dst_unused:UNUSED_PAD src0_sel:WORD_1 src1_sel:DWORD
	v_lshlrev_b16_e32 v14, 8, v14
	v_or_b32_sdwa v12, v12, v14 dst_sel:WORD_1 dst_unused:UNUSED_PAD src0_sel:DWORD src1_sel:DWORD
	v_or_b32_e32 v14, 0x300, v0
	v_and_or_b32 v12, v2, s2, v12
	v_cmp_gt_i32_e32 vcc, s38, v14
	v_cndmask_b32_e32 v12, v2, v12, vcc
	v_ashrrev_i32_sdwa v2, v9, sext(v3) dst_sel:DWORD dst_unused:UNUSED_PAD src0_sel:DWORD src1_sel:BYTE_1
	v_cmp_gt_u16_sdwa vcc, v9, v22 src0_sel:BYTE_0 src1_sel:DWORD
	v_cndmask_b32_e32 v2, v2, v1, vcc
	s_mov_b32 s5, 0x3020104
	v_or_b32_e32 v9, 0x400, v0
	v_perm_b32 v2, v2, 0, s5
	v_cmp_gt_i32_e32 vcc, s38, v9
	v_cndmask_b32_e32 v2, 0, v2, vcc
	v_ashrrev_i32_sdwa v9, v10, sext(v3) dst_sel:DWORD dst_unused:UNUSED_PAD src0_sel:DWORD src1_sel:BYTE_1
	v_cmp_gt_u16_sdwa vcc, v10, v22 src0_sel:BYTE_0 src1_sel:DWORD
	v_cndmask_b32_e32 v9, v9, v1, vcc
	v_lshlrev_b16_e32 v9, 8, v9
	v_or_b32_sdwa v9, v2, v9 dst_sel:DWORD dst_unused:UNUSED_PAD src0_sel:BYTE_0 src1_sel:DWORD
	v_and_b32_e32 v9, 0xffff, v9
	s_mov_b32 s6, 0xffff0000
	v_or_b32_e32 v10, 0x500, v0
	v_and_or_b32 v9, v2, s6, v9
	v_cmp_gt_i32_e32 vcc, s38, v10
	v_cndmask_b32_e32 v2, v2, v9, vcc
	v_ashrrev_i32_sdwa v10, v6, sext(v3) dst_sel:DWORD dst_unused:UNUSED_PAD src0_sel:DWORD src1_sel:BYTE_1
	v_cmp_gt_u16_sdwa vcc, v6, v22 src0_sel:BYTE_0 src1_sel:DWORD
	v_or_b32_e32 v9, 0x600, v0
	v_cndmask_b32_e32 v6, v10, v1, vcc
	s_mov_b32 s7, 0x7000504
	v_perm_b32 v6, v2, v6, s7
	v_cmp_gt_i32_e32 vcc, s38, v9
	v_cndmask_b32_e32 v2, v2, v6, vcc
	v_ashrrev_i32_sdwa v10, v7, sext(v3) dst_sel:DWORD dst_unused:UNUSED_PAD src0_sel:DWORD src1_sel:BYTE_1
	v_cmp_gt_u16_sdwa vcc, v7, v22 src0_sel:BYTE_0 src1_sel:DWORD
	v_cndmask_b32_e32 v7, v10, v1, vcc
	v_and_b32_sdwa v6, v2, s4 dst_sel:DWORD dst_unused:UNUSED_PAD src0_sel:WORD_1 src1_sel:DWORD
	v_lshlrev_b16_e32 v7, 8, v7
	v_or_b32_e32 v9, 0x700, v0
	v_or_b32_sdwa v6, v6, v7 dst_sel:WORD_1 dst_unused:UNUSED_PAD src0_sel:DWORD src1_sel:DWORD
	v_and_or_b32 v6, v2, s2, v6
	v_cmp_gt_i32_e32 vcc, s38, v9
	v_cndmask_b32_e32 v6, v2, v6, vcc
	v_ashrrev_i32_sdwa v7, v8, sext(v3) dst_sel:DWORD dst_unused:UNUSED_PAD src0_sel:DWORD src1_sel:BYTE_1
	v_cmp_gt_u16_sdwa vcc, v8, v22 src0_sel:BYTE_0 src1_sel:DWORD
	v_or_b32_e32 v2, 0x800, v0
	v_cndmask_b32_e32 v7, v7, v1, vcc
	v_and_b32_sdwa v7, s2, v7 dst_sel:DWORD dst_unused:UNUSED_PAD src0_sel:DWORD src1_sel:BYTE_0
	v_cmp_gt_i32_e32 vcc, s38, v2
	v_cndmask_b32_e32 v2, 0, v7, vcc
	v_ashrrev_i32_sdwa v8, v11, sext(v3) dst_sel:DWORD dst_unused:UNUSED_PAD src0_sel:DWORD src1_sel:BYTE_1
	v_cmp_gt_u16_sdwa vcc, v11, v22 src0_sel:BYTE_0 src1_sel:DWORD
	v_cndmask_b32_e32 v8, v8, v1, vcc
	v_lshlrev_b16_e32 v8, 8, v8
	v_or_b32_e32 v7, 0x900, v0
	v_or_b32_e32 v8, v2, v8
	v_and_b32_e32 v8, 0xffff, v8
	v_cmp_gt_i32_e32 vcc, s38, v7
	v_cndmask_b32_e32 v2, v2, v8, vcc
	v_ashrrev_i32_sdwa v8, v13, sext(v3) dst_sel:DWORD dst_unused:UNUSED_PAD src0_sel:DWORD src1_sel:BYTE_1
	v_cmp_gt_u16_sdwa vcc, v13, v22 src0_sel:BYTE_0 src1_sel:DWORD
	v_cndmask_b32_e32 v8, v8, v1, vcc
	v_or_b32_e32 v7, 0xa00, v0
	v_perm_b32 v8, v8, v2, s3
	v_lshl_or_b32 v8, v8, 16, v2
	v_cmp_gt_i32_e32 vcc, s38, v7
	v_cndmask_b32_e32 v2, v2, v8, vcc
	v_ashrrev_i32_sdwa v9, v16, sext(v3) dst_sel:DWORD dst_unused:UNUSED_PAD src0_sel:DWORD src1_sel:BYTE_1
	v_cmp_gt_u16_sdwa vcc, v16, v22 src0_sel:BYTE_0 src1_sel:DWORD
	v_cndmask_b32_e32 v9, v9, v1, vcc
	v_and_b32_sdwa v7, v2, s4 dst_sel:DWORD dst_unused:UNUSED_PAD src0_sel:WORD_1 src1_sel:DWORD
	v_lshlrev_b16_e32 v9, 8, v9
	v_or_b32_e32 v8, 0xb00, v0
	v_or_b32_sdwa v7, v7, v9 dst_sel:WORD_1 dst_unused:UNUSED_PAD src0_sel:DWORD src1_sel:DWORD
	v_and_or_b32 v7, v2, s2, v7
	v_cmp_gt_i32_e32 vcc, s38, v8
	v_cndmask_b32_e32 v2, v2, v7, vcc
	v_ashrrev_i32_sdwa v7, v18, sext(v3) dst_sel:DWORD dst_unused:UNUSED_PAD src0_sel:DWORD src1_sel:BYTE_1
	v_cmp_gt_u16_sdwa vcc, v18, v22 src0_sel:BYTE_0 src1_sel:DWORD
	v_cndmask_b32_e32 v7, v7, v1, vcc
	v_or_b32_e32 v8, 0xc00, v0
	v_perm_b32 v7, v7, 0, s5
	v_cmp_gt_i32_e32 vcc, s38, v8
	v_cndmask_b32_e32 v7, 0, v7, vcc
	v_ashrrev_i32_sdwa v8, v19, sext(v3) dst_sel:DWORD dst_unused:UNUSED_PAD src0_sel:DWORD src1_sel:BYTE_1
	v_cmp_gt_u16_sdwa vcc, v19, v22 src0_sel:BYTE_0 src1_sel:DWORD
	v_cndmask_b32_e32 v8, v8, v1, vcc
	v_lshlrev_b16_e32 v8, 8, v8
	v_or_b32_sdwa v8, v7, v8 dst_sel:DWORD dst_unused:UNUSED_PAD src0_sel:BYTE_0 src1_sel:DWORD
	v_and_b32_e32 v8, 0xffff, v8
	v_or_b32_e32 v9, 0xd00, v0
	v_and_or_b32 v8, v7, s6, v8
	v_cmp_gt_i32_e32 vcc, s38, v9
	v_cndmask_b32_e32 v7, v7, v8, vcc
	v_ashrrev_i32_sdwa v9, v20, sext(v3) dst_sel:DWORD dst_unused:UNUSED_PAD src0_sel:DWORD src1_sel:BYTE_1
	v_cmp_gt_u16_sdwa vcc, v20, v22 src0_sel:BYTE_0 src1_sel:DWORD
	v_or_b32_e32 v8, 0xe00, v0
	v_cndmask_b32_e32 v9, v9, v1, vcc
	v_perm_b32 v9, v7, v9, s7
	v_cmp_gt_i32_e32 vcc, s38, v8
	v_cndmask_b32_e32 v7, v7, v9, vcc
	v_cmp_gt_u16_sdwa vcc, v21, v22 src0_sel:BYTE_0 src1_sel:DWORD
	v_ashrrev_i32_sdwa v3, v21, sext(v3) dst_sel:DWORD dst_unused:UNUSED_PAD src0_sel:DWORD src1_sel:BYTE_1
	v_and_b32_sdwa v8, v7, s4 dst_sel:DWORD dst_unused:UNUSED_PAD src0_sel:WORD_1 src1_sel:DWORD
	v_cndmask_b32_sdwa v1, v3, v1, vcc dst_sel:BYTE_1 dst_unused:UNUSED_PAD src0_sel:DWORD src1_sel:DWORD
	v_or_b32_e32 v9, 0xf00, v0
	v_or_b32_sdwa v1, v8, v1 dst_sel:WORD_1 dst_unused:UNUSED_PAD src0_sel:DWORD src1_sel:DWORD
	v_and_or_b32 v1, v7, s2, v1
	v_cmp_gt_i32_e32 vcc, s38, v9
	v_cndmask_b32_e32 v1, v7, v1, vcc
	s_and_saveexec_b64 s[2:3], s[0:1]
	s_cbranch_execnz .LBB144_53
; %bb.36:
	s_or_b64 exec, exec, s[2:3]
	v_cmp_gt_i32_e32 vcc, s38, v0
	s_and_saveexec_b64 s[0:1], vcc
	s_cbranch_execnz .LBB144_54
.LBB144_37:
	s_or_b64 exec, exec, s[0:1]
	v_cmp_gt_i32_e32 vcc, s38, v0
	s_and_saveexec_b64 s[0:1], vcc
	s_cbranch_execnz .LBB144_55
.LBB144_38:
	s_or_b64 exec, exec, s[0:1]
	v_cmp_gt_i32_e32 vcc, s38, v0
	s_and_saveexec_b64 s[0:1], vcc
	s_cbranch_execnz .LBB144_56
.LBB144_39:
	s_or_b64 exec, exec, s[0:1]
	v_cmp_gt_i32_e32 vcc, s38, v0
	s_and_saveexec_b64 s[0:1], vcc
	s_cbranch_execnz .LBB144_57
.LBB144_40:
	s_or_b64 exec, exec, s[0:1]
	v_cmp_gt_i32_e32 vcc, s38, v0
	s_and_saveexec_b64 s[0:1], vcc
	s_cbranch_execnz .LBB144_58
.LBB144_41:
	s_or_b64 exec, exec, s[0:1]
	v_cmp_gt_i32_e32 vcc, s38, v0
	s_and_saveexec_b64 s[0:1], vcc
	s_cbranch_execnz .LBB144_59
.LBB144_42:
	s_or_b64 exec, exec, s[0:1]
	v_cmp_gt_i32_e32 vcc, s38, v0
	s_and_saveexec_b64 s[0:1], vcc
	s_cbranch_execnz .LBB144_60
.LBB144_43:
	s_or_b64 exec, exec, s[0:1]
	v_cmp_gt_i32_e32 vcc, s38, v0
	s_and_saveexec_b64 s[0:1], vcc
	s_cbranch_execnz .LBB144_61
.LBB144_44:
	s_or_b64 exec, exec, s[0:1]
	v_cmp_gt_i32_e32 vcc, s38, v0
	s_and_saveexec_b64 s[0:1], vcc
	s_cbranch_execnz .LBB144_62
.LBB144_45:
	s_or_b64 exec, exec, s[0:1]
	v_cmp_gt_i32_e32 vcc, s38, v0
	s_and_saveexec_b64 s[0:1], vcc
	s_cbranch_execnz .LBB144_63
.LBB144_46:
	s_or_b64 exec, exec, s[0:1]
	v_cmp_gt_i32_e32 vcc, s38, v0
	s_and_saveexec_b64 s[0:1], vcc
	s_cbranch_execnz .LBB144_64
.LBB144_47:
	s_or_b64 exec, exec, s[0:1]
	v_cmp_gt_i32_e32 vcc, s38, v0
	s_and_saveexec_b64 s[0:1], vcc
	s_cbranch_execnz .LBB144_65
.LBB144_48:
	s_or_b64 exec, exec, s[0:1]
	v_cmp_gt_i32_e32 vcc, s38, v0
	s_and_saveexec_b64 s[0:1], vcc
	s_cbranch_execnz .LBB144_66
.LBB144_49:
	s_or_b64 exec, exec, s[0:1]
	v_cmp_gt_i32_e32 vcc, s38, v0
	s_and_saveexec_b64 s[0:1], vcc
	s_cbranch_execnz .LBB144_67
.LBB144_50:
	s_or_b64 exec, exec, s[0:1]
	v_cmp_gt_i32_e32 vcc, s38, v0
	s_and_saveexec_b64 s[0:1], vcc
	s_cbranch_execz .LBB144_52
.LBB144_51:
	v_lshrrev_b32_e32 v1, 24, v1
	v_add_u32_e32 v0, s33, v0
	global_store_byte v0, v1, s[16:17]
.LBB144_52:
	s_endpgm
.LBB144_53:
	v_mov_b32_e32 v0, v4
	global_store_byte v5, v12, s[16:17]
	s_or_b64 exec, exec, s[2:3]
	v_cmp_gt_i32_e32 vcc, s38, v0
	s_and_saveexec_b64 s[0:1], vcc
	s_cbranch_execz .LBB144_37
.LBB144_54:
	v_lshrrev_b32_e32 v3, 8, v12
	v_add_u32_e32 v4, s33, v0
	v_add_u32_e32 v0, 0x100, v0
	global_store_byte v4, v3, s[16:17]
	s_or_b64 exec, exec, s[0:1]
	v_cmp_gt_i32_e32 vcc, s38, v0
	s_and_saveexec_b64 s[0:1], vcc
	s_cbranch_execz .LBB144_38
.LBB144_55:
	v_add_u32_e32 v3, s33, v0
	v_add_u32_e32 v0, 0x100, v0
	global_store_byte_d16_hi v3, v12, s[16:17]
	s_or_b64 exec, exec, s[0:1]
	v_cmp_gt_i32_e32 vcc, s38, v0
	s_and_saveexec_b64 s[0:1], vcc
	s_cbranch_execz .LBB144_39
.LBB144_56:
	v_lshrrev_b32_e32 v3, 24, v12
	v_add_u32_e32 v4, s33, v0
	v_add_u32_e32 v0, 0x100, v0
	global_store_byte v4, v3, s[16:17]
	s_or_b64 exec, exec, s[0:1]
	v_cmp_gt_i32_e32 vcc, s38, v0
	s_and_saveexec_b64 s[0:1], vcc
	s_cbranch_execz .LBB144_40
.LBB144_57:
	v_add_u32_e32 v3, s33, v0
	v_add_u32_e32 v0, 0x100, v0
	global_store_byte v3, v6, s[16:17]
	s_or_b64 exec, exec, s[0:1]
	v_cmp_gt_i32_e32 vcc, s38, v0
	s_and_saveexec_b64 s[0:1], vcc
	s_cbranch_execz .LBB144_41
.LBB144_58:
	v_lshrrev_b32_e32 v3, 8, v6
	v_add_u32_e32 v4, s33, v0
	v_add_u32_e32 v0, 0x100, v0
	global_store_byte v4, v3, s[16:17]
	s_or_b64 exec, exec, s[0:1]
	v_cmp_gt_i32_e32 vcc, s38, v0
	s_and_saveexec_b64 s[0:1], vcc
	s_cbranch_execz .LBB144_42
.LBB144_59:
	v_add_u32_e32 v3, s33, v0
	v_add_u32_e32 v0, 0x100, v0
	global_store_byte_d16_hi v3, v6, s[16:17]
	s_or_b64 exec, exec, s[0:1]
	v_cmp_gt_i32_e32 vcc, s38, v0
	s_and_saveexec_b64 s[0:1], vcc
	s_cbranch_execz .LBB144_43
.LBB144_60:
	v_lshrrev_b32_e32 v3, 24, v6
	v_add_u32_e32 v4, s33, v0
	v_add_u32_e32 v0, 0x100, v0
	global_store_byte v4, v3, s[16:17]
	s_or_b64 exec, exec, s[0:1]
	v_cmp_gt_i32_e32 vcc, s38, v0
	s_and_saveexec_b64 s[0:1], vcc
	s_cbranch_execz .LBB144_44
.LBB144_61:
	v_add_u32_e32 v3, s33, v0
	v_add_u32_e32 v0, 0x100, v0
	global_store_byte v3, v2, s[16:17]
	s_or_b64 exec, exec, s[0:1]
	v_cmp_gt_i32_e32 vcc, s38, v0
	s_and_saveexec_b64 s[0:1], vcc
	s_cbranch_execz .LBB144_45
.LBB144_62:
	v_lshrrev_b32_e32 v3, 8, v2
	v_add_u32_e32 v4, s33, v0
	v_add_u32_e32 v0, 0x100, v0
	global_store_byte v4, v3, s[16:17]
	s_or_b64 exec, exec, s[0:1]
	v_cmp_gt_i32_e32 vcc, s38, v0
	s_and_saveexec_b64 s[0:1], vcc
	s_cbranch_execz .LBB144_46
.LBB144_63:
	v_add_u32_e32 v3, s33, v0
	v_add_u32_e32 v0, 0x100, v0
	global_store_byte_d16_hi v3, v2, s[16:17]
	s_or_b64 exec, exec, s[0:1]
	v_cmp_gt_i32_e32 vcc, s38, v0
	s_and_saveexec_b64 s[0:1], vcc
	s_cbranch_execz .LBB144_47
.LBB144_64:
	v_lshrrev_b32_e32 v2, 24, v2
	v_add_u32_e32 v3, s33, v0
	v_add_u32_e32 v0, 0x100, v0
	global_store_byte v3, v2, s[16:17]
	s_or_b64 exec, exec, s[0:1]
	v_cmp_gt_i32_e32 vcc, s38, v0
	s_and_saveexec_b64 s[0:1], vcc
	s_cbranch_execz .LBB144_48
.LBB144_65:
	v_add_u32_e32 v2, s33, v0
	v_add_u32_e32 v0, 0x100, v0
	global_store_byte v2, v1, s[16:17]
	s_or_b64 exec, exec, s[0:1]
	v_cmp_gt_i32_e32 vcc, s38, v0
	s_and_saveexec_b64 s[0:1], vcc
	s_cbranch_execz .LBB144_49
.LBB144_66:
	v_lshrrev_b32_e32 v2, 8, v1
	v_add_u32_e32 v3, s33, v0
	v_add_u32_e32 v0, 0x100, v0
	global_store_byte v3, v2, s[16:17]
	s_or_b64 exec, exec, s[0:1]
	v_cmp_gt_i32_e32 vcc, s38, v0
	s_and_saveexec_b64 s[0:1], vcc
	s_cbranch_execz .LBB144_50
.LBB144_67:
	v_add_u32_e32 v2, s33, v0
	v_add_u32_e32 v0, 0x100, v0
	global_store_byte_d16_hi v2, v1, s[16:17]
	s_or_b64 exec, exec, s[0:1]
	v_cmp_gt_i32_e32 vcc, s38, v0
	s_and_saveexec_b64 s[0:1], vcc
	s_cbranch_execnz .LBB144_51
	s_branch .LBB144_52
	.section	.rodata,"a",@progbits
	.p2align	6, 0x0
	.amdhsa_kernel _ZN2at6native29vectorized_elementwise_kernelILi16ENS0_13AUnaryFunctorIaaaZZZNS0_18rshift_kernel_cudaERNS_18TensorIteratorBaseEENKUlvE_clEvENKUlvE0_clEvEUlaaE_EESt5arrayIPcLm2EEEEviT0_T1_
		.amdhsa_group_segment_fixed_size 0
		.amdhsa_private_segment_fixed_size 0
		.amdhsa_kernarg_size 24
		.amdhsa_user_sgpr_count 6
		.amdhsa_user_sgpr_private_segment_buffer 1
		.amdhsa_user_sgpr_dispatch_ptr 0
		.amdhsa_user_sgpr_queue_ptr 0
		.amdhsa_user_sgpr_kernarg_segment_ptr 1
		.amdhsa_user_sgpr_dispatch_id 0
		.amdhsa_user_sgpr_flat_scratch_init 0
		.amdhsa_user_sgpr_private_segment_size 0
		.amdhsa_uses_dynamic_stack 0
		.amdhsa_system_sgpr_private_segment_wavefront_offset 0
		.amdhsa_system_sgpr_workgroup_id_x 1
		.amdhsa_system_sgpr_workgroup_id_y 0
		.amdhsa_system_sgpr_workgroup_id_z 0
		.amdhsa_system_sgpr_workgroup_info 0
		.amdhsa_system_vgpr_workitem_id 0
		.amdhsa_next_free_vgpr 23
		.amdhsa_next_free_sgpr 39
		.amdhsa_reserve_vcc 1
		.amdhsa_reserve_flat_scratch 0
		.amdhsa_float_round_mode_32 0
		.amdhsa_float_round_mode_16_64 0
		.amdhsa_float_denorm_mode_32 3
		.amdhsa_float_denorm_mode_16_64 3
		.amdhsa_dx10_clamp 1
		.amdhsa_ieee_mode 1
		.amdhsa_fp16_overflow 0
		.amdhsa_exception_fp_ieee_invalid_op 0
		.amdhsa_exception_fp_denorm_src 0
		.amdhsa_exception_fp_ieee_div_zero 0
		.amdhsa_exception_fp_ieee_overflow 0
		.amdhsa_exception_fp_ieee_underflow 0
		.amdhsa_exception_fp_ieee_inexact 0
		.amdhsa_exception_int_div_zero 0
	.end_amdhsa_kernel
	.section	.text._ZN2at6native29vectorized_elementwise_kernelILi16ENS0_13AUnaryFunctorIaaaZZZNS0_18rshift_kernel_cudaERNS_18TensorIteratorBaseEENKUlvE_clEvENKUlvE0_clEvEUlaaE_EESt5arrayIPcLm2EEEEviT0_T1_,"axG",@progbits,_ZN2at6native29vectorized_elementwise_kernelILi16ENS0_13AUnaryFunctorIaaaZZZNS0_18rshift_kernel_cudaERNS_18TensorIteratorBaseEENKUlvE_clEvENKUlvE0_clEvEUlaaE_EESt5arrayIPcLm2EEEEviT0_T1_,comdat
.Lfunc_end144:
	.size	_ZN2at6native29vectorized_elementwise_kernelILi16ENS0_13AUnaryFunctorIaaaZZZNS0_18rshift_kernel_cudaERNS_18TensorIteratorBaseEENKUlvE_clEvENKUlvE0_clEvEUlaaE_EESt5arrayIPcLm2EEEEviT0_T1_, .Lfunc_end144-_ZN2at6native29vectorized_elementwise_kernelILi16ENS0_13AUnaryFunctorIaaaZZZNS0_18rshift_kernel_cudaERNS_18TensorIteratorBaseEENKUlvE_clEvENKUlvE0_clEvEUlaaE_EESt5arrayIPcLm2EEEEviT0_T1_
                                        ; -- End function
	.set _ZN2at6native29vectorized_elementwise_kernelILi16ENS0_13AUnaryFunctorIaaaZZZNS0_18rshift_kernel_cudaERNS_18TensorIteratorBaseEENKUlvE_clEvENKUlvE0_clEvEUlaaE_EESt5arrayIPcLm2EEEEviT0_T1_.num_vgpr, 23
	.set _ZN2at6native29vectorized_elementwise_kernelILi16ENS0_13AUnaryFunctorIaaaZZZNS0_18rshift_kernel_cudaERNS_18TensorIteratorBaseEENKUlvE_clEvENKUlvE0_clEvEUlaaE_EESt5arrayIPcLm2EEEEviT0_T1_.num_agpr, 0
	.set _ZN2at6native29vectorized_elementwise_kernelILi16ENS0_13AUnaryFunctorIaaaZZZNS0_18rshift_kernel_cudaERNS_18TensorIteratorBaseEENKUlvE_clEvENKUlvE0_clEvEUlaaE_EESt5arrayIPcLm2EEEEviT0_T1_.numbered_sgpr, 39
	.set _ZN2at6native29vectorized_elementwise_kernelILi16ENS0_13AUnaryFunctorIaaaZZZNS0_18rshift_kernel_cudaERNS_18TensorIteratorBaseEENKUlvE_clEvENKUlvE0_clEvEUlaaE_EESt5arrayIPcLm2EEEEviT0_T1_.num_named_barrier, 0
	.set _ZN2at6native29vectorized_elementwise_kernelILi16ENS0_13AUnaryFunctorIaaaZZZNS0_18rshift_kernel_cudaERNS_18TensorIteratorBaseEENKUlvE_clEvENKUlvE0_clEvEUlaaE_EESt5arrayIPcLm2EEEEviT0_T1_.private_seg_size, 0
	.set _ZN2at6native29vectorized_elementwise_kernelILi16ENS0_13AUnaryFunctorIaaaZZZNS0_18rshift_kernel_cudaERNS_18TensorIteratorBaseEENKUlvE_clEvENKUlvE0_clEvEUlaaE_EESt5arrayIPcLm2EEEEviT0_T1_.uses_vcc, 1
	.set _ZN2at6native29vectorized_elementwise_kernelILi16ENS0_13AUnaryFunctorIaaaZZZNS0_18rshift_kernel_cudaERNS_18TensorIteratorBaseEENKUlvE_clEvENKUlvE0_clEvEUlaaE_EESt5arrayIPcLm2EEEEviT0_T1_.uses_flat_scratch, 0
	.set _ZN2at6native29vectorized_elementwise_kernelILi16ENS0_13AUnaryFunctorIaaaZZZNS0_18rshift_kernel_cudaERNS_18TensorIteratorBaseEENKUlvE_clEvENKUlvE0_clEvEUlaaE_EESt5arrayIPcLm2EEEEviT0_T1_.has_dyn_sized_stack, 0
	.set _ZN2at6native29vectorized_elementwise_kernelILi16ENS0_13AUnaryFunctorIaaaZZZNS0_18rshift_kernel_cudaERNS_18TensorIteratorBaseEENKUlvE_clEvENKUlvE0_clEvEUlaaE_EESt5arrayIPcLm2EEEEviT0_T1_.has_recursion, 0
	.set _ZN2at6native29vectorized_elementwise_kernelILi16ENS0_13AUnaryFunctorIaaaZZZNS0_18rshift_kernel_cudaERNS_18TensorIteratorBaseEENKUlvE_clEvENKUlvE0_clEvEUlaaE_EESt5arrayIPcLm2EEEEviT0_T1_.has_indirect_call, 0
	.section	.AMDGPU.csdata,"",@progbits
; Kernel info:
; codeLenInByte = 3476
; TotalNumSgprs: 43
; NumVgprs: 23
; ScratchSize: 0
; MemoryBound: 0
; FloatMode: 240
; IeeeMode: 1
; LDSByteSize: 0 bytes/workgroup (compile time only)
; SGPRBlocks: 5
; VGPRBlocks: 5
; NumSGPRsForWavesPerEU: 43
; NumVGPRsForWavesPerEU: 23
; Occupancy: 10
; WaveLimiterHint : 0
; COMPUTE_PGM_RSRC2:SCRATCH_EN: 0
; COMPUTE_PGM_RSRC2:USER_SGPR: 6
; COMPUTE_PGM_RSRC2:TRAP_HANDLER: 0
; COMPUTE_PGM_RSRC2:TGID_X_EN: 1
; COMPUTE_PGM_RSRC2:TGID_Y_EN: 0
; COMPUTE_PGM_RSRC2:TGID_Z_EN: 0
; COMPUTE_PGM_RSRC2:TIDIG_COMP_CNT: 0
	.section	.text._ZN2at6native29vectorized_elementwise_kernelILi8ENS0_13AUnaryFunctorIaaaZZZNS0_18rshift_kernel_cudaERNS_18TensorIteratorBaseEENKUlvE_clEvENKUlvE0_clEvEUlaaE_EESt5arrayIPcLm2EEEEviT0_T1_,"axG",@progbits,_ZN2at6native29vectorized_elementwise_kernelILi8ENS0_13AUnaryFunctorIaaaZZZNS0_18rshift_kernel_cudaERNS_18TensorIteratorBaseEENKUlvE_clEvENKUlvE0_clEvEUlaaE_EESt5arrayIPcLm2EEEEviT0_T1_,comdat
	.globl	_ZN2at6native29vectorized_elementwise_kernelILi8ENS0_13AUnaryFunctorIaaaZZZNS0_18rshift_kernel_cudaERNS_18TensorIteratorBaseEENKUlvE_clEvENKUlvE0_clEvEUlaaE_EESt5arrayIPcLm2EEEEviT0_T1_ ; -- Begin function _ZN2at6native29vectorized_elementwise_kernelILi8ENS0_13AUnaryFunctorIaaaZZZNS0_18rshift_kernel_cudaERNS_18TensorIteratorBaseEENKUlvE_clEvENKUlvE0_clEvEUlaaE_EESt5arrayIPcLm2EEEEviT0_T1_
	.p2align	8
	.type	_ZN2at6native29vectorized_elementwise_kernelILi8ENS0_13AUnaryFunctorIaaaZZZNS0_18rshift_kernel_cudaERNS_18TensorIteratorBaseEENKUlvE_clEvENKUlvE0_clEvEUlaaE_EESt5arrayIPcLm2EEEEviT0_T1_,@function
_ZN2at6native29vectorized_elementwise_kernelILi8ENS0_13AUnaryFunctorIaaaZZZNS0_18rshift_kernel_cudaERNS_18TensorIteratorBaseEENKUlvE_clEvENKUlvE0_clEvEUlaaE_EESt5arrayIPcLm2EEEEviT0_T1_: ; @_ZN2at6native29vectorized_elementwise_kernelILi8ENS0_13AUnaryFunctorIaaaZZZNS0_18rshift_kernel_cudaERNS_18TensorIteratorBaseEENKUlvE_clEvENKUlvE0_clEvEUlaaE_EESt5arrayIPcLm2EEEEviT0_T1_
; %bb.0:
	v_mov_b32_e32 v1, 0
	global_load_ushort v3, v1, s[4:5] offset:4
	s_load_dword s0, s[4:5], 0x0
	s_load_dwordx4 s[24:27], s[4:5], 0x8
	s_lshl_b32 s33, s6, 12
	s_waitcnt lgkmcnt(0)
	s_sub_i32 s38, s0, s33
	s_cmpk_gt_i32 s38, 0xfff
	s_mov_b64 s[0:1], -1
	s_cbranch_scc0 .LBB145_2
; %bb.1:
	s_ashr_i32 s18, s33, 31
	s_add_u32 s0, s26, s33
	s_addc_u32 s1, s27, s18
	v_lshlrev_b32_e32 v6, 3, v0
	global_load_dwordx2 v[1:2], v6, s[0:1]
	global_load_dwordx2 v[4:5], v6, s[0:1] offset:2048
	v_mov_b32_e32 v7, 15
	v_mov_b32_e32 v8, 6
	s_movk_i32 s14, 0xff
	s_mov_b32 s12, 0x6ffffff
	s_waitcnt vmcnt(2)
	v_lshrrev_b32_sdwa v7, v7, sext(v3) dst_sel:DWORD dst_unused:UNUSED_PAD src0_sel:DWORD src1_sel:WORD_0
	s_add_u32 s28, s24, s33
	s_addc_u32 s29, s25, s18
	s_waitcnt vmcnt(1)
	v_ashrrev_i32_sdwa v9, v1, sext(v3) dst_sel:DWORD dst_unused:UNUSED_PAD src0_sel:DWORD src1_sel:BYTE_1
	v_cmp_gt_u16_sdwa vcc, v1, v8 src0_sel:BYTE_0 src1_sel:DWORD
	v_lshrrev_b32_e32 v10, 8, v1
	v_lshrrev_b32_e32 v14, 8, v2
	v_and_b32_sdwa v11, v1, s14 dst_sel:DWORD dst_unused:UNUSED_PAD src0_sel:WORD_1 src1_sel:DWORD
	v_ashrrev_i32_sdwa v12, v1, sext(v3) dst_sel:DWORD dst_unused:UNUSED_PAD src0_sel:WORD_1 src1_sel:BYTE_1
	v_ashrrev_i32_sdwa v13, v1, sext(v3) dst_sel:DWORD dst_unused:UNUSED_PAD src0_sel:BYTE_3 src1_sel:BYTE_1
	v_cmp_lt_u32_e64 s[0:1], s12, v1
	v_ashrrev_i32_sdwa v1, v2, sext(v3) dst_sel:DWORD dst_unused:UNUSED_PAD src0_sel:DWORD src1_sel:BYTE_1
	v_cmp_gt_u16_sdwa s[2:3], v2, v8 src0_sel:BYTE_0 src1_sel:DWORD
	v_and_b32_sdwa v15, v2, s14 dst_sel:DWORD dst_unused:UNUSED_PAD src0_sel:WORD_1 src1_sel:DWORD
	v_ashrrev_i32_sdwa v16, v2, sext(v3) dst_sel:DWORD dst_unused:UNUSED_PAD src0_sel:WORD_1 src1_sel:BYTE_1
	v_ashrrev_i32_sdwa v17, v2, sext(v3) dst_sel:DWORD dst_unused:UNUSED_PAD src0_sel:BYTE_3 src1_sel:BYTE_1
	v_cmp_lt_u32_e64 s[4:5], s12, v2
	s_waitcnt vmcnt(0)
	v_lshrrev_b32_e32 v2, 8, v4
	v_and_b32_sdwa v23, v4, s14 dst_sel:DWORD dst_unused:UNUSED_PAD src0_sel:WORD_1 src1_sel:DWORD
	v_and_b32_sdwa v24, v5, s14 dst_sel:DWORD dst_unused:UNUSED_PAD src0_sel:WORD_1 src1_sel:DWORD
	v_ashrrev_i32_sdwa v25, v10, sext(v3) dst_sel:DWORD dst_unused:UNUSED_PAD src0_sel:DWORD src1_sel:BYTE_1
	v_cmp_gt_u16_sdwa s[14:15], v10, v8 src0_sel:BYTE_0 src1_sel:DWORD
	v_ashrrev_i32_sdwa v10, v14, sext(v3) dst_sel:DWORD dst_unused:UNUSED_PAD src0_sel:DWORD src1_sel:BYTE_1
	v_cndmask_b32_e32 v9, v9, v7, vcc
	v_cmp_gt_u16_sdwa vcc, v14, v8 src0_sel:BYTE_0 src1_sel:DWORD
	v_lshrrev_b32_e32 v18, 8, v5
	v_ashrrev_i32_sdwa v21, v4, sext(v3) dst_sel:DWORD dst_unused:UNUSED_PAD src0_sel:BYTE_3 src1_sel:BYTE_1
	v_cmp_lt_u32_e64 s[10:11], s12, v4
	v_ashrrev_i32_sdwa v22, v5, sext(v3) dst_sel:DWORD dst_unused:UNUSED_PAD src0_sel:BYTE_3 src1_sel:BYTE_1
	v_cmp_lt_u32_e64 s[12:13], s12, v5
	v_cmp_lt_u16_e64 s[16:17], 6, v11
	v_ashrrev_i32_sdwa v11, v2, sext(v3) dst_sel:DWORD dst_unused:UNUSED_PAD src0_sel:DWORD src1_sel:BYTE_1
	v_cndmask_b32_e32 v10, v10, v7, vcc
	v_cmp_gt_u16_sdwa vcc, v2, v8 src0_sel:BYTE_0 src1_sel:DWORD
	v_ashrrev_i32_sdwa v19, v4, sext(v3) dst_sel:DWORD dst_unused:UNUSED_PAD src0_sel:DWORD src1_sel:BYTE_1
	v_cmp_gt_u16_sdwa s[6:7], v4, v8 src0_sel:BYTE_0 src1_sel:DWORD
	v_ashrrev_i32_sdwa v20, v5, sext(v3) dst_sel:DWORD dst_unused:UNUSED_PAD src0_sel:DWORD src1_sel:BYTE_1
	v_cmp_gt_u16_sdwa s[8:9], v5, v8 src0_sel:BYTE_0 src1_sel:DWORD
	v_ashrrev_i32_sdwa v4, v4, sext(v3) dst_sel:DWORD dst_unused:UNUSED_PAD src0_sel:WORD_1 src1_sel:BYTE_1
	v_ashrrev_i32_sdwa v5, v5, sext(v3) dst_sel:DWORD dst_unused:UNUSED_PAD src0_sel:WORD_1 src1_sel:BYTE_1
	v_cmp_lt_u16_e64 s[18:19], 6, v15
	v_cmp_lt_u16_e64 s[20:21], 6, v23
	;; [unrolled: 1-line block ×3, first 2 shown]
	v_ashrrev_i32_sdwa v15, v18, sext(v3) dst_sel:DWORD dst_unused:UNUSED_PAD src0_sel:DWORD src1_sel:BYTE_1
	v_cndmask_b32_e64 v21, v21, v7, s[10:11]
	v_cndmask_b32_e64 v22, v22, v7, s[12:13]
	v_cndmask_b32_e32 v2, v11, v7, vcc
	v_cmp_gt_u16_sdwa vcc, v18, v8 src0_sel:BYTE_0 src1_sel:DWORD
	v_cndmask_b32_e64 v12, v12, v7, s[16:17]
	v_cndmask_b32_e64 v13, v13, v7, s[0:1]
	;; [unrolled: 1-line block ×10, first 2 shown]
	v_cndmask_b32_e32 v7, v15, v7, vcc
	v_lshlrev_b16_e32 v8, 8, v22
	v_lshlrev_b16_e32 v11, 8, v21
	;; [unrolled: 1-line block ×5, first 2 shown]
	v_or_b32_sdwa v5, v5, v8 dst_sel:WORD_1 dst_unused:UNUSED_PAD src0_sel:BYTE_0 src1_sel:DWORD
	v_lshlrev_b16_e32 v2, 8, v2
	v_or_b32_sdwa v4, v4, v11 dst_sel:WORD_1 dst_unused:UNUSED_PAD src0_sel:BYTE_0 src1_sel:DWORD
	v_lshlrev_b16_e32 v8, 8, v10
	v_lshlrev_b16_e32 v11, 8, v23
	v_or_b32_sdwa v10, v16, v14 dst_sel:WORD_1 dst_unused:UNUSED_PAD src0_sel:BYTE_0 src1_sel:DWORD
	v_or_b32_sdwa v12, v12, v13 dst_sel:WORD_1 dst_unused:UNUSED_PAD src0_sel:BYTE_0 src1_sel:DWORD
	v_or_b32_sdwa v7, v20, v7 dst_sel:DWORD dst_unused:UNUSED_PAD src0_sel:BYTE_0 src1_sel:DWORD
	v_or_b32_sdwa v13, v19, v2 dst_sel:DWORD dst_unused:UNUSED_PAD src0_sel:BYTE_0 src1_sel:DWORD
	;; [unrolled: 1-line block ×4, first 2 shown]
	v_or_b32_sdwa v2, v7, v5 dst_sel:DWORD dst_unused:UNUSED_PAD src0_sel:WORD_0 src1_sel:DWORD
	v_or_b32_sdwa v1, v13, v4 dst_sel:DWORD dst_unused:UNUSED_PAD src0_sel:WORD_0 src1_sel:DWORD
	v_or_b32_sdwa v5, v8, v10 dst_sel:DWORD dst_unused:UNUSED_PAD src0_sel:WORD_0 src1_sel:DWORD
	v_or_b32_sdwa v4, v9, v12 dst_sel:DWORD dst_unused:UNUSED_PAD src0_sel:WORD_0 src1_sel:DWORD
	global_store_dwordx2 v6, v[4:5], s[28:29]
	global_store_dwordx2 v6, v[1:2], s[28:29] offset:2048
	s_mov_b64 s[0:1], 0
.LBB145_2:
	s_andn2_b64 vcc, exec, s[0:1]
	s_cbranch_vccnz .LBB145_52
; %bb.3:
	v_cmp_gt_i32_e64 s[0:1], s38, v0
	v_or_b32_e32 v4, 0x100, v0
	v_mov_b32_e32 v21, 0
	v_or_b32_e32 v5, s33, v0
	v_mov_b32_e32 v20, 0
	v_mov_b32_e32 v19, 0
	v_mov_b32_e32 v18, 0
	v_mov_b32_e32 v14, 0
	v_mov_b32_e32 v13, 0
	v_mov_b32_e32 v11, 0
	v_mov_b32_e32 v8, 0
	v_mov_b32_e32 v7, 0
	v_mov_b32_e32 v6, 0
	v_mov_b32_e32 v10, 0
	v_mov_b32_e32 v9, 0
	v_mov_b32_e32 v12, 0
	v_mov_b32_e32 v17, 0
	v_mov_b32_e32 v16, 0
	v_mov_b32_e32 v15, 0
	s_and_saveexec_b64 s[2:3], s[0:1]
	s_cbranch_execz .LBB145_35
; %bb.4:
	global_load_ubyte v15, v5, s[26:27]
	v_cmp_gt_u32_e32 vcc, s38, v4
	v_mov_b32_e32 v16, 0
	v_mov_b32_e32 v17, 0
	;; [unrolled: 1-line block ×15, first 2 shown]
	s_and_saveexec_b64 s[4:5], vcc
	s_cbranch_execz .LBB145_34
; %bb.5:
	v_add_u32_e32 v1, s33, v0
	global_load_ubyte v16, v1, s[26:27] offset:256
	v_or_b32_e32 v2, 0x200, v0
	v_mov_b32_e32 v17, 0
	v_cmp_gt_u32_e32 vcc, s38, v2
	v_mov_b32_e32 v12, 0
	v_mov_b32_e32 v9, 0
	;; [unrolled: 1-line block ×13, first 2 shown]
	s_and_saveexec_b64 s[6:7], vcc
	s_cbranch_execz .LBB145_33
; %bb.6:
	v_mov_b32_e32 v2, s27
	v_add_co_u32_e32 v1, vcc, s26, v1
	v_addc_co_u32_e32 v2, vcc, 0, v2, vcc
	global_load_ubyte v17, v[1:2], off offset:512
	v_or_b32_e32 v6, 0x300, v0
	v_cmp_gt_u32_e32 vcc, s38, v6
	v_mov_b32_e32 v12, 0
	v_mov_b32_e32 v9, 0
	;; [unrolled: 1-line block ×13, first 2 shown]
	s_and_saveexec_b64 s[8:9], vcc
	s_cbranch_execz .LBB145_32
; %bb.7:
	global_load_ubyte v12, v[1:2], off offset:768
	v_or_b32_e32 v6, 0x400, v0
	v_cmp_gt_u32_e32 vcc, s38, v6
	v_mov_b32_e32 v9, 0
	v_mov_b32_e32 v10, 0
	v_mov_b32_e32 v6, 0
	v_mov_b32_e32 v7, 0
	v_mov_b32_e32 v8, 0
	v_mov_b32_e32 v11, 0
	v_mov_b32_e32 v13, 0
	v_mov_b32_e32 v14, 0
	v_mov_b32_e32 v18, 0
	v_mov_b32_e32 v19, 0
	v_mov_b32_e32 v20, 0
	v_mov_b32_e32 v21, 0
	s_and_saveexec_b64 s[10:11], vcc
	s_cbranch_execz .LBB145_31
; %bb.8:
	global_load_ubyte v9, v[1:2], off offset:1024
	v_or_b32_e32 v6, 0x500, v0
	v_cmp_gt_u32_e32 vcc, s38, v6
	v_mov_b32_e32 v10, 0
	v_mov_b32_e32 v6, 0
	;; [unrolled: 1-line block ×11, first 2 shown]
	s_and_saveexec_b64 s[12:13], vcc
	s_cbranch_execz .LBB145_30
; %bb.9:
	global_load_ubyte v10, v[1:2], off offset:1280
	v_or_b32_e32 v6, 0x600, v0
	v_cmp_gt_u32_e32 vcc, s38, v6
	v_mov_b32_e32 v6, 0
	v_mov_b32_e32 v7, 0
	;; [unrolled: 1-line block ×10, first 2 shown]
	s_and_saveexec_b64 s[14:15], vcc
	s_cbranch_execz .LBB145_29
; %bb.10:
	global_load_ubyte v6, v[1:2], off offset:1536
	v_or_b32_e32 v7, 0x700, v0
	v_cmp_gt_u32_e32 vcc, s38, v7
	v_mov_b32_e32 v7, 0
	v_mov_b32_e32 v8, 0
	;; [unrolled: 1-line block ×9, first 2 shown]
	s_and_saveexec_b64 s[16:17], vcc
	s_cbranch_execz .LBB145_28
; %bb.11:
	global_load_ubyte v7, v[1:2], off offset:1792
	v_or_b32_e32 v8, 0x800, v0
	v_cmp_gt_u32_e32 vcc, s38, v8
	v_mov_b32_e32 v8, 0
	v_mov_b32_e32 v11, 0
	;; [unrolled: 1-line block ×8, first 2 shown]
	s_and_saveexec_b64 s[18:19], vcc
	s_cbranch_execz .LBB145_27
; %bb.12:
	global_load_ubyte v8, v[1:2], off offset:2048
	v_or_b32_e32 v11, 0x900, v0
	v_cmp_gt_u32_e32 vcc, s38, v11
	v_mov_b32_e32 v11, 0
	v_mov_b32_e32 v13, 0
	;; [unrolled: 1-line block ×7, first 2 shown]
	s_and_saveexec_b64 s[20:21], vcc
	s_cbranch_execz .LBB145_26
; %bb.13:
	global_load_ubyte v11, v[1:2], off offset:2304
	v_or_b32_e32 v13, 0xa00, v0
	v_cmp_gt_u32_e32 vcc, s38, v13
	v_mov_b32_e32 v13, 0
	v_mov_b32_e32 v14, 0
	v_mov_b32_e32 v18, 0
	v_mov_b32_e32 v19, 0
	v_mov_b32_e32 v20, 0
	v_mov_b32_e32 v21, 0
	s_and_saveexec_b64 s[22:23], vcc
	s_cbranch_execz .LBB145_25
; %bb.14:
	global_load_ubyte v13, v[1:2], off offset:2560
	v_or_b32_e32 v14, 0xb00, v0
	v_cmp_gt_u32_e32 vcc, s38, v14
	v_mov_b32_e32 v14, 0
	v_mov_b32_e32 v18, 0
	;; [unrolled: 1-line block ×5, first 2 shown]
	s_and_saveexec_b64 s[26:27], vcc
	s_cbranch_execz .LBB145_24
; %bb.15:
	global_load_ubyte v14, v[1:2], off offset:2816
	v_or_b32_e32 v18, 0xc00, v0
	v_cmp_gt_u32_e32 vcc, s38, v18
	v_mov_b32_e32 v18, 0
	v_mov_b32_e32 v19, 0
	;; [unrolled: 1-line block ×4, first 2 shown]
	s_and_saveexec_b64 s[28:29], vcc
	s_cbranch_execz .LBB145_23
; %bb.16:
	global_load_ubyte v18, v[1:2], off offset:3072
	v_or_b32_e32 v19, 0xd00, v0
	v_cmp_gt_u32_e32 vcc, s38, v19
	v_mov_b32_e32 v19, 0
	v_mov_b32_e32 v20, 0
	;; [unrolled: 1-line block ×3, first 2 shown]
	s_and_saveexec_b64 s[30:31], vcc
	s_cbranch_execz .LBB145_22
; %bb.17:
	global_load_ubyte v19, v[1:2], off offset:3328
	v_or_b32_e32 v20, 0xe00, v0
	v_cmp_gt_u32_e32 vcc, s38, v20
	v_mov_b32_e32 v20, 0
	v_mov_b32_e32 v21, 0
	s_and_saveexec_b64 s[34:35], vcc
	s_cbranch_execz .LBB145_21
; %bb.18:
	global_load_ubyte v20, v[1:2], off offset:3584
	v_or_b32_e32 v21, 0xf00, v0
	v_cmp_gt_u32_e32 vcc, s38, v21
	v_mov_b32_e32 v21, 0
	s_and_saveexec_b64 s[36:37], vcc
	s_cbranch_execz .LBB145_20
; %bb.19:
	global_load_ubyte v21, v[1:2], off offset:3840
.LBB145_20:
	s_or_b64 exec, exec, s[36:37]
.LBB145_21:
	s_or_b64 exec, exec, s[34:35]
.LBB145_22:
	s_or_b64 exec, exec, s[30:31]
.LBB145_23:
	s_or_b64 exec, exec, s[28:29]
.LBB145_24:
	s_or_b64 exec, exec, s[26:27]
.LBB145_25:
	s_or_b64 exec, exec, s[22:23]
.LBB145_26:
	s_or_b64 exec, exec, s[20:21]
.LBB145_27:
	s_or_b64 exec, exec, s[18:19]
.LBB145_28:
	s_or_b64 exec, exec, s[16:17]
.LBB145_29:
	s_or_b64 exec, exec, s[14:15]
.LBB145_30:
	s_or_b64 exec, exec, s[12:13]
.LBB145_31:
	s_or_b64 exec, exec, s[10:11]
.LBB145_32:
	s_or_b64 exec, exec, s[8:9]
.LBB145_33:
	s_or_b64 exec, exec, s[6:7]
.LBB145_34:
	s_or_b64 exec, exec, s[4:5]
.LBB145_35:
	s_or_b64 exec, exec, s[2:3]
	v_mov_b32_e32 v1, 15
	v_mov_b32_e32 v22, 6
	s_waitcnt vmcnt(0)
	v_lshrrev_b32_sdwa v1, v1, sext(v3) dst_sel:DWORD dst_unused:UNUSED_PAD src0_sel:DWORD src1_sel:WORD_0
	v_ashrrev_i32_sdwa v23, v15, sext(v3) dst_sel:DWORD dst_unused:UNUSED_PAD src0_sel:DWORD src1_sel:BYTE_1
	v_cmp_gt_u16_sdwa vcc, v15, v22 src0_sel:BYTE_0 src1_sel:DWORD
	v_ashrrev_i32_sdwa v2, v16, sext(v3) dst_sel:DWORD dst_unused:UNUSED_PAD src0_sel:DWORD src1_sel:BYTE_1
	v_cndmask_b32_e32 v15, v23, v1, vcc
	s_mov_b32 s2, 0xffff
	v_cmp_gt_u16_sdwa vcc, v16, v22 src0_sel:BYTE_0 src1_sel:DWORD
	v_and_b32_sdwa v15, s2, v15 dst_sel:DWORD dst_unused:UNUSED_PAD src0_sel:DWORD src1_sel:BYTE_0
	v_cndmask_b32_e32 v2, v2, v1, vcc
	v_cndmask_b32_e64 v15, 0, v15, s[0:1]
	v_lshlrev_b16_e32 v2, 8, v2
	v_or_b32_e32 v2, v15, v2
	v_and_b32_e32 v2, 0xffff, v2
	v_cmp_gt_i32_e32 vcc, s38, v4
	v_cndmask_b32_e32 v2, v15, v2, vcc
	v_ashrrev_i32_sdwa v15, v17, sext(v3) dst_sel:DWORD dst_unused:UNUSED_PAD src0_sel:DWORD src1_sel:BYTE_1
	v_cmp_gt_u16_sdwa vcc, v17, v22 src0_sel:BYTE_0 src1_sel:DWORD
	v_cndmask_b32_e32 v15, v15, v1, vcc
	s_mov_b32 s3, 0xc0c0304
	v_perm_b32 v15, v15, v2, s3
	v_or_b32_e32 v16, 0x200, v0
	v_lshl_or_b32 v15, v15, 16, v2
	v_cmp_gt_i32_e32 vcc, s38, v16
	v_cndmask_b32_e32 v2, v2, v15, vcc
	v_ashrrev_i32_sdwa v15, v12, sext(v3) dst_sel:DWORD dst_unused:UNUSED_PAD src0_sel:DWORD src1_sel:BYTE_1
	v_cmp_gt_u16_sdwa vcc, v12, v22 src0_sel:BYTE_0 src1_sel:DWORD
	s_movk_i32 s4, 0xff
	v_cndmask_b32_e32 v12, v15, v1, vcc
	v_and_b32_sdwa v16, v2, s4 dst_sel:DWORD dst_unused:UNUSED_PAD src0_sel:WORD_1 src1_sel:DWORD
	v_lshlrev_b16_e32 v12, 8, v12
	v_or_b32_sdwa v12, v16, v12 dst_sel:WORD_1 dst_unused:UNUSED_PAD src0_sel:DWORD src1_sel:DWORD
	v_or_b32_e32 v15, 0x300, v0
	v_and_or_b32 v12, v2, s2, v12
	v_cmp_gt_i32_e32 vcc, s38, v15
	v_cndmask_b32_e32 v12, v2, v12, vcc
	v_ashrrev_i32_sdwa v2, v9, sext(v3) dst_sel:DWORD dst_unused:UNUSED_PAD src0_sel:DWORD src1_sel:BYTE_1
	v_cmp_gt_u16_sdwa vcc, v9, v22 src0_sel:BYTE_0 src1_sel:DWORD
	v_cndmask_b32_e32 v2, v2, v1, vcc
	s_mov_b32 s5, 0x3020104
	v_or_b32_e32 v9, 0x400, v0
	v_perm_b32 v2, v2, 0, s5
	v_cmp_gt_i32_e32 vcc, s38, v9
	v_cndmask_b32_e32 v2, 0, v2, vcc
	v_ashrrev_i32_sdwa v9, v10, sext(v3) dst_sel:DWORD dst_unused:UNUSED_PAD src0_sel:DWORD src1_sel:BYTE_1
	v_cmp_gt_u16_sdwa vcc, v10, v22 src0_sel:BYTE_0 src1_sel:DWORD
	v_cndmask_b32_e32 v9, v9, v1, vcc
	v_lshlrev_b16_e32 v9, 8, v9
	v_or_b32_sdwa v9, v2, v9 dst_sel:DWORD dst_unused:UNUSED_PAD src0_sel:BYTE_0 src1_sel:DWORD
	v_and_b32_e32 v9, 0xffff, v9
	s_mov_b32 s6, 0xffff0000
	v_or_b32_e32 v10, 0x500, v0
	v_and_or_b32 v9, v2, s6, v9
	v_cmp_gt_i32_e32 vcc, s38, v10
	v_cndmask_b32_e32 v2, v2, v9, vcc
	v_ashrrev_i32_sdwa v10, v6, sext(v3) dst_sel:DWORD dst_unused:UNUSED_PAD src0_sel:DWORD src1_sel:BYTE_1
	v_cmp_gt_u16_sdwa vcc, v6, v22 src0_sel:BYTE_0 src1_sel:DWORD
	v_or_b32_e32 v9, 0x600, v0
	v_cndmask_b32_e32 v6, v10, v1, vcc
	s_mov_b32 s7, 0x7000504
	v_perm_b32 v6, v2, v6, s7
	v_cmp_gt_i32_e32 vcc, s38, v9
	v_cndmask_b32_e32 v2, v2, v6, vcc
	v_ashrrev_i32_sdwa v10, v7, sext(v3) dst_sel:DWORD dst_unused:UNUSED_PAD src0_sel:DWORD src1_sel:BYTE_1
	v_cmp_gt_u16_sdwa vcc, v7, v22 src0_sel:BYTE_0 src1_sel:DWORD
	v_cndmask_b32_e32 v7, v10, v1, vcc
	v_and_b32_sdwa v6, v2, s4 dst_sel:DWORD dst_unused:UNUSED_PAD src0_sel:WORD_1 src1_sel:DWORD
	v_lshlrev_b16_e32 v7, 8, v7
	v_or_b32_e32 v9, 0x700, v0
	v_or_b32_sdwa v6, v6, v7 dst_sel:WORD_1 dst_unused:UNUSED_PAD src0_sel:DWORD src1_sel:DWORD
	v_and_or_b32 v6, v2, s2, v6
	v_cmp_gt_i32_e32 vcc, s38, v9
	v_cndmask_b32_e32 v6, v2, v6, vcc
	v_ashrrev_i32_sdwa v7, v8, sext(v3) dst_sel:DWORD dst_unused:UNUSED_PAD src0_sel:DWORD src1_sel:BYTE_1
	v_cmp_gt_u16_sdwa vcc, v8, v22 src0_sel:BYTE_0 src1_sel:DWORD
	v_or_b32_e32 v2, 0x800, v0
	v_cndmask_b32_e32 v7, v7, v1, vcc
	v_and_b32_sdwa v7, s2, v7 dst_sel:DWORD dst_unused:UNUSED_PAD src0_sel:DWORD src1_sel:BYTE_0
	v_cmp_gt_i32_e32 vcc, s38, v2
	v_cndmask_b32_e32 v2, 0, v7, vcc
	v_ashrrev_i32_sdwa v8, v11, sext(v3) dst_sel:DWORD dst_unused:UNUSED_PAD src0_sel:DWORD src1_sel:BYTE_1
	v_cmp_gt_u16_sdwa vcc, v11, v22 src0_sel:BYTE_0 src1_sel:DWORD
	v_cndmask_b32_e32 v8, v8, v1, vcc
	v_lshlrev_b16_e32 v8, 8, v8
	v_or_b32_e32 v7, 0x900, v0
	v_or_b32_e32 v8, v2, v8
	v_and_b32_e32 v8, 0xffff, v8
	v_cmp_gt_i32_e32 vcc, s38, v7
	v_cndmask_b32_e32 v2, v2, v8, vcc
	v_ashrrev_i32_sdwa v8, v13, sext(v3) dst_sel:DWORD dst_unused:UNUSED_PAD src0_sel:DWORD src1_sel:BYTE_1
	v_cmp_gt_u16_sdwa vcc, v13, v22 src0_sel:BYTE_0 src1_sel:DWORD
	v_cndmask_b32_e32 v8, v8, v1, vcc
	v_or_b32_e32 v7, 0xa00, v0
	v_perm_b32 v8, v8, v2, s3
	v_lshl_or_b32 v8, v8, 16, v2
	v_cmp_gt_i32_e32 vcc, s38, v7
	v_cndmask_b32_e32 v2, v2, v8, vcc
	v_ashrrev_i32_sdwa v9, v14, sext(v3) dst_sel:DWORD dst_unused:UNUSED_PAD src0_sel:DWORD src1_sel:BYTE_1
	v_cmp_gt_u16_sdwa vcc, v14, v22 src0_sel:BYTE_0 src1_sel:DWORD
	v_cndmask_b32_e32 v9, v9, v1, vcc
	v_and_b32_sdwa v7, v2, s4 dst_sel:DWORD dst_unused:UNUSED_PAD src0_sel:WORD_1 src1_sel:DWORD
	v_lshlrev_b16_e32 v9, 8, v9
	v_or_b32_e32 v8, 0xb00, v0
	v_or_b32_sdwa v7, v7, v9 dst_sel:WORD_1 dst_unused:UNUSED_PAD src0_sel:DWORD src1_sel:DWORD
	v_and_or_b32 v7, v2, s2, v7
	v_cmp_gt_i32_e32 vcc, s38, v8
	v_cndmask_b32_e32 v2, v2, v7, vcc
	v_ashrrev_i32_sdwa v7, v18, sext(v3) dst_sel:DWORD dst_unused:UNUSED_PAD src0_sel:DWORD src1_sel:BYTE_1
	v_cmp_gt_u16_sdwa vcc, v18, v22 src0_sel:BYTE_0 src1_sel:DWORD
	v_cndmask_b32_e32 v7, v7, v1, vcc
	v_or_b32_e32 v8, 0xc00, v0
	v_perm_b32 v7, v7, 0, s5
	v_cmp_gt_i32_e32 vcc, s38, v8
	v_cndmask_b32_e32 v7, 0, v7, vcc
	v_ashrrev_i32_sdwa v8, v19, sext(v3) dst_sel:DWORD dst_unused:UNUSED_PAD src0_sel:DWORD src1_sel:BYTE_1
	v_cmp_gt_u16_sdwa vcc, v19, v22 src0_sel:BYTE_0 src1_sel:DWORD
	v_cndmask_b32_e32 v8, v8, v1, vcc
	v_lshlrev_b16_e32 v8, 8, v8
	v_or_b32_sdwa v8, v7, v8 dst_sel:DWORD dst_unused:UNUSED_PAD src0_sel:BYTE_0 src1_sel:DWORD
	v_and_b32_e32 v8, 0xffff, v8
	v_or_b32_e32 v9, 0xd00, v0
	v_and_or_b32 v8, v7, s6, v8
	v_cmp_gt_i32_e32 vcc, s38, v9
	v_cndmask_b32_e32 v7, v7, v8, vcc
	v_ashrrev_i32_sdwa v9, v20, sext(v3) dst_sel:DWORD dst_unused:UNUSED_PAD src0_sel:DWORD src1_sel:BYTE_1
	v_cmp_gt_u16_sdwa vcc, v20, v22 src0_sel:BYTE_0 src1_sel:DWORD
	v_or_b32_e32 v8, 0xe00, v0
	v_cndmask_b32_e32 v9, v9, v1, vcc
	v_perm_b32 v9, v7, v9, s7
	v_cmp_gt_i32_e32 vcc, s38, v8
	v_cndmask_b32_e32 v7, v7, v9, vcc
	v_cmp_gt_u16_sdwa vcc, v21, v22 src0_sel:BYTE_0 src1_sel:DWORD
	v_ashrrev_i32_sdwa v3, v21, sext(v3) dst_sel:DWORD dst_unused:UNUSED_PAD src0_sel:DWORD src1_sel:BYTE_1
	v_and_b32_sdwa v8, v7, s4 dst_sel:DWORD dst_unused:UNUSED_PAD src0_sel:WORD_1 src1_sel:DWORD
	v_cndmask_b32_sdwa v1, v3, v1, vcc dst_sel:BYTE_1 dst_unused:UNUSED_PAD src0_sel:DWORD src1_sel:DWORD
	v_or_b32_e32 v9, 0xf00, v0
	v_or_b32_sdwa v1, v8, v1 dst_sel:WORD_1 dst_unused:UNUSED_PAD src0_sel:DWORD src1_sel:DWORD
	v_and_or_b32 v1, v7, s2, v1
	v_cmp_gt_i32_e32 vcc, s38, v9
	v_cndmask_b32_e32 v1, v7, v1, vcc
	s_and_saveexec_b64 s[2:3], s[0:1]
	s_cbranch_execnz .LBB145_53
; %bb.36:
	s_or_b64 exec, exec, s[2:3]
	v_cmp_gt_i32_e32 vcc, s38, v0
	s_and_saveexec_b64 s[0:1], vcc
	s_cbranch_execnz .LBB145_54
.LBB145_37:
	s_or_b64 exec, exec, s[0:1]
	v_cmp_gt_i32_e32 vcc, s38, v0
	s_and_saveexec_b64 s[0:1], vcc
	s_cbranch_execnz .LBB145_55
.LBB145_38:
	s_or_b64 exec, exec, s[0:1]
	v_cmp_gt_i32_e32 vcc, s38, v0
	s_and_saveexec_b64 s[0:1], vcc
	s_cbranch_execnz .LBB145_56
.LBB145_39:
	s_or_b64 exec, exec, s[0:1]
	v_cmp_gt_i32_e32 vcc, s38, v0
	s_and_saveexec_b64 s[0:1], vcc
	s_cbranch_execnz .LBB145_57
.LBB145_40:
	s_or_b64 exec, exec, s[0:1]
	v_cmp_gt_i32_e32 vcc, s38, v0
	s_and_saveexec_b64 s[0:1], vcc
	s_cbranch_execnz .LBB145_58
.LBB145_41:
	s_or_b64 exec, exec, s[0:1]
	v_cmp_gt_i32_e32 vcc, s38, v0
	s_and_saveexec_b64 s[0:1], vcc
	s_cbranch_execnz .LBB145_59
.LBB145_42:
	s_or_b64 exec, exec, s[0:1]
	v_cmp_gt_i32_e32 vcc, s38, v0
	s_and_saveexec_b64 s[0:1], vcc
	s_cbranch_execnz .LBB145_60
.LBB145_43:
	s_or_b64 exec, exec, s[0:1]
	v_cmp_gt_i32_e32 vcc, s38, v0
	s_and_saveexec_b64 s[0:1], vcc
	s_cbranch_execnz .LBB145_61
.LBB145_44:
	s_or_b64 exec, exec, s[0:1]
	v_cmp_gt_i32_e32 vcc, s38, v0
	s_and_saveexec_b64 s[0:1], vcc
	s_cbranch_execnz .LBB145_62
.LBB145_45:
	s_or_b64 exec, exec, s[0:1]
	v_cmp_gt_i32_e32 vcc, s38, v0
	s_and_saveexec_b64 s[0:1], vcc
	s_cbranch_execnz .LBB145_63
.LBB145_46:
	s_or_b64 exec, exec, s[0:1]
	v_cmp_gt_i32_e32 vcc, s38, v0
	s_and_saveexec_b64 s[0:1], vcc
	s_cbranch_execnz .LBB145_64
.LBB145_47:
	s_or_b64 exec, exec, s[0:1]
	v_cmp_gt_i32_e32 vcc, s38, v0
	s_and_saveexec_b64 s[0:1], vcc
	s_cbranch_execnz .LBB145_65
.LBB145_48:
	s_or_b64 exec, exec, s[0:1]
	v_cmp_gt_i32_e32 vcc, s38, v0
	s_and_saveexec_b64 s[0:1], vcc
	s_cbranch_execnz .LBB145_66
.LBB145_49:
	s_or_b64 exec, exec, s[0:1]
	v_cmp_gt_i32_e32 vcc, s38, v0
	s_and_saveexec_b64 s[0:1], vcc
	s_cbranch_execnz .LBB145_67
.LBB145_50:
	s_or_b64 exec, exec, s[0:1]
	v_cmp_gt_i32_e32 vcc, s38, v0
	s_and_saveexec_b64 s[0:1], vcc
	s_cbranch_execz .LBB145_52
.LBB145_51:
	v_lshrrev_b32_e32 v1, 24, v1
	v_add_u32_e32 v0, s33, v0
	global_store_byte v0, v1, s[24:25]
.LBB145_52:
	s_endpgm
.LBB145_53:
	v_mov_b32_e32 v0, v4
	global_store_byte v5, v12, s[24:25]
	s_or_b64 exec, exec, s[2:3]
	v_cmp_gt_i32_e32 vcc, s38, v0
	s_and_saveexec_b64 s[0:1], vcc
	s_cbranch_execz .LBB145_37
.LBB145_54:
	v_lshrrev_b32_e32 v3, 8, v12
	v_add_u32_e32 v4, s33, v0
	v_add_u32_e32 v0, 0x100, v0
	global_store_byte v4, v3, s[24:25]
	s_or_b64 exec, exec, s[0:1]
	v_cmp_gt_i32_e32 vcc, s38, v0
	s_and_saveexec_b64 s[0:1], vcc
	s_cbranch_execz .LBB145_38
.LBB145_55:
	v_add_u32_e32 v3, s33, v0
	v_add_u32_e32 v0, 0x100, v0
	global_store_byte_d16_hi v3, v12, s[24:25]
	s_or_b64 exec, exec, s[0:1]
	v_cmp_gt_i32_e32 vcc, s38, v0
	s_and_saveexec_b64 s[0:1], vcc
	s_cbranch_execz .LBB145_39
.LBB145_56:
	v_lshrrev_b32_e32 v3, 24, v12
	v_add_u32_e32 v4, s33, v0
	v_add_u32_e32 v0, 0x100, v0
	global_store_byte v4, v3, s[24:25]
	s_or_b64 exec, exec, s[0:1]
	v_cmp_gt_i32_e32 vcc, s38, v0
	s_and_saveexec_b64 s[0:1], vcc
	s_cbranch_execz .LBB145_40
.LBB145_57:
	v_add_u32_e32 v3, s33, v0
	v_add_u32_e32 v0, 0x100, v0
	global_store_byte v3, v6, s[24:25]
	s_or_b64 exec, exec, s[0:1]
	v_cmp_gt_i32_e32 vcc, s38, v0
	s_and_saveexec_b64 s[0:1], vcc
	s_cbranch_execz .LBB145_41
.LBB145_58:
	v_lshrrev_b32_e32 v3, 8, v6
	v_add_u32_e32 v4, s33, v0
	v_add_u32_e32 v0, 0x100, v0
	global_store_byte v4, v3, s[24:25]
	s_or_b64 exec, exec, s[0:1]
	v_cmp_gt_i32_e32 vcc, s38, v0
	s_and_saveexec_b64 s[0:1], vcc
	s_cbranch_execz .LBB145_42
.LBB145_59:
	v_add_u32_e32 v3, s33, v0
	v_add_u32_e32 v0, 0x100, v0
	global_store_byte_d16_hi v3, v6, s[24:25]
	s_or_b64 exec, exec, s[0:1]
	v_cmp_gt_i32_e32 vcc, s38, v0
	s_and_saveexec_b64 s[0:1], vcc
	s_cbranch_execz .LBB145_43
.LBB145_60:
	v_lshrrev_b32_e32 v3, 24, v6
	v_add_u32_e32 v4, s33, v0
	v_add_u32_e32 v0, 0x100, v0
	global_store_byte v4, v3, s[24:25]
	s_or_b64 exec, exec, s[0:1]
	v_cmp_gt_i32_e32 vcc, s38, v0
	s_and_saveexec_b64 s[0:1], vcc
	s_cbranch_execz .LBB145_44
.LBB145_61:
	v_add_u32_e32 v3, s33, v0
	v_add_u32_e32 v0, 0x100, v0
	global_store_byte v3, v2, s[24:25]
	s_or_b64 exec, exec, s[0:1]
	v_cmp_gt_i32_e32 vcc, s38, v0
	s_and_saveexec_b64 s[0:1], vcc
	s_cbranch_execz .LBB145_45
.LBB145_62:
	v_lshrrev_b32_e32 v3, 8, v2
	v_add_u32_e32 v4, s33, v0
	v_add_u32_e32 v0, 0x100, v0
	global_store_byte v4, v3, s[24:25]
	s_or_b64 exec, exec, s[0:1]
	v_cmp_gt_i32_e32 vcc, s38, v0
	s_and_saveexec_b64 s[0:1], vcc
	s_cbranch_execz .LBB145_46
.LBB145_63:
	v_add_u32_e32 v3, s33, v0
	v_add_u32_e32 v0, 0x100, v0
	global_store_byte_d16_hi v3, v2, s[24:25]
	s_or_b64 exec, exec, s[0:1]
	v_cmp_gt_i32_e32 vcc, s38, v0
	s_and_saveexec_b64 s[0:1], vcc
	s_cbranch_execz .LBB145_47
.LBB145_64:
	v_lshrrev_b32_e32 v2, 24, v2
	v_add_u32_e32 v3, s33, v0
	v_add_u32_e32 v0, 0x100, v0
	global_store_byte v3, v2, s[24:25]
	s_or_b64 exec, exec, s[0:1]
	v_cmp_gt_i32_e32 vcc, s38, v0
	s_and_saveexec_b64 s[0:1], vcc
	s_cbranch_execz .LBB145_48
.LBB145_65:
	v_add_u32_e32 v2, s33, v0
	v_add_u32_e32 v0, 0x100, v0
	global_store_byte v2, v1, s[24:25]
	s_or_b64 exec, exec, s[0:1]
	v_cmp_gt_i32_e32 vcc, s38, v0
	s_and_saveexec_b64 s[0:1], vcc
	s_cbranch_execz .LBB145_49
.LBB145_66:
	v_lshrrev_b32_e32 v2, 8, v1
	v_add_u32_e32 v3, s33, v0
	v_add_u32_e32 v0, 0x100, v0
	global_store_byte v3, v2, s[24:25]
	s_or_b64 exec, exec, s[0:1]
	v_cmp_gt_i32_e32 vcc, s38, v0
	s_and_saveexec_b64 s[0:1], vcc
	s_cbranch_execz .LBB145_50
.LBB145_67:
	v_add_u32_e32 v2, s33, v0
	v_add_u32_e32 v0, 0x100, v0
	global_store_byte_d16_hi v2, v1, s[24:25]
	s_or_b64 exec, exec, s[0:1]
	v_cmp_gt_i32_e32 vcc, s38, v0
	s_and_saveexec_b64 s[0:1], vcc
	s_cbranch_execnz .LBB145_51
	s_branch .LBB145_52
	.section	.rodata,"a",@progbits
	.p2align	6, 0x0
	.amdhsa_kernel _ZN2at6native29vectorized_elementwise_kernelILi8ENS0_13AUnaryFunctorIaaaZZZNS0_18rshift_kernel_cudaERNS_18TensorIteratorBaseEENKUlvE_clEvENKUlvE0_clEvEUlaaE_EESt5arrayIPcLm2EEEEviT0_T1_
		.amdhsa_group_segment_fixed_size 0
		.amdhsa_private_segment_fixed_size 0
		.amdhsa_kernarg_size 24
		.amdhsa_user_sgpr_count 6
		.amdhsa_user_sgpr_private_segment_buffer 1
		.amdhsa_user_sgpr_dispatch_ptr 0
		.amdhsa_user_sgpr_queue_ptr 0
		.amdhsa_user_sgpr_kernarg_segment_ptr 1
		.amdhsa_user_sgpr_dispatch_id 0
		.amdhsa_user_sgpr_flat_scratch_init 0
		.amdhsa_user_sgpr_private_segment_size 0
		.amdhsa_uses_dynamic_stack 0
		.amdhsa_system_sgpr_private_segment_wavefront_offset 0
		.amdhsa_system_sgpr_workgroup_id_x 1
		.amdhsa_system_sgpr_workgroup_id_y 0
		.amdhsa_system_sgpr_workgroup_id_z 0
		.amdhsa_system_sgpr_workgroup_info 0
		.amdhsa_system_vgpr_workitem_id 0
		.amdhsa_next_free_vgpr 26
		.amdhsa_next_free_sgpr 39
		.amdhsa_reserve_vcc 1
		.amdhsa_reserve_flat_scratch 0
		.amdhsa_float_round_mode_32 0
		.amdhsa_float_round_mode_16_64 0
		.amdhsa_float_denorm_mode_32 3
		.amdhsa_float_denorm_mode_16_64 3
		.amdhsa_dx10_clamp 1
		.amdhsa_ieee_mode 1
		.amdhsa_fp16_overflow 0
		.amdhsa_exception_fp_ieee_invalid_op 0
		.amdhsa_exception_fp_denorm_src 0
		.amdhsa_exception_fp_ieee_div_zero 0
		.amdhsa_exception_fp_ieee_overflow 0
		.amdhsa_exception_fp_ieee_underflow 0
		.amdhsa_exception_fp_ieee_inexact 0
		.amdhsa_exception_int_div_zero 0
	.end_amdhsa_kernel
	.section	.text._ZN2at6native29vectorized_elementwise_kernelILi8ENS0_13AUnaryFunctorIaaaZZZNS0_18rshift_kernel_cudaERNS_18TensorIteratorBaseEENKUlvE_clEvENKUlvE0_clEvEUlaaE_EESt5arrayIPcLm2EEEEviT0_T1_,"axG",@progbits,_ZN2at6native29vectorized_elementwise_kernelILi8ENS0_13AUnaryFunctorIaaaZZZNS0_18rshift_kernel_cudaERNS_18TensorIteratorBaseEENKUlvE_clEvENKUlvE0_clEvEUlaaE_EESt5arrayIPcLm2EEEEviT0_T1_,comdat
.Lfunc_end145:
	.size	_ZN2at6native29vectorized_elementwise_kernelILi8ENS0_13AUnaryFunctorIaaaZZZNS0_18rshift_kernel_cudaERNS_18TensorIteratorBaseEENKUlvE_clEvENKUlvE0_clEvEUlaaE_EESt5arrayIPcLm2EEEEviT0_T1_, .Lfunc_end145-_ZN2at6native29vectorized_elementwise_kernelILi8ENS0_13AUnaryFunctorIaaaZZZNS0_18rshift_kernel_cudaERNS_18TensorIteratorBaseEENKUlvE_clEvENKUlvE0_clEvEUlaaE_EESt5arrayIPcLm2EEEEviT0_T1_
                                        ; -- End function
	.set _ZN2at6native29vectorized_elementwise_kernelILi8ENS0_13AUnaryFunctorIaaaZZZNS0_18rshift_kernel_cudaERNS_18TensorIteratorBaseEENKUlvE_clEvENKUlvE0_clEvEUlaaE_EESt5arrayIPcLm2EEEEviT0_T1_.num_vgpr, 26
	.set _ZN2at6native29vectorized_elementwise_kernelILi8ENS0_13AUnaryFunctorIaaaZZZNS0_18rshift_kernel_cudaERNS_18TensorIteratorBaseEENKUlvE_clEvENKUlvE0_clEvEUlaaE_EESt5arrayIPcLm2EEEEviT0_T1_.num_agpr, 0
	.set _ZN2at6native29vectorized_elementwise_kernelILi8ENS0_13AUnaryFunctorIaaaZZZNS0_18rshift_kernel_cudaERNS_18TensorIteratorBaseEENKUlvE_clEvENKUlvE0_clEvEUlaaE_EESt5arrayIPcLm2EEEEviT0_T1_.numbered_sgpr, 39
	.set _ZN2at6native29vectorized_elementwise_kernelILi8ENS0_13AUnaryFunctorIaaaZZZNS0_18rshift_kernel_cudaERNS_18TensorIteratorBaseEENKUlvE_clEvENKUlvE0_clEvEUlaaE_EESt5arrayIPcLm2EEEEviT0_T1_.num_named_barrier, 0
	.set _ZN2at6native29vectorized_elementwise_kernelILi8ENS0_13AUnaryFunctorIaaaZZZNS0_18rshift_kernel_cudaERNS_18TensorIteratorBaseEENKUlvE_clEvENKUlvE0_clEvEUlaaE_EESt5arrayIPcLm2EEEEviT0_T1_.private_seg_size, 0
	.set _ZN2at6native29vectorized_elementwise_kernelILi8ENS0_13AUnaryFunctorIaaaZZZNS0_18rshift_kernel_cudaERNS_18TensorIteratorBaseEENKUlvE_clEvENKUlvE0_clEvEUlaaE_EESt5arrayIPcLm2EEEEviT0_T1_.uses_vcc, 1
	.set _ZN2at6native29vectorized_elementwise_kernelILi8ENS0_13AUnaryFunctorIaaaZZZNS0_18rshift_kernel_cudaERNS_18TensorIteratorBaseEENKUlvE_clEvENKUlvE0_clEvEUlaaE_EESt5arrayIPcLm2EEEEviT0_T1_.uses_flat_scratch, 0
	.set _ZN2at6native29vectorized_elementwise_kernelILi8ENS0_13AUnaryFunctorIaaaZZZNS0_18rshift_kernel_cudaERNS_18TensorIteratorBaseEENKUlvE_clEvENKUlvE0_clEvEUlaaE_EESt5arrayIPcLm2EEEEviT0_T1_.has_dyn_sized_stack, 0
	.set _ZN2at6native29vectorized_elementwise_kernelILi8ENS0_13AUnaryFunctorIaaaZZZNS0_18rshift_kernel_cudaERNS_18TensorIteratorBaseEENKUlvE_clEvENKUlvE0_clEvEUlaaE_EESt5arrayIPcLm2EEEEviT0_T1_.has_recursion, 0
	.set _ZN2at6native29vectorized_elementwise_kernelILi8ENS0_13AUnaryFunctorIaaaZZZNS0_18rshift_kernel_cudaERNS_18TensorIteratorBaseEENKUlvE_clEvENKUlvE0_clEvEUlaaE_EESt5arrayIPcLm2EEEEviT0_T1_.has_indirect_call, 0
	.section	.AMDGPU.csdata,"",@progbits
; Kernel info:
; codeLenInByte = 3512
; TotalNumSgprs: 43
; NumVgprs: 26
; ScratchSize: 0
; MemoryBound: 0
; FloatMode: 240
; IeeeMode: 1
; LDSByteSize: 0 bytes/workgroup (compile time only)
; SGPRBlocks: 5
; VGPRBlocks: 6
; NumSGPRsForWavesPerEU: 43
; NumVGPRsForWavesPerEU: 26
; Occupancy: 9
; WaveLimiterHint : 1
; COMPUTE_PGM_RSRC2:SCRATCH_EN: 0
; COMPUTE_PGM_RSRC2:USER_SGPR: 6
; COMPUTE_PGM_RSRC2:TRAP_HANDLER: 0
; COMPUTE_PGM_RSRC2:TGID_X_EN: 1
; COMPUTE_PGM_RSRC2:TGID_Y_EN: 0
; COMPUTE_PGM_RSRC2:TGID_Z_EN: 0
; COMPUTE_PGM_RSRC2:TIDIG_COMP_CNT: 0
	.section	.text._ZN2at6native29vectorized_elementwise_kernelILi4ENS0_13AUnaryFunctorIaaaZZZNS0_18rshift_kernel_cudaERNS_18TensorIteratorBaseEENKUlvE_clEvENKUlvE0_clEvEUlaaE_EESt5arrayIPcLm2EEEEviT0_T1_,"axG",@progbits,_ZN2at6native29vectorized_elementwise_kernelILi4ENS0_13AUnaryFunctorIaaaZZZNS0_18rshift_kernel_cudaERNS_18TensorIteratorBaseEENKUlvE_clEvENKUlvE0_clEvEUlaaE_EESt5arrayIPcLm2EEEEviT0_T1_,comdat
	.globl	_ZN2at6native29vectorized_elementwise_kernelILi4ENS0_13AUnaryFunctorIaaaZZZNS0_18rshift_kernel_cudaERNS_18TensorIteratorBaseEENKUlvE_clEvENKUlvE0_clEvEUlaaE_EESt5arrayIPcLm2EEEEviT0_T1_ ; -- Begin function _ZN2at6native29vectorized_elementwise_kernelILi4ENS0_13AUnaryFunctorIaaaZZZNS0_18rshift_kernel_cudaERNS_18TensorIteratorBaseEENKUlvE_clEvENKUlvE0_clEvEUlaaE_EESt5arrayIPcLm2EEEEviT0_T1_
	.p2align	8
	.type	_ZN2at6native29vectorized_elementwise_kernelILi4ENS0_13AUnaryFunctorIaaaZZZNS0_18rshift_kernel_cudaERNS_18TensorIteratorBaseEENKUlvE_clEvENKUlvE0_clEvEUlaaE_EESt5arrayIPcLm2EEEEviT0_T1_,@function
_ZN2at6native29vectorized_elementwise_kernelILi4ENS0_13AUnaryFunctorIaaaZZZNS0_18rshift_kernel_cudaERNS_18TensorIteratorBaseEENKUlvE_clEvENKUlvE0_clEvEUlaaE_EESt5arrayIPcLm2EEEEviT0_T1_: ; @_ZN2at6native29vectorized_elementwise_kernelILi4ENS0_13AUnaryFunctorIaaaZZZNS0_18rshift_kernel_cudaERNS_18TensorIteratorBaseEENKUlvE_clEvENKUlvE0_clEvEUlaaE_EESt5arrayIPcLm2EEEEviT0_T1_
; %bb.0:
	v_mov_b32_e32 v1, 0
	global_load_ushort v3, v1, s[4:5] offset:4
	s_load_dword s0, s[4:5], 0x0
	s_load_dwordx4 s[36:39], s[4:5], 0x8
	s_lshl_b32 s33, s6, 12
	s_waitcnt lgkmcnt(0)
	s_sub_i32 s40, s0, s33
	s_cmpk_gt_i32 s40, 0xfff
	s_mov_b64 s[0:1], -1
	s_cbranch_scc0 .LBB146_2
; %bb.1:
	s_ashr_i32 s30, s33, 31
	s_add_u32 s0, s38, s33
	s_addc_u32 s1, s39, s30
	v_lshlrev_b32_e32 v1, 2, v0
	global_load_dword v2, v1, s[0:1]
	global_load_dword v4, v1, s[0:1] offset:1024
	global_load_dword v5, v1, s[0:1] offset:2048
	;; [unrolled: 1-line block ×3, first 2 shown]
	s_movk_i32 s28, 0xff
	v_mov_b32_e32 v7, 15
	v_mov_b32_e32 v8, 6
	s_mov_b32 s26, 0x6ffffff
	s_waitcnt vmcnt(4)
	v_lshrrev_b32_sdwa v7, v7, sext(v3) dst_sel:DWORD dst_unused:UNUSED_PAD src0_sel:DWORD src1_sel:WORD_0
	s_waitcnt vmcnt(3)
	v_lshrrev_b32_e32 v10, 8, v2
	v_and_b32_sdwa v11, v2, s28 dst_sel:DWORD dst_unused:UNUSED_PAD src0_sel:WORD_1 src1_sel:DWORD
	s_waitcnt vmcnt(2)
	v_lshrrev_b32_e32 v14, 8, v4
	s_waitcnt vmcnt(1)
	v_lshrrev_b32_e32 v17, 8, v5
	;; [unrolled: 2-line block ×3, first 2 shown]
	v_cmp_gt_u16_sdwa vcc, v2, v8 src0_sel:BYTE_0 src1_sel:DWORD
	v_cmp_gt_u16_sdwa s[2:3], v4, v8 src0_sel:BYTE_0 src1_sel:DWORD
	v_and_b32_sdwa v15, v4, s28 dst_sel:DWORD dst_unused:UNUSED_PAD src0_sel:WORD_1 src1_sel:DWORD
	v_cmp_gt_u16_sdwa s[4:5], v5, v8 src0_sel:BYTE_0 src1_sel:DWORD
	v_cmp_gt_u16_sdwa s[6:7], v10, v8 src0_sel:BYTE_0 src1_sel:DWORD
	;; [unrolled: 1-line block ×6, first 2 shown]
	v_ashrrev_i32_sdwa v8, v4, sext(v3) dst_sel:DWORD dst_unused:UNUSED_PAD src0_sel:BYTE_3 src1_sel:BYTE_1
	v_cmp_lt_u32_e64 s[16:17], s26, v4
	v_cmp_lt_u16_e64 s[18:19], 6, v11
	v_and_b32_sdwa v11, v5, s28 dst_sel:DWORD dst_unused:UNUSED_PAD src0_sel:WORD_1 src1_sel:DWORD
	v_ashrrev_i32_sdwa v9, v2, sext(v3) dst_sel:DWORD dst_unused:UNUSED_PAD src0_sel:DWORD src1_sel:BYTE_1
	v_ashrrev_i32_sdwa v12, v2, sext(v3) dst_sel:DWORD dst_unused:UNUSED_PAD src0_sel:WORD_1 src1_sel:BYTE_1
	v_ashrrev_i32_sdwa v13, v2, sext(v3) dst_sel:DWORD dst_unused:UNUSED_PAD src0_sel:BYTE_3 src1_sel:BYTE_1
	v_cmp_lt_u32_e64 s[0:1], s26, v2
	v_ashrrev_i32_sdwa v2, v4, sext(v3) dst_sel:DWORD dst_unused:UNUSED_PAD src0_sel:DWORD src1_sel:BYTE_1
	v_ashrrev_i32_sdwa v19, v10, sext(v3) dst_sel:DWORD dst_unused:UNUSED_PAD src0_sel:DWORD src1_sel:BYTE_1
	;; [unrolled: 1-line block ×3, first 2 shown]
	v_ashrrev_i32_sdwa v4, v4, sext(v3) dst_sel:DWORD dst_unused:UNUSED_PAD src0_sel:WORD_1 src1_sel:BYTE_1
	v_cmp_lt_u16_e64 s[20:21], 6, v15
	v_cmp_lt_u32_e64 s[22:23], s26, v5
	v_cmp_lt_u16_e64 s[24:25], 6, v11
	v_ashrrev_i32_sdwa v11, v6, sext(v3) dst_sel:DWORD dst_unused:UNUSED_PAD src0_sel:BYTE_3 src1_sel:BYTE_1
	v_cmp_lt_u32_e64 s[26:27], s26, v6
	v_and_b32_sdwa v20, v6, s28 dst_sel:DWORD dst_unused:UNUSED_PAD src0_sel:WORD_1 src1_sel:DWORD
	v_cndmask_b32_e64 v8, v8, v7, s[16:17]
	v_ashrrev_i32_sdwa v16, v5, sext(v3) dst_sel:DWORD dst_unused:UNUSED_PAD src0_sel:DWORD src1_sel:BYTE_1
	v_ashrrev_i32_sdwa v14, v17, sext(v3) dst_sel:DWORD dst_unused:UNUSED_PAD src0_sel:DWORD src1_sel:BYTE_1
	;; [unrolled: 1-line block ×4, first 2 shown]
	v_ashrrev_i32_sdwa v15, v5, sext(v3) dst_sel:DWORD dst_unused:UNUSED_PAD src0_sel:BYTE_3 src1_sel:BYTE_1
	v_ashrrev_i32_sdwa v5, v5, sext(v3) dst_sel:DWORD dst_unused:UNUSED_PAD src0_sel:WORD_1 src1_sel:BYTE_1
	v_ashrrev_i32_sdwa v6, v6, sext(v3) dst_sel:DWORD dst_unused:UNUSED_PAD src0_sel:WORD_1 src1_sel:BYTE_1
	v_cmp_lt_u16_e64 s[28:29], 6, v20
	v_cndmask_b32_e64 v13, v13, v7, s[0:1]
	v_cndmask_b32_e64 v4, v4, v7, s[20:21]
	;; [unrolled: 1-line block ×5, first 2 shown]
	v_lshlrev_b16_e32 v8, 8, v8
	v_cndmask_b32_e32 v9, v9, v7, vcc
	v_cndmask_b32_e64 v12, v12, v7, s[18:19]
	v_cndmask_b32_e64 v2, v2, v7, s[2:3]
	;; [unrolled: 1-line block ×9, first 2 shown]
	v_lshlrev_b16_e32 v11, 8, v11
	v_lshlrev_b16_e32 v13, 8, v13
	;; [unrolled: 1-line block ×3, first 2 shown]
	v_or_b32_sdwa v4, v4, v8 dst_sel:WORD_1 dst_unused:UNUSED_PAD src0_sel:BYTE_0 src1_sel:DWORD
	v_lshlrev_b16_e32 v8, 8, v19
	v_lshlrev_b16_e32 v15, 8, v15
	;; [unrolled: 1-line block ×3, first 2 shown]
	v_or_b32_sdwa v6, v6, v11 dst_sel:WORD_1 dst_unused:UNUSED_PAD src0_sel:BYTE_0 src1_sel:DWORD
	v_lshlrev_b16_e32 v11, 8, v14
	v_or_b32_sdwa v12, v12, v13 dst_sel:WORD_1 dst_unused:UNUSED_PAD src0_sel:BYTE_0 src1_sel:DWORD
	v_or_b32_sdwa v2, v2, v10 dst_sel:DWORD dst_unused:UNUSED_PAD src0_sel:BYTE_0 src1_sel:DWORD
	v_or_b32_sdwa v8, v9, v8 dst_sel:DWORD dst_unused:UNUSED_PAD src0_sel:BYTE_0 src1_sel:DWORD
	s_add_u32 s0, s36, s33
	v_or_b32_sdwa v5, v5, v15 dst_sel:WORD_1 dst_unused:UNUSED_PAD src0_sel:BYTE_0 src1_sel:DWORD
	v_or_b32_sdwa v7, v18, v7 dst_sel:DWORD dst_unused:UNUSED_PAD src0_sel:BYTE_0 src1_sel:DWORD
	v_or_b32_sdwa v11, v16, v11 dst_sel:DWORD dst_unused:UNUSED_PAD src0_sel:BYTE_0 src1_sel:DWORD
	v_or_b32_sdwa v2, v2, v4 dst_sel:DWORD dst_unused:UNUSED_PAD src0_sel:WORD_0 src1_sel:DWORD
	v_or_b32_sdwa v4, v8, v12 dst_sel:DWORD dst_unused:UNUSED_PAD src0_sel:WORD_0 src1_sel:DWORD
	s_addc_u32 s1, s37, s30
	v_or_b32_sdwa v6, v7, v6 dst_sel:DWORD dst_unused:UNUSED_PAD src0_sel:WORD_0 src1_sel:DWORD
	v_or_b32_sdwa v5, v11, v5 dst_sel:DWORD dst_unused:UNUSED_PAD src0_sel:WORD_0 src1_sel:DWORD
	global_store_dword v1, v4, s[0:1]
	global_store_dword v1, v2, s[0:1] offset:1024
	global_store_dword v1, v5, s[0:1] offset:2048
	;; [unrolled: 1-line block ×3, first 2 shown]
	s_mov_b64 s[0:1], 0
.LBB146_2:
	s_andn2_b64 vcc, exec, s[0:1]
	s_cbranch_vccnz .LBB146_52
; %bb.3:
	v_cmp_gt_i32_e64 s[0:1], s40, v0
	v_or_b32_e32 v4, 0x100, v0
	v_mov_b32_e32 v21, 0
	v_or_b32_e32 v5, s33, v0
	v_mov_b32_e32 v20, 0
	v_mov_b32_e32 v19, 0
	;; [unrolled: 1-line block ×15, first 2 shown]
	s_and_saveexec_b64 s[2:3], s[0:1]
	s_cbranch_execz .LBB146_35
; %bb.4:
	global_load_ubyte v14, v5, s[38:39]
	v_cmp_gt_u32_e32 vcc, s40, v4
	v_mov_b32_e32 v17, 0
	v_mov_b32_e32 v15, 0
	;; [unrolled: 1-line block ×15, first 2 shown]
	s_and_saveexec_b64 s[4:5], vcc
	s_cbranch_execz .LBB146_34
; %bb.5:
	v_add_u32_e32 v1, s33, v0
	global_load_ubyte v17, v1, s[38:39] offset:256
	v_or_b32_e32 v2, 0x200, v0
	v_mov_b32_e32 v15, 0
	v_cmp_gt_u32_e32 vcc, s40, v2
	v_mov_b32_e32 v12, 0
	v_mov_b32_e32 v9, 0
	;; [unrolled: 1-line block ×13, first 2 shown]
	s_and_saveexec_b64 s[6:7], vcc
	s_cbranch_execz .LBB146_33
; %bb.6:
	v_mov_b32_e32 v2, s39
	v_add_co_u32_e32 v1, vcc, s38, v1
	v_addc_co_u32_e32 v2, vcc, 0, v2, vcc
	global_load_ubyte v15, v[1:2], off offset:512
	v_or_b32_e32 v6, 0x300, v0
	v_cmp_gt_u32_e32 vcc, s40, v6
	v_mov_b32_e32 v12, 0
	v_mov_b32_e32 v9, 0
	;; [unrolled: 1-line block ×13, first 2 shown]
	s_and_saveexec_b64 s[8:9], vcc
	s_cbranch_execz .LBB146_32
; %bb.7:
	global_load_ubyte v12, v[1:2], off offset:768
	v_or_b32_e32 v6, 0x400, v0
	v_cmp_gt_u32_e32 vcc, s40, v6
	v_mov_b32_e32 v9, 0
	v_mov_b32_e32 v10, 0
	;; [unrolled: 1-line block ×12, first 2 shown]
	s_and_saveexec_b64 s[10:11], vcc
	s_cbranch_execz .LBB146_31
; %bb.8:
	global_load_ubyte v9, v[1:2], off offset:1024
	v_or_b32_e32 v6, 0x500, v0
	v_cmp_gt_u32_e32 vcc, s40, v6
	v_mov_b32_e32 v10, 0
	v_mov_b32_e32 v6, 0
	;; [unrolled: 1-line block ×11, first 2 shown]
	s_and_saveexec_b64 s[12:13], vcc
	s_cbranch_execz .LBB146_30
; %bb.9:
	global_load_ubyte v10, v[1:2], off offset:1280
	v_or_b32_e32 v6, 0x600, v0
	v_cmp_gt_u32_e32 vcc, s40, v6
	v_mov_b32_e32 v6, 0
	v_mov_b32_e32 v7, 0
	;; [unrolled: 1-line block ×10, first 2 shown]
	s_and_saveexec_b64 s[14:15], vcc
	s_cbranch_execz .LBB146_29
; %bb.10:
	global_load_ubyte v6, v[1:2], off offset:1536
	v_or_b32_e32 v7, 0x700, v0
	v_cmp_gt_u32_e32 vcc, s40, v7
	v_mov_b32_e32 v7, 0
	v_mov_b32_e32 v8, 0
	;; [unrolled: 1-line block ×9, first 2 shown]
	s_and_saveexec_b64 s[16:17], vcc
	s_cbranch_execz .LBB146_28
; %bb.11:
	global_load_ubyte v7, v[1:2], off offset:1792
	v_or_b32_e32 v8, 0x800, v0
	v_cmp_gt_u32_e32 vcc, s40, v8
	v_mov_b32_e32 v8, 0
	v_mov_b32_e32 v11, 0
	v_mov_b32_e32 v13, 0
	v_mov_b32_e32 v16, 0
	v_mov_b32_e32 v18, 0
	v_mov_b32_e32 v19, 0
	v_mov_b32_e32 v20, 0
	v_mov_b32_e32 v21, 0
	s_and_saveexec_b64 s[18:19], vcc
	s_cbranch_execz .LBB146_27
; %bb.12:
	global_load_ubyte v8, v[1:2], off offset:2048
	v_or_b32_e32 v11, 0x900, v0
	v_cmp_gt_u32_e32 vcc, s40, v11
	v_mov_b32_e32 v11, 0
	v_mov_b32_e32 v13, 0
	;; [unrolled: 1-line block ×7, first 2 shown]
	s_and_saveexec_b64 s[20:21], vcc
	s_cbranch_execz .LBB146_26
; %bb.13:
	global_load_ubyte v11, v[1:2], off offset:2304
	v_or_b32_e32 v13, 0xa00, v0
	v_cmp_gt_u32_e32 vcc, s40, v13
	v_mov_b32_e32 v13, 0
	v_mov_b32_e32 v16, 0
	;; [unrolled: 1-line block ×6, first 2 shown]
	s_and_saveexec_b64 s[22:23], vcc
	s_cbranch_execz .LBB146_25
; %bb.14:
	global_load_ubyte v13, v[1:2], off offset:2560
	v_or_b32_e32 v16, 0xb00, v0
	v_cmp_gt_u32_e32 vcc, s40, v16
	v_mov_b32_e32 v16, 0
	v_mov_b32_e32 v18, 0
	;; [unrolled: 1-line block ×5, first 2 shown]
	s_and_saveexec_b64 s[24:25], vcc
	s_cbranch_execz .LBB146_24
; %bb.15:
	global_load_ubyte v16, v[1:2], off offset:2816
	v_or_b32_e32 v18, 0xc00, v0
	v_cmp_gt_u32_e32 vcc, s40, v18
	v_mov_b32_e32 v18, 0
	v_mov_b32_e32 v19, 0
	;; [unrolled: 1-line block ×4, first 2 shown]
	s_and_saveexec_b64 s[26:27], vcc
	s_cbranch_execz .LBB146_23
; %bb.16:
	global_load_ubyte v18, v[1:2], off offset:3072
	v_or_b32_e32 v19, 0xd00, v0
	v_cmp_gt_u32_e32 vcc, s40, v19
	v_mov_b32_e32 v19, 0
	v_mov_b32_e32 v20, 0
	;; [unrolled: 1-line block ×3, first 2 shown]
	s_and_saveexec_b64 s[28:29], vcc
	s_cbranch_execz .LBB146_22
; %bb.17:
	global_load_ubyte v19, v[1:2], off offset:3328
	v_or_b32_e32 v20, 0xe00, v0
	v_cmp_gt_u32_e32 vcc, s40, v20
	v_mov_b32_e32 v20, 0
	v_mov_b32_e32 v21, 0
	s_and_saveexec_b64 s[30:31], vcc
	s_cbranch_execz .LBB146_21
; %bb.18:
	global_load_ubyte v20, v[1:2], off offset:3584
	v_or_b32_e32 v21, 0xf00, v0
	v_cmp_gt_u32_e32 vcc, s40, v21
	v_mov_b32_e32 v21, 0
	s_and_saveexec_b64 s[34:35], vcc
	s_cbranch_execz .LBB146_20
; %bb.19:
	global_load_ubyte v21, v[1:2], off offset:3840
.LBB146_20:
	s_or_b64 exec, exec, s[34:35]
.LBB146_21:
	s_or_b64 exec, exec, s[30:31]
.LBB146_22:
	s_or_b64 exec, exec, s[28:29]
.LBB146_23:
	s_or_b64 exec, exec, s[26:27]
.LBB146_24:
	s_or_b64 exec, exec, s[24:25]
.LBB146_25:
	s_or_b64 exec, exec, s[22:23]
.LBB146_26:
	s_or_b64 exec, exec, s[20:21]
.LBB146_27:
	s_or_b64 exec, exec, s[18:19]
.LBB146_28:
	s_or_b64 exec, exec, s[16:17]
.LBB146_29:
	s_or_b64 exec, exec, s[14:15]
.LBB146_30:
	s_or_b64 exec, exec, s[12:13]
.LBB146_31:
	s_or_b64 exec, exec, s[10:11]
.LBB146_32:
	s_or_b64 exec, exec, s[8:9]
.LBB146_33:
	s_or_b64 exec, exec, s[6:7]
.LBB146_34:
	s_or_b64 exec, exec, s[4:5]
.LBB146_35:
	s_or_b64 exec, exec, s[2:3]
	v_mov_b32_e32 v1, 15
	v_mov_b32_e32 v22, 6
	s_waitcnt vmcnt(0)
	v_lshrrev_b32_sdwa v1, v1, sext(v3) dst_sel:DWORD dst_unused:UNUSED_PAD src0_sel:DWORD src1_sel:WORD_0
	v_ashrrev_i32_sdwa v2, v17, sext(v3) dst_sel:DWORD dst_unused:UNUSED_PAD src0_sel:DWORD src1_sel:BYTE_1
	v_cmp_gt_u16_sdwa vcc, v17, v22 src0_sel:BYTE_0 src1_sel:DWORD
	v_ashrrev_i32_sdwa v17, v14, sext(v3) dst_sel:DWORD dst_unused:UNUSED_PAD src0_sel:DWORD src1_sel:BYTE_1
	v_cmp_gt_u16_sdwa s[2:3], v14, v22 src0_sel:BYTE_0 src1_sel:DWORD
	v_cndmask_b32_e64 v14, v17, v1, s[2:3]
	s_mov_b32 s2, 0xffff
	v_and_b32_sdwa v14, s2, v14 dst_sel:DWORD dst_unused:UNUSED_PAD src0_sel:DWORD src1_sel:BYTE_0
	v_cndmask_b32_e32 v2, v2, v1, vcc
	v_cndmask_b32_e64 v14, 0, v14, s[0:1]
	v_lshlrev_b16_e32 v2, 8, v2
	v_or_b32_e32 v2, v14, v2
	v_and_b32_e32 v2, 0xffff, v2
	v_cmp_gt_i32_e32 vcc, s40, v4
	v_cndmask_b32_e32 v2, v14, v2, vcc
	v_ashrrev_i32_sdwa v14, v15, sext(v3) dst_sel:DWORD dst_unused:UNUSED_PAD src0_sel:DWORD src1_sel:BYTE_1
	v_cmp_gt_u16_sdwa vcc, v15, v22 src0_sel:BYTE_0 src1_sel:DWORD
	v_cndmask_b32_e32 v14, v14, v1, vcc
	s_mov_b32 s3, 0xc0c0304
	v_perm_b32 v14, v14, v2, s3
	v_or_b32_e32 v15, 0x200, v0
	v_lshl_or_b32 v14, v14, 16, v2
	v_cmp_gt_i32_e32 vcc, s40, v15
	v_cndmask_b32_e32 v2, v2, v14, vcc
	v_ashrrev_i32_sdwa v14, v12, sext(v3) dst_sel:DWORD dst_unused:UNUSED_PAD src0_sel:DWORD src1_sel:BYTE_1
	v_cmp_gt_u16_sdwa vcc, v12, v22 src0_sel:BYTE_0 src1_sel:DWORD
	s_movk_i32 s4, 0xff
	v_cndmask_b32_e32 v14, v14, v1, vcc
	v_and_b32_sdwa v12, v2, s4 dst_sel:DWORD dst_unused:UNUSED_PAD src0_sel:WORD_1 src1_sel:DWORD
	v_lshlrev_b16_e32 v14, 8, v14
	v_or_b32_sdwa v12, v12, v14 dst_sel:WORD_1 dst_unused:UNUSED_PAD src0_sel:DWORD src1_sel:DWORD
	v_or_b32_e32 v14, 0x300, v0
	v_and_or_b32 v12, v2, s2, v12
	v_cmp_gt_i32_e32 vcc, s40, v14
	v_cndmask_b32_e32 v12, v2, v12, vcc
	v_ashrrev_i32_sdwa v2, v9, sext(v3) dst_sel:DWORD dst_unused:UNUSED_PAD src0_sel:DWORD src1_sel:BYTE_1
	v_cmp_gt_u16_sdwa vcc, v9, v22 src0_sel:BYTE_0 src1_sel:DWORD
	v_cndmask_b32_e32 v2, v2, v1, vcc
	s_mov_b32 s5, 0x3020104
	v_or_b32_e32 v9, 0x400, v0
	v_perm_b32 v2, v2, 0, s5
	v_cmp_gt_i32_e32 vcc, s40, v9
	v_cndmask_b32_e32 v2, 0, v2, vcc
	v_ashrrev_i32_sdwa v9, v10, sext(v3) dst_sel:DWORD dst_unused:UNUSED_PAD src0_sel:DWORD src1_sel:BYTE_1
	v_cmp_gt_u16_sdwa vcc, v10, v22 src0_sel:BYTE_0 src1_sel:DWORD
	v_cndmask_b32_e32 v9, v9, v1, vcc
	v_lshlrev_b16_e32 v9, 8, v9
	v_or_b32_sdwa v9, v2, v9 dst_sel:DWORD dst_unused:UNUSED_PAD src0_sel:BYTE_0 src1_sel:DWORD
	v_and_b32_e32 v9, 0xffff, v9
	s_mov_b32 s6, 0xffff0000
	v_or_b32_e32 v10, 0x500, v0
	v_and_or_b32 v9, v2, s6, v9
	v_cmp_gt_i32_e32 vcc, s40, v10
	v_cndmask_b32_e32 v2, v2, v9, vcc
	v_ashrrev_i32_sdwa v10, v6, sext(v3) dst_sel:DWORD dst_unused:UNUSED_PAD src0_sel:DWORD src1_sel:BYTE_1
	v_cmp_gt_u16_sdwa vcc, v6, v22 src0_sel:BYTE_0 src1_sel:DWORD
	v_or_b32_e32 v9, 0x600, v0
	v_cndmask_b32_e32 v6, v10, v1, vcc
	s_mov_b32 s7, 0x7000504
	v_perm_b32 v6, v2, v6, s7
	v_cmp_gt_i32_e32 vcc, s40, v9
	v_cndmask_b32_e32 v2, v2, v6, vcc
	v_ashrrev_i32_sdwa v10, v7, sext(v3) dst_sel:DWORD dst_unused:UNUSED_PAD src0_sel:DWORD src1_sel:BYTE_1
	v_cmp_gt_u16_sdwa vcc, v7, v22 src0_sel:BYTE_0 src1_sel:DWORD
	v_cndmask_b32_e32 v7, v10, v1, vcc
	v_and_b32_sdwa v6, v2, s4 dst_sel:DWORD dst_unused:UNUSED_PAD src0_sel:WORD_1 src1_sel:DWORD
	v_lshlrev_b16_e32 v7, 8, v7
	v_or_b32_e32 v9, 0x700, v0
	v_or_b32_sdwa v6, v6, v7 dst_sel:WORD_1 dst_unused:UNUSED_PAD src0_sel:DWORD src1_sel:DWORD
	v_and_or_b32 v6, v2, s2, v6
	v_cmp_gt_i32_e32 vcc, s40, v9
	v_cndmask_b32_e32 v6, v2, v6, vcc
	v_ashrrev_i32_sdwa v7, v8, sext(v3) dst_sel:DWORD dst_unused:UNUSED_PAD src0_sel:DWORD src1_sel:BYTE_1
	v_cmp_gt_u16_sdwa vcc, v8, v22 src0_sel:BYTE_0 src1_sel:DWORD
	v_or_b32_e32 v2, 0x800, v0
	v_cndmask_b32_e32 v7, v7, v1, vcc
	v_and_b32_sdwa v7, s2, v7 dst_sel:DWORD dst_unused:UNUSED_PAD src0_sel:DWORD src1_sel:BYTE_0
	v_cmp_gt_i32_e32 vcc, s40, v2
	v_cndmask_b32_e32 v2, 0, v7, vcc
	v_ashrrev_i32_sdwa v8, v11, sext(v3) dst_sel:DWORD dst_unused:UNUSED_PAD src0_sel:DWORD src1_sel:BYTE_1
	v_cmp_gt_u16_sdwa vcc, v11, v22 src0_sel:BYTE_0 src1_sel:DWORD
	v_cndmask_b32_e32 v8, v8, v1, vcc
	v_lshlrev_b16_e32 v8, 8, v8
	v_or_b32_e32 v7, 0x900, v0
	v_or_b32_e32 v8, v2, v8
	v_and_b32_e32 v8, 0xffff, v8
	v_cmp_gt_i32_e32 vcc, s40, v7
	v_cndmask_b32_e32 v2, v2, v8, vcc
	v_ashrrev_i32_sdwa v8, v13, sext(v3) dst_sel:DWORD dst_unused:UNUSED_PAD src0_sel:DWORD src1_sel:BYTE_1
	v_cmp_gt_u16_sdwa vcc, v13, v22 src0_sel:BYTE_0 src1_sel:DWORD
	v_cndmask_b32_e32 v8, v8, v1, vcc
	v_or_b32_e32 v7, 0xa00, v0
	v_perm_b32 v8, v8, v2, s3
	v_lshl_or_b32 v8, v8, 16, v2
	v_cmp_gt_i32_e32 vcc, s40, v7
	v_cndmask_b32_e32 v2, v2, v8, vcc
	v_ashrrev_i32_sdwa v9, v16, sext(v3) dst_sel:DWORD dst_unused:UNUSED_PAD src0_sel:DWORD src1_sel:BYTE_1
	v_cmp_gt_u16_sdwa vcc, v16, v22 src0_sel:BYTE_0 src1_sel:DWORD
	v_cndmask_b32_e32 v9, v9, v1, vcc
	v_and_b32_sdwa v7, v2, s4 dst_sel:DWORD dst_unused:UNUSED_PAD src0_sel:WORD_1 src1_sel:DWORD
	v_lshlrev_b16_e32 v9, 8, v9
	v_or_b32_e32 v8, 0xb00, v0
	v_or_b32_sdwa v7, v7, v9 dst_sel:WORD_1 dst_unused:UNUSED_PAD src0_sel:DWORD src1_sel:DWORD
	v_and_or_b32 v7, v2, s2, v7
	v_cmp_gt_i32_e32 vcc, s40, v8
	v_cndmask_b32_e32 v2, v2, v7, vcc
	v_ashrrev_i32_sdwa v7, v18, sext(v3) dst_sel:DWORD dst_unused:UNUSED_PAD src0_sel:DWORD src1_sel:BYTE_1
	v_cmp_gt_u16_sdwa vcc, v18, v22 src0_sel:BYTE_0 src1_sel:DWORD
	v_cndmask_b32_e32 v7, v7, v1, vcc
	v_or_b32_e32 v8, 0xc00, v0
	v_perm_b32 v7, v7, 0, s5
	v_cmp_gt_i32_e32 vcc, s40, v8
	v_cndmask_b32_e32 v7, 0, v7, vcc
	v_ashrrev_i32_sdwa v8, v19, sext(v3) dst_sel:DWORD dst_unused:UNUSED_PAD src0_sel:DWORD src1_sel:BYTE_1
	v_cmp_gt_u16_sdwa vcc, v19, v22 src0_sel:BYTE_0 src1_sel:DWORD
	v_cndmask_b32_e32 v8, v8, v1, vcc
	v_lshlrev_b16_e32 v8, 8, v8
	v_or_b32_sdwa v8, v7, v8 dst_sel:DWORD dst_unused:UNUSED_PAD src0_sel:BYTE_0 src1_sel:DWORD
	v_and_b32_e32 v8, 0xffff, v8
	v_or_b32_e32 v9, 0xd00, v0
	v_and_or_b32 v8, v7, s6, v8
	v_cmp_gt_i32_e32 vcc, s40, v9
	v_cndmask_b32_e32 v7, v7, v8, vcc
	v_ashrrev_i32_sdwa v9, v20, sext(v3) dst_sel:DWORD dst_unused:UNUSED_PAD src0_sel:DWORD src1_sel:BYTE_1
	v_cmp_gt_u16_sdwa vcc, v20, v22 src0_sel:BYTE_0 src1_sel:DWORD
	v_or_b32_e32 v8, 0xe00, v0
	v_cndmask_b32_e32 v9, v9, v1, vcc
	v_perm_b32 v9, v7, v9, s7
	v_cmp_gt_i32_e32 vcc, s40, v8
	v_cndmask_b32_e32 v7, v7, v9, vcc
	v_cmp_gt_u16_sdwa vcc, v21, v22 src0_sel:BYTE_0 src1_sel:DWORD
	v_ashrrev_i32_sdwa v3, v21, sext(v3) dst_sel:DWORD dst_unused:UNUSED_PAD src0_sel:DWORD src1_sel:BYTE_1
	v_and_b32_sdwa v8, v7, s4 dst_sel:DWORD dst_unused:UNUSED_PAD src0_sel:WORD_1 src1_sel:DWORD
	v_cndmask_b32_sdwa v1, v3, v1, vcc dst_sel:BYTE_1 dst_unused:UNUSED_PAD src0_sel:DWORD src1_sel:DWORD
	v_or_b32_e32 v9, 0xf00, v0
	v_or_b32_sdwa v1, v8, v1 dst_sel:WORD_1 dst_unused:UNUSED_PAD src0_sel:DWORD src1_sel:DWORD
	v_and_or_b32 v1, v7, s2, v1
	v_cmp_gt_i32_e32 vcc, s40, v9
	v_cndmask_b32_e32 v1, v7, v1, vcc
	s_and_saveexec_b64 s[2:3], s[0:1]
	s_cbranch_execnz .LBB146_53
; %bb.36:
	s_or_b64 exec, exec, s[2:3]
	v_cmp_gt_i32_e32 vcc, s40, v0
	s_and_saveexec_b64 s[0:1], vcc
	s_cbranch_execnz .LBB146_54
.LBB146_37:
	s_or_b64 exec, exec, s[0:1]
	v_cmp_gt_i32_e32 vcc, s40, v0
	s_and_saveexec_b64 s[0:1], vcc
	s_cbranch_execnz .LBB146_55
.LBB146_38:
	s_or_b64 exec, exec, s[0:1]
	v_cmp_gt_i32_e32 vcc, s40, v0
	s_and_saveexec_b64 s[0:1], vcc
	s_cbranch_execnz .LBB146_56
.LBB146_39:
	s_or_b64 exec, exec, s[0:1]
	v_cmp_gt_i32_e32 vcc, s40, v0
	s_and_saveexec_b64 s[0:1], vcc
	s_cbranch_execnz .LBB146_57
.LBB146_40:
	s_or_b64 exec, exec, s[0:1]
	v_cmp_gt_i32_e32 vcc, s40, v0
	s_and_saveexec_b64 s[0:1], vcc
	s_cbranch_execnz .LBB146_58
.LBB146_41:
	s_or_b64 exec, exec, s[0:1]
	v_cmp_gt_i32_e32 vcc, s40, v0
	s_and_saveexec_b64 s[0:1], vcc
	s_cbranch_execnz .LBB146_59
.LBB146_42:
	s_or_b64 exec, exec, s[0:1]
	v_cmp_gt_i32_e32 vcc, s40, v0
	s_and_saveexec_b64 s[0:1], vcc
	s_cbranch_execnz .LBB146_60
.LBB146_43:
	s_or_b64 exec, exec, s[0:1]
	v_cmp_gt_i32_e32 vcc, s40, v0
	s_and_saveexec_b64 s[0:1], vcc
	s_cbranch_execnz .LBB146_61
.LBB146_44:
	s_or_b64 exec, exec, s[0:1]
	v_cmp_gt_i32_e32 vcc, s40, v0
	s_and_saveexec_b64 s[0:1], vcc
	s_cbranch_execnz .LBB146_62
.LBB146_45:
	s_or_b64 exec, exec, s[0:1]
	v_cmp_gt_i32_e32 vcc, s40, v0
	s_and_saveexec_b64 s[0:1], vcc
	s_cbranch_execnz .LBB146_63
.LBB146_46:
	s_or_b64 exec, exec, s[0:1]
	v_cmp_gt_i32_e32 vcc, s40, v0
	s_and_saveexec_b64 s[0:1], vcc
	s_cbranch_execnz .LBB146_64
.LBB146_47:
	s_or_b64 exec, exec, s[0:1]
	v_cmp_gt_i32_e32 vcc, s40, v0
	s_and_saveexec_b64 s[0:1], vcc
	s_cbranch_execnz .LBB146_65
.LBB146_48:
	s_or_b64 exec, exec, s[0:1]
	v_cmp_gt_i32_e32 vcc, s40, v0
	s_and_saveexec_b64 s[0:1], vcc
	s_cbranch_execnz .LBB146_66
.LBB146_49:
	s_or_b64 exec, exec, s[0:1]
	v_cmp_gt_i32_e32 vcc, s40, v0
	s_and_saveexec_b64 s[0:1], vcc
	s_cbranch_execnz .LBB146_67
.LBB146_50:
	s_or_b64 exec, exec, s[0:1]
	v_cmp_gt_i32_e32 vcc, s40, v0
	s_and_saveexec_b64 s[0:1], vcc
	s_cbranch_execz .LBB146_52
.LBB146_51:
	v_lshrrev_b32_e32 v1, 24, v1
	v_add_u32_e32 v0, s33, v0
	global_store_byte v0, v1, s[36:37]
.LBB146_52:
	s_endpgm
.LBB146_53:
	v_mov_b32_e32 v0, v4
	global_store_byte v5, v12, s[36:37]
	s_or_b64 exec, exec, s[2:3]
	v_cmp_gt_i32_e32 vcc, s40, v0
	s_and_saveexec_b64 s[0:1], vcc
	s_cbranch_execz .LBB146_37
.LBB146_54:
	v_lshrrev_b32_e32 v3, 8, v12
	v_add_u32_e32 v4, s33, v0
	v_add_u32_e32 v0, 0x100, v0
	global_store_byte v4, v3, s[36:37]
	s_or_b64 exec, exec, s[0:1]
	v_cmp_gt_i32_e32 vcc, s40, v0
	s_and_saveexec_b64 s[0:1], vcc
	s_cbranch_execz .LBB146_38
.LBB146_55:
	v_add_u32_e32 v3, s33, v0
	v_add_u32_e32 v0, 0x100, v0
	global_store_byte_d16_hi v3, v12, s[36:37]
	s_or_b64 exec, exec, s[0:1]
	v_cmp_gt_i32_e32 vcc, s40, v0
	s_and_saveexec_b64 s[0:1], vcc
	s_cbranch_execz .LBB146_39
.LBB146_56:
	v_lshrrev_b32_e32 v3, 24, v12
	v_add_u32_e32 v4, s33, v0
	v_add_u32_e32 v0, 0x100, v0
	global_store_byte v4, v3, s[36:37]
	s_or_b64 exec, exec, s[0:1]
	v_cmp_gt_i32_e32 vcc, s40, v0
	s_and_saveexec_b64 s[0:1], vcc
	s_cbranch_execz .LBB146_40
.LBB146_57:
	v_add_u32_e32 v3, s33, v0
	v_add_u32_e32 v0, 0x100, v0
	global_store_byte v3, v6, s[36:37]
	s_or_b64 exec, exec, s[0:1]
	v_cmp_gt_i32_e32 vcc, s40, v0
	s_and_saveexec_b64 s[0:1], vcc
	s_cbranch_execz .LBB146_41
.LBB146_58:
	v_lshrrev_b32_e32 v3, 8, v6
	v_add_u32_e32 v4, s33, v0
	v_add_u32_e32 v0, 0x100, v0
	global_store_byte v4, v3, s[36:37]
	s_or_b64 exec, exec, s[0:1]
	v_cmp_gt_i32_e32 vcc, s40, v0
	s_and_saveexec_b64 s[0:1], vcc
	s_cbranch_execz .LBB146_42
.LBB146_59:
	v_add_u32_e32 v3, s33, v0
	v_add_u32_e32 v0, 0x100, v0
	global_store_byte_d16_hi v3, v6, s[36:37]
	s_or_b64 exec, exec, s[0:1]
	v_cmp_gt_i32_e32 vcc, s40, v0
	s_and_saveexec_b64 s[0:1], vcc
	s_cbranch_execz .LBB146_43
.LBB146_60:
	v_lshrrev_b32_e32 v3, 24, v6
	v_add_u32_e32 v4, s33, v0
	v_add_u32_e32 v0, 0x100, v0
	global_store_byte v4, v3, s[36:37]
	s_or_b64 exec, exec, s[0:1]
	v_cmp_gt_i32_e32 vcc, s40, v0
	s_and_saveexec_b64 s[0:1], vcc
	s_cbranch_execz .LBB146_44
.LBB146_61:
	v_add_u32_e32 v3, s33, v0
	v_add_u32_e32 v0, 0x100, v0
	global_store_byte v3, v2, s[36:37]
	s_or_b64 exec, exec, s[0:1]
	v_cmp_gt_i32_e32 vcc, s40, v0
	s_and_saveexec_b64 s[0:1], vcc
	s_cbranch_execz .LBB146_45
.LBB146_62:
	v_lshrrev_b32_e32 v3, 8, v2
	v_add_u32_e32 v4, s33, v0
	v_add_u32_e32 v0, 0x100, v0
	global_store_byte v4, v3, s[36:37]
	s_or_b64 exec, exec, s[0:1]
	v_cmp_gt_i32_e32 vcc, s40, v0
	s_and_saveexec_b64 s[0:1], vcc
	s_cbranch_execz .LBB146_46
.LBB146_63:
	v_add_u32_e32 v3, s33, v0
	v_add_u32_e32 v0, 0x100, v0
	global_store_byte_d16_hi v3, v2, s[36:37]
	s_or_b64 exec, exec, s[0:1]
	v_cmp_gt_i32_e32 vcc, s40, v0
	s_and_saveexec_b64 s[0:1], vcc
	s_cbranch_execz .LBB146_47
.LBB146_64:
	v_lshrrev_b32_e32 v2, 24, v2
	v_add_u32_e32 v3, s33, v0
	v_add_u32_e32 v0, 0x100, v0
	global_store_byte v3, v2, s[36:37]
	s_or_b64 exec, exec, s[0:1]
	v_cmp_gt_i32_e32 vcc, s40, v0
	s_and_saveexec_b64 s[0:1], vcc
	s_cbranch_execz .LBB146_48
.LBB146_65:
	v_add_u32_e32 v2, s33, v0
	v_add_u32_e32 v0, 0x100, v0
	global_store_byte v2, v1, s[36:37]
	s_or_b64 exec, exec, s[0:1]
	v_cmp_gt_i32_e32 vcc, s40, v0
	s_and_saveexec_b64 s[0:1], vcc
	s_cbranch_execz .LBB146_49
.LBB146_66:
	v_lshrrev_b32_e32 v2, 8, v1
	v_add_u32_e32 v3, s33, v0
	v_add_u32_e32 v0, 0x100, v0
	global_store_byte v3, v2, s[36:37]
	s_or_b64 exec, exec, s[0:1]
	v_cmp_gt_i32_e32 vcc, s40, v0
	s_and_saveexec_b64 s[0:1], vcc
	s_cbranch_execz .LBB146_50
.LBB146_67:
	v_add_u32_e32 v2, s33, v0
	v_add_u32_e32 v0, 0x100, v0
	global_store_byte_d16_hi v2, v1, s[36:37]
	s_or_b64 exec, exec, s[0:1]
	v_cmp_gt_i32_e32 vcc, s40, v0
	s_and_saveexec_b64 s[0:1], vcc
	s_cbranch_execnz .LBB146_51
	s_branch .LBB146_52
	.section	.rodata,"a",@progbits
	.p2align	6, 0x0
	.amdhsa_kernel _ZN2at6native29vectorized_elementwise_kernelILi4ENS0_13AUnaryFunctorIaaaZZZNS0_18rshift_kernel_cudaERNS_18TensorIteratorBaseEENKUlvE_clEvENKUlvE0_clEvEUlaaE_EESt5arrayIPcLm2EEEEviT0_T1_
		.amdhsa_group_segment_fixed_size 0
		.amdhsa_private_segment_fixed_size 0
		.amdhsa_kernarg_size 24
		.amdhsa_user_sgpr_count 6
		.amdhsa_user_sgpr_private_segment_buffer 1
		.amdhsa_user_sgpr_dispatch_ptr 0
		.amdhsa_user_sgpr_queue_ptr 0
		.amdhsa_user_sgpr_kernarg_segment_ptr 1
		.amdhsa_user_sgpr_dispatch_id 0
		.amdhsa_user_sgpr_flat_scratch_init 0
		.amdhsa_user_sgpr_private_segment_size 0
		.amdhsa_uses_dynamic_stack 0
		.amdhsa_system_sgpr_private_segment_wavefront_offset 0
		.amdhsa_system_sgpr_workgroup_id_x 1
		.amdhsa_system_sgpr_workgroup_id_y 0
		.amdhsa_system_sgpr_workgroup_id_z 0
		.amdhsa_system_sgpr_workgroup_info 0
		.amdhsa_system_vgpr_workitem_id 0
		.amdhsa_next_free_vgpr 23
		.amdhsa_next_free_sgpr 41
		.amdhsa_reserve_vcc 1
		.amdhsa_reserve_flat_scratch 0
		.amdhsa_float_round_mode_32 0
		.amdhsa_float_round_mode_16_64 0
		.amdhsa_float_denorm_mode_32 3
		.amdhsa_float_denorm_mode_16_64 3
		.amdhsa_dx10_clamp 1
		.amdhsa_ieee_mode 1
		.amdhsa_fp16_overflow 0
		.amdhsa_exception_fp_ieee_invalid_op 0
		.amdhsa_exception_fp_denorm_src 0
		.amdhsa_exception_fp_ieee_div_zero 0
		.amdhsa_exception_fp_ieee_overflow 0
		.amdhsa_exception_fp_ieee_underflow 0
		.amdhsa_exception_fp_ieee_inexact 0
		.amdhsa_exception_int_div_zero 0
	.end_amdhsa_kernel
	.section	.text._ZN2at6native29vectorized_elementwise_kernelILi4ENS0_13AUnaryFunctorIaaaZZZNS0_18rshift_kernel_cudaERNS_18TensorIteratorBaseEENKUlvE_clEvENKUlvE0_clEvEUlaaE_EESt5arrayIPcLm2EEEEviT0_T1_,"axG",@progbits,_ZN2at6native29vectorized_elementwise_kernelILi4ENS0_13AUnaryFunctorIaaaZZZNS0_18rshift_kernel_cudaERNS_18TensorIteratorBaseEENKUlvE_clEvENKUlvE0_clEvEUlaaE_EESt5arrayIPcLm2EEEEviT0_T1_,comdat
.Lfunc_end146:
	.size	_ZN2at6native29vectorized_elementwise_kernelILi4ENS0_13AUnaryFunctorIaaaZZZNS0_18rshift_kernel_cudaERNS_18TensorIteratorBaseEENKUlvE_clEvENKUlvE0_clEvEUlaaE_EESt5arrayIPcLm2EEEEviT0_T1_, .Lfunc_end146-_ZN2at6native29vectorized_elementwise_kernelILi4ENS0_13AUnaryFunctorIaaaZZZNS0_18rshift_kernel_cudaERNS_18TensorIteratorBaseEENKUlvE_clEvENKUlvE0_clEvEUlaaE_EESt5arrayIPcLm2EEEEviT0_T1_
                                        ; -- End function
	.set _ZN2at6native29vectorized_elementwise_kernelILi4ENS0_13AUnaryFunctorIaaaZZZNS0_18rshift_kernel_cudaERNS_18TensorIteratorBaseEENKUlvE_clEvENKUlvE0_clEvEUlaaE_EESt5arrayIPcLm2EEEEviT0_T1_.num_vgpr, 23
	.set _ZN2at6native29vectorized_elementwise_kernelILi4ENS0_13AUnaryFunctorIaaaZZZNS0_18rshift_kernel_cudaERNS_18TensorIteratorBaseEENKUlvE_clEvENKUlvE0_clEvEUlaaE_EESt5arrayIPcLm2EEEEviT0_T1_.num_agpr, 0
	.set _ZN2at6native29vectorized_elementwise_kernelILi4ENS0_13AUnaryFunctorIaaaZZZNS0_18rshift_kernel_cudaERNS_18TensorIteratorBaseEENKUlvE_clEvENKUlvE0_clEvEUlaaE_EESt5arrayIPcLm2EEEEviT0_T1_.numbered_sgpr, 41
	.set _ZN2at6native29vectorized_elementwise_kernelILi4ENS0_13AUnaryFunctorIaaaZZZNS0_18rshift_kernel_cudaERNS_18TensorIteratorBaseEENKUlvE_clEvENKUlvE0_clEvEUlaaE_EESt5arrayIPcLm2EEEEviT0_T1_.num_named_barrier, 0
	.set _ZN2at6native29vectorized_elementwise_kernelILi4ENS0_13AUnaryFunctorIaaaZZZNS0_18rshift_kernel_cudaERNS_18TensorIteratorBaseEENKUlvE_clEvENKUlvE0_clEvEUlaaE_EESt5arrayIPcLm2EEEEviT0_T1_.private_seg_size, 0
	.set _ZN2at6native29vectorized_elementwise_kernelILi4ENS0_13AUnaryFunctorIaaaZZZNS0_18rshift_kernel_cudaERNS_18TensorIteratorBaseEENKUlvE_clEvENKUlvE0_clEvEUlaaE_EESt5arrayIPcLm2EEEEviT0_T1_.uses_vcc, 1
	.set _ZN2at6native29vectorized_elementwise_kernelILi4ENS0_13AUnaryFunctorIaaaZZZNS0_18rshift_kernel_cudaERNS_18TensorIteratorBaseEENKUlvE_clEvENKUlvE0_clEvEUlaaE_EESt5arrayIPcLm2EEEEviT0_T1_.uses_flat_scratch, 0
	.set _ZN2at6native29vectorized_elementwise_kernelILi4ENS0_13AUnaryFunctorIaaaZZZNS0_18rshift_kernel_cudaERNS_18TensorIteratorBaseEENKUlvE_clEvENKUlvE0_clEvEUlaaE_EESt5arrayIPcLm2EEEEviT0_T1_.has_dyn_sized_stack, 0
	.set _ZN2at6native29vectorized_elementwise_kernelILi4ENS0_13AUnaryFunctorIaaaZZZNS0_18rshift_kernel_cudaERNS_18TensorIteratorBaseEENKUlvE_clEvENKUlvE0_clEvEUlaaE_EESt5arrayIPcLm2EEEEviT0_T1_.has_recursion, 0
	.set _ZN2at6native29vectorized_elementwise_kernelILi4ENS0_13AUnaryFunctorIaaaZZZNS0_18rshift_kernel_cudaERNS_18TensorIteratorBaseEENKUlvE_clEvENKUlvE0_clEvEUlaaE_EESt5arrayIPcLm2EEEEviT0_T1_.has_indirect_call, 0
	.section	.AMDGPU.csdata,"",@progbits
; Kernel info:
; codeLenInByte = 3568
; TotalNumSgprs: 45
; NumVgprs: 23
; ScratchSize: 0
; MemoryBound: 0
; FloatMode: 240
; IeeeMode: 1
; LDSByteSize: 0 bytes/workgroup (compile time only)
; SGPRBlocks: 5
; VGPRBlocks: 5
; NumSGPRsForWavesPerEU: 45
; NumVGPRsForWavesPerEU: 23
; Occupancy: 10
; WaveLimiterHint : 1
; COMPUTE_PGM_RSRC2:SCRATCH_EN: 0
; COMPUTE_PGM_RSRC2:USER_SGPR: 6
; COMPUTE_PGM_RSRC2:TRAP_HANDLER: 0
; COMPUTE_PGM_RSRC2:TGID_X_EN: 1
; COMPUTE_PGM_RSRC2:TGID_Y_EN: 0
; COMPUTE_PGM_RSRC2:TGID_Z_EN: 0
; COMPUTE_PGM_RSRC2:TIDIG_COMP_CNT: 0
	.section	.text._ZN2at6native29vectorized_elementwise_kernelILi2ENS0_13AUnaryFunctorIaaaZZZNS0_18rshift_kernel_cudaERNS_18TensorIteratorBaseEENKUlvE_clEvENKUlvE0_clEvEUlaaE_EESt5arrayIPcLm2EEEEviT0_T1_,"axG",@progbits,_ZN2at6native29vectorized_elementwise_kernelILi2ENS0_13AUnaryFunctorIaaaZZZNS0_18rshift_kernel_cudaERNS_18TensorIteratorBaseEENKUlvE_clEvENKUlvE0_clEvEUlaaE_EESt5arrayIPcLm2EEEEviT0_T1_,comdat
	.globl	_ZN2at6native29vectorized_elementwise_kernelILi2ENS0_13AUnaryFunctorIaaaZZZNS0_18rshift_kernel_cudaERNS_18TensorIteratorBaseEENKUlvE_clEvENKUlvE0_clEvEUlaaE_EESt5arrayIPcLm2EEEEviT0_T1_ ; -- Begin function _ZN2at6native29vectorized_elementwise_kernelILi2ENS0_13AUnaryFunctorIaaaZZZNS0_18rshift_kernel_cudaERNS_18TensorIteratorBaseEENKUlvE_clEvENKUlvE0_clEvEUlaaE_EESt5arrayIPcLm2EEEEviT0_T1_
	.p2align	8
	.type	_ZN2at6native29vectorized_elementwise_kernelILi2ENS0_13AUnaryFunctorIaaaZZZNS0_18rshift_kernel_cudaERNS_18TensorIteratorBaseEENKUlvE_clEvENKUlvE0_clEvEUlaaE_EESt5arrayIPcLm2EEEEviT0_T1_,@function
_ZN2at6native29vectorized_elementwise_kernelILi2ENS0_13AUnaryFunctorIaaaZZZNS0_18rshift_kernel_cudaERNS_18TensorIteratorBaseEENKUlvE_clEvENKUlvE0_clEvEUlaaE_EESt5arrayIPcLm2EEEEviT0_T1_: ; @_ZN2at6native29vectorized_elementwise_kernelILi2ENS0_13AUnaryFunctorIaaaZZZNS0_18rshift_kernel_cudaERNS_18TensorIteratorBaseEENKUlvE_clEvENKUlvE0_clEvEUlaaE_EESt5arrayIPcLm2EEEEviT0_T1_
; %bb.0:
	v_mov_b32_e32 v1, 0
	global_load_ushort v3, v1, s[4:5] offset:4
	s_load_dword s0, s[4:5], 0x0
	s_load_dwordx4 s[36:39], s[4:5], 0x8
	s_lshl_b32 s33, s6, 12
	s_waitcnt lgkmcnt(0)
	s_sub_i32 s40, s0, s33
	s_cmpk_gt_i32 s40, 0xfff
	s_mov_b64 s[0:1], -1
	s_cbranch_scc0 .LBB147_2
; %bb.1:
	s_ashr_i32 s30, s33, 31
	s_add_u32 s26, s38, s33
	s_addc_u32 s27, s39, s30
	v_lshlrev_b32_e32 v1, 1, v0
	global_load_ushort v2, v1, s[26:27] offset:512
	global_load_ushort v4, v1, s[26:27] offset:1024
	;; [unrolled: 1-line block ×7, first 2 shown]
	v_mov_b32_e32 v11, 6
	s_mov_b32 s28, 0xffff
	v_mov_b32_e32 v10, 15
	s_waitcnt vmcnt(7)
	v_lshrrev_b32_sdwa v10, v10, sext(v3) dst_sel:DWORD dst_unused:UNUSED_PAD src0_sel:DWORD src1_sel:WORD_0
	s_waitcnt vmcnt(6)
	v_and_b32_sdwa v12, s28, v2 dst_sel:DWORD dst_unused:UNUSED_PAD src0_sel:DWORD src1_sel:BYTE_0
	v_ashrrev_i32_sdwa v13, v2, sext(v3) dst_sel:DWORD dst_unused:UNUSED_PAD src0_sel:BYTE_1 src1_sel:BYTE_1
	v_cmp_gt_u16_sdwa vcc, v2, v11 src0_sel:BYTE_1 src1_sel:DWORD
	s_waitcnt vmcnt(5)
	v_and_b32_sdwa v14, s28, v4 dst_sel:DWORD dst_unused:UNUSED_PAD src0_sel:DWORD src1_sel:BYTE_0
	v_ashrrev_i32_sdwa v15, v4, sext(v3) dst_sel:DWORD dst_unused:UNUSED_PAD src0_sel:BYTE_1 src1_sel:BYTE_1
	v_cmp_gt_u16_sdwa s[0:1], v4, v11 src0_sel:BYTE_1 src1_sel:DWORD
	s_waitcnt vmcnt(4)
	v_and_b32_sdwa v16, s28, v5 dst_sel:DWORD dst_unused:UNUSED_PAD src0_sel:DWORD src1_sel:BYTE_0
	v_ashrrev_i32_sdwa v17, v5, sext(v3) dst_sel:DWORD dst_unused:UNUSED_PAD src0_sel:BYTE_1 src1_sel:BYTE_1
	v_cmp_gt_u16_sdwa s[2:3], v5, v11 src0_sel:BYTE_1 src1_sel:DWORD
	;; [unrolled: 4-line block ×3, first 2 shown]
	v_cmp_gt_u16_sdwa s[6:7], v2, v11 src0_sel:BYTE_0 src1_sel:DWORD
	s_waitcnt vmcnt(2)
	v_and_b32_sdwa v2, s28, v7 dst_sel:DWORD dst_unused:UNUSED_PAD src0_sel:DWORD src1_sel:BYTE_0
	v_cmp_gt_u16_sdwa s[8:9], v4, v11 src0_sel:BYTE_0 src1_sel:DWORD
	v_ashrrev_i32_sdwa v4, v7, sext(v3) dst_sel:DWORD dst_unused:UNUSED_PAD src0_sel:BYTE_1 src1_sel:BYTE_1
	v_cmp_gt_u16_sdwa s[10:11], v7, v11 src0_sel:BYTE_1 src1_sel:DWORD
	v_cmp_gt_u16_sdwa s[12:13], v5, v11 src0_sel:BYTE_0 src1_sel:DWORD
	s_waitcnt vmcnt(1)
	v_and_b32_sdwa v5, s28, v8 dst_sel:DWORD dst_unused:UNUSED_PAD src0_sel:DWORD src1_sel:BYTE_0
	v_cmp_gt_u16_sdwa s[14:15], v6, v11 src0_sel:BYTE_0 src1_sel:DWORD
	v_ashrrev_i32_sdwa v6, v8, sext(v3) dst_sel:DWORD dst_unused:UNUSED_PAD src0_sel:BYTE_1 src1_sel:BYTE_1
	v_cmp_gt_u16_sdwa s[16:17], v8, v11 src0_sel:BYTE_1 src1_sel:DWORD
	;; [unrolled: 6-line block ×3, first 2 shown]
	v_cmp_gt_u16_sdwa s[24:25], v9, v11 src0_sel:BYTE_0 src1_sel:DWORD
	global_load_ushort v9, v1, s[26:27]
	v_ashrrev_i32_sdwa v12, v12, sext(v3) dst_sel:DWORD dst_unused:UNUSED_PAD src0_sel:DWORD src1_sel:BYTE_1
	v_ashrrev_i32_sdwa v14, v14, sext(v3) dst_sel:DWORD dst_unused:UNUSED_PAD src0_sel:DWORD src1_sel:BYTE_1
	;; [unrolled: 1-line block ×7, first 2 shown]
	v_cndmask_b32_e64 v4, v4, v10, s[10:11]
	v_cndmask_b32_e64 v6, v6, v10, s[16:17]
	v_cndmask_b32_e64 v8, v8, v10, s[22:23]
	v_cndmask_b32_e64 v12, v12, v10, s[6:7]
	v_cndmask_b32_e64 v14, v14, v10, s[8:9]
	v_cndmask_b32_e64 v16, v16, v10, s[12:13]
	v_cndmask_b32_e64 v18, v18, v10, s[14:15]
	v_cndmask_b32_e64 v2, v2, v10, s[18:19]
	v_cndmask_b32_e64 v5, v5, v10, s[20:21]
	v_cndmask_b32_e64 v7, v7, v10, s[24:25]
	v_lshlrev_b16_e32 v8, 8, v8
	v_lshlrev_b16_e32 v6, 8, v6
	;; [unrolled: 1-line block ×3, first 2 shown]
	v_or_b32_sdwa v7, v7, v8 dst_sel:DWORD dst_unused:UNUSED_PAD src0_sel:BYTE_0 src1_sel:DWORD
	v_or_b32_sdwa v5, v5, v6 dst_sel:DWORD dst_unused:UNUSED_PAD src0_sel:BYTE_0 src1_sel:DWORD
	;; [unrolled: 1-line block ×3, first 2 shown]
	s_waitcnt vmcnt(0)
	v_and_b32_sdwa v20, s28, v9 dst_sel:DWORD dst_unused:UNUSED_PAD src0_sel:DWORD src1_sel:BYTE_0
	v_ashrrev_i32_sdwa v21, v9, sext(v3) dst_sel:DWORD dst_unused:UNUSED_PAD src0_sel:BYTE_1 src1_sel:BYTE_1
	v_cmp_gt_u16_sdwa s[28:29], v9, v11 src0_sel:BYTE_1 src1_sel:DWORD
	v_ashrrev_i32_sdwa v20, v20, sext(v3) dst_sel:DWORD dst_unused:UNUSED_PAD src0_sel:DWORD src1_sel:BYTE_1
	v_cmp_gt_u16_sdwa s[26:27], v9, v11 src0_sel:BYTE_0 src1_sel:DWORD
	v_cndmask_b32_e64 v9, v21, v10, s[28:29]
	v_cndmask_b32_e32 v11, v13, v10, vcc
	v_cndmask_b32_e64 v13, v15, v10, s[0:1]
	v_cndmask_b32_e64 v15, v17, v10, s[2:3]
	;; [unrolled: 1-line block ×4, first 2 shown]
	v_lshlrev_b16_e32 v9, 8, v9
	s_add_u32 s0, s36, s33
	v_lshlrev_b16_e32 v10, 8, v17
	v_lshlrev_b16_e32 v15, 8, v15
	;; [unrolled: 1-line block ×4, first 2 shown]
	v_or_b32_sdwa v9, v19, v9 dst_sel:DWORD dst_unused:UNUSED_PAD src0_sel:BYTE_0 src1_sel:DWORD
	s_addc_u32 s1, s37, s30
	v_or_b32_sdwa v4, v18, v10 dst_sel:DWORD dst_unused:UNUSED_PAD src0_sel:BYTE_0 src1_sel:DWORD
	v_or_b32_sdwa v6, v16, v15 dst_sel:DWORD dst_unused:UNUSED_PAD src0_sel:BYTE_0 src1_sel:DWORD
	;; [unrolled: 1-line block ×4, first 2 shown]
	global_store_short v1, v9, s[0:1]
	global_store_short v1, v10, s[0:1] offset:512
	global_store_short v1, v8, s[0:1] offset:1024
	;; [unrolled: 1-line block ×7, first 2 shown]
	s_mov_b64 s[0:1], 0
.LBB147_2:
	s_andn2_b64 vcc, exec, s[0:1]
	s_cbranch_vccnz .LBB147_52
; %bb.3:
	v_cmp_gt_i32_e64 s[0:1], s40, v0
	v_or_b32_e32 v4, 0x100, v0
	v_mov_b32_e32 v21, 0
	v_or_b32_e32 v5, s33, v0
	v_mov_b32_e32 v20, 0
	v_mov_b32_e32 v19, 0
	v_mov_b32_e32 v18, 0
	v_mov_b32_e32 v16, 0
	v_mov_b32_e32 v13, 0
	v_mov_b32_e32 v11, 0
	v_mov_b32_e32 v8, 0
	v_mov_b32_e32 v7, 0
	v_mov_b32_e32 v6, 0
	v_mov_b32_e32 v10, 0
	v_mov_b32_e32 v9, 0
	v_mov_b32_e32 v12, 0
	v_mov_b32_e32 v15, 0
	v_mov_b32_e32 v17, 0
	v_mov_b32_e32 v14, 0
	s_and_saveexec_b64 s[2:3], s[0:1]
	s_cbranch_execz .LBB147_35
; %bb.4:
	global_load_ubyte v14, v5, s[38:39]
	v_cmp_gt_u32_e32 vcc, s40, v4
	v_mov_b32_e32 v17, 0
	v_mov_b32_e32 v15, 0
	;; [unrolled: 1-line block ×15, first 2 shown]
	s_and_saveexec_b64 s[4:5], vcc
	s_cbranch_execz .LBB147_34
; %bb.5:
	v_add_u32_e32 v1, s33, v0
	global_load_ubyte v17, v1, s[38:39] offset:256
	v_or_b32_e32 v2, 0x200, v0
	v_mov_b32_e32 v15, 0
	v_cmp_gt_u32_e32 vcc, s40, v2
	v_mov_b32_e32 v12, 0
	v_mov_b32_e32 v9, 0
	;; [unrolled: 1-line block ×13, first 2 shown]
	s_and_saveexec_b64 s[6:7], vcc
	s_cbranch_execz .LBB147_33
; %bb.6:
	v_mov_b32_e32 v2, s39
	v_add_co_u32_e32 v1, vcc, s38, v1
	v_addc_co_u32_e32 v2, vcc, 0, v2, vcc
	global_load_ubyte v15, v[1:2], off offset:512
	v_or_b32_e32 v6, 0x300, v0
	v_cmp_gt_u32_e32 vcc, s40, v6
	v_mov_b32_e32 v12, 0
	v_mov_b32_e32 v9, 0
	;; [unrolled: 1-line block ×13, first 2 shown]
	s_and_saveexec_b64 s[8:9], vcc
	s_cbranch_execz .LBB147_32
; %bb.7:
	global_load_ubyte v12, v[1:2], off offset:768
	v_or_b32_e32 v6, 0x400, v0
	v_cmp_gt_u32_e32 vcc, s40, v6
	v_mov_b32_e32 v9, 0
	v_mov_b32_e32 v10, 0
	;; [unrolled: 1-line block ×12, first 2 shown]
	s_and_saveexec_b64 s[10:11], vcc
	s_cbranch_execz .LBB147_31
; %bb.8:
	global_load_ubyte v9, v[1:2], off offset:1024
	v_or_b32_e32 v6, 0x500, v0
	v_cmp_gt_u32_e32 vcc, s40, v6
	v_mov_b32_e32 v10, 0
	v_mov_b32_e32 v6, 0
	;; [unrolled: 1-line block ×11, first 2 shown]
	s_and_saveexec_b64 s[12:13], vcc
	s_cbranch_execz .LBB147_30
; %bb.9:
	global_load_ubyte v10, v[1:2], off offset:1280
	v_or_b32_e32 v6, 0x600, v0
	v_cmp_gt_u32_e32 vcc, s40, v6
	v_mov_b32_e32 v6, 0
	v_mov_b32_e32 v7, 0
	;; [unrolled: 1-line block ×10, first 2 shown]
	s_and_saveexec_b64 s[14:15], vcc
	s_cbranch_execz .LBB147_29
; %bb.10:
	global_load_ubyte v6, v[1:2], off offset:1536
	v_or_b32_e32 v7, 0x700, v0
	v_cmp_gt_u32_e32 vcc, s40, v7
	v_mov_b32_e32 v7, 0
	v_mov_b32_e32 v8, 0
	;; [unrolled: 1-line block ×9, first 2 shown]
	s_and_saveexec_b64 s[16:17], vcc
	s_cbranch_execz .LBB147_28
; %bb.11:
	global_load_ubyte v7, v[1:2], off offset:1792
	v_or_b32_e32 v8, 0x800, v0
	v_cmp_gt_u32_e32 vcc, s40, v8
	v_mov_b32_e32 v8, 0
	v_mov_b32_e32 v11, 0
	;; [unrolled: 1-line block ×8, first 2 shown]
	s_and_saveexec_b64 s[18:19], vcc
	s_cbranch_execz .LBB147_27
; %bb.12:
	global_load_ubyte v8, v[1:2], off offset:2048
	v_or_b32_e32 v11, 0x900, v0
	v_cmp_gt_u32_e32 vcc, s40, v11
	v_mov_b32_e32 v11, 0
	v_mov_b32_e32 v13, 0
	v_mov_b32_e32 v16, 0
	v_mov_b32_e32 v18, 0
	v_mov_b32_e32 v19, 0
	v_mov_b32_e32 v20, 0
	v_mov_b32_e32 v21, 0
	s_and_saveexec_b64 s[20:21], vcc
	s_cbranch_execz .LBB147_26
; %bb.13:
	global_load_ubyte v11, v[1:2], off offset:2304
	v_or_b32_e32 v13, 0xa00, v0
	v_cmp_gt_u32_e32 vcc, s40, v13
	v_mov_b32_e32 v13, 0
	v_mov_b32_e32 v16, 0
	;; [unrolled: 1-line block ×6, first 2 shown]
	s_and_saveexec_b64 s[22:23], vcc
	s_cbranch_execz .LBB147_25
; %bb.14:
	global_load_ubyte v13, v[1:2], off offset:2560
	v_or_b32_e32 v16, 0xb00, v0
	v_cmp_gt_u32_e32 vcc, s40, v16
	v_mov_b32_e32 v16, 0
	v_mov_b32_e32 v18, 0
	v_mov_b32_e32 v19, 0
	v_mov_b32_e32 v20, 0
	v_mov_b32_e32 v21, 0
	s_and_saveexec_b64 s[24:25], vcc
	s_cbranch_execz .LBB147_24
; %bb.15:
	global_load_ubyte v16, v[1:2], off offset:2816
	v_or_b32_e32 v18, 0xc00, v0
	v_cmp_gt_u32_e32 vcc, s40, v18
	v_mov_b32_e32 v18, 0
	v_mov_b32_e32 v19, 0
	;; [unrolled: 1-line block ×4, first 2 shown]
	s_and_saveexec_b64 s[26:27], vcc
	s_cbranch_execz .LBB147_23
; %bb.16:
	global_load_ubyte v18, v[1:2], off offset:3072
	v_or_b32_e32 v19, 0xd00, v0
	v_cmp_gt_u32_e32 vcc, s40, v19
	v_mov_b32_e32 v19, 0
	v_mov_b32_e32 v20, 0
	;; [unrolled: 1-line block ×3, first 2 shown]
	s_and_saveexec_b64 s[28:29], vcc
	s_cbranch_execz .LBB147_22
; %bb.17:
	global_load_ubyte v19, v[1:2], off offset:3328
	v_or_b32_e32 v20, 0xe00, v0
	v_cmp_gt_u32_e32 vcc, s40, v20
	v_mov_b32_e32 v20, 0
	v_mov_b32_e32 v21, 0
	s_and_saveexec_b64 s[30:31], vcc
	s_cbranch_execz .LBB147_21
; %bb.18:
	global_load_ubyte v20, v[1:2], off offset:3584
	v_or_b32_e32 v21, 0xf00, v0
	v_cmp_gt_u32_e32 vcc, s40, v21
	v_mov_b32_e32 v21, 0
	s_and_saveexec_b64 s[34:35], vcc
	s_cbranch_execz .LBB147_20
; %bb.19:
	global_load_ubyte v21, v[1:2], off offset:3840
.LBB147_20:
	s_or_b64 exec, exec, s[34:35]
.LBB147_21:
	s_or_b64 exec, exec, s[30:31]
.LBB147_22:
	s_or_b64 exec, exec, s[28:29]
.LBB147_23:
	s_or_b64 exec, exec, s[26:27]
.LBB147_24:
	s_or_b64 exec, exec, s[24:25]
.LBB147_25:
	s_or_b64 exec, exec, s[22:23]
.LBB147_26:
	s_or_b64 exec, exec, s[20:21]
.LBB147_27:
	s_or_b64 exec, exec, s[18:19]
.LBB147_28:
	s_or_b64 exec, exec, s[16:17]
.LBB147_29:
	s_or_b64 exec, exec, s[14:15]
.LBB147_30:
	s_or_b64 exec, exec, s[12:13]
.LBB147_31:
	s_or_b64 exec, exec, s[10:11]
.LBB147_32:
	s_or_b64 exec, exec, s[8:9]
.LBB147_33:
	s_or_b64 exec, exec, s[6:7]
.LBB147_34:
	s_or_b64 exec, exec, s[4:5]
.LBB147_35:
	s_or_b64 exec, exec, s[2:3]
	v_mov_b32_e32 v1, 15
	v_mov_b32_e32 v22, 6
	s_waitcnt vmcnt(0)
	v_lshrrev_b32_sdwa v1, v1, sext(v3) dst_sel:DWORD dst_unused:UNUSED_PAD src0_sel:DWORD src1_sel:WORD_0
	v_ashrrev_i32_sdwa v2, v17, sext(v3) dst_sel:DWORD dst_unused:UNUSED_PAD src0_sel:DWORD src1_sel:BYTE_1
	v_cmp_gt_u16_sdwa vcc, v17, v22 src0_sel:BYTE_0 src1_sel:DWORD
	v_ashrrev_i32_sdwa v17, v14, sext(v3) dst_sel:DWORD dst_unused:UNUSED_PAD src0_sel:DWORD src1_sel:BYTE_1
	v_cmp_gt_u16_sdwa s[2:3], v14, v22 src0_sel:BYTE_0 src1_sel:DWORD
	v_cndmask_b32_e64 v14, v17, v1, s[2:3]
	s_mov_b32 s2, 0xffff
	v_and_b32_sdwa v14, s2, v14 dst_sel:DWORD dst_unused:UNUSED_PAD src0_sel:DWORD src1_sel:BYTE_0
	v_cndmask_b32_e32 v2, v2, v1, vcc
	v_cndmask_b32_e64 v14, 0, v14, s[0:1]
	v_lshlrev_b16_e32 v2, 8, v2
	v_or_b32_e32 v2, v14, v2
	v_and_b32_e32 v2, 0xffff, v2
	v_cmp_gt_i32_e32 vcc, s40, v4
	v_cndmask_b32_e32 v2, v14, v2, vcc
	v_ashrrev_i32_sdwa v14, v15, sext(v3) dst_sel:DWORD dst_unused:UNUSED_PAD src0_sel:DWORD src1_sel:BYTE_1
	v_cmp_gt_u16_sdwa vcc, v15, v22 src0_sel:BYTE_0 src1_sel:DWORD
	v_cndmask_b32_e32 v14, v14, v1, vcc
	s_mov_b32 s3, 0xc0c0304
	v_perm_b32 v14, v14, v2, s3
	v_or_b32_e32 v15, 0x200, v0
	v_lshl_or_b32 v14, v14, 16, v2
	v_cmp_gt_i32_e32 vcc, s40, v15
	v_cndmask_b32_e32 v2, v2, v14, vcc
	v_ashrrev_i32_sdwa v14, v12, sext(v3) dst_sel:DWORD dst_unused:UNUSED_PAD src0_sel:DWORD src1_sel:BYTE_1
	v_cmp_gt_u16_sdwa vcc, v12, v22 src0_sel:BYTE_0 src1_sel:DWORD
	s_movk_i32 s4, 0xff
	v_cndmask_b32_e32 v14, v14, v1, vcc
	v_and_b32_sdwa v12, v2, s4 dst_sel:DWORD dst_unused:UNUSED_PAD src0_sel:WORD_1 src1_sel:DWORD
	v_lshlrev_b16_e32 v14, 8, v14
	v_or_b32_sdwa v12, v12, v14 dst_sel:WORD_1 dst_unused:UNUSED_PAD src0_sel:DWORD src1_sel:DWORD
	v_or_b32_e32 v14, 0x300, v0
	v_and_or_b32 v12, v2, s2, v12
	v_cmp_gt_i32_e32 vcc, s40, v14
	v_cndmask_b32_e32 v12, v2, v12, vcc
	v_ashrrev_i32_sdwa v2, v9, sext(v3) dst_sel:DWORD dst_unused:UNUSED_PAD src0_sel:DWORD src1_sel:BYTE_1
	v_cmp_gt_u16_sdwa vcc, v9, v22 src0_sel:BYTE_0 src1_sel:DWORD
	v_cndmask_b32_e32 v2, v2, v1, vcc
	s_mov_b32 s5, 0x3020104
	v_or_b32_e32 v9, 0x400, v0
	v_perm_b32 v2, v2, 0, s5
	v_cmp_gt_i32_e32 vcc, s40, v9
	v_cndmask_b32_e32 v2, 0, v2, vcc
	v_ashrrev_i32_sdwa v9, v10, sext(v3) dst_sel:DWORD dst_unused:UNUSED_PAD src0_sel:DWORD src1_sel:BYTE_1
	v_cmp_gt_u16_sdwa vcc, v10, v22 src0_sel:BYTE_0 src1_sel:DWORD
	v_cndmask_b32_e32 v9, v9, v1, vcc
	v_lshlrev_b16_e32 v9, 8, v9
	v_or_b32_sdwa v9, v2, v9 dst_sel:DWORD dst_unused:UNUSED_PAD src0_sel:BYTE_0 src1_sel:DWORD
	v_and_b32_e32 v9, 0xffff, v9
	s_mov_b32 s6, 0xffff0000
	v_or_b32_e32 v10, 0x500, v0
	v_and_or_b32 v9, v2, s6, v9
	v_cmp_gt_i32_e32 vcc, s40, v10
	v_cndmask_b32_e32 v2, v2, v9, vcc
	v_ashrrev_i32_sdwa v10, v6, sext(v3) dst_sel:DWORD dst_unused:UNUSED_PAD src0_sel:DWORD src1_sel:BYTE_1
	v_cmp_gt_u16_sdwa vcc, v6, v22 src0_sel:BYTE_0 src1_sel:DWORD
	v_or_b32_e32 v9, 0x600, v0
	v_cndmask_b32_e32 v6, v10, v1, vcc
	s_mov_b32 s7, 0x7000504
	v_perm_b32 v6, v2, v6, s7
	v_cmp_gt_i32_e32 vcc, s40, v9
	v_cndmask_b32_e32 v2, v2, v6, vcc
	v_ashrrev_i32_sdwa v10, v7, sext(v3) dst_sel:DWORD dst_unused:UNUSED_PAD src0_sel:DWORD src1_sel:BYTE_1
	v_cmp_gt_u16_sdwa vcc, v7, v22 src0_sel:BYTE_0 src1_sel:DWORD
	v_cndmask_b32_e32 v7, v10, v1, vcc
	v_and_b32_sdwa v6, v2, s4 dst_sel:DWORD dst_unused:UNUSED_PAD src0_sel:WORD_1 src1_sel:DWORD
	v_lshlrev_b16_e32 v7, 8, v7
	v_or_b32_e32 v9, 0x700, v0
	v_or_b32_sdwa v6, v6, v7 dst_sel:WORD_1 dst_unused:UNUSED_PAD src0_sel:DWORD src1_sel:DWORD
	v_and_or_b32 v6, v2, s2, v6
	v_cmp_gt_i32_e32 vcc, s40, v9
	v_cndmask_b32_e32 v6, v2, v6, vcc
	v_ashrrev_i32_sdwa v7, v8, sext(v3) dst_sel:DWORD dst_unused:UNUSED_PAD src0_sel:DWORD src1_sel:BYTE_1
	v_cmp_gt_u16_sdwa vcc, v8, v22 src0_sel:BYTE_0 src1_sel:DWORD
	v_or_b32_e32 v2, 0x800, v0
	v_cndmask_b32_e32 v7, v7, v1, vcc
	v_and_b32_sdwa v7, s2, v7 dst_sel:DWORD dst_unused:UNUSED_PAD src0_sel:DWORD src1_sel:BYTE_0
	v_cmp_gt_i32_e32 vcc, s40, v2
	v_cndmask_b32_e32 v2, 0, v7, vcc
	v_ashrrev_i32_sdwa v8, v11, sext(v3) dst_sel:DWORD dst_unused:UNUSED_PAD src0_sel:DWORD src1_sel:BYTE_1
	v_cmp_gt_u16_sdwa vcc, v11, v22 src0_sel:BYTE_0 src1_sel:DWORD
	v_cndmask_b32_e32 v8, v8, v1, vcc
	v_lshlrev_b16_e32 v8, 8, v8
	v_or_b32_e32 v7, 0x900, v0
	v_or_b32_e32 v8, v2, v8
	v_and_b32_e32 v8, 0xffff, v8
	v_cmp_gt_i32_e32 vcc, s40, v7
	v_cndmask_b32_e32 v2, v2, v8, vcc
	v_ashrrev_i32_sdwa v8, v13, sext(v3) dst_sel:DWORD dst_unused:UNUSED_PAD src0_sel:DWORD src1_sel:BYTE_1
	v_cmp_gt_u16_sdwa vcc, v13, v22 src0_sel:BYTE_0 src1_sel:DWORD
	v_cndmask_b32_e32 v8, v8, v1, vcc
	v_or_b32_e32 v7, 0xa00, v0
	v_perm_b32 v8, v8, v2, s3
	v_lshl_or_b32 v8, v8, 16, v2
	v_cmp_gt_i32_e32 vcc, s40, v7
	v_cndmask_b32_e32 v2, v2, v8, vcc
	v_ashrrev_i32_sdwa v9, v16, sext(v3) dst_sel:DWORD dst_unused:UNUSED_PAD src0_sel:DWORD src1_sel:BYTE_1
	v_cmp_gt_u16_sdwa vcc, v16, v22 src0_sel:BYTE_0 src1_sel:DWORD
	v_cndmask_b32_e32 v9, v9, v1, vcc
	v_and_b32_sdwa v7, v2, s4 dst_sel:DWORD dst_unused:UNUSED_PAD src0_sel:WORD_1 src1_sel:DWORD
	v_lshlrev_b16_e32 v9, 8, v9
	v_or_b32_e32 v8, 0xb00, v0
	v_or_b32_sdwa v7, v7, v9 dst_sel:WORD_1 dst_unused:UNUSED_PAD src0_sel:DWORD src1_sel:DWORD
	v_and_or_b32 v7, v2, s2, v7
	v_cmp_gt_i32_e32 vcc, s40, v8
	v_cndmask_b32_e32 v2, v2, v7, vcc
	v_ashrrev_i32_sdwa v7, v18, sext(v3) dst_sel:DWORD dst_unused:UNUSED_PAD src0_sel:DWORD src1_sel:BYTE_1
	v_cmp_gt_u16_sdwa vcc, v18, v22 src0_sel:BYTE_0 src1_sel:DWORD
	v_cndmask_b32_e32 v7, v7, v1, vcc
	v_or_b32_e32 v8, 0xc00, v0
	v_perm_b32 v7, v7, 0, s5
	v_cmp_gt_i32_e32 vcc, s40, v8
	v_cndmask_b32_e32 v7, 0, v7, vcc
	v_ashrrev_i32_sdwa v8, v19, sext(v3) dst_sel:DWORD dst_unused:UNUSED_PAD src0_sel:DWORD src1_sel:BYTE_1
	v_cmp_gt_u16_sdwa vcc, v19, v22 src0_sel:BYTE_0 src1_sel:DWORD
	v_cndmask_b32_e32 v8, v8, v1, vcc
	v_lshlrev_b16_e32 v8, 8, v8
	v_or_b32_sdwa v8, v7, v8 dst_sel:DWORD dst_unused:UNUSED_PAD src0_sel:BYTE_0 src1_sel:DWORD
	v_and_b32_e32 v8, 0xffff, v8
	v_or_b32_e32 v9, 0xd00, v0
	v_and_or_b32 v8, v7, s6, v8
	v_cmp_gt_i32_e32 vcc, s40, v9
	v_cndmask_b32_e32 v7, v7, v8, vcc
	v_ashrrev_i32_sdwa v9, v20, sext(v3) dst_sel:DWORD dst_unused:UNUSED_PAD src0_sel:DWORD src1_sel:BYTE_1
	v_cmp_gt_u16_sdwa vcc, v20, v22 src0_sel:BYTE_0 src1_sel:DWORD
	v_or_b32_e32 v8, 0xe00, v0
	v_cndmask_b32_e32 v9, v9, v1, vcc
	v_perm_b32 v9, v7, v9, s7
	v_cmp_gt_i32_e32 vcc, s40, v8
	v_cndmask_b32_e32 v7, v7, v9, vcc
	v_cmp_gt_u16_sdwa vcc, v21, v22 src0_sel:BYTE_0 src1_sel:DWORD
	v_ashrrev_i32_sdwa v3, v21, sext(v3) dst_sel:DWORD dst_unused:UNUSED_PAD src0_sel:DWORD src1_sel:BYTE_1
	v_and_b32_sdwa v8, v7, s4 dst_sel:DWORD dst_unused:UNUSED_PAD src0_sel:WORD_1 src1_sel:DWORD
	v_cndmask_b32_sdwa v1, v3, v1, vcc dst_sel:BYTE_1 dst_unused:UNUSED_PAD src0_sel:DWORD src1_sel:DWORD
	v_or_b32_e32 v9, 0xf00, v0
	v_or_b32_sdwa v1, v8, v1 dst_sel:WORD_1 dst_unused:UNUSED_PAD src0_sel:DWORD src1_sel:DWORD
	v_and_or_b32 v1, v7, s2, v1
	v_cmp_gt_i32_e32 vcc, s40, v9
	v_cndmask_b32_e32 v1, v7, v1, vcc
	s_and_saveexec_b64 s[2:3], s[0:1]
	s_cbranch_execnz .LBB147_53
; %bb.36:
	s_or_b64 exec, exec, s[2:3]
	v_cmp_gt_i32_e32 vcc, s40, v0
	s_and_saveexec_b64 s[0:1], vcc
	s_cbranch_execnz .LBB147_54
.LBB147_37:
	s_or_b64 exec, exec, s[0:1]
	v_cmp_gt_i32_e32 vcc, s40, v0
	s_and_saveexec_b64 s[0:1], vcc
	s_cbranch_execnz .LBB147_55
.LBB147_38:
	s_or_b64 exec, exec, s[0:1]
	v_cmp_gt_i32_e32 vcc, s40, v0
	s_and_saveexec_b64 s[0:1], vcc
	s_cbranch_execnz .LBB147_56
.LBB147_39:
	s_or_b64 exec, exec, s[0:1]
	v_cmp_gt_i32_e32 vcc, s40, v0
	s_and_saveexec_b64 s[0:1], vcc
	s_cbranch_execnz .LBB147_57
.LBB147_40:
	s_or_b64 exec, exec, s[0:1]
	v_cmp_gt_i32_e32 vcc, s40, v0
	s_and_saveexec_b64 s[0:1], vcc
	s_cbranch_execnz .LBB147_58
.LBB147_41:
	s_or_b64 exec, exec, s[0:1]
	v_cmp_gt_i32_e32 vcc, s40, v0
	s_and_saveexec_b64 s[0:1], vcc
	s_cbranch_execnz .LBB147_59
.LBB147_42:
	s_or_b64 exec, exec, s[0:1]
	v_cmp_gt_i32_e32 vcc, s40, v0
	s_and_saveexec_b64 s[0:1], vcc
	s_cbranch_execnz .LBB147_60
.LBB147_43:
	s_or_b64 exec, exec, s[0:1]
	v_cmp_gt_i32_e32 vcc, s40, v0
	s_and_saveexec_b64 s[0:1], vcc
	s_cbranch_execnz .LBB147_61
.LBB147_44:
	s_or_b64 exec, exec, s[0:1]
	v_cmp_gt_i32_e32 vcc, s40, v0
	s_and_saveexec_b64 s[0:1], vcc
	s_cbranch_execnz .LBB147_62
.LBB147_45:
	s_or_b64 exec, exec, s[0:1]
	v_cmp_gt_i32_e32 vcc, s40, v0
	s_and_saveexec_b64 s[0:1], vcc
	s_cbranch_execnz .LBB147_63
.LBB147_46:
	s_or_b64 exec, exec, s[0:1]
	v_cmp_gt_i32_e32 vcc, s40, v0
	s_and_saveexec_b64 s[0:1], vcc
	s_cbranch_execnz .LBB147_64
.LBB147_47:
	s_or_b64 exec, exec, s[0:1]
	v_cmp_gt_i32_e32 vcc, s40, v0
	s_and_saveexec_b64 s[0:1], vcc
	s_cbranch_execnz .LBB147_65
.LBB147_48:
	s_or_b64 exec, exec, s[0:1]
	v_cmp_gt_i32_e32 vcc, s40, v0
	s_and_saveexec_b64 s[0:1], vcc
	s_cbranch_execnz .LBB147_66
.LBB147_49:
	s_or_b64 exec, exec, s[0:1]
	v_cmp_gt_i32_e32 vcc, s40, v0
	s_and_saveexec_b64 s[0:1], vcc
	s_cbranch_execnz .LBB147_67
.LBB147_50:
	s_or_b64 exec, exec, s[0:1]
	v_cmp_gt_i32_e32 vcc, s40, v0
	s_and_saveexec_b64 s[0:1], vcc
	s_cbranch_execz .LBB147_52
.LBB147_51:
	v_lshrrev_b32_e32 v1, 24, v1
	v_add_u32_e32 v0, s33, v0
	global_store_byte v0, v1, s[36:37]
.LBB147_52:
	s_endpgm
.LBB147_53:
	v_mov_b32_e32 v0, v4
	global_store_byte v5, v12, s[36:37]
	s_or_b64 exec, exec, s[2:3]
	v_cmp_gt_i32_e32 vcc, s40, v0
	s_and_saveexec_b64 s[0:1], vcc
	s_cbranch_execz .LBB147_37
.LBB147_54:
	v_lshrrev_b32_e32 v3, 8, v12
	v_add_u32_e32 v4, s33, v0
	v_add_u32_e32 v0, 0x100, v0
	global_store_byte v4, v3, s[36:37]
	s_or_b64 exec, exec, s[0:1]
	v_cmp_gt_i32_e32 vcc, s40, v0
	s_and_saveexec_b64 s[0:1], vcc
	s_cbranch_execz .LBB147_38
.LBB147_55:
	v_add_u32_e32 v3, s33, v0
	v_add_u32_e32 v0, 0x100, v0
	global_store_byte_d16_hi v3, v12, s[36:37]
	s_or_b64 exec, exec, s[0:1]
	v_cmp_gt_i32_e32 vcc, s40, v0
	s_and_saveexec_b64 s[0:1], vcc
	s_cbranch_execz .LBB147_39
.LBB147_56:
	v_lshrrev_b32_e32 v3, 24, v12
	v_add_u32_e32 v4, s33, v0
	v_add_u32_e32 v0, 0x100, v0
	global_store_byte v4, v3, s[36:37]
	s_or_b64 exec, exec, s[0:1]
	v_cmp_gt_i32_e32 vcc, s40, v0
	s_and_saveexec_b64 s[0:1], vcc
	s_cbranch_execz .LBB147_40
.LBB147_57:
	v_add_u32_e32 v3, s33, v0
	v_add_u32_e32 v0, 0x100, v0
	global_store_byte v3, v6, s[36:37]
	s_or_b64 exec, exec, s[0:1]
	v_cmp_gt_i32_e32 vcc, s40, v0
	s_and_saveexec_b64 s[0:1], vcc
	s_cbranch_execz .LBB147_41
.LBB147_58:
	v_lshrrev_b32_e32 v3, 8, v6
	v_add_u32_e32 v4, s33, v0
	v_add_u32_e32 v0, 0x100, v0
	global_store_byte v4, v3, s[36:37]
	s_or_b64 exec, exec, s[0:1]
	v_cmp_gt_i32_e32 vcc, s40, v0
	s_and_saveexec_b64 s[0:1], vcc
	s_cbranch_execz .LBB147_42
.LBB147_59:
	v_add_u32_e32 v3, s33, v0
	v_add_u32_e32 v0, 0x100, v0
	global_store_byte_d16_hi v3, v6, s[36:37]
	s_or_b64 exec, exec, s[0:1]
	v_cmp_gt_i32_e32 vcc, s40, v0
	s_and_saveexec_b64 s[0:1], vcc
	s_cbranch_execz .LBB147_43
.LBB147_60:
	v_lshrrev_b32_e32 v3, 24, v6
	v_add_u32_e32 v4, s33, v0
	v_add_u32_e32 v0, 0x100, v0
	global_store_byte v4, v3, s[36:37]
	s_or_b64 exec, exec, s[0:1]
	v_cmp_gt_i32_e32 vcc, s40, v0
	s_and_saveexec_b64 s[0:1], vcc
	s_cbranch_execz .LBB147_44
.LBB147_61:
	v_add_u32_e32 v3, s33, v0
	v_add_u32_e32 v0, 0x100, v0
	global_store_byte v3, v2, s[36:37]
	s_or_b64 exec, exec, s[0:1]
	v_cmp_gt_i32_e32 vcc, s40, v0
	s_and_saveexec_b64 s[0:1], vcc
	s_cbranch_execz .LBB147_45
.LBB147_62:
	v_lshrrev_b32_e32 v3, 8, v2
	v_add_u32_e32 v4, s33, v0
	v_add_u32_e32 v0, 0x100, v0
	global_store_byte v4, v3, s[36:37]
	s_or_b64 exec, exec, s[0:1]
	v_cmp_gt_i32_e32 vcc, s40, v0
	s_and_saveexec_b64 s[0:1], vcc
	s_cbranch_execz .LBB147_46
.LBB147_63:
	v_add_u32_e32 v3, s33, v0
	v_add_u32_e32 v0, 0x100, v0
	global_store_byte_d16_hi v3, v2, s[36:37]
	s_or_b64 exec, exec, s[0:1]
	v_cmp_gt_i32_e32 vcc, s40, v0
	s_and_saveexec_b64 s[0:1], vcc
	s_cbranch_execz .LBB147_47
.LBB147_64:
	v_lshrrev_b32_e32 v2, 24, v2
	v_add_u32_e32 v3, s33, v0
	v_add_u32_e32 v0, 0x100, v0
	global_store_byte v3, v2, s[36:37]
	s_or_b64 exec, exec, s[0:1]
	v_cmp_gt_i32_e32 vcc, s40, v0
	s_and_saveexec_b64 s[0:1], vcc
	s_cbranch_execz .LBB147_48
.LBB147_65:
	v_add_u32_e32 v2, s33, v0
	v_add_u32_e32 v0, 0x100, v0
	global_store_byte v2, v1, s[36:37]
	s_or_b64 exec, exec, s[0:1]
	v_cmp_gt_i32_e32 vcc, s40, v0
	s_and_saveexec_b64 s[0:1], vcc
	s_cbranch_execz .LBB147_49
.LBB147_66:
	v_lshrrev_b32_e32 v2, 8, v1
	v_add_u32_e32 v3, s33, v0
	v_add_u32_e32 v0, 0x100, v0
	global_store_byte v3, v2, s[36:37]
	s_or_b64 exec, exec, s[0:1]
	v_cmp_gt_i32_e32 vcc, s40, v0
	s_and_saveexec_b64 s[0:1], vcc
	s_cbranch_execz .LBB147_50
.LBB147_67:
	v_add_u32_e32 v2, s33, v0
	v_add_u32_e32 v0, 0x100, v0
	global_store_byte_d16_hi v2, v1, s[36:37]
	s_or_b64 exec, exec, s[0:1]
	v_cmp_gt_i32_e32 vcc, s40, v0
	s_and_saveexec_b64 s[0:1], vcc
	s_cbranch_execnz .LBB147_51
	s_branch .LBB147_52
	.section	.rodata,"a",@progbits
	.p2align	6, 0x0
	.amdhsa_kernel _ZN2at6native29vectorized_elementwise_kernelILi2ENS0_13AUnaryFunctorIaaaZZZNS0_18rshift_kernel_cudaERNS_18TensorIteratorBaseEENKUlvE_clEvENKUlvE0_clEvEUlaaE_EESt5arrayIPcLm2EEEEviT0_T1_
		.amdhsa_group_segment_fixed_size 0
		.amdhsa_private_segment_fixed_size 0
		.amdhsa_kernarg_size 24
		.amdhsa_user_sgpr_count 6
		.amdhsa_user_sgpr_private_segment_buffer 1
		.amdhsa_user_sgpr_dispatch_ptr 0
		.amdhsa_user_sgpr_queue_ptr 0
		.amdhsa_user_sgpr_kernarg_segment_ptr 1
		.amdhsa_user_sgpr_dispatch_id 0
		.amdhsa_user_sgpr_flat_scratch_init 0
		.amdhsa_user_sgpr_private_segment_size 0
		.amdhsa_uses_dynamic_stack 0
		.amdhsa_system_sgpr_private_segment_wavefront_offset 0
		.amdhsa_system_sgpr_workgroup_id_x 1
		.amdhsa_system_sgpr_workgroup_id_y 0
		.amdhsa_system_sgpr_workgroup_id_z 0
		.amdhsa_system_sgpr_workgroup_info 0
		.amdhsa_system_vgpr_workitem_id 0
		.amdhsa_next_free_vgpr 23
		.amdhsa_next_free_sgpr 41
		.amdhsa_reserve_vcc 1
		.amdhsa_reserve_flat_scratch 0
		.amdhsa_float_round_mode_32 0
		.amdhsa_float_round_mode_16_64 0
		.amdhsa_float_denorm_mode_32 3
		.amdhsa_float_denorm_mode_16_64 3
		.amdhsa_dx10_clamp 1
		.amdhsa_ieee_mode 1
		.amdhsa_fp16_overflow 0
		.amdhsa_exception_fp_ieee_invalid_op 0
		.amdhsa_exception_fp_denorm_src 0
		.amdhsa_exception_fp_ieee_div_zero 0
		.amdhsa_exception_fp_ieee_overflow 0
		.amdhsa_exception_fp_ieee_underflow 0
		.amdhsa_exception_fp_ieee_inexact 0
		.amdhsa_exception_int_div_zero 0
	.end_amdhsa_kernel
	.section	.text._ZN2at6native29vectorized_elementwise_kernelILi2ENS0_13AUnaryFunctorIaaaZZZNS0_18rshift_kernel_cudaERNS_18TensorIteratorBaseEENKUlvE_clEvENKUlvE0_clEvEUlaaE_EESt5arrayIPcLm2EEEEviT0_T1_,"axG",@progbits,_ZN2at6native29vectorized_elementwise_kernelILi2ENS0_13AUnaryFunctorIaaaZZZNS0_18rshift_kernel_cudaERNS_18TensorIteratorBaseEENKUlvE_clEvENKUlvE0_clEvEUlaaE_EESt5arrayIPcLm2EEEEviT0_T1_,comdat
.Lfunc_end147:
	.size	_ZN2at6native29vectorized_elementwise_kernelILi2ENS0_13AUnaryFunctorIaaaZZZNS0_18rshift_kernel_cudaERNS_18TensorIteratorBaseEENKUlvE_clEvENKUlvE0_clEvEUlaaE_EESt5arrayIPcLm2EEEEviT0_T1_, .Lfunc_end147-_ZN2at6native29vectorized_elementwise_kernelILi2ENS0_13AUnaryFunctorIaaaZZZNS0_18rshift_kernel_cudaERNS_18TensorIteratorBaseEENKUlvE_clEvENKUlvE0_clEvEUlaaE_EESt5arrayIPcLm2EEEEviT0_T1_
                                        ; -- End function
	.set _ZN2at6native29vectorized_elementwise_kernelILi2ENS0_13AUnaryFunctorIaaaZZZNS0_18rshift_kernel_cudaERNS_18TensorIteratorBaseEENKUlvE_clEvENKUlvE0_clEvEUlaaE_EESt5arrayIPcLm2EEEEviT0_T1_.num_vgpr, 23
	.set _ZN2at6native29vectorized_elementwise_kernelILi2ENS0_13AUnaryFunctorIaaaZZZNS0_18rshift_kernel_cudaERNS_18TensorIteratorBaseEENKUlvE_clEvENKUlvE0_clEvEUlaaE_EESt5arrayIPcLm2EEEEviT0_T1_.num_agpr, 0
	.set _ZN2at6native29vectorized_elementwise_kernelILi2ENS0_13AUnaryFunctorIaaaZZZNS0_18rshift_kernel_cudaERNS_18TensorIteratorBaseEENKUlvE_clEvENKUlvE0_clEvEUlaaE_EESt5arrayIPcLm2EEEEviT0_T1_.numbered_sgpr, 41
	.set _ZN2at6native29vectorized_elementwise_kernelILi2ENS0_13AUnaryFunctorIaaaZZZNS0_18rshift_kernel_cudaERNS_18TensorIteratorBaseEENKUlvE_clEvENKUlvE0_clEvEUlaaE_EESt5arrayIPcLm2EEEEviT0_T1_.num_named_barrier, 0
	.set _ZN2at6native29vectorized_elementwise_kernelILi2ENS0_13AUnaryFunctorIaaaZZZNS0_18rshift_kernel_cudaERNS_18TensorIteratorBaseEENKUlvE_clEvENKUlvE0_clEvEUlaaE_EESt5arrayIPcLm2EEEEviT0_T1_.private_seg_size, 0
	.set _ZN2at6native29vectorized_elementwise_kernelILi2ENS0_13AUnaryFunctorIaaaZZZNS0_18rshift_kernel_cudaERNS_18TensorIteratorBaseEENKUlvE_clEvENKUlvE0_clEvEUlaaE_EESt5arrayIPcLm2EEEEviT0_T1_.uses_vcc, 1
	.set _ZN2at6native29vectorized_elementwise_kernelILi2ENS0_13AUnaryFunctorIaaaZZZNS0_18rshift_kernel_cudaERNS_18TensorIteratorBaseEENKUlvE_clEvENKUlvE0_clEvEUlaaE_EESt5arrayIPcLm2EEEEviT0_T1_.uses_flat_scratch, 0
	.set _ZN2at6native29vectorized_elementwise_kernelILi2ENS0_13AUnaryFunctorIaaaZZZNS0_18rshift_kernel_cudaERNS_18TensorIteratorBaseEENKUlvE_clEvENKUlvE0_clEvEUlaaE_EESt5arrayIPcLm2EEEEviT0_T1_.has_dyn_sized_stack, 0
	.set _ZN2at6native29vectorized_elementwise_kernelILi2ENS0_13AUnaryFunctorIaaaZZZNS0_18rshift_kernel_cudaERNS_18TensorIteratorBaseEENKUlvE_clEvENKUlvE0_clEvEUlaaE_EESt5arrayIPcLm2EEEEviT0_T1_.has_recursion, 0
	.set _ZN2at6native29vectorized_elementwise_kernelILi2ENS0_13AUnaryFunctorIaaaZZZNS0_18rshift_kernel_cudaERNS_18TensorIteratorBaseEENKUlvE_clEvENKUlvE0_clEvEUlaaE_EESt5arrayIPcLm2EEEEviT0_T1_.has_indirect_call, 0
	.section	.AMDGPU.csdata,"",@progbits
; Kernel info:
; codeLenInByte = 3628
; TotalNumSgprs: 45
; NumVgprs: 23
; ScratchSize: 0
; MemoryBound: 0
; FloatMode: 240
; IeeeMode: 1
; LDSByteSize: 0 bytes/workgroup (compile time only)
; SGPRBlocks: 5
; VGPRBlocks: 5
; NumSGPRsForWavesPerEU: 45
; NumVGPRsForWavesPerEU: 23
; Occupancy: 10
; WaveLimiterHint : 1
; COMPUTE_PGM_RSRC2:SCRATCH_EN: 0
; COMPUTE_PGM_RSRC2:USER_SGPR: 6
; COMPUTE_PGM_RSRC2:TRAP_HANDLER: 0
; COMPUTE_PGM_RSRC2:TGID_X_EN: 1
; COMPUTE_PGM_RSRC2:TGID_Y_EN: 0
; COMPUTE_PGM_RSRC2:TGID_Z_EN: 0
; COMPUTE_PGM_RSRC2:TIDIG_COMP_CNT: 0
	.section	.text._ZN2at6native27unrolled_elementwise_kernelINS0_13AUnaryFunctorIaaaZZZNS0_18rshift_kernel_cudaERNS_18TensorIteratorBaseEENKUlvE_clEvENKUlvE0_clEvEUlaaE_EESt5arrayIPcLm2EELi4E23TrivialOffsetCalculatorILi1EjESD_NS0_6memory15LoadWithoutCastENSE_16StoreWithoutCastEEEviT_T0_T2_T3_T4_T5_,"axG",@progbits,_ZN2at6native27unrolled_elementwise_kernelINS0_13AUnaryFunctorIaaaZZZNS0_18rshift_kernel_cudaERNS_18TensorIteratorBaseEENKUlvE_clEvENKUlvE0_clEvEUlaaE_EESt5arrayIPcLm2EELi4E23TrivialOffsetCalculatorILi1EjESD_NS0_6memory15LoadWithoutCastENSE_16StoreWithoutCastEEEviT_T0_T2_T3_T4_T5_,comdat
	.globl	_ZN2at6native27unrolled_elementwise_kernelINS0_13AUnaryFunctorIaaaZZZNS0_18rshift_kernel_cudaERNS_18TensorIteratorBaseEENKUlvE_clEvENKUlvE0_clEvEUlaaE_EESt5arrayIPcLm2EELi4E23TrivialOffsetCalculatorILi1EjESD_NS0_6memory15LoadWithoutCastENSE_16StoreWithoutCastEEEviT_T0_T2_T3_T4_T5_ ; -- Begin function _ZN2at6native27unrolled_elementwise_kernelINS0_13AUnaryFunctorIaaaZZZNS0_18rshift_kernel_cudaERNS_18TensorIteratorBaseEENKUlvE_clEvENKUlvE0_clEvEUlaaE_EESt5arrayIPcLm2EELi4E23TrivialOffsetCalculatorILi1EjESD_NS0_6memory15LoadWithoutCastENSE_16StoreWithoutCastEEEviT_T0_T2_T3_T4_T5_
	.p2align	8
	.type	_ZN2at6native27unrolled_elementwise_kernelINS0_13AUnaryFunctorIaaaZZZNS0_18rshift_kernel_cudaERNS_18TensorIteratorBaseEENKUlvE_clEvENKUlvE0_clEvEUlaaE_EESt5arrayIPcLm2EELi4E23TrivialOffsetCalculatorILi1EjESD_NS0_6memory15LoadWithoutCastENSE_16StoreWithoutCastEEEviT_T0_T2_T3_T4_T5_,@function
_ZN2at6native27unrolled_elementwise_kernelINS0_13AUnaryFunctorIaaaZZZNS0_18rshift_kernel_cudaERNS_18TensorIteratorBaseEENKUlvE_clEvENKUlvE0_clEvEUlaaE_EESt5arrayIPcLm2EELi4E23TrivialOffsetCalculatorILi1EjESD_NS0_6memory15LoadWithoutCastENSE_16StoreWithoutCastEEEviT_T0_T2_T3_T4_T5_: ; @_ZN2at6native27unrolled_elementwise_kernelINS0_13AUnaryFunctorIaaaZZZNS0_18rshift_kernel_cudaERNS_18TensorIteratorBaseEENKUlvE_clEvENKUlvE0_clEvEUlaaE_EESt5arrayIPcLm2EELi4E23TrivialOffsetCalculatorILi1EjESD_NS0_6memory15LoadWithoutCastENSE_16StoreWithoutCastEEEviT_T0_T2_T3_T4_T5_
; %bb.0:
	v_mov_b32_e32 v4, 0
	global_load_ushort v3, v4, s[4:5] offset:4
	s_load_dword s0, s[4:5], 0x0
	s_load_dwordx4 s[8:11], s[4:5], 0x8
	s_lshl_b32 s14, s6, 10
	v_or_b32_e32 v1, 0x100, v0
	v_or_b32_e32 v2, s14, v0
	s_waitcnt lgkmcnt(0)
	s_sub_i32 s15, s0, s14
	v_cmp_gt_i32_e64 s[0:1], s15, v0
	v_mov_b32_e32 v5, 0
	v_mov_b32_e32 v6, 0
	;; [unrolled: 1-line block ×3, first 2 shown]
	s_and_saveexec_b64 s[2:3], s[0:1]
	s_cbranch_execz .LBB148_8
; %bb.1:
	global_load_ubyte v7, v2, s[10:11]
	v_cmp_gt_u32_e32 vcc, s15, v1
	v_mov_b32_e32 v6, 0
	v_mov_b32_e32 v5, 0
	;; [unrolled: 1-line block ×3, first 2 shown]
	s_and_saveexec_b64 s[4:5], vcc
	s_cbranch_execz .LBB148_7
; %bb.2:
	v_add_u32_e32 v4, s14, v1
	global_load_ubyte v6, v4, s[10:11]
	v_or_b32_e32 v8, 0x200, v0
	v_cmp_gt_u32_e32 vcc, s15, v8
	v_mov_b32_e32 v5, 0
	v_mov_b32_e32 v4, 0
	s_and_saveexec_b64 s[6:7], vcc
	s_cbranch_execz .LBB148_6
; %bb.3:
	v_add_u32_e32 v4, s14, v8
	global_load_ubyte v5, v4, s[10:11]
	v_or_b32_e32 v8, 0x300, v0
	v_cmp_gt_u32_e32 vcc, s15, v8
	v_mov_b32_e32 v4, 0
	s_and_saveexec_b64 s[12:13], vcc
	s_cbranch_execz .LBB148_5
; %bb.4:
	v_add_u32_e32 v4, s14, v8
	global_load_ubyte v4, v4, s[10:11]
.LBB148_5:
	s_or_b64 exec, exec, s[12:13]
.LBB148_6:
	s_or_b64 exec, exec, s[6:7]
.LBB148_7:
	s_or_b64 exec, exec, s[4:5]
.LBB148_8:
	s_or_b64 exec, exec, s[2:3]
	v_mov_b32_e32 v8, 15
	v_mov_b32_e32 v9, 6
	s_waitcnt vmcnt(0)
	v_lshrrev_b32_sdwa v8, v8, sext(v3) dst_sel:DWORD dst_unused:UNUSED_PAD src0_sel:DWORD src1_sel:WORD_0
	v_ashrrev_i32_sdwa v10, v7, sext(v3) dst_sel:DWORD dst_unused:UNUSED_PAD src0_sel:DWORD src1_sel:BYTE_1
	v_cmp_gt_u16_sdwa vcc, v7, v9 src0_sel:BYTE_0 src1_sel:DWORD
	v_cndmask_b32_e32 v7, v10, v8, vcc
	s_mov_b32 s3, 0xffff
	v_ashrrev_i32_sdwa v10, v6, sext(v3) dst_sel:DWORD dst_unused:UNUSED_PAD src0_sel:DWORD src1_sel:BYTE_1
	v_cmp_gt_u16_sdwa vcc, v6, v9 src0_sel:BYTE_0 src1_sel:DWORD
	v_and_b32_sdwa v7, s3, v7 dst_sel:DWORD dst_unused:UNUSED_PAD src0_sel:DWORD src1_sel:BYTE_0
	v_cndmask_b32_e32 v6, v10, v8, vcc
	v_cndmask_b32_e64 v7, 0, v7, s[0:1]
	v_lshlrev_b16_e32 v6, 8, v6
	v_or_b32_e32 v6, v7, v6
	v_and_b32_e32 v6, 0xffff, v6
	v_cmp_gt_i32_e32 vcc, s15, v1
	v_cndmask_b32_e32 v6, v7, v6, vcc
	v_ashrrev_i32_sdwa v10, v5, sext(v3) dst_sel:DWORD dst_unused:UNUSED_PAD src0_sel:DWORD src1_sel:BYTE_1
	v_cmp_gt_u16_sdwa vcc, v5, v9 src0_sel:BYTE_0 src1_sel:DWORD
	v_cndmask_b32_e32 v5, v10, v8, vcc
	s_mov_b32 s4, 0xc0c0304
	v_or_b32_e32 v7, 0x200, v0
	v_perm_b32 v5, v5, v6, s4
	v_lshl_or_b32 v5, v5, 16, v6
	v_cmp_gt_i32_e32 vcc, s15, v7
	s_movk_i32 s2, 0xff
	v_cndmask_b32_e32 v5, v6, v5, vcc
	v_cmp_gt_u16_sdwa vcc, v4, v9 src0_sel:BYTE_0 src1_sel:DWORD
	v_ashrrev_i32_sdwa v3, v4, sext(v3) dst_sel:DWORD dst_unused:UNUSED_PAD src0_sel:DWORD src1_sel:BYTE_1
	v_and_b32_sdwa v6, v5, s2 dst_sel:DWORD dst_unused:UNUSED_PAD src0_sel:WORD_1 src1_sel:DWORD
	v_cndmask_b32_sdwa v3, v3, v8, vcc dst_sel:BYTE_1 dst_unused:UNUSED_PAD src0_sel:DWORD src1_sel:DWORD
	v_or_b32_e32 v7, 0x300, v0
	v_or_b32_sdwa v3, v6, v3 dst_sel:WORD_1 dst_unused:UNUSED_PAD src0_sel:DWORD src1_sel:DWORD
	v_and_or_b32 v3, v5, s3, v3
	v_cmp_gt_i32_e32 vcc, s15, v7
	v_cndmask_b32_e32 v3, v5, v3, vcc
	s_and_saveexec_b64 s[2:3], s[0:1]
	s_cbranch_execnz .LBB148_13
; %bb.9:
	s_or_b64 exec, exec, s[2:3]
	v_cmp_gt_i32_e32 vcc, s15, v0
	s_and_saveexec_b64 s[0:1], vcc
	s_cbranch_execnz .LBB148_14
.LBB148_10:
	s_or_b64 exec, exec, s[0:1]
	v_cmp_gt_i32_e32 vcc, s15, v0
	s_and_saveexec_b64 s[0:1], vcc
	s_cbranch_execnz .LBB148_15
.LBB148_11:
	s_or_b64 exec, exec, s[0:1]
	v_cmp_gt_i32_e32 vcc, s15, v0
	s_and_saveexec_b64 s[0:1], vcc
	s_cbranch_execnz .LBB148_16
.LBB148_12:
	s_endpgm
.LBB148_13:
	v_mov_b32_e32 v0, v1
	global_store_byte v2, v3, s[8:9]
	s_or_b64 exec, exec, s[2:3]
	v_cmp_gt_i32_e32 vcc, s15, v0
	s_and_saveexec_b64 s[0:1], vcc
	s_cbranch_execz .LBB148_10
.LBB148_14:
	v_add_u32_e32 v1, 0x100, v0
	v_add_u32_e32 v0, s14, v0
	v_lshrrev_b32_e32 v2, 8, v3
	global_store_byte v0, v2, s[8:9]
	v_mov_b32_e32 v0, v1
	s_or_b64 exec, exec, s[0:1]
	v_cmp_gt_i32_e32 vcc, s15, v0
	s_and_saveexec_b64 s[0:1], vcc
	s_cbranch_execz .LBB148_11
.LBB148_15:
	v_add_u32_e32 v1, 0x100, v0
	v_add_u32_e32 v0, s14, v0
	global_store_byte_d16_hi v0, v3, s[8:9]
	v_mov_b32_e32 v0, v1
	s_or_b64 exec, exec, s[0:1]
	v_cmp_gt_i32_e32 vcc, s15, v0
	s_and_saveexec_b64 s[0:1], vcc
	s_cbranch_execz .LBB148_12
.LBB148_16:
	v_add_u32_e32 v0, s14, v0
	v_lshrrev_b32_e32 v1, 24, v3
	global_store_byte v0, v1, s[8:9]
	s_endpgm
	.section	.rodata,"a",@progbits
	.p2align	6, 0x0
	.amdhsa_kernel _ZN2at6native27unrolled_elementwise_kernelINS0_13AUnaryFunctorIaaaZZZNS0_18rshift_kernel_cudaERNS_18TensorIteratorBaseEENKUlvE_clEvENKUlvE0_clEvEUlaaE_EESt5arrayIPcLm2EELi4E23TrivialOffsetCalculatorILi1EjESD_NS0_6memory15LoadWithoutCastENSE_16StoreWithoutCastEEEviT_T0_T2_T3_T4_T5_
		.amdhsa_group_segment_fixed_size 0
		.amdhsa_private_segment_fixed_size 0
		.amdhsa_kernarg_size 28
		.amdhsa_user_sgpr_count 6
		.amdhsa_user_sgpr_private_segment_buffer 1
		.amdhsa_user_sgpr_dispatch_ptr 0
		.amdhsa_user_sgpr_queue_ptr 0
		.amdhsa_user_sgpr_kernarg_segment_ptr 1
		.amdhsa_user_sgpr_dispatch_id 0
		.amdhsa_user_sgpr_flat_scratch_init 0
		.amdhsa_user_sgpr_private_segment_size 0
		.amdhsa_uses_dynamic_stack 0
		.amdhsa_system_sgpr_private_segment_wavefront_offset 0
		.amdhsa_system_sgpr_workgroup_id_x 1
		.amdhsa_system_sgpr_workgroup_id_y 0
		.amdhsa_system_sgpr_workgroup_id_z 0
		.amdhsa_system_sgpr_workgroup_info 0
		.amdhsa_system_vgpr_workitem_id 0
		.amdhsa_next_free_vgpr 11
		.amdhsa_next_free_sgpr 16
		.amdhsa_reserve_vcc 1
		.amdhsa_reserve_flat_scratch 0
		.amdhsa_float_round_mode_32 0
		.amdhsa_float_round_mode_16_64 0
		.amdhsa_float_denorm_mode_32 3
		.amdhsa_float_denorm_mode_16_64 3
		.amdhsa_dx10_clamp 1
		.amdhsa_ieee_mode 1
		.amdhsa_fp16_overflow 0
		.amdhsa_exception_fp_ieee_invalid_op 0
		.amdhsa_exception_fp_denorm_src 0
		.amdhsa_exception_fp_ieee_div_zero 0
		.amdhsa_exception_fp_ieee_overflow 0
		.amdhsa_exception_fp_ieee_underflow 0
		.amdhsa_exception_fp_ieee_inexact 0
		.amdhsa_exception_int_div_zero 0
	.end_amdhsa_kernel
	.section	.text._ZN2at6native27unrolled_elementwise_kernelINS0_13AUnaryFunctorIaaaZZZNS0_18rshift_kernel_cudaERNS_18TensorIteratorBaseEENKUlvE_clEvENKUlvE0_clEvEUlaaE_EESt5arrayIPcLm2EELi4E23TrivialOffsetCalculatorILi1EjESD_NS0_6memory15LoadWithoutCastENSE_16StoreWithoutCastEEEviT_T0_T2_T3_T4_T5_,"axG",@progbits,_ZN2at6native27unrolled_elementwise_kernelINS0_13AUnaryFunctorIaaaZZZNS0_18rshift_kernel_cudaERNS_18TensorIteratorBaseEENKUlvE_clEvENKUlvE0_clEvEUlaaE_EESt5arrayIPcLm2EELi4E23TrivialOffsetCalculatorILi1EjESD_NS0_6memory15LoadWithoutCastENSE_16StoreWithoutCastEEEviT_T0_T2_T3_T4_T5_,comdat
.Lfunc_end148:
	.size	_ZN2at6native27unrolled_elementwise_kernelINS0_13AUnaryFunctorIaaaZZZNS0_18rshift_kernel_cudaERNS_18TensorIteratorBaseEENKUlvE_clEvENKUlvE0_clEvEUlaaE_EESt5arrayIPcLm2EELi4E23TrivialOffsetCalculatorILi1EjESD_NS0_6memory15LoadWithoutCastENSE_16StoreWithoutCastEEEviT_T0_T2_T3_T4_T5_, .Lfunc_end148-_ZN2at6native27unrolled_elementwise_kernelINS0_13AUnaryFunctorIaaaZZZNS0_18rshift_kernel_cudaERNS_18TensorIteratorBaseEENKUlvE_clEvENKUlvE0_clEvEUlaaE_EESt5arrayIPcLm2EELi4E23TrivialOffsetCalculatorILi1EjESD_NS0_6memory15LoadWithoutCastENSE_16StoreWithoutCastEEEviT_T0_T2_T3_T4_T5_
                                        ; -- End function
	.set _ZN2at6native27unrolled_elementwise_kernelINS0_13AUnaryFunctorIaaaZZZNS0_18rshift_kernel_cudaERNS_18TensorIteratorBaseEENKUlvE_clEvENKUlvE0_clEvEUlaaE_EESt5arrayIPcLm2EELi4E23TrivialOffsetCalculatorILi1EjESD_NS0_6memory15LoadWithoutCastENSE_16StoreWithoutCastEEEviT_T0_T2_T3_T4_T5_.num_vgpr, 11
	.set _ZN2at6native27unrolled_elementwise_kernelINS0_13AUnaryFunctorIaaaZZZNS0_18rshift_kernel_cudaERNS_18TensorIteratorBaseEENKUlvE_clEvENKUlvE0_clEvEUlaaE_EESt5arrayIPcLm2EELi4E23TrivialOffsetCalculatorILi1EjESD_NS0_6memory15LoadWithoutCastENSE_16StoreWithoutCastEEEviT_T0_T2_T3_T4_T5_.num_agpr, 0
	.set _ZN2at6native27unrolled_elementwise_kernelINS0_13AUnaryFunctorIaaaZZZNS0_18rshift_kernel_cudaERNS_18TensorIteratorBaseEENKUlvE_clEvENKUlvE0_clEvEUlaaE_EESt5arrayIPcLm2EELi4E23TrivialOffsetCalculatorILi1EjESD_NS0_6memory15LoadWithoutCastENSE_16StoreWithoutCastEEEviT_T0_T2_T3_T4_T5_.numbered_sgpr, 16
	.set _ZN2at6native27unrolled_elementwise_kernelINS0_13AUnaryFunctorIaaaZZZNS0_18rshift_kernel_cudaERNS_18TensorIteratorBaseEENKUlvE_clEvENKUlvE0_clEvEUlaaE_EESt5arrayIPcLm2EELi4E23TrivialOffsetCalculatorILi1EjESD_NS0_6memory15LoadWithoutCastENSE_16StoreWithoutCastEEEviT_T0_T2_T3_T4_T5_.num_named_barrier, 0
	.set _ZN2at6native27unrolled_elementwise_kernelINS0_13AUnaryFunctorIaaaZZZNS0_18rshift_kernel_cudaERNS_18TensorIteratorBaseEENKUlvE_clEvENKUlvE0_clEvEUlaaE_EESt5arrayIPcLm2EELi4E23TrivialOffsetCalculatorILi1EjESD_NS0_6memory15LoadWithoutCastENSE_16StoreWithoutCastEEEviT_T0_T2_T3_T4_T5_.private_seg_size, 0
	.set _ZN2at6native27unrolled_elementwise_kernelINS0_13AUnaryFunctorIaaaZZZNS0_18rshift_kernel_cudaERNS_18TensorIteratorBaseEENKUlvE_clEvENKUlvE0_clEvEUlaaE_EESt5arrayIPcLm2EELi4E23TrivialOffsetCalculatorILi1EjESD_NS0_6memory15LoadWithoutCastENSE_16StoreWithoutCastEEEviT_T0_T2_T3_T4_T5_.uses_vcc, 1
	.set _ZN2at6native27unrolled_elementwise_kernelINS0_13AUnaryFunctorIaaaZZZNS0_18rshift_kernel_cudaERNS_18TensorIteratorBaseEENKUlvE_clEvENKUlvE0_clEvEUlaaE_EESt5arrayIPcLm2EELi4E23TrivialOffsetCalculatorILi1EjESD_NS0_6memory15LoadWithoutCastENSE_16StoreWithoutCastEEEviT_T0_T2_T3_T4_T5_.uses_flat_scratch, 0
	.set _ZN2at6native27unrolled_elementwise_kernelINS0_13AUnaryFunctorIaaaZZZNS0_18rshift_kernel_cudaERNS_18TensorIteratorBaseEENKUlvE_clEvENKUlvE0_clEvEUlaaE_EESt5arrayIPcLm2EELi4E23TrivialOffsetCalculatorILi1EjESD_NS0_6memory15LoadWithoutCastENSE_16StoreWithoutCastEEEviT_T0_T2_T3_T4_T5_.has_dyn_sized_stack, 0
	.set _ZN2at6native27unrolled_elementwise_kernelINS0_13AUnaryFunctorIaaaZZZNS0_18rshift_kernel_cudaERNS_18TensorIteratorBaseEENKUlvE_clEvENKUlvE0_clEvEUlaaE_EESt5arrayIPcLm2EELi4E23TrivialOffsetCalculatorILi1EjESD_NS0_6memory15LoadWithoutCastENSE_16StoreWithoutCastEEEviT_T0_T2_T3_T4_T5_.has_recursion, 0
	.set _ZN2at6native27unrolled_elementwise_kernelINS0_13AUnaryFunctorIaaaZZZNS0_18rshift_kernel_cudaERNS_18TensorIteratorBaseEENKUlvE_clEvENKUlvE0_clEvEUlaaE_EESt5arrayIPcLm2EELi4E23TrivialOffsetCalculatorILi1EjESD_NS0_6memory15LoadWithoutCastENSE_16StoreWithoutCastEEEviT_T0_T2_T3_T4_T5_.has_indirect_call, 0
	.section	.AMDGPU.csdata,"",@progbits
; Kernel info:
; codeLenInByte = 644
; TotalNumSgprs: 20
; NumVgprs: 11
; ScratchSize: 0
; MemoryBound: 0
; FloatMode: 240
; IeeeMode: 1
; LDSByteSize: 0 bytes/workgroup (compile time only)
; SGPRBlocks: 2
; VGPRBlocks: 2
; NumSGPRsForWavesPerEU: 20
; NumVGPRsForWavesPerEU: 11
; Occupancy: 10
; WaveLimiterHint : 0
; COMPUTE_PGM_RSRC2:SCRATCH_EN: 0
; COMPUTE_PGM_RSRC2:USER_SGPR: 6
; COMPUTE_PGM_RSRC2:TRAP_HANDLER: 0
; COMPUTE_PGM_RSRC2:TGID_X_EN: 1
; COMPUTE_PGM_RSRC2:TGID_Y_EN: 0
; COMPUTE_PGM_RSRC2:TGID_Z_EN: 0
; COMPUTE_PGM_RSRC2:TIDIG_COMP_CNT: 0
	.section	.text._ZN2at6native32elementwise_kernel_manual_unrollILi128ELi8EZNS0_22gpu_kernel_impl_nocastINS0_13AUnaryFunctorIaaaZZZNS0_18rshift_kernel_cudaERNS_18TensorIteratorBaseEENKUlvE_clEvENKUlvE0_clEvEUlaaE_EEEEvS5_RKT_EUlibE_EEviT1_,"axG",@progbits,_ZN2at6native32elementwise_kernel_manual_unrollILi128ELi8EZNS0_22gpu_kernel_impl_nocastINS0_13AUnaryFunctorIaaaZZZNS0_18rshift_kernel_cudaERNS_18TensorIteratorBaseEENKUlvE_clEvENKUlvE0_clEvEUlaaE_EEEEvS5_RKT_EUlibE_EEviT1_,comdat
	.globl	_ZN2at6native32elementwise_kernel_manual_unrollILi128ELi8EZNS0_22gpu_kernel_impl_nocastINS0_13AUnaryFunctorIaaaZZZNS0_18rshift_kernel_cudaERNS_18TensorIteratorBaseEENKUlvE_clEvENKUlvE0_clEvEUlaaE_EEEEvS5_RKT_EUlibE_EEviT1_ ; -- Begin function _ZN2at6native32elementwise_kernel_manual_unrollILi128ELi8EZNS0_22gpu_kernel_impl_nocastINS0_13AUnaryFunctorIaaaZZZNS0_18rshift_kernel_cudaERNS_18TensorIteratorBaseEENKUlvE_clEvENKUlvE0_clEvEUlaaE_EEEEvS5_RKT_EUlibE_EEviT1_
	.p2align	8
	.type	_ZN2at6native32elementwise_kernel_manual_unrollILi128ELi8EZNS0_22gpu_kernel_impl_nocastINS0_13AUnaryFunctorIaaaZZZNS0_18rshift_kernel_cudaERNS_18TensorIteratorBaseEENKUlvE_clEvENKUlvE0_clEvEUlaaE_EEEEvS5_RKT_EUlibE_EEviT1_,@function
_ZN2at6native32elementwise_kernel_manual_unrollILi128ELi8EZNS0_22gpu_kernel_impl_nocastINS0_13AUnaryFunctorIaaaZZZNS0_18rshift_kernel_cudaERNS_18TensorIteratorBaseEENKUlvE_clEvENKUlvE0_clEvEUlaaE_EEEEvS5_RKT_EUlibE_EEviT1_: ; @_ZN2at6native32elementwise_kernel_manual_unrollILi128ELi8EZNS0_22gpu_kernel_impl_nocastINS0_13AUnaryFunctorIaaaZZZNS0_18rshift_kernel_cudaERNS_18TensorIteratorBaseEENKUlvE_clEvENKUlvE0_clEvEUlaaE_EEEEvS5_RKT_EUlibE_EEviT1_
; %bb.0:
	s_load_dword s59, s[4:5], 0x0
	s_load_dword s33, s[4:5], 0x8
	s_add_u32 s34, s4, 8
	s_addc_u32 s35, s5, 0
	v_lshl_or_b32 v19, s6, 10, v0
	v_or_b32_e32 v25, 0x380, v19
	s_waitcnt lgkmcnt(0)
	s_add_i32 s56, s33, -1
	s_cmp_gt_u32 s56, 1
	v_cmp_le_i32_e32 vcc, s59, v25
	s_cselect_b64 s[6:7], -1, 0
	s_and_saveexec_b64 s[0:1], vcc
	s_xor_b64 s[40:41], exec, s[0:1]
	s_cbranch_execz .LBB149_7
; %bb.1:
	s_load_dwordx4 s[24:27], s[34:35], 0x4
	s_load_dwordx2 s[42:43], s[34:35], 0x14
	s_load_dword s8, s[4:5], 0x160
	s_cmp_lg_u32 s33, 0
	s_cselect_b64 s[48:49], -1, 0
	s_add_u32 s46, s34, 0xc4
	s_load_dwordx4 s[28:31], s[34:35], 0xc4
	s_load_dwordx4 s[0:3], s[34:35], 0x148
	s_addc_u32 s47, s35, 0
	s_min_u32 s60, s56, 15
	s_cmp_gt_u32 s33, 1
	s_cselect_b64 s[44:45], -1, 0
	s_waitcnt lgkmcnt(0)
	s_bfe_i32 s57, s8, 0x80008
	s_lshr_b32 s58, s57, 7
	v_cmp_gt_i32_e32 vcc, s59, v19
	s_and_saveexec_b64 s[50:51], vcc
	s_cbranch_execz .LBB149_14
; %bb.2:
	s_andn2_b64 vcc, exec, s[6:7]
	s_cbranch_vccnz .LBB149_21
; %bb.3:
	s_andn2_b64 vcc, exec, s[48:49]
	s_cbranch_vccnz .LBB149_129
; %bb.4:
	s_add_i32 s62, s60, 1
	s_cmp_eq_u32 s56, 2
	s_cbranch_scc1 .LBB149_131
; %bb.5:
	s_and_b32 s61, s62, 28
	v_mov_b32_e32 v2, 0
	s_mov_b32 s63, 0
	s_mov_b64 s[52:53], s[34:35]
	s_mov_b64 s[54:55], s[46:47]
	v_mov_b32_e32 v0, 0
	v_mov_b32_e32 v1, v19
.LBB149_6:                              ; =>This Inner Loop Header: Depth=1
	s_load_dwordx8 s[16:23], s[52:53], 0x4
	s_load_dwordx4 s[36:39], s[52:53], 0x24
	s_load_dwordx8 s[8:15], s[54:55], 0x0
	s_add_u32 s52, s52, 48
	s_addc_u32 s53, s53, 0
	s_waitcnt lgkmcnt(0)
	v_mul_hi_u32 v3, s17, v1
	s_add_i32 s63, s63, 4
	s_add_u32 s54, s54, 32
	s_addc_u32 s55, s55, 0
	v_add_u32_e32 v3, v1, v3
	v_lshrrev_b32_e32 v3, s18, v3
	v_mul_lo_u32 v4, v3, s16
	v_mul_hi_u32 v5, s20, v3
	s_cmp_lg_u32 s61, s63
	v_sub_u32_e32 v1, v1, v4
	v_add_u32_e32 v4, v3, v5
	v_mul_lo_u32 v5, v1, s8
	v_mul_lo_u32 v6, v1, s9
	v_lshrrev_b32_e32 v1, s21, v4
	v_mul_lo_u32 v4, v1, s19
	v_mul_hi_u32 v7, s23, v1
	v_sub_u32_e32 v3, v3, v4
	v_add_u32_e32 v4, v1, v7
	v_lshrrev_b32_e32 v4, s36, v4
	v_mul_hi_u32 v8, s38, v4
	v_mul_lo_u32 v9, v4, s22
	v_mul_lo_u32 v7, v3, s10
	;; [unrolled: 1-line block ×3, first 2 shown]
	v_sub_u32_e32 v9, v1, v9
	v_add_u32_e32 v1, v4, v8
	v_lshrrev_b32_e32 v1, s39, v1
	v_mul_lo_u32 v8, v1, s37
	v_mul_lo_u32 v10, v9, s12
	;; [unrolled: 1-line block ×3, first 2 shown]
	v_add3_u32 v0, v5, v0, v7
	v_sub_u32_e32 v4, v4, v8
	v_mul_lo_u32 v8, v4, s14
	v_mul_lo_u32 v4, v4, s15
	v_add3_u32 v2, v6, v2, v3
	v_add3_u32 v0, v10, v0, v8
	;; [unrolled: 1-line block ×3, first 2 shown]
	s_cbranch_scc1 .LBB149_6
	s_branch .LBB149_132
.LBB149_7:
	s_andn2_saveexec_b64 s[0:1], s[40:41]
	s_cbranch_execz .LBB149_221
.LBB149_8:
	v_cndmask_b32_e64 v0, 0, 1, s[6:7]
	v_cmp_ne_u32_e64 s[0:1], 1, v0
	s_andn2_b64 vcc, exec, s[6:7]
	s_cbranch_vccnz .LBB149_20
; %bb.9:
	s_cmp_lg_u32 s33, 0
	s_mov_b32 s28, 0
	s_cbranch_scc0 .LBB149_23
; %bb.10:
	s_min_u32 s29, s56, 15
	s_add_i32 s29, s29, 1
	s_cmp_eq_u32 s56, 2
	s_cbranch_scc1 .LBB149_24
; %bb.11:
	s_and_b32 s28, s29, 28
	s_add_u32 s2, s34, 0xc4
	s_addc_u32 s3, s35, 0
	v_mov_b32_e32 v2, 0
	s_mov_b32 s30, 0
	s_mov_b64 s[6:7], s[34:35]
	v_mov_b32_e32 v0, 0
	v_mov_b32_e32 v1, v19
.LBB149_12:                             ; =>This Inner Loop Header: Depth=1
	s_load_dwordx8 s[16:23], s[6:7], 0x4
	s_load_dwordx4 s[24:27], s[6:7], 0x24
	s_load_dwordx8 s[8:15], s[2:3], 0x0
	s_add_u32 s6, s6, 48
	s_addc_u32 s7, s7, 0
	s_waitcnt lgkmcnt(0)
	v_mul_hi_u32 v3, s17, v1
	s_add_i32 s30, s30, 4
	s_add_u32 s2, s2, 32
	s_addc_u32 s3, s3, 0
	v_add_u32_e32 v3, v1, v3
	v_lshrrev_b32_e32 v3, s18, v3
	v_mul_lo_u32 v4, v3, s16
	v_mul_hi_u32 v5, s20, v3
	s_cmp_lg_u32 s28, s30
	v_sub_u32_e32 v1, v1, v4
	v_add_u32_e32 v4, v3, v5
	v_mul_lo_u32 v5, v1, s8
	v_mul_lo_u32 v6, v1, s9
	v_lshrrev_b32_e32 v1, s21, v4
	v_mul_lo_u32 v4, v1, s19
	v_mul_hi_u32 v7, s23, v1
	v_sub_u32_e32 v3, v3, v4
	v_add_u32_e32 v4, v1, v7
	v_lshrrev_b32_e32 v4, s24, v4
	v_mul_hi_u32 v8, s26, v4
	v_mul_lo_u32 v9, v4, s22
	v_mul_lo_u32 v7, v3, s10
	;; [unrolled: 1-line block ×3, first 2 shown]
	v_sub_u32_e32 v9, v1, v9
	v_add_u32_e32 v1, v4, v8
	v_lshrrev_b32_e32 v1, s27, v1
	v_mul_lo_u32 v8, v1, s25
	v_mul_lo_u32 v10, v9, s12
	;; [unrolled: 1-line block ×3, first 2 shown]
	v_add3_u32 v0, v5, v0, v7
	v_sub_u32_e32 v4, v4, v8
	v_mul_lo_u32 v8, v4, s14
	v_mul_lo_u32 v4, v4, s15
	v_add3_u32 v2, v6, v2, v3
	v_add3_u32 v0, v10, v0, v8
	;; [unrolled: 1-line block ×3, first 2 shown]
	s_cbranch_scc1 .LBB149_12
; %bb.13:
	s_and_b32 s8, s29, 3
	s_cmp_eq_u32 s8, 0
	s_cbranch_scc0 .LBB149_25
	s_branch .LBB149_27
.LBB149_14:
	s_or_b64 exec, exec, s[50:51]
	v_cmp_gt_i32_e32 vcc, s59, v19
	s_and_saveexec_b64 s[50:51], vcc
	s_cbranch_execz .LBB149_139
.LBB149_15:
	s_andn2_b64 vcc, exec, s[6:7]
	s_cbranch_vccnz .LBB149_22
; %bb.16:
	s_andn2_b64 vcc, exec, s[48:49]
	s_cbranch_vccnz .LBB149_130
; %bb.17:
	s_add_i32 s62, s60, 1
	s_cmp_eq_u32 s56, 2
	s_cbranch_scc1 .LBB149_147
; %bb.18:
	s_and_b32 s61, s62, 28
	v_mov_b32_e32 v2, 0
	s_mov_b32 s63, 0
	s_mov_b64 s[52:53], s[34:35]
	s_mov_b64 s[54:55], s[46:47]
	v_mov_b32_e32 v0, 0
	v_mov_b32_e32 v1, v19
.LBB149_19:                             ; =>This Inner Loop Header: Depth=1
	s_load_dwordx8 s[16:23], s[52:53], 0x4
	s_load_dwordx4 s[36:39], s[52:53], 0x24
	s_load_dwordx8 s[8:15], s[54:55], 0x0
	s_add_u32 s52, s52, 48
	s_addc_u32 s53, s53, 0
	s_waitcnt lgkmcnt(0)
	v_mul_hi_u32 v3, s17, v1
	s_add_i32 s63, s63, 4
	s_add_u32 s54, s54, 32
	s_addc_u32 s55, s55, 0
	v_add_u32_e32 v3, v1, v3
	v_lshrrev_b32_e32 v3, s18, v3
	v_mul_lo_u32 v4, v3, s16
	v_mul_hi_u32 v5, s20, v3
	s_cmp_eq_u32 s61, s63
	v_sub_u32_e32 v1, v1, v4
	v_add_u32_e32 v4, v3, v5
	v_mul_lo_u32 v5, v1, s8
	v_mul_lo_u32 v6, v1, s9
	v_lshrrev_b32_e32 v1, s21, v4
	v_mul_lo_u32 v4, v1, s19
	v_mul_hi_u32 v7, s23, v1
	v_sub_u32_e32 v3, v3, v4
	v_add_u32_e32 v4, v1, v7
	v_lshrrev_b32_e32 v4, s36, v4
	v_mul_hi_u32 v8, s38, v4
	v_mul_lo_u32 v9, v4, s22
	v_mul_lo_u32 v7, v3, s10
	v_mul_lo_u32 v3, v3, s11
	v_sub_u32_e32 v9, v1, v9
	v_add_u32_e32 v1, v4, v8
	v_lshrrev_b32_e32 v1, s39, v1
	v_mul_lo_u32 v8, v1, s37
	v_mul_lo_u32 v10, v9, s12
	;; [unrolled: 1-line block ×3, first 2 shown]
	v_add3_u32 v0, v5, v0, v7
	v_sub_u32_e32 v4, v4, v8
	v_mul_lo_u32 v8, v4, s14
	v_mul_lo_u32 v4, v4, s15
	v_add3_u32 v2, v6, v2, v3
	v_add3_u32 v0, v10, v0, v8
	;; [unrolled: 1-line block ×3, first 2 shown]
	s_cbranch_scc0 .LBB149_19
	s_branch .LBB149_148
.LBB149_20:
                                        ; implicit-def: $vgpr0
                                        ; implicit-def: $vgpr2
	s_branch .LBB149_28
.LBB149_21:
                                        ; implicit-def: $vgpr0
                                        ; implicit-def: $vgpr2
	s_branch .LBB149_136
.LBB149_22:
                                        ; implicit-def: $vgpr0
                                        ; implicit-def: $vgpr2
	s_branch .LBB149_152
.LBB149_23:
	v_mov_b32_e32 v0, 0
	v_mov_b32_e32 v2, 0
	s_branch .LBB149_27
.LBB149_24:
	v_mov_b32_e32 v0, 0
	v_mov_b32_e32 v2, 0
	;; [unrolled: 1-line block ×3, first 2 shown]
	s_and_b32 s8, s29, 3
	s_cmp_eq_u32 s8, 0
	s_cbranch_scc1 .LBB149_27
.LBB149_25:
	s_lshl_b32 s2, s28, 3
	s_add_u32 s2, s34, s2
	s_addc_u32 s3, s35, 0
	s_add_u32 s2, s2, 0xc4
	s_addc_u32 s3, s3, 0
	s_mul_i32 s6, s28, 12
	s_add_u32 s6, s34, s6
	s_addc_u32 s7, s35, 0
.LBB149_26:                             ; =>This Inner Loop Header: Depth=1
	s_load_dwordx2 s[10:11], s[6:7], 0x4
	s_load_dword s9, s[6:7], 0xc
	s_load_dwordx2 s[12:13], s[2:3], 0x0
	s_add_u32 s6, s6, 12
	s_addc_u32 s7, s7, 0
	s_waitcnt lgkmcnt(0)
	v_mul_hi_u32 v4, s11, v1
	s_add_u32 s2, s2, 8
	s_addc_u32 s3, s3, 0
	s_add_i32 s8, s8, -1
	v_add_u32_e32 v4, v1, v4
	v_lshrrev_b32_e32 v4, s9, v4
	v_mul_lo_u32 v5, v4, s10
	s_cmp_lg_u32 s8, 0
	v_sub_u32_e32 v5, v1, v5
	v_mad_u64_u32 v[0:1], s[10:11], v5, s12, v[0:1]
	v_mad_u64_u32 v[2:3], s[10:11], v5, s13, v[2:3]
	v_mov_b32_e32 v1, v4
	s_cbranch_scc1 .LBB149_26
.LBB149_27:
	s_cbranch_execnz .LBB149_30
.LBB149_28:
	s_load_dwordx4 s[8:11], s[34:35], 0x4
	s_load_dwordx2 s[2:3], s[34:35], 0xc4
	s_cmp_lt_u32 s33, 2
	s_waitcnt lgkmcnt(0)
	v_mul_hi_u32 v0, s9, v19
	v_add_u32_e32 v0, v19, v0
	v_lshrrev_b32_e32 v1, s10, v0
	v_mul_lo_u32 v0, v1, s8
	v_sub_u32_e32 v2, v19, v0
	v_mul_lo_u32 v0, v2, s2
	v_mul_lo_u32 v2, v2, s3
	s_cbranch_scc1 .LBB149_30
; %bb.29:
	s_load_dwordx4 s[8:11], s[34:35], 0x10
	s_load_dwordx2 s[2:3], s[34:35], 0xcc
	s_waitcnt lgkmcnt(0)
	v_mul_hi_u32 v3, s9, v1
	v_add_u32_e32 v3, v1, v3
	v_lshrrev_b32_e32 v3, s10, v3
	v_mul_lo_u32 v3, v3, s8
	v_sub_u32_e32 v3, v1, v3
	v_mad_u64_u32 v[0:1], s[6:7], v3, s2, v[0:1]
	v_mad_u64_u32 v[2:3], s[2:3], v3, s3, v[2:3]
.LBB149_30:
	s_and_b64 vcc, exec, s[0:1]
	v_add_u32_e32 v1, 0x80, v19
	s_cbranch_vccnz .LBB149_36
; %bb.31:
	s_cmp_lg_u32 s33, 0
	s_mov_b32 s28, 0
	s_cbranch_scc0 .LBB149_37
; %bb.32:
	s_min_u32 s29, s56, 15
	s_add_i32 s29, s29, 1
	s_cmp_eq_u32 s56, 2
	s_cbranch_scc1 .LBB149_38
; %bb.33:
	s_and_b32 s28, s29, 28
	s_add_u32 s2, s34, 0xc4
	s_addc_u32 s3, s35, 0
	v_mov_b32_e32 v5, 0
	s_mov_b32 s30, 0
	s_mov_b64 s[6:7], s[34:35]
	v_mov_b32_e32 v3, 0
	v_mov_b32_e32 v4, v1
.LBB149_34:                             ; =>This Inner Loop Header: Depth=1
	s_load_dwordx8 s[16:23], s[6:7], 0x4
	s_load_dwordx4 s[24:27], s[6:7], 0x24
	s_load_dwordx8 s[8:15], s[2:3], 0x0
	s_add_u32 s6, s6, 48
	s_addc_u32 s7, s7, 0
	s_waitcnt lgkmcnt(0)
	v_mul_hi_u32 v6, s17, v4
	s_add_i32 s30, s30, 4
	s_add_u32 s2, s2, 32
	s_addc_u32 s3, s3, 0
	v_add_u32_e32 v6, v4, v6
	v_lshrrev_b32_e32 v6, s18, v6
	v_mul_lo_u32 v7, v6, s16
	v_mul_hi_u32 v8, s20, v6
	s_cmp_lg_u32 s28, s30
	v_sub_u32_e32 v4, v4, v7
	v_add_u32_e32 v7, v6, v8
	v_mul_lo_u32 v8, v4, s8
	v_mul_lo_u32 v9, v4, s9
	v_lshrrev_b32_e32 v4, s21, v7
	v_mul_lo_u32 v7, v4, s19
	v_mul_hi_u32 v10, s23, v4
	v_sub_u32_e32 v6, v6, v7
	v_add_u32_e32 v7, v4, v10
	v_lshrrev_b32_e32 v7, s24, v7
	v_mul_hi_u32 v11, s26, v7
	v_mul_lo_u32 v12, v7, s22
	v_mul_lo_u32 v10, v6, s10
	;; [unrolled: 1-line block ×3, first 2 shown]
	v_sub_u32_e32 v12, v4, v12
	v_add_u32_e32 v4, v7, v11
	v_lshrrev_b32_e32 v4, s27, v4
	v_mul_lo_u32 v11, v4, s25
	v_mul_lo_u32 v13, v12, s12
	;; [unrolled: 1-line block ×3, first 2 shown]
	v_add3_u32 v3, v8, v3, v10
	v_sub_u32_e32 v7, v7, v11
	v_mul_lo_u32 v11, v7, s14
	v_mul_lo_u32 v7, v7, s15
	v_add3_u32 v5, v9, v5, v6
	v_add3_u32 v3, v13, v3, v11
	;; [unrolled: 1-line block ×3, first 2 shown]
	s_cbranch_scc1 .LBB149_34
; %bb.35:
	s_and_b32 s8, s29, 3
	s_cmp_eq_u32 s8, 0
	s_cbranch_scc0 .LBB149_39
	s_branch .LBB149_41
.LBB149_36:
                                        ; implicit-def: $vgpr3
                                        ; implicit-def: $vgpr5
	s_branch .LBB149_42
.LBB149_37:
	v_mov_b32_e32 v3, 0
	v_mov_b32_e32 v5, 0
	s_branch .LBB149_41
.LBB149_38:
	v_mov_b32_e32 v3, 0
	v_mov_b32_e32 v5, 0
	;; [unrolled: 1-line block ×3, first 2 shown]
	s_and_b32 s8, s29, 3
	s_cmp_eq_u32 s8, 0
	s_cbranch_scc1 .LBB149_41
.LBB149_39:
	s_lshl_b32 s2, s28, 3
	s_add_u32 s2, s34, s2
	s_addc_u32 s3, s35, 0
	s_add_u32 s2, s2, 0xc4
	s_addc_u32 s3, s3, 0
	s_mul_i32 s6, s28, 12
	s_add_u32 s6, s34, s6
	s_addc_u32 s7, s35, 0
.LBB149_40:                             ; =>This Inner Loop Header: Depth=1
	s_load_dwordx2 s[10:11], s[6:7], 0x4
	s_load_dword s9, s[6:7], 0xc
	s_load_dwordx2 s[12:13], s[2:3], 0x0
	s_add_u32 s6, s6, 12
	s_addc_u32 s7, s7, 0
	s_waitcnt lgkmcnt(0)
	v_mul_hi_u32 v7, s11, v4
	s_add_u32 s2, s2, 8
	s_addc_u32 s3, s3, 0
	s_add_i32 s8, s8, -1
	v_add_u32_e32 v7, v4, v7
	v_lshrrev_b32_e32 v7, s9, v7
	v_mul_lo_u32 v8, v7, s10
	s_cmp_lg_u32 s8, 0
	v_sub_u32_e32 v8, v4, v8
	v_mad_u64_u32 v[3:4], s[10:11], v8, s12, v[3:4]
	v_mad_u64_u32 v[5:6], s[10:11], v8, s13, v[5:6]
	v_mov_b32_e32 v4, v7
	s_cbranch_scc1 .LBB149_40
.LBB149_41:
	s_cbranch_execnz .LBB149_44
.LBB149_42:
	s_load_dwordx4 s[8:11], s[34:35], 0x4
	s_load_dwordx2 s[2:3], s[34:35], 0xc4
	s_cmp_lt_u32 s33, 2
	s_waitcnt lgkmcnt(0)
	v_mul_hi_u32 v3, s9, v1
	v_add_u32_e32 v3, v1, v3
	v_lshrrev_b32_e32 v4, s10, v3
	v_mul_lo_u32 v3, v4, s8
	v_sub_u32_e32 v1, v1, v3
	v_mul_lo_u32 v3, v1, s2
	v_mul_lo_u32 v5, v1, s3
	s_cbranch_scc1 .LBB149_44
; %bb.43:
	s_load_dwordx4 s[8:11], s[34:35], 0x10
	s_load_dwordx2 s[2:3], s[34:35], 0xcc
	s_waitcnt lgkmcnt(0)
	v_mul_hi_u32 v1, s9, v4
	v_add_u32_e32 v1, v4, v1
	v_lshrrev_b32_e32 v1, s10, v1
	v_mul_lo_u32 v1, v1, s8
	v_sub_u32_e32 v1, v4, v1
	v_mad_u64_u32 v[3:4], s[6:7], v1, s2, v[3:4]
	v_mad_u64_u32 v[5:6], s[2:3], v1, s3, v[5:6]
.LBB149_44:
	s_and_b64 vcc, exec, s[0:1]
	v_add_u32_e32 v1, 0x100, v19
	s_cbranch_vccnz .LBB149_50
; %bb.45:
	s_cmp_lg_u32 s33, 0
	s_mov_b32 s28, 0
	s_cbranch_scc0 .LBB149_51
; %bb.46:
	s_min_u32 s29, s56, 15
	s_add_i32 s29, s29, 1
	s_cmp_eq_u32 s56, 2
	s_cbranch_scc1 .LBB149_52
; %bb.47:
	s_and_b32 s28, s29, 28
	s_add_u32 s2, s34, 0xc4
	s_addc_u32 s3, s35, 0
	v_mov_b32_e32 v8, 0
	s_mov_b32 s30, 0
	s_mov_b64 s[6:7], s[34:35]
	v_mov_b32_e32 v6, 0
	v_mov_b32_e32 v4, v1
.LBB149_48:                             ; =>This Inner Loop Header: Depth=1
	s_load_dwordx8 s[16:23], s[6:7], 0x4
	s_load_dwordx4 s[24:27], s[6:7], 0x24
	s_load_dwordx8 s[8:15], s[2:3], 0x0
	s_add_u32 s6, s6, 48
	s_addc_u32 s7, s7, 0
	s_waitcnt lgkmcnt(0)
	v_mul_hi_u32 v7, s17, v4
	s_add_i32 s30, s30, 4
	s_add_u32 s2, s2, 32
	s_addc_u32 s3, s3, 0
	v_add_u32_e32 v7, v4, v7
	v_lshrrev_b32_e32 v7, s18, v7
	v_mul_lo_u32 v9, v7, s16
	v_mul_hi_u32 v10, s20, v7
	s_cmp_lg_u32 s28, s30
	v_sub_u32_e32 v4, v4, v9
	v_add_u32_e32 v9, v7, v10
	v_mul_lo_u32 v10, v4, s8
	v_mul_lo_u32 v11, v4, s9
	v_lshrrev_b32_e32 v4, s21, v9
	v_mul_lo_u32 v9, v4, s19
	v_mul_hi_u32 v12, s23, v4
	v_sub_u32_e32 v7, v7, v9
	v_add_u32_e32 v9, v4, v12
	v_lshrrev_b32_e32 v9, s24, v9
	v_mul_hi_u32 v13, s26, v9
	v_mul_lo_u32 v14, v9, s22
	v_mul_lo_u32 v12, v7, s10
	;; [unrolled: 1-line block ×3, first 2 shown]
	v_sub_u32_e32 v14, v4, v14
	v_add_u32_e32 v4, v9, v13
	v_lshrrev_b32_e32 v4, s27, v4
	v_mul_lo_u32 v13, v4, s25
	v_mul_lo_u32 v15, v14, s12
	;; [unrolled: 1-line block ×3, first 2 shown]
	v_add3_u32 v6, v10, v6, v12
	v_sub_u32_e32 v9, v9, v13
	v_mul_lo_u32 v13, v9, s14
	v_mul_lo_u32 v9, v9, s15
	v_add3_u32 v7, v11, v8, v7
	v_add3_u32 v6, v15, v6, v13
	;; [unrolled: 1-line block ×3, first 2 shown]
	s_cbranch_scc1 .LBB149_48
; %bb.49:
	s_and_b32 s8, s29, 3
	s_cmp_eq_u32 s8, 0
	s_cbranch_scc0 .LBB149_53
	s_branch .LBB149_55
.LBB149_50:
                                        ; implicit-def: $vgpr6
                                        ; implicit-def: $vgpr8
	s_branch .LBB149_56
.LBB149_51:
	v_mov_b32_e32 v6, 0
	v_mov_b32_e32 v8, 0
	s_branch .LBB149_55
.LBB149_52:
	v_mov_b32_e32 v6, 0
	v_mov_b32_e32 v8, 0
	;; [unrolled: 1-line block ×3, first 2 shown]
	s_and_b32 s8, s29, 3
	s_cmp_eq_u32 s8, 0
	s_cbranch_scc1 .LBB149_55
.LBB149_53:
	s_lshl_b32 s2, s28, 3
	s_add_u32 s2, s34, s2
	s_addc_u32 s3, s35, 0
	s_add_u32 s2, s2, 0xc4
	s_addc_u32 s3, s3, 0
	s_mul_i32 s6, s28, 12
	s_add_u32 s6, s34, s6
	s_addc_u32 s7, s35, 0
.LBB149_54:                             ; =>This Inner Loop Header: Depth=1
	s_load_dwordx2 s[10:11], s[6:7], 0x4
	s_load_dword s9, s[6:7], 0xc
	s_load_dwordx2 s[12:13], s[2:3], 0x0
	s_add_u32 s6, s6, 12
	s_addc_u32 s7, s7, 0
	s_waitcnt lgkmcnt(0)
	v_mul_hi_u32 v7, s11, v4
	s_add_u32 s2, s2, 8
	s_addc_u32 s3, s3, 0
	s_add_i32 s8, s8, -1
	v_add_u32_e32 v7, v4, v7
	v_lshrrev_b32_e32 v10, s9, v7
	v_mul_lo_u32 v7, v10, s10
	s_cmp_lg_u32 s8, 0
	v_sub_u32_e32 v4, v4, v7
	v_mad_u64_u32 v[6:7], s[10:11], v4, s12, v[6:7]
	v_mad_u64_u32 v[8:9], s[10:11], v4, s13, v[8:9]
	v_mov_b32_e32 v4, v10
	s_cbranch_scc1 .LBB149_54
.LBB149_55:
	s_cbranch_execnz .LBB149_58
.LBB149_56:
	s_load_dwordx4 s[8:11], s[34:35], 0x4
	s_load_dwordx2 s[2:3], s[34:35], 0xc4
	s_cmp_lt_u32 s33, 2
	s_waitcnt lgkmcnt(0)
	v_mul_hi_u32 v4, s9, v1
	v_add_u32_e32 v4, v1, v4
	v_lshrrev_b32_e32 v4, s10, v4
	v_mul_lo_u32 v6, v4, s8
	v_sub_u32_e32 v1, v1, v6
	v_mul_lo_u32 v6, v1, s2
	v_mul_lo_u32 v8, v1, s3
	s_cbranch_scc1 .LBB149_58
; %bb.57:
	s_load_dwordx4 s[8:11], s[34:35], 0x10
	s_load_dwordx2 s[2:3], s[34:35], 0xcc
	s_waitcnt lgkmcnt(0)
	v_mul_hi_u32 v1, s9, v4
	v_add_u32_e32 v1, v4, v1
	v_lshrrev_b32_e32 v1, s10, v1
	v_mul_lo_u32 v1, v1, s8
	v_sub_u32_e32 v1, v4, v1
	v_mad_u64_u32 v[6:7], s[6:7], v1, s2, v[6:7]
	v_mad_u64_u32 v[8:9], s[2:3], v1, s3, v[8:9]
.LBB149_58:
	s_and_b64 vcc, exec, s[0:1]
	v_add_u32_e32 v1, 0x180, v19
	s_cbranch_vccnz .LBB149_64
; %bb.59:
	s_cmp_lg_u32 s33, 0
	s_mov_b32 s28, 0
	s_cbranch_scc0 .LBB149_65
; %bb.60:
	s_min_u32 s29, s56, 15
	s_add_i32 s29, s29, 1
	s_cmp_eq_u32 s56, 2
	s_cbranch_scc1 .LBB149_66
; %bb.61:
	s_and_b32 s28, s29, 28
	s_add_u32 s2, s34, 0xc4
	s_addc_u32 s3, s35, 0
	v_mov_b32_e32 v11, 0
	s_mov_b32 s30, 0
	s_mov_b64 s[6:7], s[34:35]
	v_mov_b32_e32 v9, 0
	v_mov_b32_e32 v4, v1
.LBB149_62:                             ; =>This Inner Loop Header: Depth=1
	s_load_dwordx8 s[16:23], s[6:7], 0x4
	s_load_dwordx4 s[24:27], s[6:7], 0x24
	s_load_dwordx8 s[8:15], s[2:3], 0x0
	s_add_u32 s6, s6, 48
	s_addc_u32 s7, s7, 0
	s_waitcnt lgkmcnt(0)
	v_mul_hi_u32 v7, s17, v4
	s_add_i32 s30, s30, 4
	s_add_u32 s2, s2, 32
	s_addc_u32 s3, s3, 0
	v_add_u32_e32 v7, v4, v7
	v_lshrrev_b32_e32 v7, s18, v7
	v_mul_lo_u32 v10, v7, s16
	v_mul_hi_u32 v12, s20, v7
	s_cmp_lg_u32 s28, s30
	v_sub_u32_e32 v4, v4, v10
	v_add_u32_e32 v10, v7, v12
	v_mul_lo_u32 v12, v4, s8
	v_mul_lo_u32 v13, v4, s9
	v_lshrrev_b32_e32 v4, s21, v10
	v_mul_lo_u32 v10, v4, s19
	v_mul_hi_u32 v14, s23, v4
	v_sub_u32_e32 v7, v7, v10
	v_add_u32_e32 v10, v4, v14
	v_lshrrev_b32_e32 v10, s24, v10
	v_mul_hi_u32 v15, s26, v10
	v_mul_lo_u32 v16, v10, s22
	v_mul_lo_u32 v14, v7, s10
	;; [unrolled: 1-line block ×3, first 2 shown]
	v_sub_u32_e32 v16, v4, v16
	v_add_u32_e32 v4, v10, v15
	v_lshrrev_b32_e32 v4, s27, v4
	v_mul_lo_u32 v15, v4, s25
	v_mul_lo_u32 v17, v16, s12
	v_mul_lo_u32 v16, v16, s13
	v_add3_u32 v9, v12, v9, v14
	v_sub_u32_e32 v10, v10, v15
	v_mul_lo_u32 v15, v10, s14
	v_mul_lo_u32 v10, v10, s15
	v_add3_u32 v7, v13, v11, v7
	v_add3_u32 v9, v17, v9, v15
	;; [unrolled: 1-line block ×3, first 2 shown]
	s_cbranch_scc1 .LBB149_62
; %bb.63:
	s_and_b32 s8, s29, 3
	s_cmp_eq_u32 s8, 0
	s_cbranch_scc0 .LBB149_67
	s_branch .LBB149_69
.LBB149_64:
                                        ; implicit-def: $vgpr9
                                        ; implicit-def: $vgpr11
	s_branch .LBB149_70
.LBB149_65:
	v_mov_b32_e32 v9, 0
	v_mov_b32_e32 v11, 0
	s_branch .LBB149_69
.LBB149_66:
	v_mov_b32_e32 v9, 0
	v_mov_b32_e32 v11, 0
	;; [unrolled: 1-line block ×3, first 2 shown]
	s_and_b32 s8, s29, 3
	s_cmp_eq_u32 s8, 0
	s_cbranch_scc1 .LBB149_69
.LBB149_67:
	s_lshl_b32 s2, s28, 3
	s_add_u32 s2, s34, s2
	s_addc_u32 s3, s35, 0
	s_add_u32 s2, s2, 0xc4
	s_addc_u32 s3, s3, 0
	s_mul_i32 s6, s28, 12
	s_add_u32 s6, s34, s6
	s_addc_u32 s7, s35, 0
.LBB149_68:                             ; =>This Inner Loop Header: Depth=1
	s_load_dwordx2 s[10:11], s[6:7], 0x4
	s_load_dword s9, s[6:7], 0xc
	s_load_dwordx2 s[12:13], s[2:3], 0x0
	s_add_u32 s6, s6, 12
	s_addc_u32 s7, s7, 0
	s_waitcnt lgkmcnt(0)
	v_mul_hi_u32 v7, s11, v4
	s_add_u32 s2, s2, 8
	s_addc_u32 s3, s3, 0
	s_add_i32 s8, s8, -1
	v_add_u32_e32 v7, v4, v7
	v_lshrrev_b32_e32 v7, s9, v7
	v_mul_lo_u32 v10, v7, s10
	s_cmp_lg_u32 s8, 0
	v_sub_u32_e32 v4, v4, v10
	v_mad_u64_u32 v[9:10], s[10:11], v4, s12, v[9:10]
	v_mad_u64_u32 v[11:12], s[10:11], v4, s13, v[11:12]
	v_mov_b32_e32 v4, v7
	s_cbranch_scc1 .LBB149_68
.LBB149_69:
	s_cbranch_execnz .LBB149_72
.LBB149_70:
	s_load_dwordx4 s[8:11], s[34:35], 0x4
	s_load_dwordx2 s[2:3], s[34:35], 0xc4
	s_cmp_lt_u32 s33, 2
	s_waitcnt lgkmcnt(0)
	v_mul_hi_u32 v4, s9, v1
	v_add_u32_e32 v4, v1, v4
	v_lshrrev_b32_e32 v4, s10, v4
	v_mul_lo_u32 v7, v4, s8
	v_sub_u32_e32 v1, v1, v7
	v_mul_lo_u32 v9, v1, s2
	v_mul_lo_u32 v11, v1, s3
	s_cbranch_scc1 .LBB149_72
; %bb.71:
	s_load_dwordx4 s[8:11], s[34:35], 0x10
	s_load_dwordx2 s[2:3], s[34:35], 0xcc
	s_waitcnt lgkmcnt(0)
	v_mul_hi_u32 v1, s9, v4
	v_add_u32_e32 v1, v4, v1
	v_lshrrev_b32_e32 v1, s10, v1
	v_mul_lo_u32 v1, v1, s8
	v_sub_u32_e32 v1, v4, v1
	v_mad_u64_u32 v[9:10], s[6:7], v1, s2, v[9:10]
	v_mad_u64_u32 v[11:12], s[2:3], v1, s3, v[11:12]
.LBB149_72:
	s_and_b64 vcc, exec, s[0:1]
	v_add_u32_e32 v1, 0x200, v19
	s_cbranch_vccnz .LBB149_78
; %bb.73:
	s_cmp_lg_u32 s33, 0
	s_mov_b32 s28, 0
	s_cbranch_scc0 .LBB149_79
; %bb.74:
	s_min_u32 s29, s56, 15
	s_add_i32 s29, s29, 1
	s_cmp_eq_u32 s56, 2
	s_cbranch_scc1 .LBB149_80
; %bb.75:
	s_and_b32 s28, s29, 28
	s_add_u32 s2, s34, 0xc4
	s_addc_u32 s3, s35, 0
	v_mov_b32_e32 v14, 0
	s_mov_b32 s30, 0
	s_mov_b64 s[6:7], s[34:35]
	v_mov_b32_e32 v12, 0
	v_mov_b32_e32 v4, v1
.LBB149_76:                             ; =>This Inner Loop Header: Depth=1
	s_load_dwordx8 s[16:23], s[6:7], 0x4
	s_load_dwordx4 s[24:27], s[6:7], 0x24
	s_load_dwordx8 s[8:15], s[2:3], 0x0
	s_add_u32 s6, s6, 48
	s_addc_u32 s7, s7, 0
	s_waitcnt lgkmcnt(0)
	v_mul_hi_u32 v7, s17, v4
	s_add_i32 s30, s30, 4
	s_add_u32 s2, s2, 32
	s_addc_u32 s3, s3, 0
	v_add_u32_e32 v7, v4, v7
	v_lshrrev_b32_e32 v7, s18, v7
	v_mul_lo_u32 v10, v7, s16
	v_mul_hi_u32 v13, s20, v7
	s_cmp_lg_u32 s28, s30
	v_sub_u32_e32 v4, v4, v10
	v_add_u32_e32 v10, v7, v13
	v_mul_lo_u32 v13, v4, s8
	v_mul_lo_u32 v15, v4, s9
	v_lshrrev_b32_e32 v4, s21, v10
	v_mul_lo_u32 v10, v4, s19
	v_mul_hi_u32 v16, s23, v4
	v_sub_u32_e32 v7, v7, v10
	v_add_u32_e32 v10, v4, v16
	v_lshrrev_b32_e32 v10, s24, v10
	v_mul_hi_u32 v17, s26, v10
	v_mul_lo_u32 v18, v10, s22
	v_mul_lo_u32 v16, v7, s10
	;; [unrolled: 1-line block ×3, first 2 shown]
	v_sub_u32_e32 v18, v4, v18
	v_add_u32_e32 v4, v10, v17
	v_lshrrev_b32_e32 v4, s27, v4
	v_mul_lo_u32 v17, v4, s25
	v_mul_lo_u32 v20, v18, s12
	v_mul_lo_u32 v18, v18, s13
	v_add3_u32 v12, v13, v12, v16
	v_sub_u32_e32 v10, v10, v17
	v_mul_lo_u32 v17, v10, s14
	v_mul_lo_u32 v10, v10, s15
	v_add3_u32 v7, v15, v14, v7
	v_add3_u32 v12, v20, v12, v17
	;; [unrolled: 1-line block ×3, first 2 shown]
	s_cbranch_scc1 .LBB149_76
; %bb.77:
	s_and_b32 s8, s29, 3
	s_cmp_eq_u32 s8, 0
	s_cbranch_scc0 .LBB149_81
	s_branch .LBB149_83
.LBB149_78:
                                        ; implicit-def: $vgpr12
                                        ; implicit-def: $vgpr14
	s_branch .LBB149_84
.LBB149_79:
	v_mov_b32_e32 v12, 0
	v_mov_b32_e32 v14, 0
	s_branch .LBB149_83
.LBB149_80:
	v_mov_b32_e32 v12, 0
	v_mov_b32_e32 v14, 0
	;; [unrolled: 1-line block ×3, first 2 shown]
	s_and_b32 s8, s29, 3
	s_cmp_eq_u32 s8, 0
	s_cbranch_scc1 .LBB149_83
.LBB149_81:
	s_lshl_b32 s2, s28, 3
	s_add_u32 s2, s34, s2
	s_addc_u32 s3, s35, 0
	s_add_u32 s2, s2, 0xc4
	s_addc_u32 s3, s3, 0
	s_mul_i32 s6, s28, 12
	s_add_u32 s6, s34, s6
	s_addc_u32 s7, s35, 0
.LBB149_82:                             ; =>This Inner Loop Header: Depth=1
	s_load_dwordx2 s[10:11], s[6:7], 0x4
	s_load_dword s9, s[6:7], 0xc
	s_load_dwordx2 s[12:13], s[2:3], 0x0
	s_add_u32 s6, s6, 12
	s_addc_u32 s7, s7, 0
	s_waitcnt lgkmcnt(0)
	v_mul_hi_u32 v7, s11, v4
	s_add_u32 s2, s2, 8
	s_addc_u32 s3, s3, 0
	s_add_i32 s8, s8, -1
	v_add_u32_e32 v7, v4, v7
	v_lshrrev_b32_e32 v7, s9, v7
	v_mul_lo_u32 v10, v7, s10
	s_cmp_lg_u32 s8, 0
	v_sub_u32_e32 v4, v4, v10
	v_mad_u64_u32 v[12:13], s[10:11], v4, s12, v[12:13]
	v_mad_u64_u32 v[14:15], s[10:11], v4, s13, v[14:15]
	v_mov_b32_e32 v4, v7
	s_cbranch_scc1 .LBB149_82
.LBB149_83:
	s_cbranch_execnz .LBB149_86
.LBB149_84:
	s_load_dwordx4 s[8:11], s[34:35], 0x4
	s_load_dwordx2 s[2:3], s[34:35], 0xc4
	s_cmp_lt_u32 s33, 2
	s_waitcnt lgkmcnt(0)
	v_mul_hi_u32 v4, s9, v1
	v_add_u32_e32 v4, v1, v4
	v_lshrrev_b32_e32 v4, s10, v4
	v_mul_lo_u32 v7, v4, s8
	v_sub_u32_e32 v1, v1, v7
	v_mul_lo_u32 v12, v1, s2
	v_mul_lo_u32 v14, v1, s3
	s_cbranch_scc1 .LBB149_86
; %bb.85:
	s_load_dwordx4 s[8:11], s[34:35], 0x10
	s_load_dwordx2 s[2:3], s[34:35], 0xcc
	s_waitcnt lgkmcnt(0)
	v_mul_hi_u32 v1, s9, v4
	v_add_u32_e32 v1, v4, v1
	v_lshrrev_b32_e32 v1, s10, v1
	v_mul_lo_u32 v1, v1, s8
	v_sub_u32_e32 v1, v4, v1
	v_mad_u64_u32 v[12:13], s[6:7], v1, s2, v[12:13]
	v_mad_u64_u32 v[14:15], s[2:3], v1, s3, v[14:15]
.LBB149_86:
	s_and_b64 vcc, exec, s[0:1]
	v_add_u32_e32 v1, 0x280, v19
	s_cbranch_vccnz .LBB149_92
; %bb.87:
	s_cmp_lg_u32 s33, 0
	s_mov_b32 s28, 0
	s_cbranch_scc0 .LBB149_93
; %bb.88:
	s_min_u32 s29, s56, 15
	s_add_i32 s29, s29, 1
	s_cmp_eq_u32 s56, 2
	s_cbranch_scc1 .LBB149_94
; %bb.89:
	s_and_b32 s28, s29, 28
	s_add_u32 s2, s34, 0xc4
	s_addc_u32 s3, s35, 0
	v_mov_b32_e32 v17, 0
	s_mov_b32 s30, 0
	s_mov_b64 s[6:7], s[34:35]
	v_mov_b32_e32 v15, 0
	v_mov_b32_e32 v4, v1
.LBB149_90:                             ; =>This Inner Loop Header: Depth=1
	s_load_dwordx8 s[16:23], s[6:7], 0x4
	s_load_dwordx4 s[24:27], s[6:7], 0x24
	s_load_dwordx8 s[8:15], s[2:3], 0x0
	s_add_u32 s6, s6, 48
	s_addc_u32 s7, s7, 0
	s_waitcnt lgkmcnt(0)
	v_mul_hi_u32 v7, s17, v4
	s_add_i32 s30, s30, 4
	s_add_u32 s2, s2, 32
	s_addc_u32 s3, s3, 0
	v_add_u32_e32 v7, v4, v7
	v_lshrrev_b32_e32 v7, s18, v7
	v_mul_lo_u32 v10, v7, s16
	v_mul_hi_u32 v13, s20, v7
	s_cmp_lg_u32 s28, s30
	v_sub_u32_e32 v4, v4, v10
	v_add_u32_e32 v10, v7, v13
	v_mul_lo_u32 v13, v4, s8
	v_mul_lo_u32 v16, v4, s9
	v_lshrrev_b32_e32 v4, s21, v10
	v_mul_lo_u32 v10, v4, s19
	v_mul_hi_u32 v18, s23, v4
	v_sub_u32_e32 v7, v7, v10
	v_add_u32_e32 v10, v4, v18
	v_lshrrev_b32_e32 v10, s24, v10
	v_mul_hi_u32 v20, s26, v10
	v_mul_lo_u32 v21, v10, s22
	v_mul_lo_u32 v18, v7, s10
	;; [unrolled: 1-line block ×3, first 2 shown]
	v_sub_u32_e32 v21, v4, v21
	v_add_u32_e32 v4, v10, v20
	v_lshrrev_b32_e32 v4, s27, v4
	v_mul_lo_u32 v20, v4, s25
	v_mul_lo_u32 v22, v21, s12
	;; [unrolled: 1-line block ×3, first 2 shown]
	v_add3_u32 v13, v13, v15, v18
	v_sub_u32_e32 v10, v10, v20
	v_mul_lo_u32 v20, v10, s14
	v_mul_lo_u32 v10, v10, s15
	v_add3_u32 v7, v16, v17, v7
	v_add3_u32 v15, v22, v13, v20
	;; [unrolled: 1-line block ×3, first 2 shown]
	s_cbranch_scc1 .LBB149_90
; %bb.91:
	s_and_b32 s8, s29, 3
	s_cmp_eq_u32 s8, 0
	s_cbranch_scc0 .LBB149_95
	s_branch .LBB149_97
.LBB149_92:
                                        ; implicit-def: $vgpr15
                                        ; implicit-def: $vgpr17
	s_branch .LBB149_98
.LBB149_93:
	v_mov_b32_e32 v15, 0
	v_mov_b32_e32 v17, 0
	s_branch .LBB149_97
.LBB149_94:
	v_mov_b32_e32 v15, 0
	v_mov_b32_e32 v17, 0
	;; [unrolled: 1-line block ×3, first 2 shown]
	s_and_b32 s8, s29, 3
	s_cmp_eq_u32 s8, 0
	s_cbranch_scc1 .LBB149_97
.LBB149_95:
	s_lshl_b32 s2, s28, 3
	s_add_u32 s2, s34, s2
	s_addc_u32 s3, s35, 0
	s_add_u32 s2, s2, 0xc4
	s_addc_u32 s3, s3, 0
	s_mul_i32 s6, s28, 12
	s_add_u32 s6, s34, s6
	s_addc_u32 s7, s35, 0
.LBB149_96:                             ; =>This Inner Loop Header: Depth=1
	s_load_dwordx2 s[10:11], s[6:7], 0x4
	s_load_dword s9, s[6:7], 0xc
	s_load_dwordx2 s[12:13], s[2:3], 0x0
	s_add_u32 s6, s6, 12
	s_addc_u32 s7, s7, 0
	s_waitcnt lgkmcnt(0)
	v_mul_hi_u32 v7, s11, v4
	s_add_u32 s2, s2, 8
	s_addc_u32 s3, s3, 0
	s_add_i32 s8, s8, -1
	v_add_u32_e32 v7, v4, v7
	v_lshrrev_b32_e32 v7, s9, v7
	v_mul_lo_u32 v10, v7, s10
	s_cmp_lg_u32 s8, 0
	v_sub_u32_e32 v4, v4, v10
	v_mad_u64_u32 v[15:16], s[10:11], v4, s12, v[15:16]
	v_mad_u64_u32 v[17:18], s[10:11], v4, s13, v[17:18]
	v_mov_b32_e32 v4, v7
	s_cbranch_scc1 .LBB149_96
.LBB149_97:
	s_cbranch_execnz .LBB149_100
.LBB149_98:
	s_load_dwordx4 s[8:11], s[34:35], 0x4
	s_load_dwordx2 s[2:3], s[34:35], 0xc4
	s_cmp_lt_u32 s33, 2
	s_waitcnt lgkmcnt(0)
	v_mul_hi_u32 v4, s9, v1
	v_add_u32_e32 v4, v1, v4
	v_lshrrev_b32_e32 v4, s10, v4
	v_mul_lo_u32 v7, v4, s8
	v_sub_u32_e32 v1, v1, v7
	v_mul_lo_u32 v15, v1, s2
	v_mul_lo_u32 v17, v1, s3
	s_cbranch_scc1 .LBB149_100
; %bb.99:
	s_load_dwordx4 s[8:11], s[34:35], 0x10
	s_load_dwordx2 s[2:3], s[34:35], 0xcc
	s_waitcnt lgkmcnt(0)
	v_mul_hi_u32 v1, s9, v4
	v_add_u32_e32 v1, v4, v1
	v_lshrrev_b32_e32 v1, s10, v1
	v_mul_lo_u32 v1, v1, s8
	v_sub_u32_e32 v1, v4, v1
	v_mad_u64_u32 v[15:16], s[6:7], v1, s2, v[15:16]
	v_mad_u64_u32 v[17:18], s[2:3], v1, s3, v[17:18]
.LBB149_100:
	s_and_b64 vcc, exec, s[0:1]
	v_add_u32_e32 v1, 0x300, v19
	s_cbranch_vccnz .LBB149_106
; %bb.101:
	s_cmp_lg_u32 s33, 0
	s_mov_b32 s28, 0
	s_cbranch_scc0 .LBB149_107
; %bb.102:
	s_min_u32 s29, s56, 15
	s_add_i32 s29, s29, 1
	s_cmp_eq_u32 s56, 2
	s_cbranch_scc1 .LBB149_108
; %bb.103:
	s_and_b32 s28, s29, 28
	s_add_u32 s2, s34, 0xc4
	s_addc_u32 s3, s35, 0
	v_mov_b32_e32 v20, 0
	s_mov_b32 s30, 0
	s_mov_b64 s[6:7], s[34:35]
	v_mov_b32_e32 v18, 0
	v_mov_b32_e32 v4, v1
.LBB149_104:                            ; =>This Inner Loop Header: Depth=1
	s_load_dwordx8 s[16:23], s[6:7], 0x4
	s_load_dwordx4 s[24:27], s[6:7], 0x24
	s_load_dwordx8 s[8:15], s[2:3], 0x0
	s_add_u32 s6, s6, 48
	s_addc_u32 s7, s7, 0
	s_waitcnt lgkmcnt(0)
	v_mul_hi_u32 v7, s17, v4
	s_add_i32 s30, s30, 4
	s_add_u32 s2, s2, 32
	s_addc_u32 s3, s3, 0
	v_add_u32_e32 v7, v4, v7
	v_lshrrev_b32_e32 v7, s18, v7
	v_mul_lo_u32 v10, v7, s16
	v_mul_hi_u32 v13, s20, v7
	s_cmp_lg_u32 s28, s30
	v_sub_u32_e32 v4, v4, v10
	v_add_u32_e32 v10, v7, v13
	v_mul_lo_u32 v13, v4, s8
	v_mul_lo_u32 v16, v4, s9
	v_lshrrev_b32_e32 v4, s21, v10
	v_mul_lo_u32 v10, v4, s19
	v_mul_hi_u32 v19, s23, v4
	v_sub_u32_e32 v7, v7, v10
	v_add_u32_e32 v10, v4, v19
	v_lshrrev_b32_e32 v10, s24, v10
	v_mul_hi_u32 v21, s26, v10
	v_mul_lo_u32 v22, v10, s22
	v_mul_lo_u32 v19, v7, s10
	;; [unrolled: 1-line block ×3, first 2 shown]
	v_sub_u32_e32 v22, v4, v22
	v_add_u32_e32 v4, v10, v21
	v_lshrrev_b32_e32 v4, s27, v4
	v_mul_lo_u32 v21, v4, s25
	v_mul_lo_u32 v23, v22, s12
	;; [unrolled: 1-line block ×3, first 2 shown]
	v_add3_u32 v13, v13, v18, v19
	v_sub_u32_e32 v10, v10, v21
	v_mul_lo_u32 v21, v10, s14
	v_mul_lo_u32 v10, v10, s15
	v_add3_u32 v7, v16, v20, v7
	v_add3_u32 v18, v23, v13, v21
	;; [unrolled: 1-line block ×3, first 2 shown]
	s_cbranch_scc1 .LBB149_104
; %bb.105:
	s_and_b32 s8, s29, 3
	s_cmp_eq_u32 s8, 0
	s_cbranch_scc0 .LBB149_109
	s_branch .LBB149_111
.LBB149_106:
                                        ; implicit-def: $vgpr18
                                        ; implicit-def: $vgpr20
	s_branch .LBB149_112
.LBB149_107:
	v_mov_b32_e32 v18, 0
	v_mov_b32_e32 v20, 0
	s_branch .LBB149_111
.LBB149_108:
	v_mov_b32_e32 v18, 0
	v_mov_b32_e32 v20, 0
	v_mov_b32_e32 v4, v1
	s_and_b32 s8, s29, 3
	s_cmp_eq_u32 s8, 0
	s_cbranch_scc1 .LBB149_111
.LBB149_109:
	s_lshl_b32 s2, s28, 3
	s_add_u32 s2, s34, s2
	s_addc_u32 s3, s35, 0
	s_add_u32 s2, s2, 0xc4
	s_addc_u32 s3, s3, 0
	s_mul_i32 s6, s28, 12
	s_add_u32 s6, s34, s6
	s_addc_u32 s7, s35, 0
.LBB149_110:                            ; =>This Inner Loop Header: Depth=1
	s_load_dwordx2 s[10:11], s[6:7], 0x4
	s_load_dword s9, s[6:7], 0xc
	s_load_dwordx2 s[12:13], s[2:3], 0x0
	s_add_u32 s6, s6, 12
	s_addc_u32 s7, s7, 0
	s_waitcnt lgkmcnt(0)
	v_mul_hi_u32 v7, s11, v4
	s_add_u32 s2, s2, 8
	s_addc_u32 s3, s3, 0
	s_add_i32 s8, s8, -1
	v_add_u32_e32 v7, v4, v7
	v_lshrrev_b32_e32 v7, s9, v7
	v_mul_lo_u32 v10, v7, s10
	s_cmp_lg_u32 s8, 0
	v_sub_u32_e32 v4, v4, v10
	v_mad_u64_u32 v[18:19], s[10:11], v4, s12, v[18:19]
	v_mad_u64_u32 v[20:21], s[10:11], v4, s13, v[20:21]
	v_mov_b32_e32 v4, v7
	s_cbranch_scc1 .LBB149_110
.LBB149_111:
	s_cbranch_execnz .LBB149_114
.LBB149_112:
	s_load_dwordx4 s[8:11], s[34:35], 0x4
	s_load_dwordx2 s[2:3], s[34:35], 0xc4
	s_cmp_lt_u32 s33, 2
	s_waitcnt lgkmcnt(0)
	v_mul_hi_u32 v4, s9, v1
	v_add_u32_e32 v4, v1, v4
	v_lshrrev_b32_e32 v4, s10, v4
	v_mul_lo_u32 v7, v4, s8
	v_sub_u32_e32 v1, v1, v7
	v_mul_lo_u32 v18, v1, s2
	v_mul_lo_u32 v20, v1, s3
	s_cbranch_scc1 .LBB149_114
; %bb.113:
	s_load_dwordx4 s[8:11], s[34:35], 0x10
	s_load_dwordx2 s[2:3], s[34:35], 0xcc
	s_waitcnt lgkmcnt(0)
	v_mul_hi_u32 v1, s9, v4
	v_add_u32_e32 v1, v4, v1
	v_lshrrev_b32_e32 v1, s10, v1
	v_mul_lo_u32 v1, v1, s8
	v_sub_u32_e32 v1, v4, v1
	v_mad_u64_u32 v[18:19], s[6:7], v1, s2, v[18:19]
	v_mad_u64_u32 v[20:21], s[2:3], v1, s3, v[20:21]
.LBB149_114:
	s_and_b64 vcc, exec, s[0:1]
	s_cbranch_vccnz .LBB149_120
; %bb.115:
	s_cmp_lg_u32 s33, 0
	s_mov_b32 s26, 0
	s_cbranch_scc0 .LBB149_121
; %bb.116:
	s_min_u32 s27, s56, 15
	s_add_i32 s27, s27, 1
	s_cmp_eq_u32 s56, 2
	s_cbranch_scc1 .LBB149_122
; %bb.117:
	s_and_b32 s26, s27, 28
	s_add_u32 s6, s34, 0xc4
	s_addc_u32 s7, s35, 0
	v_mov_b32_e32 v23, 0
	s_mov_b32 s28, 0
	s_mov_b64 s[24:25], s[34:35]
	v_mov_b32_e32 v21, 0
	v_mov_b32_e32 v1, v25
.LBB149_118:                            ; =>This Inner Loop Header: Depth=1
	s_load_dwordx8 s[16:23], s[24:25], 0x4
	s_load_dwordx4 s[0:3], s[24:25], 0x24
	s_load_dwordx8 s[8:15], s[6:7], 0x0
	s_add_u32 s24, s24, 48
	s_addc_u32 s25, s25, 0
	s_waitcnt lgkmcnt(0)
	v_mul_hi_u32 v4, s17, v1
	s_add_i32 s28, s28, 4
	s_add_u32 s6, s6, 32
	s_addc_u32 s7, s7, 0
	v_add_u32_e32 v4, v1, v4
	v_lshrrev_b32_e32 v4, s18, v4
	v_mul_lo_u32 v7, v4, s16
	v_mul_hi_u32 v10, s20, v4
	s_cmp_lg_u32 s26, s28
	v_sub_u32_e32 v1, v1, v7
	v_add_u32_e32 v7, v4, v10
	v_mul_lo_u32 v10, v1, s8
	v_mul_lo_u32 v13, v1, s9
	v_lshrrev_b32_e32 v1, s21, v7
	v_mul_lo_u32 v7, v1, s19
	v_mul_hi_u32 v16, s23, v1
	v_sub_u32_e32 v4, v4, v7
	v_add_u32_e32 v7, v1, v16
	v_lshrrev_b32_e32 v7, s0, v7
	v_mul_hi_u32 v19, s2, v7
	v_mul_lo_u32 v22, v7, s22
	v_mul_lo_u32 v16, v4, s10
	;; [unrolled: 1-line block ×3, first 2 shown]
	v_sub_u32_e32 v22, v1, v22
	v_add_u32_e32 v1, v7, v19
	v_lshrrev_b32_e32 v1, s3, v1
	v_mul_lo_u32 v19, v1, s1
	v_mul_lo_u32 v24, v22, s12
	;; [unrolled: 1-line block ×3, first 2 shown]
	v_add3_u32 v10, v10, v21, v16
	v_sub_u32_e32 v7, v7, v19
	v_mul_lo_u32 v19, v7, s14
	v_mul_lo_u32 v7, v7, s15
	v_add3_u32 v4, v13, v23, v4
	v_add3_u32 v21, v24, v10, v19
	;; [unrolled: 1-line block ×3, first 2 shown]
	s_cbranch_scc1 .LBB149_118
; %bb.119:
	s_and_b32 s6, s27, 3
	s_cmp_eq_u32 s6, 0
	s_cbranch_scc0 .LBB149_123
	s_branch .LBB149_125
.LBB149_120:
                                        ; implicit-def: $vgpr21
                                        ; implicit-def: $vgpr23
	s_branch .LBB149_126
.LBB149_121:
	v_mov_b32_e32 v21, 0
	v_mov_b32_e32 v23, 0
	s_branch .LBB149_125
.LBB149_122:
	v_mov_b32_e32 v21, 0
	v_mov_b32_e32 v23, 0
	;; [unrolled: 1-line block ×3, first 2 shown]
	s_and_b32 s6, s27, 3
	s_cmp_eq_u32 s6, 0
	s_cbranch_scc1 .LBB149_125
.LBB149_123:
	s_lshl_b32 s0, s26, 3
	s_add_u32 s0, s34, s0
	s_addc_u32 s1, s35, 0
	s_add_u32 s0, s0, 0xc4
	s_addc_u32 s1, s1, 0
	s_mul_i32 s2, s26, 12
	s_add_u32 s2, s34, s2
	s_addc_u32 s3, s35, 0
.LBB149_124:                            ; =>This Inner Loop Header: Depth=1
	s_load_dwordx2 s[8:9], s[2:3], 0x4
	s_load_dword s7, s[2:3], 0xc
	s_load_dwordx2 s[10:11], s[0:1], 0x0
	s_add_u32 s2, s2, 12
	s_addc_u32 s3, s3, 0
	s_waitcnt lgkmcnt(0)
	v_mul_hi_u32 v4, s9, v1
	s_add_u32 s0, s0, 8
	s_addc_u32 s1, s1, 0
	s_add_i32 s6, s6, -1
	v_add_u32_e32 v4, v1, v4
	v_lshrrev_b32_e32 v4, s7, v4
	v_mul_lo_u32 v7, v4, s8
	s_cmp_lg_u32 s6, 0
	v_sub_u32_e32 v1, v1, v7
	v_mad_u64_u32 v[21:22], s[8:9], v1, s10, v[21:22]
	v_mad_u64_u32 v[23:24], s[8:9], v1, s11, v[23:24]
	v_mov_b32_e32 v1, v4
	s_cbranch_scc1 .LBB149_124
.LBB149_125:
	s_cbranch_execnz .LBB149_128
.LBB149_126:
	s_load_dwordx4 s[0:3], s[34:35], 0x4
	s_load_dwordx2 s[6:7], s[34:35], 0xc4
	s_cmp_lt_u32 s33, 2
	s_waitcnt lgkmcnt(0)
	v_mul_hi_u32 v1, s1, v25
	v_add_u32_e32 v1, v25, v1
	v_lshrrev_b32_e32 v1, s2, v1
	v_mul_lo_u32 v4, v1, s0
	v_sub_u32_e32 v4, v25, v4
	v_mul_lo_u32 v21, v4, s6
	v_mul_lo_u32 v23, v4, s7
	s_cbranch_scc1 .LBB149_128
; %bb.127:
	s_load_dwordx4 s[0:3], s[34:35], 0x10
	s_load_dwordx2 s[6:7], s[34:35], 0xcc
	s_waitcnt lgkmcnt(0)
	v_mul_hi_u32 v4, s1, v1
	v_add_u32_e32 v4, v1, v4
	v_lshrrev_b32_e32 v4, s2, v4
	v_mul_lo_u32 v4, v4, s0
	v_sub_u32_e32 v1, v1, v4
	v_mad_u64_u32 v[21:22], s[0:1], v1, s6, v[21:22]
	v_mad_u64_u32 v[23:24], s[0:1], v1, s7, v[23:24]
.LBB149_128:
	s_load_dwordx4 s[16:19], s[34:35], 0x148
	s_load_dword s0, s[4:5], 0x160
	s_waitcnt lgkmcnt(0)
	global_load_ubyte v1, v5, s[18:19]
	global_load_ubyte v4, v2, s[18:19]
	;; [unrolled: 1-line block ×8, first 2 shown]
	s_bfe_i32 s12, s0, 0x80008
	s_lshr_b32 s0, s12, 7
	v_mov_b32_e32 v2, s0
	s_waitcnt vmcnt(7)
	v_ashrrev_i32_e64 v5, v1, s12
	v_cmp_lt_u32_e32 vcc, 6, v1
	s_waitcnt vmcnt(5)
	v_ashrrev_i32_e64 v1, v7, s12
	v_cmp_lt_u32_e64 s[0:1], 6, v7
	s_waitcnt vmcnt(4)
	v_ashrrev_i32_e64 v7, v10, s12
	v_cmp_lt_u32_e64 s[2:3], 6, v10
	;; [unrolled: 3-line block ×3, first 2 shown]
	s_waitcnt vmcnt(2)
	v_ashrrev_i32_e64 v10, v16, s12
	s_waitcnt vmcnt(1)
	v_ashrrev_i32_e64 v11, v19, s12
	;; [unrolled: 2-line block ×3, first 2 shown]
	v_ashrrev_i32_e64 v14, v4, s12
	v_cmp_lt_u32_e64 s[12:13], 6, v4
	v_cmp_lt_u32_e64 s[6:7], 6, v16
	v_cmp_lt_u32_e64 s[8:9], 6, v19
	v_cmp_lt_u32_e64 s[10:11], 6, v22
	v_cndmask_b32_e64 v4, v14, v2, s[12:13]
	v_cndmask_b32_e32 v5, v5, v2, vcc
	v_cndmask_b32_e64 v1, v1, v2, s[0:1]
	v_cndmask_b32_e64 v7, v7, v2, s[2:3]
	;; [unrolled: 1-line block ×6, first 2 shown]
	global_store_byte v0, v4, s[16:17]
	global_store_byte v3, v5, s[16:17]
	;; [unrolled: 1-line block ×8, first 2 shown]
	s_endpgm
.LBB149_129:
	v_mov_b32_e32 v0, 0
	v_mov_b32_e32 v2, 0
	s_branch .LBB149_135
.LBB149_130:
	v_mov_b32_e32 v0, 0
	v_mov_b32_e32 v2, 0
	s_branch .LBB149_151
.LBB149_131:
	s_mov_b32 s61, 0
	v_mov_b32_e32 v0, 0
	v_mov_b32_e32 v2, 0
	;; [unrolled: 1-line block ×3, first 2 shown]
.LBB149_132:
	s_and_b32 s12, s62, 3
	s_cmp_eq_u32 s12, 0
	s_cbranch_scc1 .LBB149_135
; %bb.133:
	s_lshl_b32 s8, s61, 3
	s_add_u32 s8, s34, s8
	s_addc_u32 s9, s35, 0
	s_add_u32 s8, s8, 0xc4
	s_addc_u32 s9, s9, 0
	s_mul_i32 s10, s61, 12
	s_add_u32 s10, s34, s10
	s_addc_u32 s11, s35, 0
.LBB149_134:                            ; =>This Inner Loop Header: Depth=1
	s_load_dwordx2 s[14:15], s[10:11], 0x4
	s_load_dword s13, s[10:11], 0xc
	s_load_dwordx2 s[16:17], s[8:9], 0x0
	s_add_u32 s10, s10, 12
	s_addc_u32 s11, s11, 0
	s_waitcnt lgkmcnt(0)
	v_mul_hi_u32 v3, s15, v1
	s_add_u32 s8, s8, 8
	s_addc_u32 s9, s9, 0
	s_add_i32 s12, s12, -1
	v_add_u32_e32 v3, v1, v3
	v_lshrrev_b32_e32 v4, s13, v3
	v_mul_lo_u32 v3, v4, s14
	s_cmp_lg_u32 s12, 0
	v_sub_u32_e32 v3, v1, v3
	v_mad_u64_u32 v[0:1], s[14:15], v3, s16, v[0:1]
	v_mad_u64_u32 v[2:3], s[14:15], v3, s17, v[2:3]
	v_mov_b32_e32 v1, v4
	s_cbranch_scc1 .LBB149_134
.LBB149_135:
	s_cbranch_execnz .LBB149_138
.LBB149_136:
	v_mul_hi_u32 v0, s25, v19
	s_andn2_b64 vcc, exec, s[44:45]
	v_add_u32_e32 v0, v19, v0
	v_lshrrev_b32_e32 v1, s26, v0
	v_mul_lo_u32 v0, v1, s24
	v_sub_u32_e32 v2, v19, v0
	v_mul_lo_u32 v0, v2, s28
	v_mul_lo_u32 v2, v2, s29
	s_cbranch_vccnz .LBB149_138
; %bb.137:
	v_mul_hi_u32 v3, s42, v1
	v_add_u32_e32 v3, v1, v3
	v_lshrrev_b32_e32 v3, s43, v3
	v_mul_lo_u32 v3, v3, s27
	v_sub_u32_e32 v3, v1, v3
	v_mad_u64_u32 v[0:1], s[8:9], v3, s30, v[0:1]
	v_mad_u64_u32 v[2:3], s[8:9], v3, s31, v[2:3]
.LBB149_138:
	global_load_ubyte v1, v2, s[2:3]
	v_mov_b32_e32 v2, s58
	v_add_u32_e32 v19, 0x80, v19
	s_waitcnt vmcnt(0)
	v_ashrrev_i32_e64 v3, v1, s57
	v_cmp_lt_u32_e32 vcc, 6, v1
	v_cndmask_b32_e32 v1, v3, v2, vcc
	global_store_byte v0, v1, s[0:1]
	s_or_b64 exec, exec, s[50:51]
	v_cmp_gt_i32_e32 vcc, s59, v19
	s_and_saveexec_b64 s[50:51], vcc
	s_cbranch_execnz .LBB149_15
.LBB149_139:
	s_or_b64 exec, exec, s[50:51]
	v_cmp_gt_i32_e32 vcc, s59, v19
	s_and_saveexec_b64 s[50:51], vcc
	s_cbranch_execz .LBB149_155
.LBB149_140:
	s_andn2_b64 vcc, exec, s[6:7]
	s_cbranch_vccnz .LBB149_145
; %bb.141:
	s_andn2_b64 vcc, exec, s[48:49]
	s_cbranch_vccnz .LBB149_146
; %bb.142:
	s_add_i32 s62, s60, 1
	s_cmp_eq_u32 s56, 2
	s_cbranch_scc1 .LBB149_163
; %bb.143:
	s_and_b32 s61, s62, 28
	v_mov_b32_e32 v2, 0
	s_mov_b32 s63, 0
	s_mov_b64 s[52:53], s[34:35]
	s_mov_b64 s[54:55], s[46:47]
	v_mov_b32_e32 v0, 0
	v_mov_b32_e32 v1, v19
.LBB149_144:                            ; =>This Inner Loop Header: Depth=1
	s_load_dwordx8 s[16:23], s[52:53], 0x4
	s_load_dwordx4 s[36:39], s[52:53], 0x24
	s_load_dwordx8 s[8:15], s[54:55], 0x0
	s_add_u32 s52, s52, 48
	s_addc_u32 s53, s53, 0
	s_waitcnt lgkmcnt(0)
	v_mul_hi_u32 v3, s17, v1
	s_add_i32 s63, s63, 4
	s_add_u32 s54, s54, 32
	s_addc_u32 s55, s55, 0
	v_add_u32_e32 v3, v1, v3
	v_lshrrev_b32_e32 v3, s18, v3
	v_mul_lo_u32 v4, v3, s16
	v_mul_hi_u32 v5, s20, v3
	s_cmp_eq_u32 s61, s63
	v_sub_u32_e32 v1, v1, v4
	v_add_u32_e32 v4, v3, v5
	v_mul_lo_u32 v5, v1, s8
	v_mul_lo_u32 v6, v1, s9
	v_lshrrev_b32_e32 v1, s21, v4
	v_mul_lo_u32 v4, v1, s19
	v_mul_hi_u32 v7, s23, v1
	v_sub_u32_e32 v3, v3, v4
	v_add_u32_e32 v4, v1, v7
	v_lshrrev_b32_e32 v4, s36, v4
	v_mul_hi_u32 v8, s38, v4
	v_mul_lo_u32 v9, v4, s22
	v_mul_lo_u32 v7, v3, s10
	;; [unrolled: 1-line block ×3, first 2 shown]
	v_sub_u32_e32 v9, v1, v9
	v_add_u32_e32 v1, v4, v8
	v_lshrrev_b32_e32 v1, s39, v1
	v_mul_lo_u32 v8, v1, s37
	v_mul_lo_u32 v10, v9, s12
	;; [unrolled: 1-line block ×3, first 2 shown]
	v_add3_u32 v0, v5, v0, v7
	v_sub_u32_e32 v4, v4, v8
	v_mul_lo_u32 v8, v4, s14
	v_mul_lo_u32 v4, v4, s15
	v_add3_u32 v2, v6, v2, v3
	v_add3_u32 v0, v10, v0, v8
	;; [unrolled: 1-line block ×3, first 2 shown]
	s_cbranch_scc0 .LBB149_144
	s_branch .LBB149_164
.LBB149_145:
                                        ; implicit-def: $vgpr0
                                        ; implicit-def: $vgpr2
	s_branch .LBB149_168
.LBB149_146:
	v_mov_b32_e32 v0, 0
	v_mov_b32_e32 v2, 0
	s_branch .LBB149_167
.LBB149_147:
	s_mov_b32 s61, 0
	v_mov_b32_e32 v0, 0
	v_mov_b32_e32 v2, 0
	;; [unrolled: 1-line block ×3, first 2 shown]
.LBB149_148:
	s_and_b32 s12, s62, 3
	s_cmp_eq_u32 s12, 0
	s_cbranch_scc1 .LBB149_151
; %bb.149:
	s_lshl_b32 s8, s61, 3
	s_add_u32 s8, s34, s8
	s_addc_u32 s9, s35, 0
	s_add_u32 s8, s8, 0xc4
	s_addc_u32 s9, s9, 0
	s_mul_i32 s10, s61, 12
	s_add_u32 s10, s34, s10
	s_addc_u32 s11, s35, 0
.LBB149_150:                            ; =>This Inner Loop Header: Depth=1
	s_load_dwordx2 s[14:15], s[10:11], 0x4
	s_load_dword s13, s[10:11], 0xc
	s_load_dwordx2 s[16:17], s[8:9], 0x0
	s_add_u32 s10, s10, 12
	s_addc_u32 s11, s11, 0
	s_waitcnt lgkmcnt(0)
	v_mul_hi_u32 v3, s15, v1
	s_add_u32 s8, s8, 8
	s_addc_u32 s9, s9, 0
	s_add_i32 s12, s12, -1
	v_add_u32_e32 v3, v1, v3
	v_lshrrev_b32_e32 v4, s13, v3
	v_mul_lo_u32 v3, v4, s14
	s_cmp_lg_u32 s12, 0
	v_sub_u32_e32 v3, v1, v3
	v_mad_u64_u32 v[0:1], s[14:15], v3, s16, v[0:1]
	v_mad_u64_u32 v[2:3], s[14:15], v3, s17, v[2:3]
	v_mov_b32_e32 v1, v4
	s_cbranch_scc1 .LBB149_150
.LBB149_151:
	s_cbranch_execnz .LBB149_154
.LBB149_152:
	v_mul_hi_u32 v0, s25, v19
	s_andn2_b64 vcc, exec, s[44:45]
	v_add_u32_e32 v0, v19, v0
	v_lshrrev_b32_e32 v1, s26, v0
	v_mul_lo_u32 v0, v1, s24
	v_sub_u32_e32 v2, v19, v0
	v_mul_lo_u32 v0, v2, s28
	v_mul_lo_u32 v2, v2, s29
	s_cbranch_vccnz .LBB149_154
; %bb.153:
	v_mul_hi_u32 v3, s42, v1
	v_add_u32_e32 v3, v1, v3
	v_lshrrev_b32_e32 v3, s43, v3
	v_mul_lo_u32 v3, v3, s27
	v_sub_u32_e32 v3, v1, v3
	v_mad_u64_u32 v[0:1], s[8:9], v3, s30, v[0:1]
	v_mad_u64_u32 v[2:3], s[8:9], v3, s31, v[2:3]
.LBB149_154:
	global_load_ubyte v1, v2, s[2:3]
	v_mov_b32_e32 v2, s58
	v_add_u32_e32 v19, 0x80, v19
	s_waitcnt vmcnt(0)
	v_ashrrev_i32_e64 v3, v1, s57
	v_cmp_lt_u32_e32 vcc, 6, v1
	v_cndmask_b32_e32 v1, v3, v2, vcc
	global_store_byte v0, v1, s[0:1]
	s_or_b64 exec, exec, s[50:51]
	v_cmp_gt_i32_e32 vcc, s59, v19
	s_and_saveexec_b64 s[50:51], vcc
	s_cbranch_execnz .LBB149_140
.LBB149_155:
	s_or_b64 exec, exec, s[50:51]
	v_cmp_gt_i32_e32 vcc, s59, v19
	s_and_saveexec_b64 s[50:51], vcc
	s_cbranch_execz .LBB149_171
.LBB149_156:
	s_andn2_b64 vcc, exec, s[6:7]
	s_cbranch_vccnz .LBB149_161
; %bb.157:
	s_andn2_b64 vcc, exec, s[48:49]
	s_cbranch_vccnz .LBB149_162
; %bb.158:
	s_add_i32 s62, s60, 1
	s_cmp_eq_u32 s56, 2
	s_cbranch_scc1 .LBB149_179
; %bb.159:
	s_and_b32 s61, s62, 28
	v_mov_b32_e32 v2, 0
	s_mov_b32 s63, 0
	s_mov_b64 s[52:53], s[34:35]
	s_mov_b64 s[54:55], s[46:47]
	v_mov_b32_e32 v0, 0
	v_mov_b32_e32 v1, v19
.LBB149_160:                            ; =>This Inner Loop Header: Depth=1
	s_load_dwordx8 s[16:23], s[52:53], 0x4
	s_load_dwordx4 s[36:39], s[52:53], 0x24
	s_load_dwordx8 s[8:15], s[54:55], 0x0
	s_add_u32 s52, s52, 48
	s_addc_u32 s53, s53, 0
	s_waitcnt lgkmcnt(0)
	v_mul_hi_u32 v3, s17, v1
	s_add_i32 s63, s63, 4
	s_add_u32 s54, s54, 32
	s_addc_u32 s55, s55, 0
	v_add_u32_e32 v3, v1, v3
	v_lshrrev_b32_e32 v3, s18, v3
	v_mul_lo_u32 v4, v3, s16
	v_mul_hi_u32 v5, s20, v3
	s_cmp_eq_u32 s61, s63
	v_sub_u32_e32 v1, v1, v4
	v_add_u32_e32 v4, v3, v5
	v_mul_lo_u32 v5, v1, s8
	v_mul_lo_u32 v6, v1, s9
	v_lshrrev_b32_e32 v1, s21, v4
	v_mul_lo_u32 v4, v1, s19
	v_mul_hi_u32 v7, s23, v1
	v_sub_u32_e32 v3, v3, v4
	v_add_u32_e32 v4, v1, v7
	v_lshrrev_b32_e32 v4, s36, v4
	v_mul_hi_u32 v8, s38, v4
	v_mul_lo_u32 v9, v4, s22
	v_mul_lo_u32 v7, v3, s10
	;; [unrolled: 1-line block ×3, first 2 shown]
	v_sub_u32_e32 v9, v1, v9
	v_add_u32_e32 v1, v4, v8
	v_lshrrev_b32_e32 v1, s39, v1
	v_mul_lo_u32 v8, v1, s37
	v_mul_lo_u32 v10, v9, s12
	;; [unrolled: 1-line block ×3, first 2 shown]
	v_add3_u32 v0, v5, v0, v7
	v_sub_u32_e32 v4, v4, v8
	v_mul_lo_u32 v8, v4, s14
	v_mul_lo_u32 v4, v4, s15
	v_add3_u32 v2, v6, v2, v3
	v_add3_u32 v0, v10, v0, v8
	;; [unrolled: 1-line block ×3, first 2 shown]
	s_cbranch_scc0 .LBB149_160
	s_branch .LBB149_180
.LBB149_161:
                                        ; implicit-def: $vgpr0
                                        ; implicit-def: $vgpr2
	s_branch .LBB149_184
.LBB149_162:
	v_mov_b32_e32 v0, 0
	v_mov_b32_e32 v2, 0
	s_branch .LBB149_183
.LBB149_163:
	s_mov_b32 s61, 0
	v_mov_b32_e32 v0, 0
	v_mov_b32_e32 v2, 0
	v_mov_b32_e32 v1, v19
.LBB149_164:
	s_and_b32 s12, s62, 3
	s_cmp_eq_u32 s12, 0
	s_cbranch_scc1 .LBB149_167
; %bb.165:
	s_lshl_b32 s8, s61, 3
	s_add_u32 s8, s34, s8
	s_addc_u32 s9, s35, 0
	s_add_u32 s8, s8, 0xc4
	s_addc_u32 s9, s9, 0
	s_mul_i32 s10, s61, 12
	s_add_u32 s10, s34, s10
	s_addc_u32 s11, s35, 0
.LBB149_166:                            ; =>This Inner Loop Header: Depth=1
	s_load_dwordx2 s[14:15], s[10:11], 0x4
	s_load_dword s13, s[10:11], 0xc
	s_load_dwordx2 s[16:17], s[8:9], 0x0
	s_add_u32 s10, s10, 12
	s_addc_u32 s11, s11, 0
	s_waitcnt lgkmcnt(0)
	v_mul_hi_u32 v3, s15, v1
	s_add_u32 s8, s8, 8
	s_addc_u32 s9, s9, 0
	s_add_i32 s12, s12, -1
	v_add_u32_e32 v3, v1, v3
	v_lshrrev_b32_e32 v4, s13, v3
	v_mul_lo_u32 v3, v4, s14
	s_cmp_lg_u32 s12, 0
	v_sub_u32_e32 v3, v1, v3
	v_mad_u64_u32 v[0:1], s[14:15], v3, s16, v[0:1]
	v_mad_u64_u32 v[2:3], s[14:15], v3, s17, v[2:3]
	v_mov_b32_e32 v1, v4
	s_cbranch_scc1 .LBB149_166
.LBB149_167:
	s_cbranch_execnz .LBB149_170
.LBB149_168:
	v_mul_hi_u32 v0, s25, v19
	s_andn2_b64 vcc, exec, s[44:45]
	v_add_u32_e32 v0, v19, v0
	v_lshrrev_b32_e32 v1, s26, v0
	v_mul_lo_u32 v0, v1, s24
	v_sub_u32_e32 v2, v19, v0
	v_mul_lo_u32 v0, v2, s28
	v_mul_lo_u32 v2, v2, s29
	s_cbranch_vccnz .LBB149_170
; %bb.169:
	v_mul_hi_u32 v3, s42, v1
	v_add_u32_e32 v3, v1, v3
	v_lshrrev_b32_e32 v3, s43, v3
	v_mul_lo_u32 v3, v3, s27
	v_sub_u32_e32 v3, v1, v3
	v_mad_u64_u32 v[0:1], s[8:9], v3, s30, v[0:1]
	v_mad_u64_u32 v[2:3], s[8:9], v3, s31, v[2:3]
.LBB149_170:
	global_load_ubyte v1, v2, s[2:3]
	v_mov_b32_e32 v2, s58
	v_add_u32_e32 v19, 0x80, v19
	s_waitcnt vmcnt(0)
	v_ashrrev_i32_e64 v3, v1, s57
	v_cmp_lt_u32_e32 vcc, 6, v1
	v_cndmask_b32_e32 v1, v3, v2, vcc
	global_store_byte v0, v1, s[0:1]
	s_or_b64 exec, exec, s[50:51]
	v_cmp_gt_i32_e32 vcc, s59, v19
	s_and_saveexec_b64 s[50:51], vcc
	s_cbranch_execnz .LBB149_156
.LBB149_171:
	s_or_b64 exec, exec, s[50:51]
	v_cmp_gt_i32_e32 vcc, s59, v19
	s_and_saveexec_b64 s[50:51], vcc
	s_cbranch_execz .LBB149_187
.LBB149_172:
	s_andn2_b64 vcc, exec, s[6:7]
	s_cbranch_vccnz .LBB149_177
; %bb.173:
	s_andn2_b64 vcc, exec, s[48:49]
	s_cbranch_vccnz .LBB149_178
; %bb.174:
	s_add_i32 s62, s60, 1
	s_cmp_eq_u32 s56, 2
	s_cbranch_scc1 .LBB149_195
; %bb.175:
	s_and_b32 s61, s62, 28
	v_mov_b32_e32 v2, 0
	s_mov_b32 s63, 0
	s_mov_b64 s[52:53], s[34:35]
	s_mov_b64 s[54:55], s[46:47]
	v_mov_b32_e32 v0, 0
	v_mov_b32_e32 v1, v19
.LBB149_176:                            ; =>This Inner Loop Header: Depth=1
	s_load_dwordx8 s[16:23], s[52:53], 0x4
	s_load_dwordx4 s[36:39], s[52:53], 0x24
	s_load_dwordx8 s[8:15], s[54:55], 0x0
	s_add_u32 s52, s52, 48
	s_addc_u32 s53, s53, 0
	s_waitcnt lgkmcnt(0)
	v_mul_hi_u32 v3, s17, v1
	s_add_i32 s63, s63, 4
	s_add_u32 s54, s54, 32
	s_addc_u32 s55, s55, 0
	v_add_u32_e32 v3, v1, v3
	v_lshrrev_b32_e32 v3, s18, v3
	v_mul_lo_u32 v4, v3, s16
	v_mul_hi_u32 v5, s20, v3
	s_cmp_eq_u32 s61, s63
	v_sub_u32_e32 v1, v1, v4
	v_add_u32_e32 v4, v3, v5
	v_mul_lo_u32 v5, v1, s8
	v_mul_lo_u32 v6, v1, s9
	v_lshrrev_b32_e32 v1, s21, v4
	v_mul_lo_u32 v4, v1, s19
	v_mul_hi_u32 v7, s23, v1
	v_sub_u32_e32 v3, v3, v4
	v_add_u32_e32 v4, v1, v7
	v_lshrrev_b32_e32 v4, s36, v4
	v_mul_hi_u32 v8, s38, v4
	v_mul_lo_u32 v9, v4, s22
	v_mul_lo_u32 v7, v3, s10
	;; [unrolled: 1-line block ×3, first 2 shown]
	v_sub_u32_e32 v9, v1, v9
	v_add_u32_e32 v1, v4, v8
	v_lshrrev_b32_e32 v1, s39, v1
	v_mul_lo_u32 v8, v1, s37
	v_mul_lo_u32 v10, v9, s12
	;; [unrolled: 1-line block ×3, first 2 shown]
	v_add3_u32 v0, v5, v0, v7
	v_sub_u32_e32 v4, v4, v8
	v_mul_lo_u32 v8, v4, s14
	v_mul_lo_u32 v4, v4, s15
	v_add3_u32 v2, v6, v2, v3
	v_add3_u32 v0, v10, v0, v8
	;; [unrolled: 1-line block ×3, first 2 shown]
	s_cbranch_scc0 .LBB149_176
	s_branch .LBB149_196
.LBB149_177:
                                        ; implicit-def: $vgpr0
                                        ; implicit-def: $vgpr2
	s_branch .LBB149_200
.LBB149_178:
	v_mov_b32_e32 v0, 0
	v_mov_b32_e32 v2, 0
	s_branch .LBB149_199
.LBB149_179:
	s_mov_b32 s61, 0
	v_mov_b32_e32 v0, 0
	v_mov_b32_e32 v2, 0
	v_mov_b32_e32 v1, v19
.LBB149_180:
	s_and_b32 s12, s62, 3
	s_cmp_eq_u32 s12, 0
	s_cbranch_scc1 .LBB149_183
; %bb.181:
	s_lshl_b32 s8, s61, 3
	s_add_u32 s8, s34, s8
	s_addc_u32 s9, s35, 0
	s_add_u32 s8, s8, 0xc4
	s_addc_u32 s9, s9, 0
	s_mul_i32 s10, s61, 12
	s_add_u32 s10, s34, s10
	s_addc_u32 s11, s35, 0
.LBB149_182:                            ; =>This Inner Loop Header: Depth=1
	s_load_dwordx2 s[14:15], s[10:11], 0x4
	s_load_dword s13, s[10:11], 0xc
	s_load_dwordx2 s[16:17], s[8:9], 0x0
	s_add_u32 s10, s10, 12
	s_addc_u32 s11, s11, 0
	s_waitcnt lgkmcnt(0)
	v_mul_hi_u32 v3, s15, v1
	s_add_u32 s8, s8, 8
	s_addc_u32 s9, s9, 0
	s_add_i32 s12, s12, -1
	v_add_u32_e32 v3, v1, v3
	v_lshrrev_b32_e32 v4, s13, v3
	v_mul_lo_u32 v3, v4, s14
	s_cmp_lg_u32 s12, 0
	v_sub_u32_e32 v3, v1, v3
	v_mad_u64_u32 v[0:1], s[14:15], v3, s16, v[0:1]
	v_mad_u64_u32 v[2:3], s[14:15], v3, s17, v[2:3]
	v_mov_b32_e32 v1, v4
	s_cbranch_scc1 .LBB149_182
.LBB149_183:
	s_cbranch_execnz .LBB149_186
.LBB149_184:
	v_mul_hi_u32 v0, s25, v19
	s_andn2_b64 vcc, exec, s[44:45]
	v_add_u32_e32 v0, v19, v0
	v_lshrrev_b32_e32 v1, s26, v0
	v_mul_lo_u32 v0, v1, s24
	v_sub_u32_e32 v2, v19, v0
	v_mul_lo_u32 v0, v2, s28
	v_mul_lo_u32 v2, v2, s29
	s_cbranch_vccnz .LBB149_186
; %bb.185:
	v_mul_hi_u32 v3, s42, v1
	v_add_u32_e32 v3, v1, v3
	v_lshrrev_b32_e32 v3, s43, v3
	v_mul_lo_u32 v3, v3, s27
	v_sub_u32_e32 v3, v1, v3
	v_mad_u64_u32 v[0:1], s[8:9], v3, s30, v[0:1]
	v_mad_u64_u32 v[2:3], s[8:9], v3, s31, v[2:3]
.LBB149_186:
	global_load_ubyte v1, v2, s[2:3]
	v_mov_b32_e32 v2, s58
	v_add_u32_e32 v19, 0x80, v19
	s_waitcnt vmcnt(0)
	v_ashrrev_i32_e64 v3, v1, s57
	v_cmp_lt_u32_e32 vcc, 6, v1
	v_cndmask_b32_e32 v1, v3, v2, vcc
	global_store_byte v0, v1, s[0:1]
	s_or_b64 exec, exec, s[50:51]
	v_cmp_gt_i32_e32 vcc, s59, v19
	s_and_saveexec_b64 s[50:51], vcc
	s_cbranch_execnz .LBB149_172
.LBB149_187:
	s_or_b64 exec, exec, s[50:51]
	v_cmp_gt_i32_e32 vcc, s59, v19
	s_and_saveexec_b64 s[50:51], vcc
	s_cbranch_execz .LBB149_203
.LBB149_188:
	s_andn2_b64 vcc, exec, s[6:7]
	s_cbranch_vccnz .LBB149_193
; %bb.189:
	s_andn2_b64 vcc, exec, s[48:49]
	s_cbranch_vccnz .LBB149_194
; %bb.190:
	s_add_i32 s62, s60, 1
	s_cmp_eq_u32 s56, 2
	s_cbranch_scc1 .LBB149_211
; %bb.191:
	s_and_b32 s61, s62, 28
	v_mov_b32_e32 v2, 0
	s_mov_b32 s63, 0
	s_mov_b64 s[52:53], s[34:35]
	s_mov_b64 s[54:55], s[46:47]
	v_mov_b32_e32 v0, 0
	v_mov_b32_e32 v1, v19
.LBB149_192:                            ; =>This Inner Loop Header: Depth=1
	s_load_dwordx8 s[16:23], s[52:53], 0x4
	s_load_dwordx4 s[36:39], s[52:53], 0x24
	s_load_dwordx8 s[8:15], s[54:55], 0x0
	s_add_u32 s52, s52, 48
	s_addc_u32 s53, s53, 0
	s_waitcnt lgkmcnt(0)
	v_mul_hi_u32 v3, s17, v1
	s_add_i32 s63, s63, 4
	s_add_u32 s54, s54, 32
	s_addc_u32 s55, s55, 0
	v_add_u32_e32 v3, v1, v3
	v_lshrrev_b32_e32 v3, s18, v3
	v_mul_lo_u32 v4, v3, s16
	v_mul_hi_u32 v5, s20, v3
	s_cmp_eq_u32 s61, s63
	v_sub_u32_e32 v1, v1, v4
	v_add_u32_e32 v4, v3, v5
	v_mul_lo_u32 v5, v1, s8
	v_mul_lo_u32 v6, v1, s9
	v_lshrrev_b32_e32 v1, s21, v4
	v_mul_lo_u32 v4, v1, s19
	v_mul_hi_u32 v7, s23, v1
	v_sub_u32_e32 v3, v3, v4
	v_add_u32_e32 v4, v1, v7
	v_lshrrev_b32_e32 v4, s36, v4
	v_mul_hi_u32 v8, s38, v4
	v_mul_lo_u32 v9, v4, s22
	v_mul_lo_u32 v7, v3, s10
	;; [unrolled: 1-line block ×3, first 2 shown]
	v_sub_u32_e32 v9, v1, v9
	v_add_u32_e32 v1, v4, v8
	v_lshrrev_b32_e32 v1, s39, v1
	v_mul_lo_u32 v8, v1, s37
	v_mul_lo_u32 v10, v9, s12
	;; [unrolled: 1-line block ×3, first 2 shown]
	v_add3_u32 v0, v5, v0, v7
	v_sub_u32_e32 v4, v4, v8
	v_mul_lo_u32 v8, v4, s14
	v_mul_lo_u32 v4, v4, s15
	v_add3_u32 v2, v6, v2, v3
	v_add3_u32 v0, v10, v0, v8
	;; [unrolled: 1-line block ×3, first 2 shown]
	s_cbranch_scc0 .LBB149_192
	s_branch .LBB149_212
.LBB149_193:
                                        ; implicit-def: $vgpr0
                                        ; implicit-def: $vgpr2
	s_branch .LBB149_216
.LBB149_194:
	v_mov_b32_e32 v0, 0
	v_mov_b32_e32 v2, 0
	s_branch .LBB149_215
.LBB149_195:
	s_mov_b32 s61, 0
	v_mov_b32_e32 v0, 0
	v_mov_b32_e32 v2, 0
	;; [unrolled: 1-line block ×3, first 2 shown]
.LBB149_196:
	s_and_b32 s12, s62, 3
	s_cmp_eq_u32 s12, 0
	s_cbranch_scc1 .LBB149_199
; %bb.197:
	s_lshl_b32 s8, s61, 3
	s_add_u32 s8, s34, s8
	s_addc_u32 s9, s35, 0
	s_add_u32 s8, s8, 0xc4
	s_addc_u32 s9, s9, 0
	s_mul_i32 s10, s61, 12
	s_add_u32 s10, s34, s10
	s_addc_u32 s11, s35, 0
.LBB149_198:                            ; =>This Inner Loop Header: Depth=1
	s_load_dwordx2 s[14:15], s[10:11], 0x4
	s_load_dword s13, s[10:11], 0xc
	s_load_dwordx2 s[16:17], s[8:9], 0x0
	s_add_u32 s10, s10, 12
	s_addc_u32 s11, s11, 0
	s_waitcnt lgkmcnt(0)
	v_mul_hi_u32 v3, s15, v1
	s_add_u32 s8, s8, 8
	s_addc_u32 s9, s9, 0
	s_add_i32 s12, s12, -1
	v_add_u32_e32 v3, v1, v3
	v_lshrrev_b32_e32 v4, s13, v3
	v_mul_lo_u32 v3, v4, s14
	s_cmp_lg_u32 s12, 0
	v_sub_u32_e32 v3, v1, v3
	v_mad_u64_u32 v[0:1], s[14:15], v3, s16, v[0:1]
	v_mad_u64_u32 v[2:3], s[14:15], v3, s17, v[2:3]
	v_mov_b32_e32 v1, v4
	s_cbranch_scc1 .LBB149_198
.LBB149_199:
	s_cbranch_execnz .LBB149_202
.LBB149_200:
	v_mul_hi_u32 v0, s25, v19
	s_andn2_b64 vcc, exec, s[44:45]
	v_add_u32_e32 v0, v19, v0
	v_lshrrev_b32_e32 v1, s26, v0
	v_mul_lo_u32 v0, v1, s24
	v_sub_u32_e32 v2, v19, v0
	v_mul_lo_u32 v0, v2, s28
	v_mul_lo_u32 v2, v2, s29
	s_cbranch_vccnz .LBB149_202
; %bb.201:
	v_mul_hi_u32 v3, s42, v1
	v_add_u32_e32 v3, v1, v3
	v_lshrrev_b32_e32 v3, s43, v3
	v_mul_lo_u32 v3, v3, s27
	v_sub_u32_e32 v3, v1, v3
	v_mad_u64_u32 v[0:1], s[8:9], v3, s30, v[0:1]
	v_mad_u64_u32 v[2:3], s[8:9], v3, s31, v[2:3]
.LBB149_202:
	global_load_ubyte v1, v2, s[2:3]
	v_mov_b32_e32 v2, s58
	v_add_u32_e32 v19, 0x80, v19
	s_waitcnt vmcnt(0)
	v_ashrrev_i32_e64 v3, v1, s57
	v_cmp_lt_u32_e32 vcc, 6, v1
	v_cndmask_b32_e32 v1, v3, v2, vcc
	global_store_byte v0, v1, s[0:1]
	s_or_b64 exec, exec, s[50:51]
	v_cmp_gt_i32_e32 vcc, s59, v19
	s_and_saveexec_b64 s[50:51], vcc
	s_cbranch_execnz .LBB149_188
.LBB149_203:
	s_or_b64 exec, exec, s[50:51]
	v_cmp_gt_i32_e32 vcc, s59, v19
	s_and_saveexec_b64 s[50:51], vcc
	s_cbranch_execz .LBB149_219
.LBB149_204:
	s_andn2_b64 vcc, exec, s[6:7]
	s_cbranch_vccnz .LBB149_209
; %bb.205:
	s_andn2_b64 vcc, exec, s[48:49]
	s_cbranch_vccnz .LBB149_210
; %bb.206:
	s_add_i32 s62, s60, 1
	s_cmp_eq_u32 s56, 2
	s_cbranch_scc1 .LBB149_222
; %bb.207:
	s_and_b32 s61, s62, 28
	v_mov_b32_e32 v2, 0
	s_mov_b32 s63, 0
	s_mov_b64 s[52:53], s[34:35]
	s_mov_b64 s[54:55], s[46:47]
	v_mov_b32_e32 v0, 0
	v_mov_b32_e32 v1, v19
.LBB149_208:                            ; =>This Inner Loop Header: Depth=1
	s_load_dwordx8 s[16:23], s[52:53], 0x4
	s_load_dwordx4 s[36:39], s[52:53], 0x24
	s_load_dwordx8 s[8:15], s[54:55], 0x0
	s_add_u32 s52, s52, 48
	s_addc_u32 s53, s53, 0
	s_waitcnt lgkmcnt(0)
	v_mul_hi_u32 v3, s17, v1
	s_add_i32 s63, s63, 4
	s_add_u32 s54, s54, 32
	s_addc_u32 s55, s55, 0
	v_add_u32_e32 v3, v1, v3
	v_lshrrev_b32_e32 v3, s18, v3
	v_mul_lo_u32 v4, v3, s16
	v_mul_hi_u32 v5, s20, v3
	s_cmp_eq_u32 s61, s63
	v_sub_u32_e32 v1, v1, v4
	v_add_u32_e32 v4, v3, v5
	v_mul_lo_u32 v5, v1, s8
	v_mul_lo_u32 v6, v1, s9
	v_lshrrev_b32_e32 v1, s21, v4
	v_mul_lo_u32 v4, v1, s19
	v_mul_hi_u32 v7, s23, v1
	v_sub_u32_e32 v3, v3, v4
	v_add_u32_e32 v4, v1, v7
	v_lshrrev_b32_e32 v4, s36, v4
	v_mul_hi_u32 v8, s38, v4
	v_mul_lo_u32 v9, v4, s22
	v_mul_lo_u32 v7, v3, s10
	;; [unrolled: 1-line block ×3, first 2 shown]
	v_sub_u32_e32 v9, v1, v9
	v_add_u32_e32 v1, v4, v8
	v_lshrrev_b32_e32 v1, s39, v1
	v_mul_lo_u32 v8, v1, s37
	v_mul_lo_u32 v10, v9, s12
	;; [unrolled: 1-line block ×3, first 2 shown]
	v_add3_u32 v0, v5, v0, v7
	v_sub_u32_e32 v4, v4, v8
	v_mul_lo_u32 v8, v4, s14
	v_mul_lo_u32 v4, v4, s15
	v_add3_u32 v2, v6, v2, v3
	v_add3_u32 v0, v10, v0, v8
	;; [unrolled: 1-line block ×3, first 2 shown]
	s_cbranch_scc0 .LBB149_208
	s_branch .LBB149_223
.LBB149_209:
                                        ; implicit-def: $vgpr0
                                        ; implicit-def: $vgpr2
	s_branch .LBB149_227
.LBB149_210:
	v_mov_b32_e32 v0, 0
	v_mov_b32_e32 v2, 0
	s_branch .LBB149_226
.LBB149_211:
	s_mov_b32 s61, 0
	v_mov_b32_e32 v0, 0
	v_mov_b32_e32 v2, 0
	;; [unrolled: 1-line block ×3, first 2 shown]
.LBB149_212:
	s_and_b32 s12, s62, 3
	s_cmp_eq_u32 s12, 0
	s_cbranch_scc1 .LBB149_215
; %bb.213:
	s_lshl_b32 s8, s61, 3
	s_add_u32 s8, s34, s8
	s_addc_u32 s9, s35, 0
	s_add_u32 s8, s8, 0xc4
	s_addc_u32 s9, s9, 0
	s_mul_i32 s10, s61, 12
	s_add_u32 s10, s34, s10
	s_addc_u32 s11, s35, 0
.LBB149_214:                            ; =>This Inner Loop Header: Depth=1
	s_load_dwordx2 s[14:15], s[10:11], 0x4
	s_load_dword s13, s[10:11], 0xc
	s_load_dwordx2 s[16:17], s[8:9], 0x0
	s_add_u32 s10, s10, 12
	s_addc_u32 s11, s11, 0
	s_waitcnt lgkmcnt(0)
	v_mul_hi_u32 v3, s15, v1
	s_add_u32 s8, s8, 8
	s_addc_u32 s9, s9, 0
	s_add_i32 s12, s12, -1
	v_add_u32_e32 v3, v1, v3
	v_lshrrev_b32_e32 v4, s13, v3
	v_mul_lo_u32 v3, v4, s14
	s_cmp_lg_u32 s12, 0
	v_sub_u32_e32 v3, v1, v3
	v_mad_u64_u32 v[0:1], s[14:15], v3, s16, v[0:1]
	v_mad_u64_u32 v[2:3], s[14:15], v3, s17, v[2:3]
	v_mov_b32_e32 v1, v4
	s_cbranch_scc1 .LBB149_214
.LBB149_215:
	s_cbranch_execnz .LBB149_218
.LBB149_216:
	v_mul_hi_u32 v0, s25, v19
	s_andn2_b64 vcc, exec, s[44:45]
	v_add_u32_e32 v0, v19, v0
	v_lshrrev_b32_e32 v1, s26, v0
	v_mul_lo_u32 v0, v1, s24
	v_sub_u32_e32 v2, v19, v0
	v_mul_lo_u32 v0, v2, s28
	v_mul_lo_u32 v2, v2, s29
	s_cbranch_vccnz .LBB149_218
; %bb.217:
	v_mul_hi_u32 v3, s42, v1
	v_add_u32_e32 v3, v1, v3
	v_lshrrev_b32_e32 v3, s43, v3
	v_mul_lo_u32 v3, v3, s27
	v_sub_u32_e32 v3, v1, v3
	v_mad_u64_u32 v[0:1], s[8:9], v3, s30, v[0:1]
	v_mad_u64_u32 v[2:3], s[8:9], v3, s31, v[2:3]
.LBB149_218:
	global_load_ubyte v1, v2, s[2:3]
	v_mov_b32_e32 v2, s58
	v_add_u32_e32 v19, 0x80, v19
	s_waitcnt vmcnt(0)
	v_ashrrev_i32_e64 v3, v1, s57
	v_cmp_lt_u32_e32 vcc, 6, v1
	v_cndmask_b32_e32 v1, v3, v2, vcc
	global_store_byte v0, v1, s[0:1]
	s_or_b64 exec, exec, s[50:51]
	v_cmp_gt_i32_e32 vcc, s59, v19
	s_and_saveexec_b64 s[50:51], vcc
	s_cbranch_execnz .LBB149_204
.LBB149_219:
	s_or_b64 exec, exec, s[50:51]
	v_cmp_gt_i32_e32 vcc, s59, v19
	s_and_saveexec_b64 s[50:51], vcc
	s_cbranch_execnz .LBB149_230
.LBB149_220:
	s_or_b64 exec, exec, s[50:51]
                                        ; implicit-def: $vgpr25
                                        ; implicit-def: $vgpr19
	s_andn2_saveexec_b64 s[0:1], s[40:41]
	s_cbranch_execnz .LBB149_8
.LBB149_221:
	s_endpgm
.LBB149_222:
	s_mov_b32 s61, 0
	v_mov_b32_e32 v0, 0
	v_mov_b32_e32 v2, 0
	;; [unrolled: 1-line block ×3, first 2 shown]
.LBB149_223:
	s_and_b32 s12, s62, 3
	s_cmp_eq_u32 s12, 0
	s_cbranch_scc1 .LBB149_226
; %bb.224:
	s_lshl_b32 s8, s61, 3
	s_add_u32 s8, s34, s8
	s_addc_u32 s9, s35, 0
	s_add_u32 s8, s8, 0xc4
	s_addc_u32 s9, s9, 0
	s_mul_i32 s10, s61, 12
	s_add_u32 s10, s34, s10
	s_addc_u32 s11, s35, 0
.LBB149_225:                            ; =>This Inner Loop Header: Depth=1
	s_load_dwordx2 s[14:15], s[10:11], 0x4
	s_load_dword s13, s[10:11], 0xc
	s_load_dwordx2 s[16:17], s[8:9], 0x0
	s_add_u32 s10, s10, 12
	s_addc_u32 s11, s11, 0
	s_waitcnt lgkmcnt(0)
	v_mul_hi_u32 v3, s15, v1
	s_add_u32 s8, s8, 8
	s_addc_u32 s9, s9, 0
	s_add_i32 s12, s12, -1
	v_add_u32_e32 v3, v1, v3
	v_lshrrev_b32_e32 v4, s13, v3
	v_mul_lo_u32 v3, v4, s14
	s_cmp_lg_u32 s12, 0
	v_sub_u32_e32 v3, v1, v3
	v_mad_u64_u32 v[0:1], s[14:15], v3, s16, v[0:1]
	v_mad_u64_u32 v[2:3], s[14:15], v3, s17, v[2:3]
	v_mov_b32_e32 v1, v4
	s_cbranch_scc1 .LBB149_225
.LBB149_226:
	s_cbranch_execnz .LBB149_229
.LBB149_227:
	v_mul_hi_u32 v0, s25, v19
	s_andn2_b64 vcc, exec, s[44:45]
	v_add_u32_e32 v0, v19, v0
	v_lshrrev_b32_e32 v1, s26, v0
	v_mul_lo_u32 v0, v1, s24
	v_sub_u32_e32 v2, v19, v0
	v_mul_lo_u32 v0, v2, s28
	v_mul_lo_u32 v2, v2, s29
	s_cbranch_vccnz .LBB149_229
; %bb.228:
	v_mul_hi_u32 v3, s42, v1
	v_add_u32_e32 v3, v1, v3
	v_lshrrev_b32_e32 v3, s43, v3
	v_mul_lo_u32 v3, v3, s27
	v_sub_u32_e32 v3, v1, v3
	v_mad_u64_u32 v[0:1], s[8:9], v3, s30, v[0:1]
	v_mad_u64_u32 v[2:3], s[8:9], v3, s31, v[2:3]
.LBB149_229:
	global_load_ubyte v1, v2, s[2:3]
	v_mov_b32_e32 v2, s58
	v_add_u32_e32 v19, 0x80, v19
	s_waitcnt vmcnt(0)
	v_ashrrev_i32_e64 v3, v1, s57
	v_cmp_lt_u32_e32 vcc, 6, v1
	v_cndmask_b32_e32 v1, v3, v2, vcc
	global_store_byte v0, v1, s[0:1]
	s_or_b64 exec, exec, s[50:51]
	v_cmp_gt_i32_e32 vcc, s59, v19
	s_and_saveexec_b64 s[50:51], vcc
	s_cbranch_execz .LBB149_220
.LBB149_230:
	s_andn2_b64 vcc, exec, s[6:7]
	s_cbranch_vccnz .LBB149_235
; %bb.231:
	s_andn2_b64 vcc, exec, s[48:49]
	s_cbranch_vccnz .LBB149_236
; %bb.232:
	s_add_i32 s60, s60, 1
	s_cmp_eq_u32 s56, 2
	s_cbranch_scc1 .LBB149_237
; %bb.233:
	s_and_b32 s52, s60, 28
	v_mov_b32_e32 v2, 0
	s_mov_b32 s53, 0
	s_mov_b64 s[48:49], s[34:35]
	v_mov_b32_e32 v0, 0
	v_mov_b32_e32 v1, v19
.LBB149_234:                            ; =>This Inner Loop Header: Depth=1
	s_load_dwordx8 s[16:23], s[48:49], 0x4
	s_load_dwordx4 s[36:39], s[48:49], 0x24
	s_load_dwordx8 s[8:15], s[46:47], 0x0
	s_add_u32 s48, s48, 48
	s_addc_u32 s49, s49, 0
	s_waitcnt lgkmcnt(0)
	v_mul_hi_u32 v3, s17, v1
	s_add_i32 s53, s53, 4
	s_add_u32 s46, s46, 32
	s_addc_u32 s47, s47, 0
	v_add_u32_e32 v3, v1, v3
	v_lshrrev_b32_e32 v3, s18, v3
	v_mul_lo_u32 v4, v3, s16
	v_mul_hi_u32 v5, s20, v3
	s_cmp_eq_u32 s52, s53
	v_sub_u32_e32 v1, v1, v4
	v_add_u32_e32 v4, v3, v5
	v_mul_lo_u32 v5, v1, s8
	v_mul_lo_u32 v6, v1, s9
	v_lshrrev_b32_e32 v1, s21, v4
	v_mul_lo_u32 v4, v1, s19
	v_mul_hi_u32 v7, s23, v1
	v_sub_u32_e32 v3, v3, v4
	v_add_u32_e32 v4, v1, v7
	v_lshrrev_b32_e32 v4, s36, v4
	v_mul_hi_u32 v8, s38, v4
	v_mul_lo_u32 v9, v4, s22
	v_mul_lo_u32 v7, v3, s10
	v_mul_lo_u32 v3, v3, s11
	v_sub_u32_e32 v9, v1, v9
	v_add_u32_e32 v1, v4, v8
	v_lshrrev_b32_e32 v1, s39, v1
	v_mul_lo_u32 v8, v1, s37
	v_mul_lo_u32 v10, v9, s12
	;; [unrolled: 1-line block ×3, first 2 shown]
	v_add3_u32 v0, v5, v0, v7
	v_sub_u32_e32 v4, v4, v8
	v_mul_lo_u32 v8, v4, s14
	v_mul_lo_u32 v4, v4, s15
	v_add3_u32 v2, v6, v2, v3
	v_add3_u32 v0, v10, v0, v8
	;; [unrolled: 1-line block ×3, first 2 shown]
	s_cbranch_scc0 .LBB149_234
	s_branch .LBB149_238
.LBB149_235:
                                        ; implicit-def: $vgpr0
                                        ; implicit-def: $vgpr2
	s_branch .LBB149_242
.LBB149_236:
	v_mov_b32_e32 v0, 0
	v_mov_b32_e32 v2, 0
	s_branch .LBB149_241
.LBB149_237:
	s_mov_b32 s52, 0
	v_mov_b32_e32 v0, 0
	v_mov_b32_e32 v2, 0
	;; [unrolled: 1-line block ×3, first 2 shown]
.LBB149_238:
	s_and_b32 s12, s60, 3
	s_cmp_eq_u32 s12, 0
	s_cbranch_scc1 .LBB149_241
; %bb.239:
	s_lshl_b32 s8, s52, 3
	s_add_u32 s8, s34, s8
	s_addc_u32 s9, s35, 0
	s_add_u32 s8, s8, 0xc4
	s_addc_u32 s9, s9, 0
	s_mul_i32 s10, s52, 12
	s_add_u32 s10, s34, s10
	s_addc_u32 s11, s35, 0
.LBB149_240:                            ; =>This Inner Loop Header: Depth=1
	s_load_dwordx2 s[14:15], s[10:11], 0x4
	s_load_dword s13, s[10:11], 0xc
	s_load_dwordx2 s[16:17], s[8:9], 0x0
	s_add_u32 s10, s10, 12
	s_addc_u32 s11, s11, 0
	s_waitcnt lgkmcnt(0)
	v_mul_hi_u32 v3, s15, v1
	s_add_u32 s8, s8, 8
	s_addc_u32 s9, s9, 0
	s_add_i32 s12, s12, -1
	v_add_u32_e32 v3, v1, v3
	v_lshrrev_b32_e32 v4, s13, v3
	v_mul_lo_u32 v3, v4, s14
	s_cmp_lg_u32 s12, 0
	v_sub_u32_e32 v3, v1, v3
	v_mad_u64_u32 v[0:1], s[14:15], v3, s16, v[0:1]
	v_mad_u64_u32 v[2:3], s[14:15], v3, s17, v[2:3]
	v_mov_b32_e32 v1, v4
	s_cbranch_scc1 .LBB149_240
.LBB149_241:
	s_cbranch_execnz .LBB149_244
.LBB149_242:
	v_mul_hi_u32 v0, s25, v19
	s_andn2_b64 vcc, exec, s[44:45]
	v_add_u32_e32 v0, v19, v0
	v_lshrrev_b32_e32 v1, s26, v0
	v_mul_lo_u32 v0, v1, s24
	v_sub_u32_e32 v2, v19, v0
	v_mul_lo_u32 v0, v2, s28
	v_mul_lo_u32 v2, v2, s29
	s_cbranch_vccnz .LBB149_244
; %bb.243:
	v_mul_hi_u32 v3, s42, v1
	v_add_u32_e32 v3, v1, v3
	v_lshrrev_b32_e32 v3, s43, v3
	v_mul_lo_u32 v3, v3, s27
	v_sub_u32_e32 v3, v1, v3
	v_mad_u64_u32 v[0:1], s[8:9], v3, s30, v[0:1]
	v_mad_u64_u32 v[2:3], s[8:9], v3, s31, v[2:3]
.LBB149_244:
	global_load_ubyte v1, v2, s[2:3]
	v_mov_b32_e32 v2, s58
	s_waitcnt vmcnt(0)
	v_ashrrev_i32_e64 v3, v1, s57
	v_cmp_lt_u32_e32 vcc, 6, v1
	v_cndmask_b32_e32 v1, v3, v2, vcc
	global_store_byte v0, v1, s[0:1]
	s_or_b64 exec, exec, s[50:51]
                                        ; implicit-def: $vgpr25
                                        ; implicit-def: $vgpr19
	s_andn2_saveexec_b64 s[0:1], s[40:41]
	s_cbranch_execz .LBB149_221
	s_branch .LBB149_8
	.section	.rodata,"a",@progbits
	.p2align	6, 0x0
	.amdhsa_kernel _ZN2at6native32elementwise_kernel_manual_unrollILi128ELi8EZNS0_22gpu_kernel_impl_nocastINS0_13AUnaryFunctorIaaaZZZNS0_18rshift_kernel_cudaERNS_18TensorIteratorBaseEENKUlvE_clEvENKUlvE0_clEvEUlaaE_EEEEvS5_RKT_EUlibE_EEviT1_
		.amdhsa_group_segment_fixed_size 0
		.amdhsa_private_segment_fixed_size 0
		.amdhsa_kernarg_size 360
		.amdhsa_user_sgpr_count 6
		.amdhsa_user_sgpr_private_segment_buffer 1
		.amdhsa_user_sgpr_dispatch_ptr 0
		.amdhsa_user_sgpr_queue_ptr 0
		.amdhsa_user_sgpr_kernarg_segment_ptr 1
		.amdhsa_user_sgpr_dispatch_id 0
		.amdhsa_user_sgpr_flat_scratch_init 0
		.amdhsa_user_sgpr_private_segment_size 0
		.amdhsa_uses_dynamic_stack 0
		.amdhsa_system_sgpr_private_segment_wavefront_offset 0
		.amdhsa_system_sgpr_workgroup_id_x 1
		.amdhsa_system_sgpr_workgroup_id_y 0
		.amdhsa_system_sgpr_workgroup_id_z 0
		.amdhsa_system_sgpr_workgroup_info 0
		.amdhsa_system_vgpr_workitem_id 0
		.amdhsa_next_free_vgpr 26
		.amdhsa_next_free_sgpr 64
		.amdhsa_reserve_vcc 1
		.amdhsa_reserve_flat_scratch 0
		.amdhsa_float_round_mode_32 0
		.amdhsa_float_round_mode_16_64 0
		.amdhsa_float_denorm_mode_32 3
		.amdhsa_float_denorm_mode_16_64 3
		.amdhsa_dx10_clamp 1
		.amdhsa_ieee_mode 1
		.amdhsa_fp16_overflow 0
		.amdhsa_exception_fp_ieee_invalid_op 0
		.amdhsa_exception_fp_denorm_src 0
		.amdhsa_exception_fp_ieee_div_zero 0
		.amdhsa_exception_fp_ieee_overflow 0
		.amdhsa_exception_fp_ieee_underflow 0
		.amdhsa_exception_fp_ieee_inexact 0
		.amdhsa_exception_int_div_zero 0
	.end_amdhsa_kernel
	.section	.text._ZN2at6native32elementwise_kernel_manual_unrollILi128ELi8EZNS0_22gpu_kernel_impl_nocastINS0_13AUnaryFunctorIaaaZZZNS0_18rshift_kernel_cudaERNS_18TensorIteratorBaseEENKUlvE_clEvENKUlvE0_clEvEUlaaE_EEEEvS5_RKT_EUlibE_EEviT1_,"axG",@progbits,_ZN2at6native32elementwise_kernel_manual_unrollILi128ELi8EZNS0_22gpu_kernel_impl_nocastINS0_13AUnaryFunctorIaaaZZZNS0_18rshift_kernel_cudaERNS_18TensorIteratorBaseEENKUlvE_clEvENKUlvE0_clEvEUlaaE_EEEEvS5_RKT_EUlibE_EEviT1_,comdat
.Lfunc_end149:
	.size	_ZN2at6native32elementwise_kernel_manual_unrollILi128ELi8EZNS0_22gpu_kernel_impl_nocastINS0_13AUnaryFunctorIaaaZZZNS0_18rshift_kernel_cudaERNS_18TensorIteratorBaseEENKUlvE_clEvENKUlvE0_clEvEUlaaE_EEEEvS5_RKT_EUlibE_EEviT1_, .Lfunc_end149-_ZN2at6native32elementwise_kernel_manual_unrollILi128ELi8EZNS0_22gpu_kernel_impl_nocastINS0_13AUnaryFunctorIaaaZZZNS0_18rshift_kernel_cudaERNS_18TensorIteratorBaseEENKUlvE_clEvENKUlvE0_clEvEUlaaE_EEEEvS5_RKT_EUlibE_EEviT1_
                                        ; -- End function
	.set _ZN2at6native32elementwise_kernel_manual_unrollILi128ELi8EZNS0_22gpu_kernel_impl_nocastINS0_13AUnaryFunctorIaaaZZZNS0_18rshift_kernel_cudaERNS_18TensorIteratorBaseEENKUlvE_clEvENKUlvE0_clEvEUlaaE_EEEEvS5_RKT_EUlibE_EEviT1_.num_vgpr, 26
	.set _ZN2at6native32elementwise_kernel_manual_unrollILi128ELi8EZNS0_22gpu_kernel_impl_nocastINS0_13AUnaryFunctorIaaaZZZNS0_18rshift_kernel_cudaERNS_18TensorIteratorBaseEENKUlvE_clEvENKUlvE0_clEvEUlaaE_EEEEvS5_RKT_EUlibE_EEviT1_.num_agpr, 0
	.set _ZN2at6native32elementwise_kernel_manual_unrollILi128ELi8EZNS0_22gpu_kernel_impl_nocastINS0_13AUnaryFunctorIaaaZZZNS0_18rshift_kernel_cudaERNS_18TensorIteratorBaseEENKUlvE_clEvENKUlvE0_clEvEUlaaE_EEEEvS5_RKT_EUlibE_EEviT1_.numbered_sgpr, 64
	.set _ZN2at6native32elementwise_kernel_manual_unrollILi128ELi8EZNS0_22gpu_kernel_impl_nocastINS0_13AUnaryFunctorIaaaZZZNS0_18rshift_kernel_cudaERNS_18TensorIteratorBaseEENKUlvE_clEvENKUlvE0_clEvEUlaaE_EEEEvS5_RKT_EUlibE_EEviT1_.num_named_barrier, 0
	.set _ZN2at6native32elementwise_kernel_manual_unrollILi128ELi8EZNS0_22gpu_kernel_impl_nocastINS0_13AUnaryFunctorIaaaZZZNS0_18rshift_kernel_cudaERNS_18TensorIteratorBaseEENKUlvE_clEvENKUlvE0_clEvEUlaaE_EEEEvS5_RKT_EUlibE_EEviT1_.private_seg_size, 0
	.set _ZN2at6native32elementwise_kernel_manual_unrollILi128ELi8EZNS0_22gpu_kernel_impl_nocastINS0_13AUnaryFunctorIaaaZZZNS0_18rshift_kernel_cudaERNS_18TensorIteratorBaseEENKUlvE_clEvENKUlvE0_clEvEUlaaE_EEEEvS5_RKT_EUlibE_EEviT1_.uses_vcc, 1
	.set _ZN2at6native32elementwise_kernel_manual_unrollILi128ELi8EZNS0_22gpu_kernel_impl_nocastINS0_13AUnaryFunctorIaaaZZZNS0_18rshift_kernel_cudaERNS_18TensorIteratorBaseEENKUlvE_clEvENKUlvE0_clEvEUlaaE_EEEEvS5_RKT_EUlibE_EEviT1_.uses_flat_scratch, 0
	.set _ZN2at6native32elementwise_kernel_manual_unrollILi128ELi8EZNS0_22gpu_kernel_impl_nocastINS0_13AUnaryFunctorIaaaZZZNS0_18rshift_kernel_cudaERNS_18TensorIteratorBaseEENKUlvE_clEvENKUlvE0_clEvEUlaaE_EEEEvS5_RKT_EUlibE_EEviT1_.has_dyn_sized_stack, 0
	.set _ZN2at6native32elementwise_kernel_manual_unrollILi128ELi8EZNS0_22gpu_kernel_impl_nocastINS0_13AUnaryFunctorIaaaZZZNS0_18rshift_kernel_cudaERNS_18TensorIteratorBaseEENKUlvE_clEvENKUlvE0_clEvEUlaaE_EEEEvS5_RKT_EUlibE_EEviT1_.has_recursion, 0
	.set _ZN2at6native32elementwise_kernel_manual_unrollILi128ELi8EZNS0_22gpu_kernel_impl_nocastINS0_13AUnaryFunctorIaaaZZZNS0_18rshift_kernel_cudaERNS_18TensorIteratorBaseEENKUlvE_clEvENKUlvE0_clEvEUlaaE_EEEEvS5_RKT_EUlibE_EEviT1_.has_indirect_call, 0
	.section	.AMDGPU.csdata,"",@progbits
; Kernel info:
; codeLenInByte = 11492
; TotalNumSgprs: 68
; NumVgprs: 26
; ScratchSize: 0
; MemoryBound: 0
; FloatMode: 240
; IeeeMode: 1
; LDSByteSize: 0 bytes/workgroup (compile time only)
; SGPRBlocks: 8
; VGPRBlocks: 6
; NumSGPRsForWavesPerEU: 68
; NumVGPRsForWavesPerEU: 26
; Occupancy: 9
; WaveLimiterHint : 1
; COMPUTE_PGM_RSRC2:SCRATCH_EN: 0
; COMPUTE_PGM_RSRC2:USER_SGPR: 6
; COMPUTE_PGM_RSRC2:TRAP_HANDLER: 0
; COMPUTE_PGM_RSRC2:TGID_X_EN: 1
; COMPUTE_PGM_RSRC2:TGID_Y_EN: 0
; COMPUTE_PGM_RSRC2:TGID_Z_EN: 0
; COMPUTE_PGM_RSRC2:TIDIG_COMP_CNT: 0
	.section	.text._ZN2at6native32elementwise_kernel_manual_unrollILi128ELi4EZNS0_15gpu_kernel_implINS0_13AUnaryFunctorIaaaZZZNS0_18rshift_kernel_cudaERNS_18TensorIteratorBaseEENKUlvE_clEvENKUlvE0_clEvEUlaaE_EEEEvS5_RKT_EUlibE_EEviT1_,"axG",@progbits,_ZN2at6native32elementwise_kernel_manual_unrollILi128ELi4EZNS0_15gpu_kernel_implINS0_13AUnaryFunctorIaaaZZZNS0_18rshift_kernel_cudaERNS_18TensorIteratorBaseEENKUlvE_clEvENKUlvE0_clEvEUlaaE_EEEEvS5_RKT_EUlibE_EEviT1_,comdat
	.globl	_ZN2at6native32elementwise_kernel_manual_unrollILi128ELi4EZNS0_15gpu_kernel_implINS0_13AUnaryFunctorIaaaZZZNS0_18rshift_kernel_cudaERNS_18TensorIteratorBaseEENKUlvE_clEvENKUlvE0_clEvEUlaaE_EEEEvS5_RKT_EUlibE_EEviT1_ ; -- Begin function _ZN2at6native32elementwise_kernel_manual_unrollILi128ELi4EZNS0_15gpu_kernel_implINS0_13AUnaryFunctorIaaaZZZNS0_18rshift_kernel_cudaERNS_18TensorIteratorBaseEENKUlvE_clEvENKUlvE0_clEvEUlaaE_EEEEvS5_RKT_EUlibE_EEviT1_
	.p2align	8
	.type	_ZN2at6native32elementwise_kernel_manual_unrollILi128ELi4EZNS0_15gpu_kernel_implINS0_13AUnaryFunctorIaaaZZZNS0_18rshift_kernel_cudaERNS_18TensorIteratorBaseEENKUlvE_clEvENKUlvE0_clEvEUlaaE_EEEEvS5_RKT_EUlibE_EEviT1_,@function
_ZN2at6native32elementwise_kernel_manual_unrollILi128ELi4EZNS0_15gpu_kernel_implINS0_13AUnaryFunctorIaaaZZZNS0_18rshift_kernel_cudaERNS_18TensorIteratorBaseEENKUlvE_clEvENKUlvE0_clEvEUlaaE_EEEEvS5_RKT_EUlibE_EEviT1_: ; @_ZN2at6native32elementwise_kernel_manual_unrollILi128ELi4EZNS0_15gpu_kernel_implINS0_13AUnaryFunctorIaaaZZZNS0_18rshift_kernel_cudaERNS_18TensorIteratorBaseEENKUlvE_clEvENKUlvE0_clEvEUlaaE_EEEEvS5_RKT_EUlibE_EEviT1_
; %bb.0:
	v_mov_b32_e32 v1, 0
	global_load_ushort v10, v1, s[4:5] offset:33
	global_load_sbyte v2, v1, s[4:5] offset:35
	s_load_dwordx2 s[2:3], s[4:5], 0x18
	s_load_dword s38, s[4:5], 0x0
	s_load_dwordx4 s[8:11], s[4:5], 0x8
	v_lshl_or_b32 v9, s6, 9, v0
	v_or_b32_e32 v0, 0x180, v9
	s_mov_b64 s[12:13], 0
	s_waitcnt lgkmcnt(0)
	v_cmp_le_i32_e32 vcc, s38, v0
	s_mov_b64 s[6:7], 0
	s_waitcnt vmcnt(1)
	v_readfirstlane_b32 s0, v10
	s_waitcnt vmcnt(0)
	v_readfirstlane_b32 s42, v2
	s_lshr_b32 s33, s0, 8
	s_and_saveexec_b64 s[0:1], vcc
	s_xor_b64 s[4:5], exec, s[0:1]
	s_cbranch_execz .LBB150_1011
; %bb.1:
	v_bfe_i32 v4, v10, 0, 8
	v_mov_b32_e32 v0, 7
	v_lshrrev_b32_sdwa v5, v0, sext(v4) dst_sel:DWORD dst_unused:UNUSED_PAD src0_sel:DWORD src1_sel:WORD_0
	v_cmp_gt_i32_e32 vcc, s38, v9
	s_mov_b64 s[18:19], -1
	s_mov_b64 s[20:21], 0
	s_mov_b64 s[14:15], 0
	s_and_saveexec_b64 s[16:17], vcc
	s_cbranch_execz .LBB150_248
; %bb.2:
	v_mul_lo_u32 v0, v9, s3
	v_mov_b32_e32 v1, s11
	s_and_b32 s18, s42, 0xff
	s_cmp_lt_i32 s18, 11
	v_ashrrev_i32_e32 v2, 31, v0
	v_add_co_u32_e32 v0, vcc, s10, v0
	v_addc_co_u32_e32 v1, vcc, v1, v2, vcc
	s_cbranch_scc1 .LBB150_9
; %bb.3:
	s_and_b32 s19, 0xffff, s18
	s_cmp_gt_i32 s19, 25
	s_cbranch_scc0 .LBB150_18
; %bb.4:
	s_cmp_gt_i32 s19, 28
	s_cbranch_scc0 .LBB150_22
; %bb.5:
	;; [unrolled: 3-line block ×4, first 2 shown]
	s_cmp_eq_u32 s19, 46
	s_cbranch_scc0 .LBB150_28
; %bb.8:
	global_load_dword v2, v[0:1], off
	s_mov_b64 s[0:1], -1
	s_waitcnt vmcnt(0)
	v_lshlrev_b32_e32 v2, 16, v2
	v_cvt_i32_f32_e32 v2, v2
	s_branch .LBB150_30
.LBB150_9:
                                        ; implicit-def: $vgpr2
	s_mov_b64 s[0:1], 0
	s_cbranch_execnz .LBB150_199
.LBB150_10:
	s_andn2_b64 vcc, exec, s[0:1]
	s_cbranch_vccnz .LBB150_246
.LBB150_11:
	v_mul_lo_u32 v1, v9, s2
	v_mov_b32_e32 v0, 6
	s_waitcnt vmcnt(0)
	v_ashrrev_i32_e32 v3, v2, v4
	v_cmp_gt_u16_sdwa vcc, v2, v0 src0_sel:BYTE_0 src1_sel:DWORD
	v_cndmask_b32_e32 v2, v3, v5, vcc
	v_ashrrev_i32_e32 v3, 31, v1
	v_mov_b32_e32 v6, s9
	s_and_b32 s24, s33, 0xff
	v_add_co_u32_e32 v0, vcc, s8, v1
	s_cmp_lt_i32 s24, 11
	v_addc_co_u32_e32 v1, vcc, v6, v3, vcc
	s_cbranch_scc1 .LBB150_19
; %bb.12:
	s_and_b32 s25, 0xffff, s24
	s_cmp_gt_i32 s25, 25
	s_cbranch_scc0 .LBB150_23
; %bb.13:
	s_cmp_gt_i32 s25, 28
	s_cbranch_scc0 .LBB150_25
; %bb.14:
	;; [unrolled: 3-line block ×4, first 2 shown]
	s_mov_b64 s[18:19], 0
	s_mov_b64 s[0:1], -1
	s_cmp_eq_u32 s25, 46
	s_mov_b64 s[6:7], 0
	s_cbranch_scc0 .LBB150_34
; %bb.17:
	v_bfe_i32 v3, v2, 0, 8
	v_cvt_f32_i32_sdwa v3, sext(v3) dst_sel:DWORD dst_unused:UNUSED_PAD src0_sel:WORD_0
	s_movk_i32 s0, 0x7fff
	s_mov_b64 s[6:7], -1
	v_bfe_u32 v6, v3, 16, 1
	v_add3_u32 v3, v3, v6, s0
	v_lshrrev_b32_e32 v3, 16, v3
	global_store_dword v[0:1], v3, off
	s_mov_b64 s[0:1], 0
	s_branch .LBB150_34
.LBB150_18:
	s_mov_b64 s[0:1], 0
                                        ; implicit-def: $vgpr2
	s_cbranch_execnz .LBB150_166
	s_branch .LBB150_198
.LBB150_19:
	s_mov_b64 s[0:1], 0
	s_mov_b64 s[6:7], 0
	s_cbranch_execnz .LBB150_103
.LBB150_20:
	s_andn2_b64 vcc, exec, s[6:7]
	s_cbranch_vccnz .LBB150_141
.LBB150_21:
	v_add_u32_e32 v9, 0x80, v9
	s_mov_b64 s[18:19], -1
	s_branch .LBB150_247
.LBB150_22:
	s_mov_b64 s[6:7], -1
	s_mov_b64 s[0:1], 0
                                        ; implicit-def: $vgpr2
	s_branch .LBB150_149
.LBB150_23:
	s_mov_b64 s[18:19], -1
	s_mov_b64 s[0:1], 0
	s_mov_b64 s[6:7], 0
	s_branch .LBB150_61
.LBB150_24:
	s_mov_b64 s[6:7], -1
	s_mov_b64 s[0:1], 0
                                        ; implicit-def: $vgpr2
	s_branch .LBB150_144
.LBB150_25:
	s_mov_b64 s[18:19], -1
	s_mov_b64 s[0:1], 0
	s_mov_b64 s[6:7], 0
	s_branch .LBB150_44
.LBB150_26:
	s_mov_b64 s[6:7], -1
	s_branch .LBB150_29
.LBB150_27:
	s_mov_b64 s[18:19], -1
	s_mov_b64 s[0:1], 0
	s_mov_b64 s[6:7], 0
	s_branch .LBB150_40
.LBB150_28:
	s_mov_b64 s[14:15], -1
.LBB150_29:
	s_mov_b64 s[0:1], 0
                                        ; implicit-def: $vgpr2
.LBB150_30:
	s_and_b64 vcc, exec, s[6:7]
	s_cbranch_vccz .LBB150_143
; %bb.31:
	s_cmp_eq_u32 s19, 44
	s_cbranch_scc0 .LBB150_142
; %bb.32:
	global_load_ubyte v2, v[0:1], off
	s_mov_b64 s[0:1], -1
	s_mov_b64 s[14:15], 0
	s_waitcnt vmcnt(0)
	v_lshlrev_b32_e32 v3, 23, v2
	v_cvt_i32_f32_e32 v3, v3
	v_cmp_ne_u32_e32 vcc, 0, v2
	v_cndmask_b32_e32 v2, 0, v3, vcc
	s_branch .LBB150_143
.LBB150_33:
	s_mov_b64 s[18:19], -1
	s_mov_b64 s[0:1], 0
	s_mov_b64 s[6:7], 0
.LBB150_34:
	s_and_b64 vcc, exec, s[18:19]
	s_cbranch_vccz .LBB150_39
; %bb.35:
	s_cmp_eq_u32 s25, 44
	s_mov_b64 s[0:1], -1
	s_cbranch_scc0 .LBB150_39
; %bb.36:
	v_bfe_i32 v3, v2, 0, 8
	v_cvt_f32_i32_sdwa v3, sext(v3) dst_sel:DWORD dst_unused:UNUSED_PAD src0_sel:WORD_0
	s_movk_i32 s0, 0xff
	v_mov_b32_e32 v7, 0xff
	v_bfe_u32 v6, v3, 23, 8
	v_cmp_ne_u32_e32 vcc, s0, v6
	s_and_saveexec_b64 s[6:7], vcc
; %bb.37:
	s_mov_b32 s0, 0x3fffff
	v_lshrrev_b32_e32 v7, 23, v3
	v_and_b32_e32 v8, 0x400000, v3
	v_and_or_b32 v3, v3, s0, v6
	v_cmp_ne_u32_e32 vcc, 0, v8
	v_cmp_ne_u32_e64 s[0:1], 0, v3
	s_and_b64 s[0:1], vcc, s[0:1]
	v_cndmask_b32_e64 v3, 0, 1, s[0:1]
	v_add_u32_e32 v7, v7, v3
; %bb.38:
	s_or_b64 exec, exec, s[6:7]
	s_mov_b64 s[6:7], -1
	s_mov_b64 s[0:1], 0
	global_store_byte v[0:1], v7, off
.LBB150_39:
	s_mov_b64 s[18:19], 0
.LBB150_40:
	s_and_b64 vcc, exec, s[18:19]
	s_cbranch_vccz .LBB150_43
; %bb.41:
	s_cmp_eq_u32 s25, 29
	s_mov_b64 s[0:1], -1
	s_cbranch_scc0 .LBB150_43
; %bb.42:
	v_bfe_i32 v6, v2, 0, 8
	v_ashrrev_i32_e32 v7, 31, v6
	global_store_dwordx2 v[0:1], v[6:7], off
	s_mov_b64 s[6:7], -1
	s_mov_b64 s[0:1], 0
.LBB150_43:
	s_mov_b64 s[18:19], 0
.LBB150_44:
	s_and_b64 vcc, exec, s[18:19]
	s_cbranch_vccz .LBB150_60
; %bb.45:
	s_cmp_lt_i32 s25, 27
	s_mov_b64 s[6:7], -1
	s_cbranch_scc1 .LBB150_51
; %bb.46:
	s_cmp_gt_i32 s25, 27
	s_cbranch_scc0 .LBB150_48
; %bb.47:
	v_bfe_i32 v3, v2, 0, 8
	s_mov_b64 s[6:7], 0
	global_store_dword v[0:1], v3, off
.LBB150_48:
	s_andn2_b64 vcc, exec, s[6:7]
	s_cbranch_vccnz .LBB150_50
; %bb.49:
	v_bfe_i32 v3, v2, 0, 8
	global_store_short v[0:1], v3, off
.LBB150_50:
	s_mov_b64 s[6:7], 0
.LBB150_51:
	s_andn2_b64 vcc, exec, s[6:7]
	s_cbranch_vccnz .LBB150_59
; %bb.52:
	v_bfe_i32 v3, v2, 0, 8
	v_cvt_f32_i32_sdwa v3, sext(v3) dst_sel:DWORD dst_unused:UNUSED_PAD src0_sel:WORD_0
	s_mov_b32 s6, 0x43800000
	v_mov_b32_e32 v7, 0x80
	v_and_b32_e32 v6, 0x7fffffff, v3
	v_cmp_gt_u32_e32 vcc, s6, v6
	s_and_saveexec_b64 s[6:7], vcc
	s_cbranch_execz .LBB150_58
; %bb.53:
	s_mov_b32 s18, 0x3bffffff
	v_cmp_lt_u32_e32 vcc, s18, v6
	s_mov_b64 s[18:19], 0
                                        ; implicit-def: $vgpr6
	s_and_saveexec_b64 s[22:23], vcc
	s_xor_b64 s[22:23], exec, s[22:23]
	s_cbranch_execz .LBB150_275
; %bb.54:
	v_bfe_u32 v6, v3, 20, 1
	s_mov_b32 s26, 0x487ffff
	v_add3_u32 v6, v3, v6, s26
	s_mov_b64 s[18:19], exec
	v_lshrrev_b32_e32 v6, 20, v6
	s_andn2_saveexec_b64 s[22:23], s[22:23]
	s_cbranch_execnz .LBB150_276
.LBB150_55:
	s_or_b64 exec, exec, s[22:23]
	v_mov_b32_e32 v7, 0
	s_and_saveexec_b64 s[22:23], s[18:19]
.LBB150_56:
	v_lshrrev_b32_e32 v3, 24, v3
	s_movk_i32 s18, 0x80
	v_and_or_b32 v7, v3, s18, v6
.LBB150_57:
	s_or_b64 exec, exec, s[22:23]
.LBB150_58:
	s_or_b64 exec, exec, s[6:7]
	global_store_byte v[0:1], v7, off
.LBB150_59:
	s_mov_b64 s[6:7], -1
.LBB150_60:
	s_mov_b64 s[18:19], 0
.LBB150_61:
	s_and_b64 vcc, exec, s[18:19]
	s_cbranch_vccz .LBB150_102
; %bb.62:
	s_cmp_gt_i32 s25, 22
	s_mov_b64 s[18:19], -1
	s_cbranch_scc0 .LBB150_94
; %bb.63:
	s_cmp_lt_i32 s25, 24
	s_mov_b64 s[6:7], -1
	s_cbranch_scc1 .LBB150_83
; %bb.64:
	s_cmp_gt_i32 s25, 24
	s_cbranch_scc0 .LBB150_72
; %bb.65:
	v_bfe_i32 v3, v2, 0, 8
	v_cvt_f32_i32_sdwa v3, sext(v3) dst_sel:DWORD dst_unused:UNUSED_PAD src0_sel:WORD_0
	s_mov_b32 s6, 0x47800000
	v_mov_b32_e32 v7, 0x80
	v_and_b32_e32 v6, 0x7fffffff, v3
	v_cmp_gt_u32_e32 vcc, s6, v6
	s_and_saveexec_b64 s[6:7], vcc
	s_cbranch_execz .LBB150_71
; %bb.66:
	s_mov_b32 s18, 0x37ffffff
	v_cmp_lt_u32_e32 vcc, s18, v6
	s_mov_b64 s[18:19], 0
                                        ; implicit-def: $vgpr6
	s_and_saveexec_b64 s[22:23], vcc
	s_xor_b64 s[22:23], exec, s[22:23]
	s_cbranch_execz .LBB150_279
; %bb.67:
	v_bfe_u32 v6, v3, 21, 1
	s_mov_b32 s26, 0x88fffff
	v_add3_u32 v6, v3, v6, s26
	s_mov_b64 s[18:19], exec
	v_lshrrev_b32_e32 v6, 21, v6
	s_andn2_saveexec_b64 s[22:23], s[22:23]
	s_cbranch_execnz .LBB150_280
.LBB150_68:
	s_or_b64 exec, exec, s[22:23]
	v_mov_b32_e32 v7, 0
	s_and_saveexec_b64 s[22:23], s[18:19]
.LBB150_69:
	v_lshrrev_b32_e32 v3, 24, v3
	s_movk_i32 s18, 0x80
	v_and_or_b32 v7, v3, s18, v6
.LBB150_70:
	s_or_b64 exec, exec, s[22:23]
.LBB150_71:
	s_or_b64 exec, exec, s[6:7]
	s_mov_b64 s[6:7], 0
	global_store_byte v[0:1], v7, off
.LBB150_72:
	s_and_b64 vcc, exec, s[6:7]
	s_cbranch_vccz .LBB150_82
; %bb.73:
	v_bfe_i32 v3, v2, 0, 8
	v_cvt_f32_i32_sdwa v3, sext(v3) dst_sel:DWORD dst_unused:UNUSED_PAD src0_sel:WORD_0
	s_mov_b32 s6, 0x43f00000
                                        ; implicit-def: $vgpr6
	v_and_b32_e32 v7, 0x7fffffff, v3
	v_cmp_gt_u32_e32 vcc, s6, v7
	s_and_saveexec_b64 s[6:7], vcc
	s_xor_b64 s[6:7], exec, s[6:7]
	s_cbranch_execz .LBB150_79
; %bb.74:
	s_mov_b32 s18, 0x3c7fffff
	v_cmp_lt_u32_e32 vcc, s18, v7
                                        ; implicit-def: $vgpr6
	s_and_saveexec_b64 s[18:19], vcc
	s_xor_b64 s[18:19], exec, s[18:19]
; %bb.75:
	v_bfe_u32 v6, v3, 20, 1
	s_mov_b32 s22, 0x407ffff
	v_add3_u32 v6, v3, v6, s22
	v_lshrrev_b32_e32 v7, 20, v6
	v_and_b32_e32 v6, 0xff00000, v6
	s_mov_b32 s22, 0x7f00000
	v_mov_b32_e32 v8, 0x7e
	v_cmp_ne_u32_e32 vcc, s22, v6
	v_cndmask_b32_e32 v6, v8, v7, vcc
; %bb.76:
	s_andn2_saveexec_b64 s[18:19], s[18:19]
; %bb.77:
	s_mov_b32 s22, 0x46800000
	v_add_f32_e64 v6, |v3|, s22
; %bb.78:
	s_or_b64 exec, exec, s[18:19]
                                        ; implicit-def: $vgpr7
.LBB150_79:
	s_andn2_saveexec_b64 s[6:7], s[6:7]
; %bb.80:
	s_mov_b32 s18, 0x7f800000
	v_mov_b32_e32 v6, 0x7e
	v_mov_b32_e32 v8, 0x7f
	v_cmp_lt_u32_e32 vcc, s18, v7
	v_cndmask_b32_e32 v6, v6, v8, vcc
; %bb.81:
	s_or_b64 exec, exec, s[6:7]
	v_lshrrev_b32_e32 v3, 24, v3
	s_movk_i32 s6, 0x80
	v_and_or_b32 v3, v3, s6, v6
	global_store_byte v[0:1], v3, off
.LBB150_82:
	s_mov_b64 s[6:7], 0
.LBB150_83:
	s_andn2_b64 vcc, exec, s[6:7]
	s_cbranch_vccnz .LBB150_93
; %bb.84:
	v_bfe_i32 v3, v2, 0, 8
	v_cvt_f32_i32_sdwa v3, sext(v3) dst_sel:DWORD dst_unused:UNUSED_PAD src0_sel:WORD_0
	s_mov_b32 s6, 0x47800000
                                        ; implicit-def: $vgpr6
	v_and_b32_e32 v7, 0x7fffffff, v3
	v_cmp_gt_u32_e32 vcc, s6, v7
	s_and_saveexec_b64 s[6:7], vcc
	s_xor_b64 s[6:7], exec, s[6:7]
	s_cbranch_execz .LBB150_90
; %bb.85:
	s_mov_b32 s18, 0x387fffff
	v_cmp_lt_u32_e32 vcc, s18, v7
                                        ; implicit-def: $vgpr6
	s_and_saveexec_b64 s[18:19], vcc
	s_xor_b64 s[18:19], exec, s[18:19]
; %bb.86:
	v_bfe_u32 v6, v3, 21, 1
	s_mov_b32 s22, 0x80fffff
	v_add3_u32 v6, v3, v6, s22
	v_lshrrev_b32_e32 v6, 21, v6
; %bb.87:
	s_andn2_saveexec_b64 s[18:19], s[18:19]
; %bb.88:
	s_mov_b32 s22, 0x43000000
	v_add_f32_e64 v6, |v3|, s22
; %bb.89:
	s_or_b64 exec, exec, s[18:19]
                                        ; implicit-def: $vgpr7
.LBB150_90:
	s_andn2_saveexec_b64 s[6:7], s[6:7]
; %bb.91:
	s_mov_b32 s18, 0x7f800000
	v_mov_b32_e32 v6, 0x7c
	v_mov_b32_e32 v8, 0x7f
	v_cmp_lt_u32_e32 vcc, s18, v7
	v_cndmask_b32_e32 v6, v6, v8, vcc
; %bb.92:
	s_or_b64 exec, exec, s[6:7]
	v_lshrrev_b32_e32 v3, 24, v3
	s_movk_i32 s6, 0x80
	v_and_or_b32 v3, v3, s6, v6
	global_store_byte v[0:1], v3, off
.LBB150_93:
	s_mov_b64 s[18:19], 0
	s_mov_b64 s[6:7], -1
.LBB150_94:
	s_andn2_b64 vcc, exec, s[18:19]
	s_cbranch_vccnz .LBB150_102
; %bb.95:
	s_cmp_gt_i32 s25, 14
	s_mov_b64 s[18:19], -1
	s_cbranch_scc0 .LBB150_99
; %bb.96:
	s_cmp_eq_u32 s25, 15
	s_mov_b64 s[0:1], -1
	s_cbranch_scc0 .LBB150_98
; %bb.97:
	v_bfe_i32 v3, v2, 0, 8
	v_cvt_f32_i32_sdwa v3, sext(v3) dst_sel:DWORD dst_unused:UNUSED_PAD src0_sel:WORD_0
	s_movk_i32 s0, 0x7fff
	s_mov_b64 s[6:7], -1
	v_bfe_u32 v6, v3, 16, 1
	v_add3_u32 v3, v3, v6, s0
	global_store_short_d16_hi v[0:1], v3, off
	s_mov_b64 s[0:1], 0
.LBB150_98:
	s_mov_b64 s[18:19], 0
.LBB150_99:
	s_and_b64 vcc, exec, s[18:19]
	s_cbranch_vccz .LBB150_102
; %bb.100:
	s_cmp_eq_u32 s25, 11
	s_mov_b64 s[0:1], -1
	s_cbranch_scc0 .LBB150_102
; %bb.101:
	v_mov_b32_e32 v3, 0
	v_cmp_ne_u16_sdwa s[0:1], v2, v3 src0_sel:BYTE_0 src1_sel:DWORD
	v_cndmask_b32_e64 v3, 0, 1, s[0:1]
	s_mov_b64 s[6:7], -1
	s_mov_b64 s[0:1], 0
	global_store_byte v[0:1], v3, off
.LBB150_102:
	s_branch .LBB150_20
.LBB150_103:
	s_and_b32 s18, 0xffff, s24
	s_cmp_lt_i32 s18, 5
	s_mov_b64 s[6:7], -1
	s_cbranch_scc1 .LBB150_124
; %bb.104:
	s_cmp_lt_i32 s18, 8
	s_cbranch_scc1 .LBB150_114
; %bb.105:
	s_cmp_lt_i32 s18, 9
	s_cbranch_scc1 .LBB150_111
; %bb.106:
	s_cmp_gt_i32 s18, 9
	s_cbranch_scc0 .LBB150_108
; %bb.107:
	v_bfe_i32 v3, v2, 0, 8
	v_bfe_i32 v3, v3, 0, 16
	v_cvt_f64_i32_e32 v[10:11], v3
	v_mov_b32_e32 v12, 0
	v_mov_b32_e32 v13, v12
	s_mov_b64 s[6:7], 0
	global_store_dwordx4 v[0:1], v[10:13], off
.LBB150_108:
	s_andn2_b64 vcc, exec, s[6:7]
	s_cbranch_vccnz .LBB150_110
; %bb.109:
	v_bfe_i32 v3, v2, 0, 8
	v_cvt_f32_i32_sdwa v6, sext(v3) dst_sel:DWORD dst_unused:UNUSED_PAD src0_sel:WORD_0
	v_mov_b32_e32 v7, 0
	global_store_dwordx2 v[0:1], v[6:7], off
.LBB150_110:
	s_mov_b64 s[6:7], 0
.LBB150_111:
	s_andn2_b64 vcc, exec, s[6:7]
	s_cbranch_vccnz .LBB150_113
; %bb.112:
	v_cvt_f16_i16_sdwa v3, sext(v2) dst_sel:DWORD dst_unused:UNUSED_PAD src0_sel:BYTE_0
	global_store_dword v[0:1], v3, off
.LBB150_113:
	s_mov_b64 s[6:7], 0
.LBB150_114:
	s_andn2_b64 vcc, exec, s[6:7]
	s_cbranch_vccnz .LBB150_123
; %bb.115:
	s_cmp_lt_i32 s18, 6
	s_mov_b64 s[6:7], -1
	s_cbranch_scc1 .LBB150_121
; %bb.116:
	s_cmp_gt_i32 s18, 6
	s_cbranch_scc0 .LBB150_118
; %bb.117:
	v_bfe_i32 v3, v2, 0, 8
	v_bfe_i32 v3, v3, 0, 16
	v_cvt_f64_i32_e32 v[6:7], v3
	s_mov_b64 s[6:7], 0
	global_store_dwordx2 v[0:1], v[6:7], off
.LBB150_118:
	s_andn2_b64 vcc, exec, s[6:7]
	s_cbranch_vccnz .LBB150_120
; %bb.119:
	v_bfe_i32 v3, v2, 0, 8
	v_cvt_f32_i32_sdwa v3, sext(v3) dst_sel:DWORD dst_unused:UNUSED_PAD src0_sel:WORD_0
	global_store_dword v[0:1], v3, off
.LBB150_120:
	s_mov_b64 s[6:7], 0
.LBB150_121:
	s_andn2_b64 vcc, exec, s[6:7]
	s_cbranch_vccnz .LBB150_123
; %bb.122:
	v_cvt_f16_i16_sdwa v3, sext(v2) dst_sel:DWORD dst_unused:UNUSED_PAD src0_sel:BYTE_0
	global_store_short v[0:1], v3, off
.LBB150_123:
	s_mov_b64 s[6:7], 0
.LBB150_124:
	s_andn2_b64 vcc, exec, s[6:7]
	s_cbranch_vccnz .LBB150_140
; %bb.125:
	s_cmp_lt_i32 s18, 2
	s_mov_b64 s[6:7], -1
	s_cbranch_scc1 .LBB150_135
; %bb.126:
	s_cmp_lt_i32 s18, 3
	s_cbranch_scc1 .LBB150_132
; %bb.127:
	s_cmp_gt_i32 s18, 3
	s_cbranch_scc0 .LBB150_129
; %bb.128:
	v_bfe_i32 v6, v2, 0, 8
	v_ashrrev_i32_e32 v7, 31, v6
	global_store_dwordx2 v[0:1], v[6:7], off
	s_mov_b64 s[6:7], 0
.LBB150_129:
	s_andn2_b64 vcc, exec, s[6:7]
	s_cbranch_vccnz .LBB150_131
; %bb.130:
	v_bfe_i32 v3, v2, 0, 8
	global_store_dword v[0:1], v3, off
.LBB150_131:
	s_mov_b64 s[6:7], 0
.LBB150_132:
	s_andn2_b64 vcc, exec, s[6:7]
	s_cbranch_vccnz .LBB150_134
; %bb.133:
	v_bfe_i32 v3, v2, 0, 8
	global_store_short v[0:1], v3, off
.LBB150_134:
	s_mov_b64 s[6:7], 0
.LBB150_135:
	s_andn2_b64 vcc, exec, s[6:7]
	s_cbranch_vccnz .LBB150_140
; %bb.136:
	s_cmp_gt_i32 s18, 0
	s_mov_b64 s[6:7], -1
	s_cbranch_scc0 .LBB150_138
; %bb.137:
	global_store_byte v[0:1], v2, off
	s_mov_b64 s[6:7], 0
.LBB150_138:
	s_andn2_b64 vcc, exec, s[6:7]
	s_cbranch_vccnz .LBB150_140
; %bb.139:
	global_store_byte v[0:1], v2, off
.LBB150_140:
	s_branch .LBB150_21
.LBB150_141:
	s_mov_b64 s[18:19], 0
                                        ; implicit-def: $vgpr9
	s_branch .LBB150_247
.LBB150_142:
	s_mov_b64 s[14:15], -1
                                        ; implicit-def: $vgpr2
.LBB150_143:
	s_mov_b64 s[6:7], 0
.LBB150_144:
	s_and_b64 vcc, exec, s[6:7]
	s_cbranch_vccz .LBB150_148
; %bb.145:
	s_cmp_eq_u32 s19, 29
	s_cbranch_scc0 .LBB150_147
; %bb.146:
	global_load_dwordx2 v[2:3], v[0:1], off
	s_mov_b64 s[0:1], -1
	s_mov_b64 s[14:15], 0
	s_branch .LBB150_148
.LBB150_147:
	s_mov_b64 s[14:15], -1
                                        ; implicit-def: $vgpr2
.LBB150_148:
	s_mov_b64 s[6:7], 0
.LBB150_149:
	s_and_b64 vcc, exec, s[6:7]
	s_cbranch_vccz .LBB150_165
; %bb.150:
	s_cmp_lt_i32 s19, 27
	s_cbranch_scc1 .LBB150_153
; %bb.151:
	s_cmp_gt_i32 s19, 27
	s_cbranch_scc0 .LBB150_154
; %bb.152:
	global_load_dword v2, v[0:1], off
	s_mov_b64 s[0:1], 0
	s_branch .LBB150_155
.LBB150_153:
	s_mov_b64 s[0:1], -1
                                        ; implicit-def: $vgpr2
	s_branch .LBB150_158
.LBB150_154:
	s_mov_b64 s[0:1], -1
                                        ; implicit-def: $vgpr2
.LBB150_155:
	s_andn2_b64 vcc, exec, s[0:1]
	s_cbranch_vccnz .LBB150_157
; %bb.156:
	global_load_ushort v2, v[0:1], off
.LBB150_157:
	s_mov_b64 s[0:1], 0
.LBB150_158:
	s_andn2_b64 vcc, exec, s[0:1]
	s_cbranch_vccnz .LBB150_164
; %bb.159:
	global_load_ubyte v3, v[0:1], off
	s_movk_i32 s0, 0x7f
	s_mov_b64 s[6:7], 0
	s_waitcnt vmcnt(0)
	v_cmp_lt_i16_e32 vcc, s0, v3
	s_and_saveexec_b64 s[0:1], vcc
	s_xor_b64 s[0:1], exec, s[0:1]
	s_cbranch_execz .LBB150_175
; %bb.160:
	s_movk_i32 s6, 0x80
	v_cmp_ne_u16_e32 vcc, s6, v3
	s_and_b64 s[6:7], vcc, exec
	s_andn2_saveexec_b64 s[0:1], s[0:1]
	s_cbranch_execnz .LBB150_176
.LBB150_161:
	s_or_b64 exec, exec, s[0:1]
	v_mov_b32_e32 v2, 0
	s_and_saveexec_b64 s[0:1], s[6:7]
	s_cbranch_execz .LBB150_163
.LBB150_162:
	v_lshlrev_b32_e32 v2, 24, v3
	v_and_b32_e32 v3, 0xffff, v3
	v_and_b32_e32 v6, 7, v3
	v_ffbh_u32_e32 v8, v6
	v_min_u32_e32 v8, 32, v8
	v_subrev_u32_e32 v10, 28, v8
	v_bfe_u32 v7, v3, 3, 4
	v_lshlrev_b32_e32 v3, v10, v3
	v_sub_u32_e32 v8, 29, v8
	v_and_b32_e32 v3, 7, v3
	v_cmp_eq_u32_e32 vcc, 0, v7
	v_cndmask_b32_e32 v7, v7, v8, vcc
	v_cndmask_b32_e32 v3, v6, v3, vcc
	v_mov_b32_e32 v6, 0x3b800000
	v_lshlrev_b32_e32 v3, 20, v3
	v_and_b32_e32 v2, 0x80000000, v2
	v_lshl_add_u32 v6, v7, 23, v6
	v_or3_b32 v2, v2, v6, v3
	v_cvt_i32_f32_e32 v2, v2
.LBB150_163:
	s_or_b64 exec, exec, s[0:1]
.LBB150_164:
	s_mov_b64 s[0:1], -1
.LBB150_165:
	s_branch .LBB150_198
.LBB150_166:
	s_cmp_gt_i32 s19, 22
	s_cbranch_scc0 .LBB150_174
; %bb.167:
	s_cmp_lt_i32 s19, 24
	s_cbranch_scc1 .LBB150_177
; %bb.168:
	s_cmp_gt_i32 s19, 24
	s_cbranch_scc0 .LBB150_178
; %bb.169:
	global_load_ubyte v3, v[0:1], off
	s_movk_i32 s0, 0x7f
	s_mov_b64 s[6:7], 0
	s_waitcnt vmcnt(0)
	v_cmp_lt_i16_e32 vcc, s0, v3
	s_and_saveexec_b64 s[0:1], vcc
	s_xor_b64 s[0:1], exec, s[0:1]
	s_cbranch_execz .LBB150_190
; %bb.170:
	s_movk_i32 s6, 0x80
	v_cmp_ne_u16_e32 vcc, s6, v3
	s_and_b64 s[6:7], vcc, exec
	s_andn2_saveexec_b64 s[0:1], s[0:1]
	s_cbranch_execnz .LBB150_191
.LBB150_171:
	s_or_b64 exec, exec, s[0:1]
	v_mov_b32_e32 v2, 0
	s_and_saveexec_b64 s[0:1], s[6:7]
	s_cbranch_execz .LBB150_173
.LBB150_172:
	v_lshlrev_b32_e32 v2, 24, v3
	v_and_b32_e32 v3, 0xffff, v3
	v_and_b32_e32 v6, 3, v3
	v_ffbh_u32_e32 v8, v6
	v_min_u32_e32 v8, 32, v8
	v_subrev_u32_e32 v10, 29, v8
	v_bfe_u32 v7, v3, 2, 5
	v_lshlrev_b32_e32 v3, v10, v3
	v_sub_u32_e32 v8, 30, v8
	v_and_b32_e32 v3, 3, v3
	v_cmp_eq_u32_e32 vcc, 0, v7
	v_cndmask_b32_e32 v7, v7, v8, vcc
	v_cndmask_b32_e32 v3, v6, v3, vcc
	v_mov_b32_e32 v6, 0x37800000
	v_lshlrev_b32_e32 v3, 21, v3
	v_and_b32_e32 v2, 0x80000000, v2
	v_lshl_add_u32 v6, v7, 23, v6
	v_or3_b32 v2, v2, v6, v3
	v_cvt_i32_f32_e32 v2, v2
.LBB150_173:
	s_or_b64 exec, exec, s[0:1]
	s_mov_b64 s[0:1], 0
	s_branch .LBB150_179
.LBB150_174:
	s_mov_b64 s[6:7], -1
                                        ; implicit-def: $vgpr2
	s_branch .LBB150_185
.LBB150_175:
	s_andn2_saveexec_b64 s[0:1], s[0:1]
	s_cbranch_execz .LBB150_161
.LBB150_176:
	v_cmp_ne_u16_e32 vcc, 0, v3
	s_andn2_b64 s[6:7], s[6:7], exec
	s_and_b64 s[22:23], vcc, exec
	s_or_b64 s[6:7], s[6:7], s[22:23]
	s_or_b64 exec, exec, s[0:1]
	v_mov_b32_e32 v2, 0
	s_and_saveexec_b64 s[0:1], s[6:7]
	s_cbranch_execnz .LBB150_162
	s_branch .LBB150_163
.LBB150_177:
	s_mov_b64 s[0:1], -1
                                        ; implicit-def: $vgpr2
	s_branch .LBB150_182
.LBB150_178:
	s_mov_b64 s[0:1], -1
                                        ; implicit-def: $vgpr2
.LBB150_179:
	s_and_b64 vcc, exec, s[0:1]
	s_cbranch_vccz .LBB150_181
; %bb.180:
	global_load_ubyte v2, v[0:1], off
	s_mov_b32 s0, 0x7f800000
	s_waitcnt vmcnt(0)
	v_lshlrev_b32_e32 v2, 24, v2
	v_and_b32_e32 v3, 0x7f000000, v2
	v_ffbh_u32_e32 v6, v3
	v_min_u32_e32 v6, 32, v6
	v_sub_u32_e64 v6, v6, 4 clamp
	v_lshlrev_b32_e32 v8, v6, v3
	v_lshlrev_b32_e32 v6, 23, v6
	v_lshrrev_b32_e32 v8, 4, v8
	v_add_u32_e32 v7, 0x1000000, v3
	v_sub_u32_e32 v6, v8, v6
	v_ashrrev_i32_e32 v7, 8, v7
	v_add_u32_e32 v6, 0x3c000000, v6
	v_and_or_b32 v6, v7, s0, v6
	v_cmp_ne_u32_e32 vcc, 0, v3
	v_cndmask_b32_e32 v3, 0, v6, vcc
	s_brev_b32 s0, 1
	v_and_or_b32 v2, v2, s0, v3
	v_cvt_i32_f32_e32 v2, v2
.LBB150_181:
	s_mov_b64 s[0:1], 0
.LBB150_182:
	s_andn2_b64 vcc, exec, s[0:1]
	s_cbranch_vccnz .LBB150_184
; %bb.183:
	global_load_ubyte v2, v[0:1], off
	s_movk_i32 s0, 0x7f00
	s_brev_b32 s1, 16
	s_waitcnt vmcnt(0)
	v_lshlrev_b16_e32 v3, 8, v2
	v_lshlrev_b32_e32 v2, 25, v2
	v_lshrrev_b32_e32 v6, 4, v2
	v_and_or_b32 v7, v3, s0, 0.5
	v_or_b32_e32 v6, 0x70000000, v6
	v_add_f32_e32 v7, -0.5, v7
	v_mul_f32_e32 v6, 0x7800000, v6
	v_cmp_gt_u32_e32 vcc, s1, v2
	v_bfe_i32 v3, v3, 0, 16
	v_cndmask_b32_e32 v2, v6, v7, vcc
	s_brev_b32 s0, 1
	v_and_or_b32 v2, v3, s0, v2
	v_cvt_i32_f32_e32 v2, v2
.LBB150_184:
	s_mov_b64 s[6:7], 0
	s_mov_b64 s[0:1], -1
.LBB150_185:
	s_andn2_b64 vcc, exec, s[6:7]
	s_cbranch_vccnz .LBB150_198
; %bb.186:
	s_cmp_gt_i32 s19, 14
	s_cbranch_scc0 .LBB150_189
; %bb.187:
	s_cmp_eq_u32 s19, 15
	s_cbranch_scc0 .LBB150_192
; %bb.188:
	global_load_ushort v2, v[0:1], off
	s_mov_b64 s[0:1], -1
	s_mov_b64 s[14:15], 0
	s_waitcnt vmcnt(0)
	v_lshlrev_b32_e32 v2, 16, v2
	v_cvt_i32_f32_e32 v2, v2
	s_branch .LBB150_193
.LBB150_189:
	s_mov_b64 s[6:7], -1
                                        ; implicit-def: $vgpr2
	s_branch .LBB150_194
.LBB150_190:
	s_andn2_saveexec_b64 s[0:1], s[0:1]
	s_cbranch_execz .LBB150_171
.LBB150_191:
	v_cmp_ne_u16_e32 vcc, 0, v3
	s_andn2_b64 s[6:7], s[6:7], exec
	s_and_b64 s[22:23], vcc, exec
	s_or_b64 s[6:7], s[6:7], s[22:23]
	s_or_b64 exec, exec, s[0:1]
	v_mov_b32_e32 v2, 0
	s_and_saveexec_b64 s[0:1], s[6:7]
	s_cbranch_execnz .LBB150_172
	s_branch .LBB150_173
.LBB150_192:
	s_mov_b64 s[14:15], -1
                                        ; implicit-def: $vgpr2
.LBB150_193:
	s_mov_b64 s[6:7], 0
.LBB150_194:
	s_and_b64 vcc, exec, s[6:7]
	s_cbranch_vccz .LBB150_198
; %bb.195:
	s_cmp_eq_u32 s19, 11
	s_cbranch_scc0 .LBB150_197
; %bb.196:
	global_load_ubyte v2, v[0:1], off
	s_mov_b64 s[0:1], -1
	s_mov_b64 s[14:15], 0
	s_waitcnt vmcnt(0)
	v_cmp_ne_u16_e32 vcc, 0, v2
	v_cndmask_b32_e64 v2, 0, 1, vcc
	s_branch .LBB150_198
.LBB150_197:
	s_mov_b64 s[14:15], -1
                                        ; implicit-def: $vgpr2
.LBB150_198:
	s_branch .LBB150_10
.LBB150_199:
	s_and_b32 s6, 0xffff, s18
	s_cmp_lt_i32 s6, 5
	s_cbranch_scc1 .LBB150_204
; %bb.200:
	s_cmp_lt_i32 s6, 8
	s_cbranch_scc1 .LBB150_205
; %bb.201:
	;; [unrolled: 3-line block ×3, first 2 shown]
	s_cmp_gt_i32 s6, 9
	s_cbranch_scc0 .LBB150_207
; %bb.203:
	global_load_dwordx2 v[2:3], v[0:1], off
	s_mov_b64 s[0:1], 0
	s_waitcnt vmcnt(0)
	v_cvt_i32_f64_e32 v2, v[2:3]
	s_branch .LBB150_208
.LBB150_204:
                                        ; implicit-def: $vgpr2
	s_branch .LBB150_226
.LBB150_205:
	s_mov_b64 s[0:1], -1
                                        ; implicit-def: $vgpr2
	s_branch .LBB150_214
.LBB150_206:
	s_mov_b64 s[0:1], -1
                                        ; implicit-def: $vgpr2
	s_branch .LBB150_211
.LBB150_207:
	s_mov_b64 s[0:1], -1
                                        ; implicit-def: $vgpr2
.LBB150_208:
	s_andn2_b64 vcc, exec, s[0:1]
	s_cbranch_vccnz .LBB150_210
; %bb.209:
	global_load_dword v2, v[0:1], off
	s_waitcnt vmcnt(0)
	v_cvt_i32_f32_e32 v2, v2
.LBB150_210:
	s_mov_b64 s[0:1], 0
.LBB150_211:
	s_andn2_b64 vcc, exec, s[0:1]
	s_cbranch_vccnz .LBB150_213
; %bb.212:
	global_load_dword v2, v[0:1], off
	s_waitcnt vmcnt(0)
	v_cvt_i16_f16_e32 v2, v2
.LBB150_213:
	s_mov_b64 s[0:1], 0
.LBB150_214:
	s_andn2_b64 vcc, exec, s[0:1]
	s_cbranch_vccnz .LBB150_225
; %bb.215:
	s_cmp_lt_i32 s6, 6
	s_cbranch_scc1 .LBB150_218
; %bb.216:
	s_cmp_gt_i32 s6, 6
	s_cbranch_scc0 .LBB150_219
; %bb.217:
	global_load_dwordx2 v[2:3], v[0:1], off
	s_mov_b64 s[0:1], 0
	s_waitcnt vmcnt(0)
	v_cvt_i32_f64_e32 v2, v[2:3]
	s_branch .LBB150_220
.LBB150_218:
	s_mov_b64 s[0:1], -1
                                        ; implicit-def: $vgpr2
	s_branch .LBB150_223
.LBB150_219:
	s_mov_b64 s[0:1], -1
                                        ; implicit-def: $vgpr2
.LBB150_220:
	s_andn2_b64 vcc, exec, s[0:1]
	s_cbranch_vccnz .LBB150_222
; %bb.221:
	global_load_dword v2, v[0:1], off
	s_waitcnt vmcnt(0)
	v_cvt_i32_f32_e32 v2, v2
.LBB150_222:
	s_mov_b64 s[0:1], 0
.LBB150_223:
	s_andn2_b64 vcc, exec, s[0:1]
	s_cbranch_vccnz .LBB150_225
; %bb.224:
	global_load_ushort v2, v[0:1], off
	s_waitcnt vmcnt(0)
	v_cvt_i16_f16_e32 v2, v2
.LBB150_225:
	s_cbranch_execnz .LBB150_245
.LBB150_226:
	s_cmp_lt_i32 s6, 2
	s_cbranch_scc1 .LBB150_230
; %bb.227:
	s_cmp_lt_i32 s6, 3
	s_cbranch_scc1 .LBB150_231
; %bb.228:
	s_cmp_gt_i32 s6, 3
	s_cbranch_scc0 .LBB150_232
; %bb.229:
	global_load_dwordx2 v[2:3], v[0:1], off
	s_mov_b64 s[0:1], 0
	s_branch .LBB150_233
.LBB150_230:
	s_mov_b64 s[0:1], -1
                                        ; implicit-def: $vgpr2
	s_branch .LBB150_239
.LBB150_231:
	s_mov_b64 s[0:1], -1
                                        ; implicit-def: $vgpr2
	s_branch .LBB150_236
.LBB150_232:
	s_mov_b64 s[0:1], -1
                                        ; implicit-def: $vgpr2
.LBB150_233:
	s_andn2_b64 vcc, exec, s[0:1]
	s_cbranch_vccnz .LBB150_235
; %bb.234:
	global_load_dword v2, v[0:1], off
.LBB150_235:
	s_mov_b64 s[0:1], 0
.LBB150_236:
	s_andn2_b64 vcc, exec, s[0:1]
	s_cbranch_vccnz .LBB150_238
; %bb.237:
	global_load_ushort v2, v[0:1], off
.LBB150_238:
	s_mov_b64 s[0:1], 0
.LBB150_239:
	s_andn2_b64 vcc, exec, s[0:1]
	s_cbranch_vccnz .LBB150_245
; %bb.240:
	s_cmp_gt_i32 s6, 0
	s_cbranch_scc0 .LBB150_242
; %bb.241:
	global_load_ubyte v2, v[0:1], off
	s_mov_b64 s[0:1], 0
	s_branch .LBB150_243
.LBB150_242:
	s_mov_b64 s[0:1], -1
                                        ; implicit-def: $vgpr2
.LBB150_243:
	s_andn2_b64 vcc, exec, s[0:1]
	s_cbranch_vccnz .LBB150_245
; %bb.244:
	global_load_ubyte v2, v[0:1], off
.LBB150_245:
	s_branch .LBB150_11
.LBB150_246:
	s_mov_b64 s[0:1], 0
                                        ; implicit-def: $vgpr9
	s_mov_b64 s[18:19], 0
.LBB150_247:
	s_and_b64 s[6:7], s[0:1], exec
	s_and_b64 s[14:15], s[14:15], exec
	s_orn2_b64 s[18:19], s[18:19], exec
.LBB150_248:
	s_or_b64 exec, exec, s[16:17]
	s_mov_b64 s[22:23], 0
	s_mov_b64 s[0:1], 0
                                        ; implicit-def: $sgpr43
                                        ; implicit-def: $vgpr0_vgpr1
                                        ; implicit-def: $vgpr2
	s_and_saveexec_b64 s[16:17], s[18:19]
	s_cbranch_execz .LBB150_257
; %bb.249:
	v_cmp_gt_i32_e32 vcc, s38, v9
	s_mov_b64 s[0:1], -1
	s_mov_b64 s[18:19], s[14:15]
	s_mov_b64 s[20:21], s[6:7]
	s_and_saveexec_b64 s[22:23], vcc
	s_cbranch_execz .LBB150_505
; %bb.250:
	v_mul_lo_u32 v0, v9, s3
	v_mov_b32_e32 v1, s11
	s_and_b32 s24, s42, 0xff
	s_cmp_lt_i32 s24, 11
	s_waitcnt vmcnt(0)
	v_ashrrev_i32_e32 v2, 31, v0
	v_add_co_u32_e32 v0, vcc, s10, v0
	v_addc_co_u32_e32 v1, vcc, v1, v2, vcc
	s_cbranch_scc1 .LBB150_260
; %bb.251:
	s_and_b32 s25, 0xffff, s24
	s_cmp_gt_i32 s25, 25
	s_cbranch_scc0 .LBB150_269
; %bb.252:
	s_cmp_gt_i32 s25, 28
	s_cbranch_scc0 .LBB150_271
; %bb.253:
	;; [unrolled: 3-line block ×4, first 2 shown]
	s_cmp_eq_u32 s25, 46
	s_mov_b64 s[20:21], 0
	s_cbranch_scc0 .LBB150_281
; %bb.256:
	global_load_dword v2, v[0:1], off
	s_mov_b64 s[18:19], 0
	s_waitcnt vmcnt(0)
	v_lshlrev_b32_e32 v2, 16, v2
	v_cvt_i32_f32_e32 v2, v2
	s_branch .LBB150_282
.LBB150_257:
	s_or_b64 exec, exec, s[16:17]
	s_mov_b64 s[16:17], 0
	s_and_saveexec_b64 s[18:19], s[14:15]
	s_cbranch_execnz .LBB150_843
.LBB150_258:
	s_or_b64 exec, exec, s[18:19]
	s_and_saveexec_b64 s[14:15], s[20:21]
	s_xor_b64 s[14:15], exec, s[14:15]
	s_cbranch_execz .LBB150_844
.LBB150_259:
	global_load_ubyte v2, v[0:1], off
	s_or_b64 s[0:1], s[0:1], exec
	s_waitcnt vmcnt(0)
	v_cmp_ne_u16_e32 vcc, 0, v2
	v_cndmask_b32_e64 v2, 0, 1, vcc
	s_or_b64 exec, exec, s[14:15]
	s_and_saveexec_b64 s[14:15], s[22:23]
	s_cbranch_execz .LBB150_890
	s_branch .LBB150_845
.LBB150_260:
	s_mov_b64 s[0:1], 0
                                        ; implicit-def: $vgpr2
	s_mov_b64 s[18:19], s[14:15]
	s_cbranch_execnz .LBB150_455
.LBB150_261:
	s_andn2_b64 vcc, exec, s[0:1]
	s_cbranch_vccnz .LBB150_503
.LBB150_262:
	v_mul_lo_u32 v1, v9, s2
	v_mov_b32_e32 v0, 6
	s_waitcnt vmcnt(0)
	v_ashrrev_i32_e32 v3, v2, v4
	v_cmp_gt_u16_sdwa vcc, v2, v0 src0_sel:BYTE_0 src1_sel:DWORD
	v_cndmask_b32_e32 v2, v3, v5, vcc
	v_ashrrev_i32_e32 v3, 31, v1
	v_mov_b32_e32 v6, s9
	s_and_b32 s28, s33, 0xff
	v_add_co_u32_e32 v0, vcc, s8, v1
	s_cmp_lt_i32 s28, 11
	v_addc_co_u32_e32 v1, vcc, v6, v3, vcc
	s_cbranch_scc1 .LBB150_270
; %bb.263:
	s_and_b32 s29, 0xffff, s28
	s_cmp_gt_i32 s29, 25
	s_cbranch_scc0 .LBB150_272
; %bb.264:
	s_cmp_gt_i32 s29, 28
	s_cbranch_scc0 .LBB150_274
; %bb.265:
	;; [unrolled: 3-line block ×4, first 2 shown]
	s_mov_b64 s[24:25], 0
	s_mov_b64 s[0:1], -1
	s_cmp_eq_u32 s29, 46
	s_mov_b64 s[20:21], 0
	s_cbranch_scc0 .LBB150_286
; %bb.268:
	v_bfe_i32 v3, v2, 0, 8
	v_cvt_f32_i32_sdwa v3, sext(v3) dst_sel:DWORD dst_unused:UNUSED_PAD src0_sel:WORD_0
	s_movk_i32 s0, 0x7fff
	s_mov_b64 s[20:21], -1
	v_bfe_u32 v6, v3, 16, 1
	v_add3_u32 v3, v3, v6, s0
	v_lshrrev_b32_e32 v3, 16, v3
	global_store_dword v[0:1], v3, off
	s_mov_b64 s[0:1], 0
	s_branch .LBB150_286
.LBB150_269:
	s_mov_b64 s[20:21], -1
	s_mov_b64 s[0:1], 0
	s_mov_b64 s[18:19], s[14:15]
                                        ; implicit-def: $vgpr2
	s_branch .LBB150_421
.LBB150_270:
	s_mov_b64 s[24:25], -1
	s_mov_b64 s[20:21], 0
	s_mov_b64 s[0:1], s[6:7]
	s_branch .LBB150_355
.LBB150_271:
	s_mov_b64 s[20:21], -1
	s_mov_b64 s[0:1], 0
	s_mov_b64 s[18:19], s[14:15]
                                        ; implicit-def: $vgpr2
	s_branch .LBB150_404
.LBB150_272:
	s_mov_b64 s[24:25], -1
	s_mov_b64 s[20:21], 0
	s_mov_b64 s[0:1], s[6:7]
	s_branch .LBB150_313
.LBB150_273:
	s_mov_b64 s[20:21], -1
	s_mov_b64 s[0:1], 0
	s_mov_b64 s[18:19], s[14:15]
                                        ; implicit-def: $vgpr2
	s_branch .LBB150_399
.LBB150_274:
	s_mov_b64 s[24:25], -1
	s_mov_b64 s[20:21], 0
	s_mov_b64 s[0:1], s[6:7]
	s_branch .LBB150_296
.LBB150_275:
	s_andn2_saveexec_b64 s[22:23], s[22:23]
	s_cbranch_execz .LBB150_55
.LBB150_276:
	s_mov_b32 s26, 0x46000000
	v_add_f32_e64 v6, |v3|, s26
	v_and_b32_e32 v6, 0xff, v6
	v_cmp_ne_u32_e32 vcc, 0, v6
	s_andn2_b64 s[18:19], s[18:19], exec
	s_and_b64 s[26:27], vcc, exec
	s_or_b64 s[18:19], s[18:19], s[26:27]
	s_or_b64 exec, exec, s[22:23]
	v_mov_b32_e32 v7, 0
	s_and_saveexec_b64 s[22:23], s[18:19]
	s_cbranch_execnz .LBB150_56
	s_branch .LBB150_57
.LBB150_277:
	s_mov_b64 s[20:21], -1
	s_mov_b64 s[0:1], 0
	s_mov_b64 s[18:19], s[14:15]
                                        ; implicit-def: $vgpr2
	s_branch .LBB150_282
.LBB150_278:
	s_mov_b64 s[24:25], -1
	s_mov_b64 s[20:21], 0
	s_mov_b64 s[0:1], s[6:7]
	s_branch .LBB150_292
.LBB150_279:
	s_andn2_saveexec_b64 s[22:23], s[22:23]
	s_cbranch_execz .LBB150_68
.LBB150_280:
	s_mov_b32 s26, 0x42800000
	v_add_f32_e64 v6, |v3|, s26
	v_and_b32_e32 v6, 0xff, v6
	v_cmp_ne_u32_e32 vcc, 0, v6
	s_andn2_b64 s[18:19], s[18:19], exec
	s_and_b64 s[26:27], vcc, exec
	s_or_b64 s[18:19], s[18:19], s[26:27]
	s_or_b64 exec, exec, s[22:23]
	v_mov_b32_e32 v7, 0
	s_and_saveexec_b64 s[22:23], s[18:19]
	s_cbranch_execnz .LBB150_69
	s_branch .LBB150_70
.LBB150_281:
	s_mov_b64 s[18:19], -1
                                        ; implicit-def: $vgpr2
	s_mov_b64 s[0:1], 0
.LBB150_282:
	s_and_b64 vcc, exec, s[20:21]
	s_cbranch_vccz .LBB150_398
; %bb.283:
	s_cmp_eq_u32 s25, 44
	s_cbranch_scc0 .LBB150_397
; %bb.284:
	global_load_ubyte v2, v[0:1], off
	s_mov_b64 s[0:1], -1
	s_mov_b64 s[18:19], 0
	s_waitcnt vmcnt(0)
	v_lshlrev_b32_e32 v3, 23, v2
	v_cvt_i32_f32_e32 v3, v3
	v_cmp_ne_u32_e32 vcc, 0, v2
	v_cndmask_b32_e32 v2, 0, v3, vcc
	s_branch .LBB150_398
.LBB150_285:
	s_mov_b64 s[24:25], -1
	s_mov_b64 s[20:21], 0
	s_mov_b64 s[0:1], s[6:7]
.LBB150_286:
	s_and_b64 vcc, exec, s[24:25]
	s_cbranch_vccz .LBB150_291
; %bb.287:
	s_cmp_eq_u32 s29, 44
	s_mov_b64 s[0:1], -1
	s_cbranch_scc0 .LBB150_291
; %bb.288:
	v_bfe_i32 v3, v2, 0, 8
	v_cvt_f32_i32_sdwa v3, sext(v3) dst_sel:DWORD dst_unused:UNUSED_PAD src0_sel:WORD_0
	s_movk_i32 s0, 0xff
	v_mov_b32_e32 v7, 0xff
	v_bfe_u32 v6, v3, 23, 8
	v_cmp_ne_u32_e32 vcc, s0, v6
	s_and_saveexec_b64 s[20:21], vcc
; %bb.289:
	s_mov_b32 s0, 0x3fffff
	v_lshrrev_b32_e32 v7, 23, v3
	v_and_b32_e32 v8, 0x400000, v3
	v_and_or_b32 v3, v3, s0, v6
	v_cmp_ne_u32_e32 vcc, 0, v8
	v_cmp_ne_u32_e64 s[0:1], 0, v3
	s_and_b64 s[0:1], vcc, s[0:1]
	v_cndmask_b32_e64 v3, 0, 1, s[0:1]
	v_add_u32_e32 v7, v7, v3
; %bb.290:
	s_or_b64 exec, exec, s[20:21]
	s_mov_b64 s[20:21], -1
	s_mov_b64 s[0:1], 0
	global_store_byte v[0:1], v7, off
.LBB150_291:
	s_mov_b64 s[24:25], 0
.LBB150_292:
	s_and_b64 vcc, exec, s[24:25]
	s_cbranch_vccz .LBB150_295
; %bb.293:
	s_cmp_eq_u32 s29, 29
	s_mov_b64 s[0:1], -1
	s_cbranch_scc0 .LBB150_295
; %bb.294:
	v_bfe_i32 v6, v2, 0, 8
	v_ashrrev_i32_e32 v7, 31, v6
	global_store_dwordx2 v[0:1], v[6:7], off
	s_mov_b64 s[20:21], -1
	s_mov_b64 s[0:1], 0
.LBB150_295:
	s_mov_b64 s[24:25], 0
.LBB150_296:
	s_and_b64 vcc, exec, s[24:25]
	s_cbranch_vccz .LBB150_312
; %bb.297:
	s_cmp_lt_i32 s29, 27
	s_mov_b64 s[20:21], -1
	s_cbranch_scc1 .LBB150_303
; %bb.298:
	s_cmp_gt_i32 s29, 27
	s_cbranch_scc0 .LBB150_300
; %bb.299:
	v_bfe_i32 v3, v2, 0, 8
	s_mov_b64 s[20:21], 0
	global_store_dword v[0:1], v3, off
.LBB150_300:
	s_andn2_b64 vcc, exec, s[20:21]
	s_cbranch_vccnz .LBB150_302
; %bb.301:
	v_bfe_i32 v3, v2, 0, 8
	global_store_short v[0:1], v3, off
.LBB150_302:
	s_mov_b64 s[20:21], 0
.LBB150_303:
	s_andn2_b64 vcc, exec, s[20:21]
	s_cbranch_vccnz .LBB150_311
; %bb.304:
	v_bfe_i32 v3, v2, 0, 8
	v_cvt_f32_i32_sdwa v3, sext(v3) dst_sel:DWORD dst_unused:UNUSED_PAD src0_sel:WORD_0
	s_mov_b32 s20, 0x43800000
	v_mov_b32_e32 v7, 0x80
	v_and_b32_e32 v6, 0x7fffffff, v3
	v_cmp_gt_u32_e32 vcc, s20, v6
	s_and_saveexec_b64 s[20:21], vcc
	s_cbranch_execz .LBB150_310
; %bb.305:
	s_mov_b32 s24, 0x3bffffff
	v_cmp_lt_u32_e32 vcc, s24, v6
	s_mov_b64 s[24:25], 0
                                        ; implicit-def: $vgpr6
	s_and_saveexec_b64 s[26:27], vcc
	s_xor_b64 s[26:27], exec, s[26:27]
	s_cbranch_execz .LBB150_518
; %bb.306:
	v_bfe_u32 v6, v3, 20, 1
	s_mov_b32 s30, 0x487ffff
	v_add3_u32 v6, v3, v6, s30
	s_mov_b64 s[24:25], exec
	v_lshrrev_b32_e32 v6, 20, v6
	s_andn2_saveexec_b64 s[26:27], s[26:27]
	s_cbranch_execnz .LBB150_519
.LBB150_307:
	s_or_b64 exec, exec, s[26:27]
	v_mov_b32_e32 v7, 0
	s_and_saveexec_b64 s[26:27], s[24:25]
.LBB150_308:
	v_lshrrev_b32_e32 v3, 24, v3
	s_movk_i32 s24, 0x80
	v_and_or_b32 v7, v3, s24, v6
.LBB150_309:
	s_or_b64 exec, exec, s[26:27]
.LBB150_310:
	s_or_b64 exec, exec, s[20:21]
	global_store_byte v[0:1], v7, off
.LBB150_311:
	s_mov_b64 s[20:21], -1
.LBB150_312:
	s_mov_b64 s[24:25], 0
.LBB150_313:
	s_and_b64 vcc, exec, s[24:25]
	s_cbranch_vccz .LBB150_354
; %bb.314:
	s_cmp_gt_i32 s29, 22
	s_mov_b64 s[24:25], -1
	s_cbranch_scc0 .LBB150_346
; %bb.315:
	s_cmp_lt_i32 s29, 24
	s_mov_b64 s[20:21], -1
	s_cbranch_scc1 .LBB150_335
; %bb.316:
	s_cmp_gt_i32 s29, 24
	s_cbranch_scc0 .LBB150_324
; %bb.317:
	v_bfe_i32 v3, v2, 0, 8
	v_cvt_f32_i32_sdwa v3, sext(v3) dst_sel:DWORD dst_unused:UNUSED_PAD src0_sel:WORD_0
	s_mov_b32 s20, 0x47800000
	v_mov_b32_e32 v7, 0x80
	v_and_b32_e32 v6, 0x7fffffff, v3
	v_cmp_gt_u32_e32 vcc, s20, v6
	s_and_saveexec_b64 s[20:21], vcc
	s_cbranch_execz .LBB150_323
; %bb.318:
	s_mov_b32 s24, 0x37ffffff
	v_cmp_lt_u32_e32 vcc, s24, v6
	s_mov_b64 s[24:25], 0
                                        ; implicit-def: $vgpr6
	s_and_saveexec_b64 s[26:27], vcc
	s_xor_b64 s[26:27], exec, s[26:27]
	s_cbranch_execz .LBB150_521
; %bb.319:
	v_bfe_u32 v6, v3, 21, 1
	s_mov_b32 s30, 0x88fffff
	v_add3_u32 v6, v3, v6, s30
	s_mov_b64 s[24:25], exec
	v_lshrrev_b32_e32 v6, 21, v6
	s_andn2_saveexec_b64 s[26:27], s[26:27]
	s_cbranch_execnz .LBB150_522
.LBB150_320:
	s_or_b64 exec, exec, s[26:27]
	v_mov_b32_e32 v7, 0
	s_and_saveexec_b64 s[26:27], s[24:25]
.LBB150_321:
	v_lshrrev_b32_e32 v3, 24, v3
	s_movk_i32 s24, 0x80
	v_and_or_b32 v7, v3, s24, v6
.LBB150_322:
	s_or_b64 exec, exec, s[26:27]
.LBB150_323:
	s_or_b64 exec, exec, s[20:21]
	s_mov_b64 s[20:21], 0
	global_store_byte v[0:1], v7, off
.LBB150_324:
	s_and_b64 vcc, exec, s[20:21]
	s_cbranch_vccz .LBB150_334
; %bb.325:
	v_bfe_i32 v3, v2, 0, 8
	v_cvt_f32_i32_sdwa v3, sext(v3) dst_sel:DWORD dst_unused:UNUSED_PAD src0_sel:WORD_0
	s_mov_b32 s20, 0x43f00000
                                        ; implicit-def: $vgpr6
	v_and_b32_e32 v7, 0x7fffffff, v3
	v_cmp_gt_u32_e32 vcc, s20, v7
	s_and_saveexec_b64 s[20:21], vcc
	s_xor_b64 s[20:21], exec, s[20:21]
	s_cbranch_execz .LBB150_331
; %bb.326:
	s_mov_b32 s24, 0x3c7fffff
	v_cmp_lt_u32_e32 vcc, s24, v7
                                        ; implicit-def: $vgpr6
	s_and_saveexec_b64 s[24:25], vcc
	s_xor_b64 s[24:25], exec, s[24:25]
; %bb.327:
	v_bfe_u32 v6, v3, 20, 1
	s_mov_b32 s26, 0x407ffff
	v_add3_u32 v6, v3, v6, s26
	v_lshrrev_b32_e32 v7, 20, v6
	v_and_b32_e32 v6, 0xff00000, v6
	s_mov_b32 s26, 0x7f00000
	v_mov_b32_e32 v8, 0x7e
	v_cmp_ne_u32_e32 vcc, s26, v6
	v_cndmask_b32_e32 v6, v8, v7, vcc
; %bb.328:
	s_andn2_saveexec_b64 s[24:25], s[24:25]
; %bb.329:
	s_mov_b32 s26, 0x46800000
	v_add_f32_e64 v6, |v3|, s26
; %bb.330:
	s_or_b64 exec, exec, s[24:25]
                                        ; implicit-def: $vgpr7
.LBB150_331:
	s_andn2_saveexec_b64 s[20:21], s[20:21]
; %bb.332:
	s_mov_b32 s24, 0x7f800000
	v_mov_b32_e32 v6, 0x7e
	v_mov_b32_e32 v8, 0x7f
	v_cmp_lt_u32_e32 vcc, s24, v7
	v_cndmask_b32_e32 v6, v6, v8, vcc
; %bb.333:
	s_or_b64 exec, exec, s[20:21]
	v_lshrrev_b32_e32 v3, 24, v3
	s_movk_i32 s20, 0x80
	v_and_or_b32 v3, v3, s20, v6
	global_store_byte v[0:1], v3, off
.LBB150_334:
	s_mov_b64 s[20:21], 0
.LBB150_335:
	s_andn2_b64 vcc, exec, s[20:21]
	s_cbranch_vccnz .LBB150_345
; %bb.336:
	v_bfe_i32 v3, v2, 0, 8
	v_cvt_f32_i32_sdwa v3, sext(v3) dst_sel:DWORD dst_unused:UNUSED_PAD src0_sel:WORD_0
	s_mov_b32 s20, 0x47800000
                                        ; implicit-def: $vgpr6
	v_and_b32_e32 v7, 0x7fffffff, v3
	v_cmp_gt_u32_e32 vcc, s20, v7
	s_and_saveexec_b64 s[20:21], vcc
	s_xor_b64 s[20:21], exec, s[20:21]
	s_cbranch_execz .LBB150_342
; %bb.337:
	s_mov_b32 s24, 0x387fffff
	v_cmp_lt_u32_e32 vcc, s24, v7
                                        ; implicit-def: $vgpr6
	s_and_saveexec_b64 s[24:25], vcc
	s_xor_b64 s[24:25], exec, s[24:25]
; %bb.338:
	v_bfe_u32 v6, v3, 21, 1
	s_mov_b32 s26, 0x80fffff
	v_add3_u32 v6, v3, v6, s26
	v_lshrrev_b32_e32 v6, 21, v6
; %bb.339:
	s_andn2_saveexec_b64 s[24:25], s[24:25]
; %bb.340:
	s_mov_b32 s26, 0x43000000
	v_add_f32_e64 v6, |v3|, s26
; %bb.341:
	s_or_b64 exec, exec, s[24:25]
                                        ; implicit-def: $vgpr7
.LBB150_342:
	s_andn2_saveexec_b64 s[20:21], s[20:21]
; %bb.343:
	s_mov_b32 s24, 0x7f800000
	v_mov_b32_e32 v6, 0x7c
	v_mov_b32_e32 v8, 0x7f
	v_cmp_lt_u32_e32 vcc, s24, v7
	v_cndmask_b32_e32 v6, v6, v8, vcc
; %bb.344:
	s_or_b64 exec, exec, s[20:21]
	v_lshrrev_b32_e32 v3, 24, v3
	s_movk_i32 s20, 0x80
	v_and_or_b32 v3, v3, s20, v6
	global_store_byte v[0:1], v3, off
.LBB150_345:
	s_mov_b64 s[24:25], 0
	s_mov_b64 s[20:21], -1
.LBB150_346:
	s_andn2_b64 vcc, exec, s[24:25]
	s_cbranch_vccnz .LBB150_354
; %bb.347:
	s_cmp_gt_i32 s29, 14
	s_mov_b64 s[24:25], -1
	s_cbranch_scc0 .LBB150_351
; %bb.348:
	s_cmp_eq_u32 s29, 15
	s_mov_b64 s[0:1], -1
	s_cbranch_scc0 .LBB150_350
; %bb.349:
	v_bfe_i32 v3, v2, 0, 8
	v_cvt_f32_i32_sdwa v3, sext(v3) dst_sel:DWORD dst_unused:UNUSED_PAD src0_sel:WORD_0
	s_movk_i32 s0, 0x7fff
	s_mov_b64 s[20:21], -1
	v_bfe_u32 v6, v3, 16, 1
	v_add3_u32 v3, v3, v6, s0
	global_store_short_d16_hi v[0:1], v3, off
	s_mov_b64 s[0:1], 0
.LBB150_350:
	s_mov_b64 s[24:25], 0
.LBB150_351:
	s_and_b64 vcc, exec, s[24:25]
	s_cbranch_vccz .LBB150_354
; %bb.352:
	s_cmp_eq_u32 s29, 11
	s_mov_b64 s[0:1], -1
	s_cbranch_scc0 .LBB150_354
; %bb.353:
	v_mov_b32_e32 v3, 0
	v_cmp_ne_u16_sdwa s[0:1], v2, v3 src0_sel:BYTE_0 src1_sel:DWORD
	v_cndmask_b32_e64 v3, 0, 1, s[0:1]
	s_mov_b64 s[20:21], -1
	s_mov_b64 s[0:1], 0
	global_store_byte v[0:1], v3, off
.LBB150_354:
	s_mov_b64 s[24:25], 0
.LBB150_355:
	s_and_b64 vcc, exec, s[24:25]
	s_cbranch_vccz .LBB150_394
; %bb.356:
	s_and_b32 s24, 0xffff, s28
	s_cmp_lt_i32 s24, 5
	s_mov_b64 s[20:21], -1
	s_cbranch_scc1 .LBB150_377
; %bb.357:
	s_cmp_lt_i32 s24, 8
	s_cbranch_scc1 .LBB150_367
; %bb.358:
	s_cmp_lt_i32 s24, 9
	s_cbranch_scc1 .LBB150_364
; %bb.359:
	s_cmp_gt_i32 s24, 9
	s_cbranch_scc0 .LBB150_361
; %bb.360:
	v_bfe_i32 v3, v2, 0, 8
	v_bfe_i32 v3, v3, 0, 16
	v_cvt_f64_i32_e32 v[10:11], v3
	v_mov_b32_e32 v12, 0
	v_mov_b32_e32 v13, v12
	s_mov_b64 s[20:21], 0
	global_store_dwordx4 v[0:1], v[10:13], off
.LBB150_361:
	s_andn2_b64 vcc, exec, s[20:21]
	s_cbranch_vccnz .LBB150_363
; %bb.362:
	v_bfe_i32 v3, v2, 0, 8
	v_cvt_f32_i32_sdwa v6, sext(v3) dst_sel:DWORD dst_unused:UNUSED_PAD src0_sel:WORD_0
	v_mov_b32_e32 v7, 0
	global_store_dwordx2 v[0:1], v[6:7], off
.LBB150_363:
	s_mov_b64 s[20:21], 0
.LBB150_364:
	s_andn2_b64 vcc, exec, s[20:21]
	s_cbranch_vccnz .LBB150_366
; %bb.365:
	v_cvt_f16_i16_sdwa v3, sext(v2) dst_sel:DWORD dst_unused:UNUSED_PAD src0_sel:BYTE_0
	global_store_dword v[0:1], v3, off
.LBB150_366:
	s_mov_b64 s[20:21], 0
.LBB150_367:
	s_andn2_b64 vcc, exec, s[20:21]
	s_cbranch_vccnz .LBB150_376
; %bb.368:
	s_cmp_lt_i32 s24, 6
	s_mov_b64 s[20:21], -1
	s_cbranch_scc1 .LBB150_374
; %bb.369:
	s_cmp_gt_i32 s24, 6
	s_cbranch_scc0 .LBB150_371
; %bb.370:
	v_bfe_i32 v3, v2, 0, 8
	v_bfe_i32 v3, v3, 0, 16
	v_cvt_f64_i32_e32 v[6:7], v3
	s_mov_b64 s[20:21], 0
	global_store_dwordx2 v[0:1], v[6:7], off
.LBB150_371:
	s_andn2_b64 vcc, exec, s[20:21]
	s_cbranch_vccnz .LBB150_373
; %bb.372:
	v_bfe_i32 v3, v2, 0, 8
	v_cvt_f32_i32_sdwa v3, sext(v3) dst_sel:DWORD dst_unused:UNUSED_PAD src0_sel:WORD_0
	global_store_dword v[0:1], v3, off
.LBB150_373:
	s_mov_b64 s[20:21], 0
.LBB150_374:
	s_andn2_b64 vcc, exec, s[20:21]
	s_cbranch_vccnz .LBB150_376
; %bb.375:
	v_cvt_f16_i16_sdwa v3, sext(v2) dst_sel:DWORD dst_unused:UNUSED_PAD src0_sel:BYTE_0
	global_store_short v[0:1], v3, off
.LBB150_376:
	s_mov_b64 s[20:21], 0
.LBB150_377:
	s_andn2_b64 vcc, exec, s[20:21]
	s_cbranch_vccnz .LBB150_393
; %bb.378:
	s_cmp_lt_i32 s24, 2
	s_mov_b64 s[20:21], -1
	s_cbranch_scc1 .LBB150_388
; %bb.379:
	s_cmp_lt_i32 s24, 3
	s_cbranch_scc1 .LBB150_385
; %bb.380:
	s_cmp_gt_i32 s24, 3
	s_cbranch_scc0 .LBB150_382
; %bb.381:
	v_bfe_i32 v6, v2, 0, 8
	v_ashrrev_i32_e32 v7, 31, v6
	s_mov_b64 s[20:21], 0
	global_store_dwordx2 v[0:1], v[6:7], off
.LBB150_382:
	s_andn2_b64 vcc, exec, s[20:21]
	s_cbranch_vccnz .LBB150_384
; %bb.383:
	v_bfe_i32 v3, v2, 0, 8
	global_store_dword v[0:1], v3, off
.LBB150_384:
	s_mov_b64 s[20:21], 0
.LBB150_385:
	s_andn2_b64 vcc, exec, s[20:21]
	s_cbranch_vccnz .LBB150_387
; %bb.386:
	v_bfe_i32 v3, v2, 0, 8
	global_store_short v[0:1], v3, off
.LBB150_387:
	s_mov_b64 s[20:21], 0
.LBB150_388:
	s_andn2_b64 vcc, exec, s[20:21]
	s_cbranch_vccnz .LBB150_393
; %bb.389:
	s_cmp_gt_i32 s24, 0
	s_mov_b64 s[20:21], -1
	s_cbranch_scc0 .LBB150_391
; %bb.390:
	s_mov_b64 s[20:21], 0
	global_store_byte v[0:1], v2, off
.LBB150_391:
	s_andn2_b64 vcc, exec, s[20:21]
	s_cbranch_vccnz .LBB150_393
; %bb.392:
	global_store_byte v[0:1], v2, off
.LBB150_393:
	s_mov_b64 s[20:21], -1
.LBB150_394:
	s_andn2_b64 vcc, exec, s[20:21]
	s_cbranch_vccnz .LBB150_396
; %bb.395:
	v_add_u32_e32 v9, 0x80, v9
	s_mov_b64 s[24:25], -1
	s_branch .LBB150_504
.LBB150_396:
	s_mov_b64 s[24:25], 0
                                        ; implicit-def: $vgpr9
	s_branch .LBB150_504
.LBB150_397:
	s_mov_b64 s[18:19], -1
                                        ; implicit-def: $vgpr2
.LBB150_398:
	s_mov_b64 s[20:21], 0
.LBB150_399:
	s_and_b64 vcc, exec, s[20:21]
	s_cbranch_vccz .LBB150_403
; %bb.400:
	s_cmp_eq_u32 s25, 29
	s_cbranch_scc0 .LBB150_402
; %bb.401:
	global_load_dwordx2 v[2:3], v[0:1], off
	s_mov_b64 s[0:1], -1
	s_mov_b64 s[18:19], 0
	s_branch .LBB150_403
.LBB150_402:
	s_mov_b64 s[18:19], -1
                                        ; implicit-def: $vgpr2
.LBB150_403:
	s_mov_b64 s[20:21], 0
.LBB150_404:
	s_and_b64 vcc, exec, s[20:21]
	s_cbranch_vccz .LBB150_420
; %bb.405:
	s_cmp_lt_i32 s25, 27
	s_cbranch_scc1 .LBB150_408
; %bb.406:
	s_cmp_gt_i32 s25, 27
	s_cbranch_scc0 .LBB150_409
; %bb.407:
	global_load_dword v2, v[0:1], off
	s_mov_b64 s[0:1], 0
	s_branch .LBB150_410
.LBB150_408:
	s_mov_b64 s[0:1], -1
                                        ; implicit-def: $vgpr2
	s_branch .LBB150_413
.LBB150_409:
	s_mov_b64 s[0:1], -1
                                        ; implicit-def: $vgpr2
.LBB150_410:
	s_andn2_b64 vcc, exec, s[0:1]
	s_cbranch_vccnz .LBB150_412
; %bb.411:
	global_load_ushort v2, v[0:1], off
.LBB150_412:
	s_mov_b64 s[0:1], 0
.LBB150_413:
	s_andn2_b64 vcc, exec, s[0:1]
	s_cbranch_vccnz .LBB150_419
; %bb.414:
	global_load_ubyte v3, v[0:1], off
	s_movk_i32 s0, 0x7f
	s_mov_b64 s[20:21], 0
	s_waitcnt vmcnt(0)
	v_cmp_lt_i16_e32 vcc, s0, v3
	s_and_saveexec_b64 s[0:1], vcc
	s_xor_b64 s[0:1], exec, s[0:1]
	s_cbranch_execz .LBB150_431
; %bb.415:
	s_movk_i32 s20, 0x80
	v_cmp_ne_u16_e32 vcc, s20, v3
	s_and_b64 s[20:21], vcc, exec
	s_andn2_saveexec_b64 s[0:1], s[0:1]
	s_cbranch_execnz .LBB150_432
.LBB150_416:
	s_or_b64 exec, exec, s[0:1]
	v_mov_b32_e32 v2, 0
	s_and_saveexec_b64 s[0:1], s[20:21]
	s_cbranch_execz .LBB150_418
.LBB150_417:
	v_lshlrev_b32_e32 v2, 24, v3
	v_and_b32_e32 v3, 0xffff, v3
	v_and_b32_e32 v6, 7, v3
	v_ffbh_u32_e32 v8, v6
	v_min_u32_e32 v8, 32, v8
	v_subrev_u32_e32 v10, 28, v8
	v_bfe_u32 v7, v3, 3, 4
	v_lshlrev_b32_e32 v3, v10, v3
	v_sub_u32_e32 v8, 29, v8
	v_and_b32_e32 v3, 7, v3
	v_cmp_eq_u32_e32 vcc, 0, v7
	v_cndmask_b32_e32 v7, v7, v8, vcc
	v_cndmask_b32_e32 v3, v6, v3, vcc
	v_mov_b32_e32 v6, 0x3b800000
	v_lshlrev_b32_e32 v3, 20, v3
	v_and_b32_e32 v2, 0x80000000, v2
	v_lshl_add_u32 v6, v7, 23, v6
	v_or3_b32 v2, v2, v6, v3
	v_cvt_i32_f32_e32 v2, v2
.LBB150_418:
	s_or_b64 exec, exec, s[0:1]
.LBB150_419:
	s_mov_b64 s[0:1], -1
.LBB150_420:
	s_mov_b64 s[20:21], 0
.LBB150_421:
	s_and_b64 vcc, exec, s[20:21]
	s_cbranch_vccz .LBB150_454
; %bb.422:
	s_cmp_gt_i32 s25, 22
	s_cbranch_scc0 .LBB150_430
; %bb.423:
	s_cmp_lt_i32 s25, 24
	s_cbranch_scc1 .LBB150_433
; %bb.424:
	s_cmp_gt_i32 s25, 24
	s_cbranch_scc0 .LBB150_434
; %bb.425:
	global_load_ubyte v3, v[0:1], off
	s_movk_i32 s0, 0x7f
	s_mov_b64 s[20:21], 0
	s_waitcnt vmcnt(0)
	v_cmp_lt_i16_e32 vcc, s0, v3
	s_and_saveexec_b64 s[0:1], vcc
	s_xor_b64 s[0:1], exec, s[0:1]
	s_cbranch_execz .LBB150_446
; %bb.426:
	s_movk_i32 s20, 0x80
	v_cmp_ne_u16_e32 vcc, s20, v3
	s_and_b64 s[20:21], vcc, exec
	s_andn2_saveexec_b64 s[0:1], s[0:1]
	s_cbranch_execnz .LBB150_447
.LBB150_427:
	s_or_b64 exec, exec, s[0:1]
	v_mov_b32_e32 v2, 0
	s_and_saveexec_b64 s[0:1], s[20:21]
	s_cbranch_execz .LBB150_429
.LBB150_428:
	v_lshlrev_b32_e32 v2, 24, v3
	v_and_b32_e32 v3, 0xffff, v3
	v_and_b32_e32 v6, 3, v3
	v_ffbh_u32_e32 v8, v6
	v_min_u32_e32 v8, 32, v8
	v_subrev_u32_e32 v10, 29, v8
	v_bfe_u32 v7, v3, 2, 5
	v_lshlrev_b32_e32 v3, v10, v3
	v_sub_u32_e32 v8, 30, v8
	v_and_b32_e32 v3, 3, v3
	v_cmp_eq_u32_e32 vcc, 0, v7
	v_cndmask_b32_e32 v7, v7, v8, vcc
	v_cndmask_b32_e32 v3, v6, v3, vcc
	v_mov_b32_e32 v6, 0x37800000
	v_lshlrev_b32_e32 v3, 21, v3
	v_and_b32_e32 v2, 0x80000000, v2
	v_lshl_add_u32 v6, v7, 23, v6
	v_or3_b32 v2, v2, v6, v3
	v_cvt_i32_f32_e32 v2, v2
.LBB150_429:
	s_or_b64 exec, exec, s[0:1]
	s_mov_b64 s[0:1], 0
	s_branch .LBB150_435
.LBB150_430:
	s_mov_b64 s[20:21], -1
                                        ; implicit-def: $vgpr2
	s_branch .LBB150_441
.LBB150_431:
	s_andn2_saveexec_b64 s[0:1], s[0:1]
	s_cbranch_execz .LBB150_416
.LBB150_432:
	v_cmp_ne_u16_e32 vcc, 0, v3
	s_andn2_b64 s[20:21], s[20:21], exec
	s_and_b64 s[26:27], vcc, exec
	s_or_b64 s[20:21], s[20:21], s[26:27]
	s_or_b64 exec, exec, s[0:1]
	v_mov_b32_e32 v2, 0
	s_and_saveexec_b64 s[0:1], s[20:21]
	s_cbranch_execnz .LBB150_417
	s_branch .LBB150_418
.LBB150_433:
	s_mov_b64 s[0:1], -1
                                        ; implicit-def: $vgpr2
	s_branch .LBB150_438
.LBB150_434:
	s_mov_b64 s[0:1], -1
                                        ; implicit-def: $vgpr2
.LBB150_435:
	s_and_b64 vcc, exec, s[0:1]
	s_cbranch_vccz .LBB150_437
; %bb.436:
	global_load_ubyte v2, v[0:1], off
	s_mov_b32 s0, 0x7f800000
	s_waitcnt vmcnt(0)
	v_lshlrev_b32_e32 v2, 24, v2
	v_and_b32_e32 v3, 0x7f000000, v2
	v_ffbh_u32_e32 v6, v3
	v_min_u32_e32 v6, 32, v6
	v_sub_u32_e64 v6, v6, 4 clamp
	v_lshlrev_b32_e32 v8, v6, v3
	v_lshlrev_b32_e32 v6, 23, v6
	v_lshrrev_b32_e32 v8, 4, v8
	v_add_u32_e32 v7, 0x1000000, v3
	v_sub_u32_e32 v6, v8, v6
	v_ashrrev_i32_e32 v7, 8, v7
	v_add_u32_e32 v6, 0x3c000000, v6
	v_and_or_b32 v6, v7, s0, v6
	v_cmp_ne_u32_e32 vcc, 0, v3
	v_cndmask_b32_e32 v3, 0, v6, vcc
	s_brev_b32 s0, 1
	v_and_or_b32 v2, v2, s0, v3
	v_cvt_i32_f32_e32 v2, v2
.LBB150_437:
	s_mov_b64 s[0:1], 0
.LBB150_438:
	s_andn2_b64 vcc, exec, s[0:1]
	s_cbranch_vccnz .LBB150_440
; %bb.439:
	global_load_ubyte v2, v[0:1], off
	s_movk_i32 s0, 0x7f00
	s_brev_b32 s1, 16
	s_waitcnt vmcnt(0)
	v_lshlrev_b16_e32 v3, 8, v2
	v_lshlrev_b32_e32 v2, 25, v2
	v_lshrrev_b32_e32 v6, 4, v2
	v_and_or_b32 v7, v3, s0, 0.5
	v_or_b32_e32 v6, 0x70000000, v6
	v_add_f32_e32 v7, -0.5, v7
	v_mul_f32_e32 v6, 0x7800000, v6
	v_cmp_gt_u32_e32 vcc, s1, v2
	v_bfe_i32 v3, v3, 0, 16
	v_cndmask_b32_e32 v2, v6, v7, vcc
	s_brev_b32 s0, 1
	v_and_or_b32 v2, v3, s0, v2
	v_cvt_i32_f32_e32 v2, v2
.LBB150_440:
	s_mov_b64 s[20:21], 0
	s_mov_b64 s[0:1], -1
.LBB150_441:
	s_andn2_b64 vcc, exec, s[20:21]
	s_cbranch_vccnz .LBB150_454
; %bb.442:
	s_cmp_gt_i32 s25, 14
	s_cbranch_scc0 .LBB150_445
; %bb.443:
	s_cmp_eq_u32 s25, 15
	s_cbranch_scc0 .LBB150_448
; %bb.444:
	global_load_ushort v2, v[0:1], off
	s_mov_b64 s[0:1], -1
	s_mov_b64 s[18:19], 0
	s_waitcnt vmcnt(0)
	v_lshlrev_b32_e32 v2, 16, v2
	v_cvt_i32_f32_e32 v2, v2
	s_branch .LBB150_449
.LBB150_445:
	s_mov_b64 s[20:21], -1
                                        ; implicit-def: $vgpr2
	s_branch .LBB150_450
.LBB150_446:
	s_andn2_saveexec_b64 s[0:1], s[0:1]
	s_cbranch_execz .LBB150_427
.LBB150_447:
	v_cmp_ne_u16_e32 vcc, 0, v3
	s_andn2_b64 s[20:21], s[20:21], exec
	s_and_b64 s[26:27], vcc, exec
	s_or_b64 s[20:21], s[20:21], s[26:27]
	s_or_b64 exec, exec, s[0:1]
	v_mov_b32_e32 v2, 0
	s_and_saveexec_b64 s[0:1], s[20:21]
	s_cbranch_execnz .LBB150_428
	s_branch .LBB150_429
.LBB150_448:
	s_mov_b64 s[18:19], -1
                                        ; implicit-def: $vgpr2
.LBB150_449:
	s_mov_b64 s[20:21], 0
.LBB150_450:
	s_and_b64 vcc, exec, s[20:21]
	s_cbranch_vccz .LBB150_454
; %bb.451:
	s_cmp_eq_u32 s25, 11
	s_cbranch_scc0 .LBB150_453
; %bb.452:
	global_load_ubyte v2, v[0:1], off
	s_mov_b64 s[0:1], -1
	s_mov_b64 s[18:19], 0
	s_waitcnt vmcnt(0)
	v_cmp_ne_u16_e32 vcc, 0, v2
	v_cndmask_b32_e64 v2, 0, 1, vcc
	s_branch .LBB150_454
.LBB150_453:
	s_mov_b64 s[18:19], -1
                                        ; implicit-def: $vgpr2
.LBB150_454:
	s_branch .LBB150_261
.LBB150_455:
	s_and_b32 s20, 0xffff, s24
	s_cmp_lt_i32 s20, 5
	s_cbranch_scc1 .LBB150_460
; %bb.456:
	s_cmp_lt_i32 s20, 8
	s_cbranch_scc1 .LBB150_461
; %bb.457:
	;; [unrolled: 3-line block ×3, first 2 shown]
	s_cmp_gt_i32 s20, 9
	s_cbranch_scc0 .LBB150_463
; %bb.459:
	global_load_dwordx2 v[2:3], v[0:1], off
	s_mov_b64 s[0:1], 0
	s_waitcnt vmcnt(0)
	v_cvt_i32_f64_e32 v2, v[2:3]
	s_branch .LBB150_464
.LBB150_460:
	s_mov_b64 s[0:1], -1
                                        ; implicit-def: $vgpr2
	s_branch .LBB150_482
.LBB150_461:
	s_mov_b64 s[0:1], -1
                                        ; implicit-def: $vgpr2
	s_branch .LBB150_470
.LBB150_462:
	s_mov_b64 s[0:1], -1
                                        ; implicit-def: $vgpr2
	s_branch .LBB150_467
.LBB150_463:
	s_mov_b64 s[0:1], -1
                                        ; implicit-def: $vgpr2
.LBB150_464:
	s_andn2_b64 vcc, exec, s[0:1]
	s_cbranch_vccnz .LBB150_466
; %bb.465:
	global_load_dword v2, v[0:1], off
	s_waitcnt vmcnt(0)
	v_cvt_i32_f32_e32 v2, v2
.LBB150_466:
	s_mov_b64 s[0:1], 0
.LBB150_467:
	s_andn2_b64 vcc, exec, s[0:1]
	s_cbranch_vccnz .LBB150_469
; %bb.468:
	global_load_dword v2, v[0:1], off
	s_waitcnt vmcnt(0)
	v_cvt_i16_f16_e32 v2, v2
.LBB150_469:
	s_mov_b64 s[0:1], 0
.LBB150_470:
	s_andn2_b64 vcc, exec, s[0:1]
	s_cbranch_vccnz .LBB150_481
; %bb.471:
	s_cmp_lt_i32 s20, 6
	s_cbranch_scc1 .LBB150_474
; %bb.472:
	s_cmp_gt_i32 s20, 6
	s_cbranch_scc0 .LBB150_475
; %bb.473:
	global_load_dwordx2 v[2:3], v[0:1], off
	s_mov_b64 s[0:1], 0
	s_waitcnt vmcnt(0)
	v_cvt_i32_f64_e32 v2, v[2:3]
	s_branch .LBB150_476
.LBB150_474:
	s_mov_b64 s[0:1], -1
                                        ; implicit-def: $vgpr2
	s_branch .LBB150_479
.LBB150_475:
	s_mov_b64 s[0:1], -1
                                        ; implicit-def: $vgpr2
.LBB150_476:
	s_andn2_b64 vcc, exec, s[0:1]
	s_cbranch_vccnz .LBB150_478
; %bb.477:
	global_load_dword v2, v[0:1], off
	s_waitcnt vmcnt(0)
	v_cvt_i32_f32_e32 v2, v2
.LBB150_478:
	s_mov_b64 s[0:1], 0
.LBB150_479:
	s_andn2_b64 vcc, exec, s[0:1]
	s_cbranch_vccnz .LBB150_481
; %bb.480:
	global_load_ushort v2, v[0:1], off
	s_waitcnt vmcnt(0)
	v_cvt_i16_f16_e32 v2, v2
.LBB150_481:
	s_mov_b64 s[0:1], 0
.LBB150_482:
	s_andn2_b64 vcc, exec, s[0:1]
	s_cbranch_vccnz .LBB150_502
; %bb.483:
	s_cmp_lt_i32 s20, 2
	s_cbranch_scc1 .LBB150_487
; %bb.484:
	s_cmp_lt_i32 s20, 3
	s_cbranch_scc1 .LBB150_488
; %bb.485:
	s_cmp_gt_i32 s20, 3
	s_cbranch_scc0 .LBB150_489
; %bb.486:
	global_load_dwordx2 v[2:3], v[0:1], off
	s_mov_b64 s[0:1], 0
	s_branch .LBB150_490
.LBB150_487:
	s_mov_b64 s[0:1], -1
                                        ; implicit-def: $vgpr2
	s_branch .LBB150_496
.LBB150_488:
	s_mov_b64 s[0:1], -1
                                        ; implicit-def: $vgpr2
	s_branch .LBB150_493
.LBB150_489:
	s_mov_b64 s[0:1], -1
                                        ; implicit-def: $vgpr2
.LBB150_490:
	s_andn2_b64 vcc, exec, s[0:1]
	s_cbranch_vccnz .LBB150_492
; %bb.491:
	global_load_dword v2, v[0:1], off
.LBB150_492:
	s_mov_b64 s[0:1], 0
.LBB150_493:
	s_andn2_b64 vcc, exec, s[0:1]
	s_cbranch_vccnz .LBB150_495
; %bb.494:
	global_load_ushort v2, v[0:1], off
.LBB150_495:
	s_mov_b64 s[0:1], 0
.LBB150_496:
	s_andn2_b64 vcc, exec, s[0:1]
	s_cbranch_vccnz .LBB150_502
; %bb.497:
	s_cmp_gt_i32 s20, 0
	s_cbranch_scc0 .LBB150_499
; %bb.498:
	global_load_ubyte v2, v[0:1], off
	s_mov_b64 s[0:1], 0
	s_branch .LBB150_500
.LBB150_499:
	s_mov_b64 s[0:1], -1
                                        ; implicit-def: $vgpr2
.LBB150_500:
	s_andn2_b64 vcc, exec, s[0:1]
	s_cbranch_vccnz .LBB150_502
; %bb.501:
	global_load_ubyte v2, v[0:1], off
.LBB150_502:
	s_branch .LBB150_262
.LBB150_503:
	s_mov_b64 s[24:25], 0
                                        ; implicit-def: $vgpr9
	s_mov_b64 s[0:1], s[6:7]
.LBB150_504:
	s_andn2_b64 s[20:21], s[6:7], exec
	s_and_b64 s[0:1], s[0:1], exec
	s_or_b64 s[20:21], s[20:21], s[0:1]
	s_andn2_b64 s[0:1], s[14:15], exec
	s_and_b64 s[18:19], s[18:19], exec
	s_or_b64 s[18:19], s[0:1], s[18:19]
	s_orn2_b64 s[0:1], s[24:25], exec
.LBB150_505:
	s_or_b64 exec, exec, s[22:23]
	s_mov_b64 s[24:25], 0
	s_mov_b64 s[26:27], 0
	;; [unrolled: 1-line block ×3, first 2 shown]
                                        ; implicit-def: $sgpr43
                                        ; implicit-def: $vgpr0_vgpr1
                                        ; implicit-def: $vgpr2
	s_and_saveexec_b64 s[22:23], s[0:1]
	s_cbranch_execz .LBB150_842
; %bb.506:
	v_cmp_gt_i32_e32 vcc, s38, v9
	s_mov_b64 s[34:35], -1
	s_mov_b64 s[0:1], s[18:19]
	s_mov_b64 s[28:29], s[20:21]
	s_and_saveexec_b64 s[24:25], vcc
	s_cbranch_execz .LBB150_760
; %bb.507:
	v_mul_lo_u32 v0, v9, s3
	v_mov_b32_e32 v1, s11
	s_and_b32 s30, s42, 0xff
	s_cmp_lt_i32 s30, 11
	s_waitcnt vmcnt(0)
	v_ashrrev_i32_e32 v2, 31, v0
	v_add_co_u32_e32 v0, vcc, s10, v0
	v_addc_co_u32_e32 v1, vcc, v1, v2, vcc
	s_cbranch_scc1 .LBB150_514
; %bb.508:
	s_and_b32 s31, 0xffff, s30
	s_cmp_gt_i32 s31, 25
	s_cbranch_scc0 .LBB150_515
; %bb.509:
	s_cmp_gt_i32 s31, 28
	s_cbranch_scc0 .LBB150_516
; %bb.510:
	;; [unrolled: 3-line block ×4, first 2 shown]
	s_cmp_eq_u32 s31, 46
	s_mov_b64 s[28:29], 0
	s_cbranch_scc0 .LBB150_523
; %bb.513:
	global_load_dword v2, v[0:1], off
	s_mov_b64 s[0:1], -1
	s_waitcnt vmcnt(0)
	v_lshlrev_b32_e32 v2, 16, v2
	v_cvt_i32_f32_e32 v2, v2
	s_branch .LBB150_524
.LBB150_514:
	s_mov_b64 s[28:29], -1
	s_mov_b64 s[0:1], 0
                                        ; implicit-def: $vgpr2
	s_mov_b64 s[26:27], s[18:19]
	s_branch .LBB150_585
.LBB150_515:
	s_mov_b64 s[28:29], -1
	s_mov_b64 s[0:1], 0
	s_mov_b64 s[26:27], s[18:19]
                                        ; implicit-def: $vgpr2
	s_branch .LBB150_551
.LBB150_516:
	s_mov_b64 s[28:29], -1
	s_mov_b64 s[0:1], 0
	s_mov_b64 s[26:27], s[18:19]
                                        ; implicit-def: $vgpr2
	s_branch .LBB150_534
.LBB150_517:
	s_mov_b64 s[28:29], -1
	s_mov_b64 s[0:1], 0
	s_mov_b64 s[26:27], s[18:19]
                                        ; implicit-def: $vgpr2
	s_branch .LBB150_529
.LBB150_518:
	s_andn2_saveexec_b64 s[26:27], s[26:27]
	s_cbranch_execz .LBB150_307
.LBB150_519:
	s_mov_b32 s30, 0x46000000
	v_add_f32_e64 v6, |v3|, s30
	v_and_b32_e32 v6, 0xff, v6
	v_cmp_ne_u32_e32 vcc, 0, v6
	s_andn2_b64 s[24:25], s[24:25], exec
	s_and_b64 s[30:31], vcc, exec
	s_or_b64 s[24:25], s[24:25], s[30:31]
	s_or_b64 exec, exec, s[26:27]
	v_mov_b32_e32 v7, 0
	s_and_saveexec_b64 s[26:27], s[24:25]
	s_cbranch_execnz .LBB150_308
	s_branch .LBB150_309
.LBB150_520:
	s_mov_b64 s[28:29], -1
	s_mov_b64 s[0:1], 0
	s_mov_b64 s[26:27], s[18:19]
                                        ; implicit-def: $vgpr2
	s_branch .LBB150_524
.LBB150_521:
	s_andn2_saveexec_b64 s[26:27], s[26:27]
	s_cbranch_execz .LBB150_320
.LBB150_522:
	s_mov_b32 s30, 0x42800000
	v_add_f32_e64 v6, |v3|, s30
	v_and_b32_e32 v6, 0xff, v6
	v_cmp_ne_u32_e32 vcc, 0, v6
	s_andn2_b64 s[24:25], s[24:25], exec
	s_and_b64 s[30:31], vcc, exec
	s_or_b64 s[24:25], s[24:25], s[30:31]
	s_or_b64 exec, exec, s[26:27]
	v_mov_b32_e32 v7, 0
	s_and_saveexec_b64 s[26:27], s[24:25]
	s_cbranch_execnz .LBB150_321
	s_branch .LBB150_322
.LBB150_523:
	s_mov_b64 s[26:27], -1
                                        ; implicit-def: $vgpr2
	s_mov_b64 s[0:1], 0
.LBB150_524:
	s_and_b64 vcc, exec, s[28:29]
	s_cbranch_vccz .LBB150_528
; %bb.525:
	s_cmp_eq_u32 s31, 44
	s_cbranch_scc0 .LBB150_527
; %bb.526:
	global_load_ubyte v2, v[0:1], off
	s_mov_b64 s[0:1], -1
	s_mov_b64 s[26:27], 0
	s_waitcnt vmcnt(0)
	v_lshlrev_b32_e32 v3, 23, v2
	v_cvt_i32_f32_e32 v3, v3
	v_cmp_ne_u32_e32 vcc, 0, v2
	v_cndmask_b32_e32 v2, 0, v3, vcc
	s_branch .LBB150_528
.LBB150_527:
	s_mov_b64 s[26:27], -1
                                        ; implicit-def: $vgpr2
.LBB150_528:
	s_mov_b64 s[28:29], 0
.LBB150_529:
	s_and_b64 vcc, exec, s[28:29]
	s_cbranch_vccz .LBB150_533
; %bb.530:
	s_cmp_eq_u32 s31, 29
	s_cbranch_scc0 .LBB150_532
; %bb.531:
	global_load_dwordx2 v[2:3], v[0:1], off
	s_mov_b64 s[0:1], -1
	s_mov_b64 s[26:27], 0
	s_branch .LBB150_533
.LBB150_532:
	s_mov_b64 s[26:27], -1
                                        ; implicit-def: $vgpr2
.LBB150_533:
	s_mov_b64 s[28:29], 0
.LBB150_534:
	s_and_b64 vcc, exec, s[28:29]
	s_cbranch_vccz .LBB150_550
; %bb.535:
	s_cmp_lt_i32 s31, 27
	s_cbranch_scc1 .LBB150_538
; %bb.536:
	s_cmp_gt_i32 s31, 27
	s_cbranch_scc0 .LBB150_539
; %bb.537:
	global_load_dword v2, v[0:1], off
	s_mov_b64 s[0:1], 0
	s_branch .LBB150_540
.LBB150_538:
	s_mov_b64 s[0:1], -1
                                        ; implicit-def: $vgpr2
	s_branch .LBB150_543
.LBB150_539:
	s_mov_b64 s[0:1], -1
                                        ; implicit-def: $vgpr2
.LBB150_540:
	s_andn2_b64 vcc, exec, s[0:1]
	s_cbranch_vccnz .LBB150_542
; %bb.541:
	global_load_ushort v2, v[0:1], off
.LBB150_542:
	s_mov_b64 s[0:1], 0
.LBB150_543:
	s_andn2_b64 vcc, exec, s[0:1]
	s_cbranch_vccnz .LBB150_549
; %bb.544:
	global_load_ubyte v3, v[0:1], off
	s_movk_i32 s0, 0x7f
	s_mov_b64 s[28:29], 0
	s_waitcnt vmcnt(0)
	v_cmp_lt_i16_e32 vcc, s0, v3
	s_and_saveexec_b64 s[0:1], vcc
	s_xor_b64 s[0:1], exec, s[0:1]
	s_cbranch_execz .LBB150_561
; %bb.545:
	s_movk_i32 s28, 0x80
	v_cmp_ne_u16_e32 vcc, s28, v3
	s_and_b64 s[28:29], vcc, exec
	s_andn2_saveexec_b64 s[0:1], s[0:1]
	s_cbranch_execnz .LBB150_562
.LBB150_546:
	s_or_b64 exec, exec, s[0:1]
	v_mov_b32_e32 v2, 0
	s_and_saveexec_b64 s[0:1], s[28:29]
	s_cbranch_execz .LBB150_548
.LBB150_547:
	v_lshlrev_b32_e32 v2, 24, v3
	v_and_b32_e32 v3, 0xffff, v3
	v_and_b32_e32 v6, 7, v3
	v_ffbh_u32_e32 v8, v6
	v_min_u32_e32 v8, 32, v8
	v_subrev_u32_e32 v10, 28, v8
	v_bfe_u32 v7, v3, 3, 4
	v_lshlrev_b32_e32 v3, v10, v3
	v_sub_u32_e32 v8, 29, v8
	v_and_b32_e32 v3, 7, v3
	v_cmp_eq_u32_e32 vcc, 0, v7
	v_cndmask_b32_e32 v7, v7, v8, vcc
	v_cndmask_b32_e32 v3, v6, v3, vcc
	v_mov_b32_e32 v6, 0x3b800000
	v_lshlrev_b32_e32 v3, 20, v3
	v_and_b32_e32 v2, 0x80000000, v2
	v_lshl_add_u32 v6, v7, 23, v6
	v_or3_b32 v2, v2, v6, v3
	v_cvt_i32_f32_e32 v2, v2
.LBB150_548:
	s_or_b64 exec, exec, s[0:1]
.LBB150_549:
	s_mov_b64 s[0:1], -1
.LBB150_550:
	s_mov_b64 s[28:29], 0
.LBB150_551:
	s_and_b64 vcc, exec, s[28:29]
	s_cbranch_vccz .LBB150_584
; %bb.552:
	s_cmp_gt_i32 s31, 22
	s_cbranch_scc0 .LBB150_560
; %bb.553:
	s_cmp_lt_i32 s31, 24
	s_cbranch_scc1 .LBB150_563
; %bb.554:
	s_cmp_gt_i32 s31, 24
	s_cbranch_scc0 .LBB150_564
; %bb.555:
	global_load_ubyte v3, v[0:1], off
	s_movk_i32 s0, 0x7f
	s_mov_b64 s[28:29], 0
	s_waitcnt vmcnt(0)
	v_cmp_lt_i16_e32 vcc, s0, v3
	s_and_saveexec_b64 s[0:1], vcc
	s_xor_b64 s[0:1], exec, s[0:1]
	s_cbranch_execz .LBB150_576
; %bb.556:
	s_movk_i32 s28, 0x80
	v_cmp_ne_u16_e32 vcc, s28, v3
	s_and_b64 s[28:29], vcc, exec
	s_andn2_saveexec_b64 s[0:1], s[0:1]
	s_cbranch_execnz .LBB150_577
.LBB150_557:
	s_or_b64 exec, exec, s[0:1]
	v_mov_b32_e32 v2, 0
	s_and_saveexec_b64 s[0:1], s[28:29]
	s_cbranch_execz .LBB150_559
.LBB150_558:
	v_lshlrev_b32_e32 v2, 24, v3
	v_and_b32_e32 v3, 0xffff, v3
	v_and_b32_e32 v6, 3, v3
	v_ffbh_u32_e32 v8, v6
	v_min_u32_e32 v8, 32, v8
	v_subrev_u32_e32 v10, 29, v8
	v_bfe_u32 v7, v3, 2, 5
	v_lshlrev_b32_e32 v3, v10, v3
	v_sub_u32_e32 v8, 30, v8
	v_and_b32_e32 v3, 3, v3
	v_cmp_eq_u32_e32 vcc, 0, v7
	v_cndmask_b32_e32 v7, v7, v8, vcc
	v_cndmask_b32_e32 v3, v6, v3, vcc
	v_mov_b32_e32 v6, 0x37800000
	v_lshlrev_b32_e32 v3, 21, v3
	v_and_b32_e32 v2, 0x80000000, v2
	v_lshl_add_u32 v6, v7, 23, v6
	v_or3_b32 v2, v2, v6, v3
	v_cvt_i32_f32_e32 v2, v2
.LBB150_559:
	s_or_b64 exec, exec, s[0:1]
	s_mov_b64 s[0:1], 0
	s_branch .LBB150_565
.LBB150_560:
	s_mov_b64 s[28:29], -1
                                        ; implicit-def: $vgpr2
	s_branch .LBB150_571
.LBB150_561:
	s_andn2_saveexec_b64 s[0:1], s[0:1]
	s_cbranch_execz .LBB150_546
.LBB150_562:
	v_cmp_ne_u16_e32 vcc, 0, v3
	s_andn2_b64 s[28:29], s[28:29], exec
	s_and_b64 s[34:35], vcc, exec
	s_or_b64 s[28:29], s[28:29], s[34:35]
	s_or_b64 exec, exec, s[0:1]
	v_mov_b32_e32 v2, 0
	s_and_saveexec_b64 s[0:1], s[28:29]
	s_cbranch_execnz .LBB150_547
	s_branch .LBB150_548
.LBB150_563:
	s_mov_b64 s[0:1], -1
                                        ; implicit-def: $vgpr2
	s_branch .LBB150_568
.LBB150_564:
	s_mov_b64 s[0:1], -1
                                        ; implicit-def: $vgpr2
.LBB150_565:
	s_and_b64 vcc, exec, s[0:1]
	s_cbranch_vccz .LBB150_567
; %bb.566:
	global_load_ubyte v2, v[0:1], off
	s_mov_b32 s0, 0x7f800000
	s_waitcnt vmcnt(0)
	v_lshlrev_b32_e32 v2, 24, v2
	v_and_b32_e32 v3, 0x7f000000, v2
	v_ffbh_u32_e32 v6, v3
	v_min_u32_e32 v6, 32, v6
	v_sub_u32_e64 v6, v6, 4 clamp
	v_lshlrev_b32_e32 v8, v6, v3
	v_lshlrev_b32_e32 v6, 23, v6
	v_lshrrev_b32_e32 v8, 4, v8
	v_add_u32_e32 v7, 0x1000000, v3
	v_sub_u32_e32 v6, v8, v6
	v_ashrrev_i32_e32 v7, 8, v7
	v_add_u32_e32 v6, 0x3c000000, v6
	v_and_or_b32 v6, v7, s0, v6
	v_cmp_ne_u32_e32 vcc, 0, v3
	v_cndmask_b32_e32 v3, 0, v6, vcc
	s_brev_b32 s0, 1
	v_and_or_b32 v2, v2, s0, v3
	v_cvt_i32_f32_e32 v2, v2
.LBB150_567:
	s_mov_b64 s[0:1], 0
.LBB150_568:
	s_andn2_b64 vcc, exec, s[0:1]
	s_cbranch_vccnz .LBB150_570
; %bb.569:
	global_load_ubyte v2, v[0:1], off
	s_movk_i32 s0, 0x7f00
	s_brev_b32 s1, 16
	s_waitcnt vmcnt(0)
	v_lshlrev_b16_e32 v3, 8, v2
	v_lshlrev_b32_e32 v2, 25, v2
	v_lshrrev_b32_e32 v6, 4, v2
	v_and_or_b32 v7, v3, s0, 0.5
	v_or_b32_e32 v6, 0x70000000, v6
	v_add_f32_e32 v7, -0.5, v7
	v_mul_f32_e32 v6, 0x7800000, v6
	v_cmp_gt_u32_e32 vcc, s1, v2
	v_bfe_i32 v3, v3, 0, 16
	v_cndmask_b32_e32 v2, v6, v7, vcc
	s_brev_b32 s0, 1
	v_and_or_b32 v2, v3, s0, v2
	v_cvt_i32_f32_e32 v2, v2
.LBB150_570:
	s_mov_b64 s[28:29], 0
	s_mov_b64 s[0:1], -1
.LBB150_571:
	s_andn2_b64 vcc, exec, s[28:29]
	s_cbranch_vccnz .LBB150_584
; %bb.572:
	s_cmp_gt_i32 s31, 14
	s_cbranch_scc0 .LBB150_575
; %bb.573:
	s_cmp_eq_u32 s31, 15
	s_cbranch_scc0 .LBB150_578
; %bb.574:
	global_load_ushort v2, v[0:1], off
	s_mov_b64 s[0:1], -1
	s_mov_b64 s[26:27], 0
	s_waitcnt vmcnt(0)
	v_lshlrev_b32_e32 v2, 16, v2
	v_cvt_i32_f32_e32 v2, v2
	s_branch .LBB150_579
.LBB150_575:
	s_mov_b64 s[28:29], -1
                                        ; implicit-def: $vgpr2
	s_branch .LBB150_580
.LBB150_576:
	s_andn2_saveexec_b64 s[0:1], s[0:1]
	s_cbranch_execz .LBB150_557
.LBB150_577:
	v_cmp_ne_u16_e32 vcc, 0, v3
	s_andn2_b64 s[28:29], s[28:29], exec
	s_and_b64 s[34:35], vcc, exec
	s_or_b64 s[28:29], s[28:29], s[34:35]
	s_or_b64 exec, exec, s[0:1]
	v_mov_b32_e32 v2, 0
	s_and_saveexec_b64 s[0:1], s[28:29]
	s_cbranch_execnz .LBB150_558
	s_branch .LBB150_559
.LBB150_578:
	s_mov_b64 s[26:27], -1
                                        ; implicit-def: $vgpr2
.LBB150_579:
	s_mov_b64 s[28:29], 0
.LBB150_580:
	s_and_b64 vcc, exec, s[28:29]
	s_cbranch_vccz .LBB150_584
; %bb.581:
	s_cmp_eq_u32 s31, 11
	s_cbranch_scc0 .LBB150_583
; %bb.582:
	global_load_ubyte v2, v[0:1], off
	s_mov_b64 s[0:1], -1
	s_mov_b64 s[26:27], 0
	s_waitcnt vmcnt(0)
	v_cmp_ne_u16_e32 vcc, 0, v2
	v_cndmask_b32_e64 v2, 0, 1, vcc
	s_branch .LBB150_584
.LBB150_583:
	s_mov_b64 s[26:27], -1
                                        ; implicit-def: $vgpr2
.LBB150_584:
	s_mov_b64 s[28:29], 0
.LBB150_585:
	s_and_b64 vcc, exec, s[28:29]
	s_cbranch_vccz .LBB150_634
; %bb.586:
	s_and_b32 s28, 0xffff, s30
	s_cmp_lt_i32 s28, 5
	s_cbranch_scc1 .LBB150_591
; %bb.587:
	s_cmp_lt_i32 s28, 8
	s_cbranch_scc1 .LBB150_592
; %bb.588:
	;; [unrolled: 3-line block ×3, first 2 shown]
	s_cmp_gt_i32 s28, 9
	s_cbranch_scc0 .LBB150_594
; %bb.590:
	global_load_dwordx2 v[2:3], v[0:1], off
	s_mov_b64 s[0:1], 0
	s_waitcnt vmcnt(0)
	v_cvt_i32_f64_e32 v2, v[2:3]
	s_branch .LBB150_595
.LBB150_591:
	s_mov_b64 s[0:1], -1
                                        ; implicit-def: $vgpr2
	s_branch .LBB150_613
.LBB150_592:
	s_mov_b64 s[0:1], -1
                                        ; implicit-def: $vgpr2
	s_branch .LBB150_601
.LBB150_593:
	s_mov_b64 s[0:1], -1
                                        ; implicit-def: $vgpr2
	s_branch .LBB150_598
.LBB150_594:
	s_mov_b64 s[0:1], -1
                                        ; implicit-def: $vgpr2
.LBB150_595:
	s_andn2_b64 vcc, exec, s[0:1]
	s_cbranch_vccnz .LBB150_597
; %bb.596:
	global_load_dword v2, v[0:1], off
	s_waitcnt vmcnt(0)
	v_cvt_i32_f32_e32 v2, v2
.LBB150_597:
	s_mov_b64 s[0:1], 0
.LBB150_598:
	s_andn2_b64 vcc, exec, s[0:1]
	s_cbranch_vccnz .LBB150_600
; %bb.599:
	global_load_dword v2, v[0:1], off
	s_waitcnt vmcnt(0)
	v_cvt_i16_f16_e32 v2, v2
.LBB150_600:
	s_mov_b64 s[0:1], 0
.LBB150_601:
	s_andn2_b64 vcc, exec, s[0:1]
	s_cbranch_vccnz .LBB150_612
; %bb.602:
	s_cmp_lt_i32 s28, 6
	s_cbranch_scc1 .LBB150_605
; %bb.603:
	s_cmp_gt_i32 s28, 6
	s_cbranch_scc0 .LBB150_606
; %bb.604:
	global_load_dwordx2 v[2:3], v[0:1], off
	s_mov_b64 s[0:1], 0
	s_waitcnt vmcnt(0)
	v_cvt_i32_f64_e32 v2, v[2:3]
	s_branch .LBB150_607
.LBB150_605:
	s_mov_b64 s[0:1], -1
                                        ; implicit-def: $vgpr2
	s_branch .LBB150_610
.LBB150_606:
	s_mov_b64 s[0:1], -1
                                        ; implicit-def: $vgpr2
.LBB150_607:
	s_andn2_b64 vcc, exec, s[0:1]
	s_cbranch_vccnz .LBB150_609
; %bb.608:
	global_load_dword v2, v[0:1], off
	s_waitcnt vmcnt(0)
	v_cvt_i32_f32_e32 v2, v2
.LBB150_609:
	s_mov_b64 s[0:1], 0
.LBB150_610:
	s_andn2_b64 vcc, exec, s[0:1]
	s_cbranch_vccnz .LBB150_612
; %bb.611:
	global_load_ushort v2, v[0:1], off
	s_waitcnt vmcnt(0)
	v_cvt_i16_f16_e32 v2, v2
.LBB150_612:
	s_mov_b64 s[0:1], 0
.LBB150_613:
	s_andn2_b64 vcc, exec, s[0:1]
	s_cbranch_vccnz .LBB150_633
; %bb.614:
	s_cmp_lt_i32 s28, 2
	s_cbranch_scc1 .LBB150_618
; %bb.615:
	s_cmp_lt_i32 s28, 3
	s_cbranch_scc1 .LBB150_619
; %bb.616:
	s_cmp_gt_i32 s28, 3
	s_cbranch_scc0 .LBB150_620
; %bb.617:
	global_load_dwordx2 v[2:3], v[0:1], off
	s_mov_b64 s[0:1], 0
	s_branch .LBB150_621
.LBB150_618:
	s_mov_b64 s[0:1], -1
                                        ; implicit-def: $vgpr2
	s_branch .LBB150_627
.LBB150_619:
	s_mov_b64 s[0:1], -1
                                        ; implicit-def: $vgpr2
	s_branch .LBB150_624
.LBB150_620:
	s_mov_b64 s[0:1], -1
                                        ; implicit-def: $vgpr2
.LBB150_621:
	s_andn2_b64 vcc, exec, s[0:1]
	s_cbranch_vccnz .LBB150_623
; %bb.622:
	global_load_dword v2, v[0:1], off
.LBB150_623:
	s_mov_b64 s[0:1], 0
.LBB150_624:
	s_andn2_b64 vcc, exec, s[0:1]
	s_cbranch_vccnz .LBB150_626
; %bb.625:
	global_load_ushort v2, v[0:1], off
.LBB150_626:
	s_mov_b64 s[0:1], 0
.LBB150_627:
	s_andn2_b64 vcc, exec, s[0:1]
	s_cbranch_vccnz .LBB150_633
; %bb.628:
	s_cmp_gt_i32 s28, 0
	s_cbranch_scc0 .LBB150_630
; %bb.629:
	global_load_ubyte v2, v[0:1], off
	s_mov_b64 s[0:1], 0
	s_branch .LBB150_631
.LBB150_630:
	s_mov_b64 s[0:1], -1
                                        ; implicit-def: $vgpr2
.LBB150_631:
	s_andn2_b64 vcc, exec, s[0:1]
	s_cbranch_vccnz .LBB150_633
; %bb.632:
	global_load_ubyte v2, v[0:1], off
.LBB150_633:
	s_mov_b64 s[0:1], -1
.LBB150_634:
	s_andn2_b64 vcc, exec, s[0:1]
	s_cbranch_vccnz .LBB150_642
; %bb.635:
	v_mul_lo_u32 v1, v9, s2
	v_mov_b32_e32 v0, 6
	s_waitcnt vmcnt(0)
	v_ashrrev_i32_e32 v3, v2, v4
	v_cmp_gt_u16_sdwa vcc, v2, v0 src0_sel:BYTE_0 src1_sel:DWORD
	v_cndmask_b32_e32 v2, v3, v5, vcc
	v_ashrrev_i32_e32 v3, 31, v1
	v_mov_b32_e32 v6, s9
	s_and_b32 s36, s33, 0xff
	v_add_co_u32_e32 v0, vcc, s8, v1
	s_cmp_lt_i32 s36, 11
	v_addc_co_u32_e32 v1, vcc, v6, v3, vcc
	s_cbranch_scc1 .LBB150_643
; %bb.636:
	s_and_b32 s37, 0xffff, s36
	s_cmp_gt_i32 s37, 25
	s_cbranch_scc0 .LBB150_644
; %bb.637:
	s_cmp_gt_i32 s37, 28
	s_cbranch_scc0 .LBB150_645
; %bb.638:
	;; [unrolled: 3-line block ×4, first 2 shown]
	s_mov_b64 s[30:31], 0
	s_mov_b64 s[0:1], -1
	s_cmp_eq_u32 s37, 46
	s_mov_b64 s[28:29], 0
	s_cbranch_scc0 .LBB150_648
; %bb.641:
	v_bfe_i32 v3, v2, 0, 8
	v_cvt_f32_i32_sdwa v3, sext(v3) dst_sel:DWORD dst_unused:UNUSED_PAD src0_sel:WORD_0
	s_movk_i32 s0, 0x7fff
	s_mov_b64 s[28:29], -1
	v_bfe_u32 v6, v3, 16, 1
	v_add3_u32 v3, v3, v6, s0
	v_lshrrev_b32_e32 v3, 16, v3
	global_store_dword v[0:1], v3, off
	s_mov_b64 s[0:1], 0
	s_branch .LBB150_648
.LBB150_642:
	s_mov_b64 s[30:31], 0
                                        ; implicit-def: $vgpr9
	s_mov_b64 s[0:1], s[20:21]
	s_branch .LBB150_759
.LBB150_643:
	s_mov_b64 s[30:31], -1
	s_mov_b64 s[28:29], 0
	s_mov_b64 s[0:1], s[20:21]
	s_branch .LBB150_717
.LBB150_644:
	s_mov_b64 s[30:31], -1
	s_mov_b64 s[28:29], 0
	s_mov_b64 s[0:1], s[20:21]
	s_branch .LBB150_675
.LBB150_645:
	s_mov_b64 s[30:31], -1
	s_mov_b64 s[28:29], 0
	s_mov_b64 s[0:1], s[20:21]
	s_branch .LBB150_658
.LBB150_646:
	s_mov_b64 s[30:31], -1
	s_mov_b64 s[28:29], 0
	s_mov_b64 s[0:1], s[20:21]
	s_branch .LBB150_654
.LBB150_647:
	s_mov_b64 s[30:31], -1
	s_mov_b64 s[28:29], 0
	s_mov_b64 s[0:1], s[20:21]
.LBB150_648:
	s_and_b64 vcc, exec, s[30:31]
	s_cbranch_vccz .LBB150_653
; %bb.649:
	s_cmp_eq_u32 s37, 44
	s_mov_b64 s[0:1], -1
	s_cbranch_scc0 .LBB150_653
; %bb.650:
	v_bfe_i32 v3, v2, 0, 8
	v_cvt_f32_i32_sdwa v3, sext(v3) dst_sel:DWORD dst_unused:UNUSED_PAD src0_sel:WORD_0
	s_movk_i32 s0, 0xff
	v_mov_b32_e32 v7, 0xff
	v_bfe_u32 v6, v3, 23, 8
	v_cmp_ne_u32_e32 vcc, s0, v6
	s_and_saveexec_b64 s[28:29], vcc
; %bb.651:
	s_mov_b32 s0, 0x3fffff
	v_lshrrev_b32_e32 v7, 23, v3
	v_and_b32_e32 v8, 0x400000, v3
	v_and_or_b32 v3, v3, s0, v6
	v_cmp_ne_u32_e32 vcc, 0, v8
	v_cmp_ne_u32_e64 s[0:1], 0, v3
	s_and_b64 s[0:1], vcc, s[0:1]
	v_cndmask_b32_e64 v3, 0, 1, s[0:1]
	v_add_u32_e32 v7, v7, v3
; %bb.652:
	s_or_b64 exec, exec, s[28:29]
	s_mov_b64 s[28:29], -1
	s_mov_b64 s[0:1], 0
	global_store_byte v[0:1], v7, off
.LBB150_653:
	s_mov_b64 s[30:31], 0
.LBB150_654:
	s_and_b64 vcc, exec, s[30:31]
	s_cbranch_vccz .LBB150_657
; %bb.655:
	s_cmp_eq_u32 s37, 29
	s_mov_b64 s[0:1], -1
	s_cbranch_scc0 .LBB150_657
; %bb.656:
	v_bfe_i32 v6, v2, 0, 8
	v_ashrrev_i32_e32 v7, 31, v6
	global_store_dwordx2 v[0:1], v[6:7], off
	s_mov_b64 s[28:29], -1
	s_mov_b64 s[0:1], 0
.LBB150_657:
	s_mov_b64 s[30:31], 0
.LBB150_658:
	s_and_b64 vcc, exec, s[30:31]
	s_cbranch_vccz .LBB150_674
; %bb.659:
	s_cmp_lt_i32 s37, 27
	s_mov_b64 s[28:29], -1
	s_cbranch_scc1 .LBB150_665
; %bb.660:
	s_cmp_gt_i32 s37, 27
	s_cbranch_scc0 .LBB150_662
; %bb.661:
	v_bfe_i32 v3, v2, 0, 8
	s_mov_b64 s[28:29], 0
	global_store_dword v[0:1], v3, off
.LBB150_662:
	s_andn2_b64 vcc, exec, s[28:29]
	s_cbranch_vccnz .LBB150_664
; %bb.663:
	v_bfe_i32 v3, v2, 0, 8
	global_store_short v[0:1], v3, off
.LBB150_664:
	s_mov_b64 s[28:29], 0
.LBB150_665:
	s_andn2_b64 vcc, exec, s[28:29]
	s_cbranch_vccnz .LBB150_673
; %bb.666:
	v_bfe_i32 v3, v2, 0, 8
	v_cvt_f32_i32_sdwa v3, sext(v3) dst_sel:DWORD dst_unused:UNUSED_PAD src0_sel:WORD_0
	s_mov_b32 s28, 0x43800000
	v_mov_b32_e32 v7, 0x80
	v_and_b32_e32 v6, 0x7fffffff, v3
	v_cmp_gt_u32_e32 vcc, s28, v6
	s_and_saveexec_b64 s[28:29], vcc
	s_cbranch_execz .LBB150_672
; %bb.667:
	s_mov_b32 s30, 0x3bffffff
	v_cmp_lt_u32_e32 vcc, s30, v6
	s_mov_b64 s[30:31], 0
                                        ; implicit-def: $vgpr6
	s_and_saveexec_b64 s[34:35], vcc
	s_xor_b64 s[34:35], exec, s[34:35]
	s_cbranch_execz .LBB150_773
; %bb.668:
	v_bfe_u32 v6, v3, 20, 1
	s_mov_b32 s39, 0x487ffff
	v_add3_u32 v6, v3, v6, s39
	s_mov_b64 s[30:31], exec
	v_lshrrev_b32_e32 v6, 20, v6
	s_andn2_saveexec_b64 s[34:35], s[34:35]
	s_cbranch_execnz .LBB150_774
.LBB150_669:
	s_or_b64 exec, exec, s[34:35]
	v_mov_b32_e32 v7, 0
	s_and_saveexec_b64 s[34:35], s[30:31]
.LBB150_670:
	v_lshrrev_b32_e32 v3, 24, v3
	s_movk_i32 s30, 0x80
	v_and_or_b32 v7, v3, s30, v6
.LBB150_671:
	s_or_b64 exec, exec, s[34:35]
.LBB150_672:
	s_or_b64 exec, exec, s[28:29]
	global_store_byte v[0:1], v7, off
.LBB150_673:
	s_mov_b64 s[28:29], -1
.LBB150_674:
	s_mov_b64 s[30:31], 0
.LBB150_675:
	s_and_b64 vcc, exec, s[30:31]
	s_cbranch_vccz .LBB150_716
; %bb.676:
	s_cmp_gt_i32 s37, 22
	s_mov_b64 s[30:31], -1
	s_cbranch_scc0 .LBB150_708
; %bb.677:
	s_cmp_lt_i32 s37, 24
	s_mov_b64 s[28:29], -1
	s_cbranch_scc1 .LBB150_697
; %bb.678:
	s_cmp_gt_i32 s37, 24
	s_cbranch_scc0 .LBB150_686
; %bb.679:
	v_bfe_i32 v3, v2, 0, 8
	v_cvt_f32_i32_sdwa v3, sext(v3) dst_sel:DWORD dst_unused:UNUSED_PAD src0_sel:WORD_0
	s_mov_b32 s28, 0x47800000
	v_mov_b32_e32 v7, 0x80
	v_and_b32_e32 v6, 0x7fffffff, v3
	v_cmp_gt_u32_e32 vcc, s28, v6
	s_and_saveexec_b64 s[28:29], vcc
	s_cbranch_execz .LBB150_685
; %bb.680:
	s_mov_b32 s30, 0x37ffffff
	v_cmp_lt_u32_e32 vcc, s30, v6
	s_mov_b64 s[30:31], 0
                                        ; implicit-def: $vgpr6
	s_and_saveexec_b64 s[34:35], vcc
	s_xor_b64 s[34:35], exec, s[34:35]
	s_cbranch_execz .LBB150_776
; %bb.681:
	v_bfe_u32 v6, v3, 21, 1
	s_mov_b32 s39, 0x88fffff
	v_add3_u32 v6, v3, v6, s39
	s_mov_b64 s[30:31], exec
	v_lshrrev_b32_e32 v6, 21, v6
	s_andn2_saveexec_b64 s[34:35], s[34:35]
	s_cbranch_execnz .LBB150_777
.LBB150_682:
	s_or_b64 exec, exec, s[34:35]
	v_mov_b32_e32 v7, 0
	s_and_saveexec_b64 s[34:35], s[30:31]
.LBB150_683:
	v_lshrrev_b32_e32 v3, 24, v3
	s_movk_i32 s30, 0x80
	v_and_or_b32 v7, v3, s30, v6
.LBB150_684:
	s_or_b64 exec, exec, s[34:35]
.LBB150_685:
	s_or_b64 exec, exec, s[28:29]
	s_mov_b64 s[28:29], 0
	global_store_byte v[0:1], v7, off
.LBB150_686:
	s_and_b64 vcc, exec, s[28:29]
	s_cbranch_vccz .LBB150_696
; %bb.687:
	v_bfe_i32 v3, v2, 0, 8
	v_cvt_f32_i32_sdwa v3, sext(v3) dst_sel:DWORD dst_unused:UNUSED_PAD src0_sel:WORD_0
	s_mov_b32 s28, 0x43f00000
                                        ; implicit-def: $vgpr6
	v_and_b32_e32 v7, 0x7fffffff, v3
	v_cmp_gt_u32_e32 vcc, s28, v7
	s_and_saveexec_b64 s[28:29], vcc
	s_xor_b64 s[28:29], exec, s[28:29]
	s_cbranch_execz .LBB150_693
; %bb.688:
	s_mov_b32 s30, 0x3c7fffff
	v_cmp_lt_u32_e32 vcc, s30, v7
                                        ; implicit-def: $vgpr6
	s_and_saveexec_b64 s[30:31], vcc
	s_xor_b64 s[30:31], exec, s[30:31]
; %bb.689:
	v_bfe_u32 v6, v3, 20, 1
	s_mov_b32 s34, 0x407ffff
	v_add3_u32 v6, v3, v6, s34
	v_lshrrev_b32_e32 v7, 20, v6
	v_and_b32_e32 v6, 0xff00000, v6
	s_mov_b32 s34, 0x7f00000
	v_mov_b32_e32 v8, 0x7e
	v_cmp_ne_u32_e32 vcc, s34, v6
	v_cndmask_b32_e32 v6, v8, v7, vcc
; %bb.690:
	s_andn2_saveexec_b64 s[30:31], s[30:31]
; %bb.691:
	s_mov_b32 s34, 0x46800000
	v_add_f32_e64 v6, |v3|, s34
; %bb.692:
	s_or_b64 exec, exec, s[30:31]
                                        ; implicit-def: $vgpr7
.LBB150_693:
	s_andn2_saveexec_b64 s[28:29], s[28:29]
; %bb.694:
	s_mov_b32 s30, 0x7f800000
	v_mov_b32_e32 v6, 0x7e
	v_mov_b32_e32 v8, 0x7f
	v_cmp_lt_u32_e32 vcc, s30, v7
	v_cndmask_b32_e32 v6, v6, v8, vcc
; %bb.695:
	s_or_b64 exec, exec, s[28:29]
	v_lshrrev_b32_e32 v3, 24, v3
	s_movk_i32 s28, 0x80
	v_and_or_b32 v3, v3, s28, v6
	global_store_byte v[0:1], v3, off
.LBB150_696:
	s_mov_b64 s[28:29], 0
.LBB150_697:
	s_andn2_b64 vcc, exec, s[28:29]
	s_cbranch_vccnz .LBB150_707
; %bb.698:
	v_bfe_i32 v3, v2, 0, 8
	v_cvt_f32_i32_sdwa v3, sext(v3) dst_sel:DWORD dst_unused:UNUSED_PAD src0_sel:WORD_0
	s_mov_b32 s28, 0x47800000
                                        ; implicit-def: $vgpr6
	v_and_b32_e32 v7, 0x7fffffff, v3
	v_cmp_gt_u32_e32 vcc, s28, v7
	s_and_saveexec_b64 s[28:29], vcc
	s_xor_b64 s[28:29], exec, s[28:29]
	s_cbranch_execz .LBB150_704
; %bb.699:
	s_mov_b32 s30, 0x387fffff
	v_cmp_lt_u32_e32 vcc, s30, v7
                                        ; implicit-def: $vgpr6
	s_and_saveexec_b64 s[30:31], vcc
	s_xor_b64 s[30:31], exec, s[30:31]
; %bb.700:
	v_bfe_u32 v6, v3, 21, 1
	s_mov_b32 s34, 0x80fffff
	v_add3_u32 v6, v3, v6, s34
	v_lshrrev_b32_e32 v6, 21, v6
; %bb.701:
	s_andn2_saveexec_b64 s[30:31], s[30:31]
; %bb.702:
	s_mov_b32 s34, 0x43000000
	v_add_f32_e64 v6, |v3|, s34
; %bb.703:
	s_or_b64 exec, exec, s[30:31]
                                        ; implicit-def: $vgpr7
.LBB150_704:
	s_andn2_saveexec_b64 s[28:29], s[28:29]
; %bb.705:
	s_mov_b32 s30, 0x7f800000
	v_mov_b32_e32 v6, 0x7c
	v_mov_b32_e32 v8, 0x7f
	v_cmp_lt_u32_e32 vcc, s30, v7
	v_cndmask_b32_e32 v6, v6, v8, vcc
; %bb.706:
	s_or_b64 exec, exec, s[28:29]
	v_lshrrev_b32_e32 v3, 24, v3
	s_movk_i32 s28, 0x80
	v_and_or_b32 v3, v3, s28, v6
	global_store_byte v[0:1], v3, off
.LBB150_707:
	s_mov_b64 s[30:31], 0
	s_mov_b64 s[28:29], -1
.LBB150_708:
	s_andn2_b64 vcc, exec, s[30:31]
	s_cbranch_vccnz .LBB150_716
; %bb.709:
	s_cmp_gt_i32 s37, 14
	s_mov_b64 s[30:31], -1
	s_cbranch_scc0 .LBB150_713
; %bb.710:
	s_cmp_eq_u32 s37, 15
	s_mov_b64 s[0:1], -1
	s_cbranch_scc0 .LBB150_712
; %bb.711:
	v_bfe_i32 v3, v2, 0, 8
	v_cvt_f32_i32_sdwa v3, sext(v3) dst_sel:DWORD dst_unused:UNUSED_PAD src0_sel:WORD_0
	s_movk_i32 s0, 0x7fff
	s_mov_b64 s[28:29], -1
	v_bfe_u32 v6, v3, 16, 1
	v_add3_u32 v3, v3, v6, s0
	global_store_short_d16_hi v[0:1], v3, off
	s_mov_b64 s[0:1], 0
.LBB150_712:
	s_mov_b64 s[30:31], 0
.LBB150_713:
	s_and_b64 vcc, exec, s[30:31]
	s_cbranch_vccz .LBB150_716
; %bb.714:
	s_cmp_eq_u32 s37, 11
	s_mov_b64 s[0:1], -1
	s_cbranch_scc0 .LBB150_716
; %bb.715:
	v_mov_b32_e32 v3, 0
	v_cmp_ne_u16_sdwa s[0:1], v2, v3 src0_sel:BYTE_0 src1_sel:DWORD
	v_cndmask_b32_e64 v3, 0, 1, s[0:1]
	s_mov_b64 s[28:29], -1
	s_mov_b64 s[0:1], 0
	global_store_byte v[0:1], v3, off
.LBB150_716:
	s_mov_b64 s[30:31], 0
.LBB150_717:
	s_and_b64 vcc, exec, s[30:31]
	s_cbranch_vccz .LBB150_756
; %bb.718:
	s_and_b32 s30, 0xffff, s36
	s_cmp_lt_i32 s30, 5
	s_mov_b64 s[28:29], -1
	s_cbranch_scc1 .LBB150_739
; %bb.719:
	s_cmp_lt_i32 s30, 8
	s_cbranch_scc1 .LBB150_729
; %bb.720:
	s_cmp_lt_i32 s30, 9
	s_cbranch_scc1 .LBB150_726
; %bb.721:
	s_cmp_gt_i32 s30, 9
	s_cbranch_scc0 .LBB150_723
; %bb.722:
	v_bfe_i32 v3, v2, 0, 8
	v_bfe_i32 v3, v3, 0, 16
	v_cvt_f64_i32_e32 v[10:11], v3
	v_mov_b32_e32 v12, 0
	v_mov_b32_e32 v13, v12
	s_mov_b64 s[28:29], 0
	global_store_dwordx4 v[0:1], v[10:13], off
.LBB150_723:
	s_andn2_b64 vcc, exec, s[28:29]
	s_cbranch_vccnz .LBB150_725
; %bb.724:
	v_bfe_i32 v3, v2, 0, 8
	v_cvt_f32_i32_sdwa v6, sext(v3) dst_sel:DWORD dst_unused:UNUSED_PAD src0_sel:WORD_0
	v_mov_b32_e32 v7, 0
	global_store_dwordx2 v[0:1], v[6:7], off
.LBB150_725:
	s_mov_b64 s[28:29], 0
.LBB150_726:
	s_andn2_b64 vcc, exec, s[28:29]
	s_cbranch_vccnz .LBB150_728
; %bb.727:
	v_cvt_f16_i16_sdwa v3, sext(v2) dst_sel:DWORD dst_unused:UNUSED_PAD src0_sel:BYTE_0
	global_store_dword v[0:1], v3, off
.LBB150_728:
	s_mov_b64 s[28:29], 0
.LBB150_729:
	s_andn2_b64 vcc, exec, s[28:29]
	s_cbranch_vccnz .LBB150_738
; %bb.730:
	s_cmp_lt_i32 s30, 6
	s_mov_b64 s[28:29], -1
	s_cbranch_scc1 .LBB150_736
; %bb.731:
	s_cmp_gt_i32 s30, 6
	s_cbranch_scc0 .LBB150_733
; %bb.732:
	v_bfe_i32 v3, v2, 0, 8
	v_bfe_i32 v3, v3, 0, 16
	v_cvt_f64_i32_e32 v[6:7], v3
	s_mov_b64 s[28:29], 0
	global_store_dwordx2 v[0:1], v[6:7], off
.LBB150_733:
	s_andn2_b64 vcc, exec, s[28:29]
	s_cbranch_vccnz .LBB150_735
; %bb.734:
	v_bfe_i32 v3, v2, 0, 8
	v_cvt_f32_i32_sdwa v3, sext(v3) dst_sel:DWORD dst_unused:UNUSED_PAD src0_sel:WORD_0
	global_store_dword v[0:1], v3, off
.LBB150_735:
	s_mov_b64 s[28:29], 0
.LBB150_736:
	s_andn2_b64 vcc, exec, s[28:29]
	s_cbranch_vccnz .LBB150_738
; %bb.737:
	v_cvt_f16_i16_sdwa v3, sext(v2) dst_sel:DWORD dst_unused:UNUSED_PAD src0_sel:BYTE_0
	global_store_short v[0:1], v3, off
.LBB150_738:
	s_mov_b64 s[28:29], 0
.LBB150_739:
	s_andn2_b64 vcc, exec, s[28:29]
	s_cbranch_vccnz .LBB150_755
; %bb.740:
	s_cmp_lt_i32 s30, 2
	s_mov_b64 s[28:29], -1
	s_cbranch_scc1 .LBB150_750
; %bb.741:
	s_cmp_lt_i32 s30, 3
	s_cbranch_scc1 .LBB150_747
; %bb.742:
	s_cmp_gt_i32 s30, 3
	s_cbranch_scc0 .LBB150_744
; %bb.743:
	v_bfe_i32 v6, v2, 0, 8
	v_ashrrev_i32_e32 v7, 31, v6
	s_mov_b64 s[28:29], 0
	global_store_dwordx2 v[0:1], v[6:7], off
.LBB150_744:
	s_andn2_b64 vcc, exec, s[28:29]
	s_cbranch_vccnz .LBB150_746
; %bb.745:
	v_bfe_i32 v3, v2, 0, 8
	global_store_dword v[0:1], v3, off
.LBB150_746:
	s_mov_b64 s[28:29], 0
.LBB150_747:
	s_andn2_b64 vcc, exec, s[28:29]
	s_cbranch_vccnz .LBB150_749
; %bb.748:
	v_bfe_i32 v3, v2, 0, 8
	global_store_short v[0:1], v3, off
.LBB150_749:
	s_mov_b64 s[28:29], 0
.LBB150_750:
	s_andn2_b64 vcc, exec, s[28:29]
	s_cbranch_vccnz .LBB150_755
; %bb.751:
	s_cmp_gt_i32 s30, 0
	s_mov_b64 s[28:29], -1
	s_cbranch_scc0 .LBB150_753
; %bb.752:
	s_mov_b64 s[28:29], 0
	global_store_byte v[0:1], v2, off
.LBB150_753:
	s_andn2_b64 vcc, exec, s[28:29]
	s_cbranch_vccnz .LBB150_755
; %bb.754:
	global_store_byte v[0:1], v2, off
.LBB150_755:
	s_mov_b64 s[28:29], -1
.LBB150_756:
	s_andn2_b64 vcc, exec, s[28:29]
	s_cbranch_vccnz .LBB150_758
; %bb.757:
	v_add_u32_e32 v9, 0x80, v9
	s_mov_b64 s[30:31], -1
	s_branch .LBB150_759
.LBB150_758:
	s_mov_b64 s[30:31], 0
                                        ; implicit-def: $vgpr9
.LBB150_759:
	s_andn2_b64 s[28:29], s[20:21], exec
	s_and_b64 s[0:1], s[0:1], exec
	s_or_b64 s[28:29], s[28:29], s[0:1]
	s_andn2_b64 s[0:1], s[18:19], exec
	s_and_b64 s[26:27], s[26:27], exec
	s_or_b64 s[0:1], s[0:1], s[26:27]
	s_orn2_b64 s[34:35], s[30:31], exec
.LBB150_760:
	s_or_b64 exec, exec, s[24:25]
	s_mov_b64 s[30:31], 0
	s_mov_b64 s[26:27], 0
	;; [unrolled: 1-line block ×3, first 2 shown]
                                        ; implicit-def: $sgpr43
                                        ; implicit-def: $vgpr0_vgpr1
                                        ; implicit-def: $vgpr2
	s_and_saveexec_b64 s[24:25], s[34:35]
	s_cbranch_execz .LBB150_841
; %bb.761:
	v_cmp_gt_i32_e32 vcc, s38, v9
	s_mov_b64 s[34:35], 0
	s_mov_b64 s[38:39], s[0:1]
	;; [unrolled: 1-line block ×3, first 2 shown]
                                        ; implicit-def: $sgpr43
                                        ; implicit-def: $vgpr0_vgpr1
                                        ; implicit-def: $vgpr2
	s_and_saveexec_b64 s[26:27], vcc
	s_cbranch_execz .LBB150_840
; %bb.762:
	v_mul_lo_u32 v0, v9, s3
	v_mov_b32_e32 v1, s11
	s_and_b32 s43, s42, 0xff
	s_cmp_lt_i32 s43, 11
	s_waitcnt vmcnt(0)
	v_ashrrev_i32_e32 v2, 31, v0
	v_add_co_u32_e32 v0, vcc, s10, v0
	v_addc_co_u32_e32 v1, vcc, v1, v2, vcc
	s_cbranch_scc1 .LBB150_769
; %bb.763:
	s_and_b32 s40, 0xffff, s43
	s_cmp_gt_i32 s40, 25
	s_cbranch_scc0 .LBB150_770
; %bb.764:
	s_cmp_gt_i32 s40, 28
	s_cbranch_scc0 .LBB150_771
; %bb.765:
	s_cmp_gt_i32 s40, 43
	s_cbranch_scc0 .LBB150_772
; %bb.766:
	s_cmp_gt_i32 s40, 45
	s_cbranch_scc0 .LBB150_775
; %bb.767:
	s_cmp_eq_u32 s40, 46
	s_mov_b64 s[38:39], 0
	s_cbranch_scc0 .LBB150_778
; %bb.768:
	global_load_dword v2, v[0:1], off
	s_mov_b64 s[36:37], -1
	s_waitcnt vmcnt(0)
	v_lshlrev_b32_e32 v2, 16, v2
	v_cvt_i32_f32_e32 v2, v2
	s_branch .LBB150_780
.LBB150_769:
	s_mov_b64 s[38:39], -1
                                        ; implicit-def: $vgpr2
	s_mov_b64 s[30:31], s[0:1]
	s_branch .LBB150_839
.LBB150_770:
	s_mov_b64 s[38:39], -1
	s_mov_b64 s[30:31], s[0:1]
                                        ; implicit-def: $vgpr2
	s_branch .LBB150_807
.LBB150_771:
	s_mov_b64 s[38:39], -1
	s_mov_b64 s[30:31], s[0:1]
                                        ; implicit-def: $vgpr2
	s_branch .LBB150_790
.LBB150_772:
	s_mov_b64 s[38:39], -1
	s_mov_b64 s[30:31], s[0:1]
                                        ; implicit-def: $vgpr2
	s_branch .LBB150_785
.LBB150_773:
	s_andn2_saveexec_b64 s[34:35], s[34:35]
	s_cbranch_execz .LBB150_669
.LBB150_774:
	s_mov_b32 s39, 0x46000000
	v_add_f32_e64 v6, |v3|, s39
	v_and_b32_e32 v6, 0xff, v6
	v_cmp_ne_u32_e32 vcc, 0, v6
	s_andn2_b64 s[30:31], s[30:31], exec
	s_and_b64 s[40:41], vcc, exec
	s_or_b64 s[30:31], s[30:31], s[40:41]
	s_or_b64 exec, exec, s[34:35]
	v_mov_b32_e32 v7, 0
	s_and_saveexec_b64 s[34:35], s[30:31]
	s_cbranch_execnz .LBB150_670
	s_branch .LBB150_671
.LBB150_775:
	s_mov_b64 s[38:39], -1
	s_mov_b64 s[30:31], s[0:1]
	s_branch .LBB150_779
.LBB150_776:
	s_andn2_saveexec_b64 s[34:35], s[34:35]
	s_cbranch_execz .LBB150_682
.LBB150_777:
	s_mov_b32 s39, 0x42800000
	v_add_f32_e64 v6, |v3|, s39
	v_and_b32_e32 v6, 0xff, v6
	v_cmp_ne_u32_e32 vcc, 0, v6
	s_andn2_b64 s[30:31], s[30:31], exec
	s_and_b64 s[40:41], vcc, exec
	s_or_b64 s[30:31], s[30:31], s[40:41]
	s_or_b64 exec, exec, s[34:35]
	v_mov_b32_e32 v7, 0
	s_and_saveexec_b64 s[34:35], s[30:31]
	s_cbranch_execnz .LBB150_683
	s_branch .LBB150_684
.LBB150_778:
	s_mov_b64 s[30:31], -1
.LBB150_779:
                                        ; implicit-def: $vgpr2
.LBB150_780:
	s_and_b64 vcc, exec, s[38:39]
	s_cbranch_vccz .LBB150_784
; %bb.781:
	s_cmp_eq_u32 s40, 44
	s_cbranch_scc0 .LBB150_783
; %bb.782:
	global_load_ubyte v2, v[0:1], off
	s_mov_b64 s[30:31], 0
	s_mov_b64 s[36:37], -1
	s_waitcnt vmcnt(0)
	v_lshlrev_b32_e32 v3, 23, v2
	v_cvt_i32_f32_e32 v3, v3
	v_cmp_ne_u32_e32 vcc, 0, v2
	v_cndmask_b32_e32 v2, 0, v3, vcc
	s_branch .LBB150_784
.LBB150_783:
	s_mov_b64 s[30:31], -1
                                        ; implicit-def: $vgpr2
.LBB150_784:
	s_mov_b64 s[38:39], 0
.LBB150_785:
	s_and_b64 vcc, exec, s[38:39]
	s_cbranch_vccz .LBB150_789
; %bb.786:
	s_cmp_eq_u32 s40, 29
	s_cbranch_scc0 .LBB150_788
; %bb.787:
	global_load_dwordx2 v[2:3], v[0:1], off
	s_mov_b64 s[30:31], 0
	s_mov_b64 s[36:37], -1
	s_branch .LBB150_789
.LBB150_788:
	s_mov_b64 s[30:31], -1
                                        ; implicit-def: $vgpr2
.LBB150_789:
	s_mov_b64 s[38:39], 0
.LBB150_790:
	s_and_b64 vcc, exec, s[38:39]
	s_cbranch_vccz .LBB150_806
; %bb.791:
	s_cmp_lt_i32 s40, 27
	s_cbranch_scc1 .LBB150_794
; %bb.792:
	s_cmp_gt_i32 s40, 27
	s_cbranch_scc0 .LBB150_795
; %bb.793:
	global_load_dword v2, v[0:1], off
	s_mov_b64 s[36:37], 0
	s_branch .LBB150_796
.LBB150_794:
	s_mov_b64 s[36:37], -1
                                        ; implicit-def: $vgpr2
	s_branch .LBB150_799
.LBB150_795:
	s_mov_b64 s[36:37], -1
                                        ; implicit-def: $vgpr2
.LBB150_796:
	s_andn2_b64 vcc, exec, s[36:37]
	s_cbranch_vccnz .LBB150_798
; %bb.797:
	global_load_ushort v2, v[0:1], off
.LBB150_798:
	s_mov_b64 s[36:37], 0
.LBB150_799:
	s_andn2_b64 vcc, exec, s[36:37]
	s_cbranch_vccnz .LBB150_805
; %bb.800:
	global_load_ubyte v3, v[0:1], off
	s_movk_i32 s36, 0x7f
	s_mov_b64 s[38:39], 0
	s_waitcnt vmcnt(0)
	v_cmp_lt_i16_e32 vcc, s36, v3
	s_and_saveexec_b64 s[36:37], vcc
	s_xor_b64 s[36:37], exec, s[36:37]
	s_cbranch_execz .LBB150_817
; %bb.801:
	s_movk_i32 s38, 0x80
	v_cmp_ne_u16_e32 vcc, s38, v3
	s_and_b64 s[38:39], vcc, exec
	s_andn2_saveexec_b64 s[36:37], s[36:37]
	s_cbranch_execnz .LBB150_818
.LBB150_802:
	s_or_b64 exec, exec, s[36:37]
	v_mov_b32_e32 v2, 0
	s_and_saveexec_b64 s[36:37], s[38:39]
	s_cbranch_execz .LBB150_804
.LBB150_803:
	v_lshlrev_b32_e32 v2, 24, v3
	v_and_b32_e32 v3, 0xffff, v3
	v_and_b32_e32 v6, 7, v3
	v_ffbh_u32_e32 v8, v6
	v_min_u32_e32 v8, 32, v8
	v_subrev_u32_e32 v10, 28, v8
	v_bfe_u32 v7, v3, 3, 4
	v_lshlrev_b32_e32 v3, v10, v3
	v_sub_u32_e32 v8, 29, v8
	v_and_b32_e32 v3, 7, v3
	v_cmp_eq_u32_e32 vcc, 0, v7
	v_cndmask_b32_e32 v7, v7, v8, vcc
	v_cndmask_b32_e32 v3, v6, v3, vcc
	v_mov_b32_e32 v6, 0x3b800000
	v_lshlrev_b32_e32 v3, 20, v3
	v_and_b32_e32 v2, 0x80000000, v2
	v_lshl_add_u32 v6, v7, 23, v6
	v_or3_b32 v2, v2, v6, v3
	v_cvt_i32_f32_e32 v2, v2
.LBB150_804:
	s_or_b64 exec, exec, s[36:37]
.LBB150_805:
	s_mov_b64 s[36:37], -1
.LBB150_806:
	s_mov_b64 s[38:39], 0
.LBB150_807:
	s_and_b64 vcc, exec, s[38:39]
	s_cbranch_vccz .LBB150_838
; %bb.808:
	s_cmp_gt_i32 s40, 22
	s_cbranch_scc0 .LBB150_816
; %bb.809:
	s_cmp_lt_i32 s40, 24
	s_cbranch_scc1 .LBB150_819
; %bb.810:
	s_cmp_gt_i32 s40, 24
	s_cbranch_scc0 .LBB150_820
; %bb.811:
	global_load_ubyte v3, v[0:1], off
	s_movk_i32 s34, 0x7f
	s_mov_b64 s[36:37], 0
	s_waitcnt vmcnt(0)
	v_cmp_lt_i16_e32 vcc, s34, v3
	s_and_saveexec_b64 s[34:35], vcc
	s_xor_b64 s[34:35], exec, s[34:35]
	s_cbranch_execz .LBB150_832
; %bb.812:
	s_movk_i32 s36, 0x80
	v_cmp_ne_u16_e32 vcc, s36, v3
	s_and_b64 s[36:37], vcc, exec
	s_andn2_saveexec_b64 s[34:35], s[34:35]
	s_cbranch_execnz .LBB150_833
.LBB150_813:
	s_or_b64 exec, exec, s[34:35]
	v_mov_b32_e32 v2, 0
	s_and_saveexec_b64 s[34:35], s[36:37]
	s_cbranch_execz .LBB150_815
.LBB150_814:
	v_lshlrev_b32_e32 v2, 24, v3
	v_and_b32_e32 v3, 0xffff, v3
	v_and_b32_e32 v6, 3, v3
	v_ffbh_u32_e32 v8, v6
	v_min_u32_e32 v8, 32, v8
	v_subrev_u32_e32 v10, 29, v8
	v_bfe_u32 v7, v3, 2, 5
	v_lshlrev_b32_e32 v3, v10, v3
	v_sub_u32_e32 v8, 30, v8
	v_and_b32_e32 v3, 3, v3
	v_cmp_eq_u32_e32 vcc, 0, v7
	v_cndmask_b32_e32 v7, v7, v8, vcc
	v_cndmask_b32_e32 v3, v6, v3, vcc
	v_mov_b32_e32 v6, 0x37800000
	v_lshlrev_b32_e32 v3, 21, v3
	v_and_b32_e32 v2, 0x80000000, v2
	v_lshl_add_u32 v6, v7, 23, v6
	v_or3_b32 v2, v2, v6, v3
	v_cvt_i32_f32_e32 v2, v2
.LBB150_815:
	s_or_b64 exec, exec, s[34:35]
	s_mov_b64 s[34:35], 0
	s_branch .LBB150_821
.LBB150_816:
	s_mov_b64 s[34:35], -1
                                        ; implicit-def: $vgpr2
	s_branch .LBB150_827
.LBB150_817:
	s_andn2_saveexec_b64 s[36:37], s[36:37]
	s_cbranch_execz .LBB150_802
.LBB150_818:
	v_cmp_ne_u16_e32 vcc, 0, v3
	s_andn2_b64 s[38:39], s[38:39], exec
	s_and_b64 s[44:45], vcc, exec
	s_or_b64 s[38:39], s[38:39], s[44:45]
	s_or_b64 exec, exec, s[36:37]
	v_mov_b32_e32 v2, 0
	s_and_saveexec_b64 s[36:37], s[38:39]
	s_cbranch_execnz .LBB150_803
	s_branch .LBB150_804
.LBB150_819:
	s_mov_b64 s[34:35], -1
                                        ; implicit-def: $vgpr2
	s_branch .LBB150_824
.LBB150_820:
	s_mov_b64 s[34:35], -1
                                        ; implicit-def: $vgpr2
.LBB150_821:
	s_and_b64 vcc, exec, s[34:35]
	s_cbranch_vccz .LBB150_823
; %bb.822:
	global_load_ubyte v2, v[0:1], off
	s_mov_b32 s34, 0x7f800000
	s_waitcnt vmcnt(0)
	v_lshlrev_b32_e32 v2, 24, v2
	v_and_b32_e32 v3, 0x7f000000, v2
	v_ffbh_u32_e32 v6, v3
	v_min_u32_e32 v6, 32, v6
	v_sub_u32_e64 v6, v6, 4 clamp
	v_lshlrev_b32_e32 v8, v6, v3
	v_lshlrev_b32_e32 v6, 23, v6
	v_lshrrev_b32_e32 v8, 4, v8
	v_add_u32_e32 v7, 0x1000000, v3
	v_sub_u32_e32 v6, v8, v6
	v_ashrrev_i32_e32 v7, 8, v7
	v_add_u32_e32 v6, 0x3c000000, v6
	v_and_or_b32 v6, v7, s34, v6
	v_cmp_ne_u32_e32 vcc, 0, v3
	v_cndmask_b32_e32 v3, 0, v6, vcc
	s_brev_b32 s34, 1
	v_and_or_b32 v2, v2, s34, v3
	v_cvt_i32_f32_e32 v2, v2
.LBB150_823:
	s_mov_b64 s[34:35], 0
.LBB150_824:
	s_andn2_b64 vcc, exec, s[34:35]
	s_cbranch_vccnz .LBB150_826
; %bb.825:
	global_load_ubyte v2, v[0:1], off
	s_movk_i32 s34, 0x7f00
	s_brev_b32 s35, 16
	s_waitcnt vmcnt(0)
	v_lshlrev_b16_e32 v3, 8, v2
	v_lshlrev_b32_e32 v2, 25, v2
	v_lshrrev_b32_e32 v6, 4, v2
	v_and_or_b32 v7, v3, s34, 0.5
	v_or_b32_e32 v6, 0x70000000, v6
	v_add_f32_e32 v7, -0.5, v7
	v_mul_f32_e32 v6, 0x7800000, v6
	v_cmp_gt_u32_e32 vcc, s35, v2
	v_bfe_i32 v3, v3, 0, 16
	v_cndmask_b32_e32 v2, v6, v7, vcc
	s_brev_b32 s34, 1
	v_and_or_b32 v2, v3, s34, v2
	v_cvt_i32_f32_e32 v2, v2
.LBB150_826:
	s_mov_b64 s[34:35], 0
	s_mov_b64 s[36:37], -1
.LBB150_827:
	s_andn2_b64 vcc, exec, s[34:35]
	s_mov_b64 s[34:35], 0
	s_cbranch_vccnz .LBB150_838
; %bb.828:
	s_cmp_gt_i32 s40, 14
	s_cbranch_scc0 .LBB150_831
; %bb.829:
	s_cmp_eq_u32 s40, 15
	s_cbranch_scc0 .LBB150_834
; %bb.830:
	global_load_ushort v2, v[0:1], off
	s_mov_b64 s[30:31], 0
	s_mov_b64 s[36:37], -1
	s_waitcnt vmcnt(0)
	v_lshlrev_b32_e32 v2, 16, v2
	v_cvt_i32_f32_e32 v2, v2
	s_branch .LBB150_835
.LBB150_831:
	s_mov_b64 s[38:39], -1
                                        ; implicit-def: $vgpr2
	s_branch .LBB150_836
.LBB150_832:
	s_andn2_saveexec_b64 s[34:35], s[34:35]
	s_cbranch_execz .LBB150_813
.LBB150_833:
	v_cmp_ne_u16_e32 vcc, 0, v3
	s_andn2_b64 s[36:37], s[36:37], exec
	s_and_b64 s[38:39], vcc, exec
	s_or_b64 s[36:37], s[36:37], s[38:39]
	s_or_b64 exec, exec, s[34:35]
	v_mov_b32_e32 v2, 0
	s_and_saveexec_b64 s[34:35], s[36:37]
	s_cbranch_execnz .LBB150_814
	s_branch .LBB150_815
.LBB150_834:
	s_mov_b64 s[30:31], -1
                                        ; implicit-def: $vgpr2
.LBB150_835:
	s_mov_b64 s[38:39], 0
.LBB150_836:
	s_and_b64 vcc, exec, s[38:39]
	s_cbranch_vccz .LBB150_838
; %bb.837:
	s_cmp_lg_u32 s40, 11
	s_cselect_b64 s[38:39], -1, 0
	s_andn2_b64 s[30:31], s[30:31], exec
	s_and_b64 s[38:39], s[38:39], exec
	s_mov_b64 s[34:35], -1
	s_or_b64 s[30:31], s[30:31], s[38:39]
.LBB150_838:
	s_mov_b64 s[38:39], 0
.LBB150_839:
	s_and_b64 s[40:41], s[38:39], exec
	s_andn2_b64 s[38:39], s[0:1], exec
	s_and_b64 s[30:31], s[30:31], exec
	s_and_b64 s[36:37], s[36:37], exec
	;; [unrolled: 1-line block ×3, first 2 shown]
	s_or_b64 s[38:39], s[38:39], s[30:31]
.LBB150_840:
	s_or_b64 exec, exec, s[26:27]
	s_and_b64 s[30:31], s[34:35], exec
	s_andn2_b64 s[0:1], s[0:1], exec
	s_and_b64 s[34:35], s[38:39], exec
	s_and_b64 s[36:37], s[36:37], exec
	;; [unrolled: 1-line block ×3, first 2 shown]
	s_or_b64 s[0:1], s[0:1], s[34:35]
.LBB150_841:
	s_or_b64 exec, exec, s[24:25]
	s_andn2_b64 s[20:21], s[20:21], exec
	s_and_b64 s[24:25], s[28:29], exec
	s_andn2_b64 s[18:19], s[18:19], exec
	s_and_b64 s[0:1], s[0:1], exec
	s_or_b64 s[20:21], s[20:21], s[24:25]
	s_and_b64 s[28:29], s[36:37], exec
	s_and_b64 s[26:27], s[26:27], exec
	;; [unrolled: 1-line block ×3, first 2 shown]
	s_or_b64 s[18:19], s[18:19], s[0:1]
.LBB150_842:
	s_or_b64 exec, exec, s[22:23]
	s_andn2_b64 s[0:1], s[6:7], exec
	s_and_b64 s[6:7], s[20:21], exec
	s_andn2_b64 s[14:15], s[14:15], exec
	s_and_b64 s[18:19], s[18:19], exec
	s_or_b64 s[6:7], s[0:1], s[6:7]
	s_and_b64 s[0:1], s[28:29], exec
	s_and_b64 s[22:23], s[26:27], exec
	;; [unrolled: 1-line block ×3, first 2 shown]
	s_or_b64 s[14:15], s[14:15], s[18:19]
	s_or_b64 exec, exec, s[16:17]
	s_mov_b64 s[16:17], 0
	s_and_saveexec_b64 s[18:19], s[14:15]
	s_cbranch_execz .LBB150_258
.LBB150_843:
	s_mov_b64 s[16:17], exec
	s_andn2_b64 s[20:21], s[20:21], exec
	s_trap 2
	s_or_b64 exec, exec, s[18:19]
	s_and_saveexec_b64 s[14:15], s[20:21]
	s_xor_b64 s[14:15], exec, s[14:15]
	s_cbranch_execnz .LBB150_259
.LBB150_844:
	s_or_b64 exec, exec, s[14:15]
	s_and_saveexec_b64 s[14:15], s[22:23]
	s_cbranch_execz .LBB150_890
.LBB150_845:
	s_sext_i32_i16 s18, s43
	s_cmp_lt_i32 s18, 5
	s_cbranch_scc1 .LBB150_850
; %bb.846:
	s_cmp_lt_i32 s18, 8
	s_cbranch_scc1 .LBB150_851
; %bb.847:
	;; [unrolled: 3-line block ×3, first 2 shown]
	s_cmp_gt_i32 s18, 9
	s_cbranch_scc0 .LBB150_853
; %bb.849:
	global_load_dwordx2 v[2:3], v[0:1], off
	s_mov_b64 s[18:19], 0
	s_waitcnt vmcnt(0)
	v_cvt_i32_f64_e32 v2, v[2:3]
	s_branch .LBB150_854
.LBB150_850:
                                        ; implicit-def: $vgpr2
	s_branch .LBB150_871
.LBB150_851:
                                        ; implicit-def: $vgpr2
	s_branch .LBB150_860
.LBB150_852:
	s_mov_b64 s[18:19], -1
                                        ; implicit-def: $vgpr2
	s_branch .LBB150_857
.LBB150_853:
	s_mov_b64 s[18:19], -1
                                        ; implicit-def: $vgpr2
.LBB150_854:
	s_andn2_b64 vcc, exec, s[18:19]
	s_cbranch_vccnz .LBB150_856
; %bb.855:
	global_load_dword v2, v[0:1], off
	s_waitcnt vmcnt(0)
	v_cvt_i32_f32_e32 v2, v2
.LBB150_856:
	s_mov_b64 s[18:19], 0
.LBB150_857:
	s_andn2_b64 vcc, exec, s[18:19]
	s_cbranch_vccnz .LBB150_859
; %bb.858:
	global_load_dword v2, v[0:1], off
	s_waitcnt vmcnt(0)
	v_cvt_i16_f16_e32 v2, v2
.LBB150_859:
	s_cbranch_execnz .LBB150_870
.LBB150_860:
	s_sext_i32_i16 s18, s43
	s_cmp_lt_i32 s18, 6
	s_cbranch_scc1 .LBB150_863
; %bb.861:
	s_cmp_gt_i32 s18, 6
	s_cbranch_scc0 .LBB150_864
; %bb.862:
	global_load_dwordx2 v[2:3], v[0:1], off
	s_mov_b64 s[18:19], 0
	s_waitcnt vmcnt(0)
	v_cvt_i32_f64_e32 v2, v[2:3]
	s_branch .LBB150_865
.LBB150_863:
	s_mov_b64 s[18:19], -1
                                        ; implicit-def: $vgpr2
	s_branch .LBB150_868
.LBB150_864:
	s_mov_b64 s[18:19], -1
                                        ; implicit-def: $vgpr2
.LBB150_865:
	s_andn2_b64 vcc, exec, s[18:19]
	s_cbranch_vccnz .LBB150_867
; %bb.866:
	global_load_dword v2, v[0:1], off
	s_waitcnt vmcnt(0)
	v_cvt_i32_f32_e32 v2, v2
.LBB150_867:
	s_mov_b64 s[18:19], 0
.LBB150_868:
	s_andn2_b64 vcc, exec, s[18:19]
	s_cbranch_vccnz .LBB150_870
; %bb.869:
	global_load_ushort v2, v[0:1], off
	s_waitcnt vmcnt(0)
	v_cvt_i16_f16_e32 v2, v2
.LBB150_870:
	s_cbranch_execnz .LBB150_889
.LBB150_871:
	s_sext_i32_i16 s18, s43
	s_cmp_lt_i32 s18, 2
	s_cbranch_scc1 .LBB150_875
; %bb.872:
	s_cmp_lt_i32 s18, 3
	s_cbranch_scc1 .LBB150_876
; %bb.873:
	s_cmp_gt_i32 s18, 3
	s_cbranch_scc0 .LBB150_877
; %bb.874:
	global_load_dwordx2 v[2:3], v[0:1], off
	s_mov_b64 s[18:19], 0
	s_branch .LBB150_878
.LBB150_875:
                                        ; implicit-def: $vgpr2
	s_branch .LBB150_884
.LBB150_876:
	s_mov_b64 s[18:19], -1
                                        ; implicit-def: $vgpr2
	s_branch .LBB150_881
.LBB150_877:
	s_mov_b64 s[18:19], -1
                                        ; implicit-def: $vgpr2
.LBB150_878:
	s_andn2_b64 vcc, exec, s[18:19]
	s_cbranch_vccnz .LBB150_880
; %bb.879:
	global_load_dword v2, v[0:1], off
.LBB150_880:
	s_mov_b64 s[18:19], 0
.LBB150_881:
	s_andn2_b64 vcc, exec, s[18:19]
	s_cbranch_vccnz .LBB150_883
; %bb.882:
	global_load_ushort v2, v[0:1], off
.LBB150_883:
	s_cbranch_execnz .LBB150_889
.LBB150_884:
	s_sext_i32_i16 s18, s43
	s_cmp_gt_i32 s18, 0
	s_cbranch_scc0 .LBB150_886
; %bb.885:
	global_load_ubyte v2, v[0:1], off
	s_mov_b64 s[18:19], 0
	s_branch .LBB150_887
.LBB150_886:
	s_mov_b64 s[18:19], -1
                                        ; implicit-def: $vgpr2
.LBB150_887:
	s_andn2_b64 vcc, exec, s[18:19]
	s_cbranch_vccnz .LBB150_889
; %bb.888:
	global_load_ubyte v2, v[0:1], off
.LBB150_889:
	s_or_b64 s[0:1], s[0:1], exec
.LBB150_890:
	s_or_b64 exec, exec, s[14:15]
	s_mov_b64 s[20:21], 0
	s_mov_b64 s[18:19], 0
                                        ; implicit-def: $sgpr26
                                        ; implicit-def: $vgpr0_vgpr1
                                        ; implicit-def: $vgpr3
	s_and_saveexec_b64 s[14:15], s[0:1]
	s_cbranch_execz .LBB150_898
; %bb.891:
	v_mul_lo_u32 v1, v9, s2
	v_mov_b32_e32 v0, 6
	s_waitcnt vmcnt(0)
	v_ashrrev_i32_e32 v3, v2, v4
	v_cmp_gt_u16_sdwa vcc, v2, v0 src0_sel:BYTE_0 src1_sel:DWORD
	v_cndmask_b32_e32 v3, v3, v5, vcc
	v_ashrrev_i32_e32 v2, 31, v1
	v_mov_b32_e32 v4, s9
	s_and_b32 s26, s33, 0xff
	v_add_co_u32_e32 v0, vcc, s8, v1
	s_cmp_lt_i32 s26, 11
	v_addc_co_u32_e32 v1, vcc, v4, v2, vcc
	s_cbranch_scc1 .LBB150_901
; %bb.892:
	s_and_b32 s27, 0xffff, s26
	s_mov_b64 s[20:21], -1
	s_cmp_gt_i32 s27, 25
	s_mov_b64 s[0:1], s[6:7]
	s_cbranch_scc0 .LBB150_929
; %bb.893:
	s_mov_b64 s[18:19], -1
	s_cmp_gt_i32 s27, 28
	s_mov_b64 s[0:1], s[6:7]
	s_cbranch_scc0 .LBB150_913
; %bb.894:
	s_cmp_gt_i32 s27, 43
	s_mov_b64 s[0:1], s[6:7]
	s_cbranch_scc0 .LBB150_909
; %bb.895:
	;; [unrolled: 4-line block ×3, first 2 shown]
	s_cmp_eq_u32 s27, 46
	s_mov_b64 s[0:1], -1
	s_cbranch_scc0 .LBB150_902
; %bb.897:
	v_bfe_i32 v2, v3, 0, 8
	v_cvt_f32_i32_sdwa v2, sext(v2) dst_sel:DWORD dst_unused:UNUSED_PAD src0_sel:WORD_0
	s_movk_i32 s0, 0x7fff
	s_mov_b64 s[18:19], 0
	v_bfe_u32 v4, v2, 16, 1
	v_add3_u32 v2, v2, v4, s0
	v_lshrrev_b32_e32 v2, 16, v2
	global_store_dword v[0:1], v2, off
	s_mov_b64 s[0:1], 0
	s_branch .LBB150_903
.LBB150_898:
	s_or_b64 exec, exec, s[14:15]
	s_and_saveexec_b64 s[0:1], s[6:7]
	s_cbranch_execnz .LBB150_971
.LBB150_899:
	s_or_b64 exec, exec, s[0:1]
	s_and_saveexec_b64 s[0:1], s[20:21]
	s_xor_b64 s[0:1], exec, s[0:1]
	s_cbranch_execz .LBB150_972
.LBB150_900:
	s_waitcnt vmcnt(0)
	v_mov_b32_e32 v2, 0
	v_cmp_ne_u16_sdwa s[6:7], v3, v2 src0_sel:BYTE_0 src1_sel:DWORD
	v_cndmask_b32_e64 v2, 0, 1, s[6:7]
	global_store_byte v[0:1], v2, off
	s_or_b64 exec, exec, s[0:1]
	s_and_saveexec_b64 s[0:1], s[18:19]
	s_xor_b64 s[0:1], exec, s[0:1]
	s_cbranch_execz .LBB150_1010
	s_branch .LBB150_973
.LBB150_901:
	s_mov_b64 s[18:19], -1
	s_mov_b64 s[0:1], s[6:7]
	s_branch .LBB150_970
.LBB150_902:
	s_mov_b64 s[18:19], 0
.LBB150_903:
	s_and_b64 vcc, exec, s[18:19]
	s_cbranch_vccz .LBB150_908
; %bb.904:
	s_cmp_eq_u32 s27, 44
	s_mov_b64 s[0:1], -1
	s_cbranch_scc0 .LBB150_908
; %bb.905:
	v_bfe_i32 v2, v3, 0, 8
	v_cvt_f32_i32_sdwa v2, sext(v2) dst_sel:DWORD dst_unused:UNUSED_PAD src0_sel:WORD_0
	s_movk_i32 s0, 0xff
	v_mov_b32_e32 v5, 0xff
	v_bfe_u32 v4, v2, 23, 8
	v_cmp_ne_u32_e32 vcc, s0, v4
	s_and_saveexec_b64 s[18:19], vcc
; %bb.906:
	s_mov_b32 s0, 0x3fffff
	v_lshrrev_b32_e32 v5, 23, v2
	v_and_b32_e32 v6, 0x400000, v2
	v_and_or_b32 v2, v2, s0, v4
	v_cmp_ne_u32_e32 vcc, 0, v6
	v_cmp_ne_u32_e64 s[0:1], 0, v2
	s_and_b64 s[0:1], vcc, s[0:1]
	v_cndmask_b32_e64 v2, 0, 1, s[0:1]
	v_add_u32_e32 v5, v5, v2
; %bb.907:
	s_or_b64 exec, exec, s[18:19]
	s_mov_b64 s[0:1], 0
	global_store_byte v[0:1], v5, off
.LBB150_908:
	s_mov_b64 s[18:19], 0
.LBB150_909:
	s_and_b64 vcc, exec, s[18:19]
	s_cbranch_vccz .LBB150_912
; %bb.910:
	s_cmp_eq_u32 s27, 29
	s_mov_b64 s[0:1], -1
	s_cbranch_scc0 .LBB150_912
; %bb.911:
	v_bfe_i32 v4, v3, 0, 8
	v_ashrrev_i32_e32 v5, 31, v4
	global_store_dwordx2 v[0:1], v[4:5], off
	s_mov_b64 s[0:1], 0
.LBB150_912:
	s_mov_b64 s[18:19], 0
.LBB150_913:
	s_and_b64 vcc, exec, s[18:19]
	s_cbranch_vccz .LBB150_928
; %bb.914:
	s_cmp_lt_i32 s27, 27
	s_mov_b64 s[18:19], -1
	s_cbranch_scc1 .LBB150_920
; %bb.915:
	s_cmp_gt_i32 s27, 27
	s_cbranch_scc0 .LBB150_917
; %bb.916:
	v_bfe_i32 v2, v3, 0, 8
	s_mov_b64 s[18:19], 0
	global_store_dword v[0:1], v2, off
.LBB150_917:
	s_andn2_b64 vcc, exec, s[18:19]
	s_cbranch_vccnz .LBB150_919
; %bb.918:
	v_bfe_i32 v2, v3, 0, 8
	global_store_short v[0:1], v2, off
.LBB150_919:
	s_mov_b64 s[18:19], 0
.LBB150_920:
	s_andn2_b64 vcc, exec, s[18:19]
	s_cbranch_vccnz .LBB150_928
; %bb.921:
	v_bfe_i32 v2, v3, 0, 8
	v_cvt_f32_i32_sdwa v2, sext(v2) dst_sel:DWORD dst_unused:UNUSED_PAD src0_sel:WORD_0
	s_mov_b32 s18, 0x43800000
	v_mov_b32_e32 v5, 0x80
	v_and_b32_e32 v4, 0x7fffffff, v2
	v_cmp_gt_u32_e32 vcc, s18, v4
	s_and_saveexec_b64 s[18:19], vcc
	s_cbranch_execz .LBB150_927
; %bb.922:
	s_mov_b32 s20, 0x3bffffff
	v_cmp_lt_u32_e32 vcc, s20, v4
	s_mov_b64 s[20:21], 0
                                        ; implicit-def: $vgpr4
	s_and_saveexec_b64 s[22:23], vcc
	s_xor_b64 s[22:23], exec, s[22:23]
	s_cbranch_execz .LBB150_1025
; %bb.923:
	v_bfe_u32 v4, v2, 20, 1
	s_mov_b32 s24, 0x487ffff
	v_add3_u32 v4, v2, v4, s24
	s_mov_b64 s[20:21], exec
	v_lshrrev_b32_e32 v4, 20, v4
	s_andn2_saveexec_b64 s[22:23], s[22:23]
	s_cbranch_execnz .LBB150_1026
.LBB150_924:
	s_or_b64 exec, exec, s[22:23]
	v_mov_b32_e32 v5, 0
	s_and_saveexec_b64 s[22:23], s[20:21]
.LBB150_925:
	v_lshrrev_b32_e32 v2, 24, v2
	s_movk_i32 s20, 0x80
	v_and_or_b32 v5, v2, s20, v4
.LBB150_926:
	s_or_b64 exec, exec, s[22:23]
.LBB150_927:
	s_or_b64 exec, exec, s[18:19]
	global_store_byte v[0:1], v5, off
.LBB150_928:
	s_mov_b64 s[20:21], 0
.LBB150_929:
	s_mov_b64 s[18:19], 0
	s_and_b64 vcc, exec, s[20:21]
	s_cbranch_vccz .LBB150_969
; %bb.930:
	s_cmp_gt_i32 s27, 22
	s_mov_b64 s[20:21], -1
	s_cbranch_scc0 .LBB150_962
; %bb.931:
	s_cmp_lt_i32 s27, 24
	s_cbranch_scc1 .LBB150_951
; %bb.932:
	s_cmp_gt_i32 s27, 24
	s_cbranch_scc0 .LBB150_940
; %bb.933:
	v_bfe_i32 v2, v3, 0, 8
	v_cvt_f32_i32_sdwa v2, sext(v2) dst_sel:DWORD dst_unused:UNUSED_PAD src0_sel:WORD_0
	s_mov_b32 s20, 0x47800000
	v_mov_b32_e32 v5, 0x80
	v_and_b32_e32 v4, 0x7fffffff, v2
	v_cmp_gt_u32_e32 vcc, s20, v4
	s_and_saveexec_b64 s[20:21], vcc
	s_cbranch_execz .LBB150_939
; %bb.934:
	s_mov_b32 s22, 0x37ffffff
	v_cmp_lt_u32_e32 vcc, s22, v4
	s_mov_b64 s[22:23], 0
                                        ; implicit-def: $vgpr4
	s_and_saveexec_b64 s[24:25], vcc
	s_xor_b64 s[24:25], exec, s[24:25]
	s_cbranch_execz .LBB150_1145
; %bb.935:
	v_bfe_u32 v4, v2, 21, 1
	s_mov_b32 s28, 0x88fffff
	v_add3_u32 v4, v2, v4, s28
	s_mov_b64 s[22:23], exec
	v_lshrrev_b32_e32 v4, 21, v4
	s_andn2_saveexec_b64 s[24:25], s[24:25]
	s_cbranch_execnz .LBB150_1146
.LBB150_936:
	s_or_b64 exec, exec, s[24:25]
	v_mov_b32_e32 v5, 0
	s_and_saveexec_b64 s[24:25], s[22:23]
.LBB150_937:
	v_lshrrev_b32_e32 v2, 24, v2
	s_movk_i32 s22, 0x80
	v_and_or_b32 v5, v2, s22, v4
.LBB150_938:
	s_or_b64 exec, exec, s[24:25]
.LBB150_939:
	s_or_b64 exec, exec, s[20:21]
	s_mov_b64 s[20:21], 0
	global_store_byte v[0:1], v5, off
.LBB150_940:
	s_and_b64 vcc, exec, s[20:21]
	s_cbranch_vccz .LBB150_950
; %bb.941:
	v_bfe_i32 v2, v3, 0, 8
	v_cvt_f32_i32_sdwa v2, sext(v2) dst_sel:DWORD dst_unused:UNUSED_PAD src0_sel:WORD_0
	s_mov_b32 s20, 0x43f00000
                                        ; implicit-def: $vgpr4
	v_and_b32_e32 v5, 0x7fffffff, v2
	v_cmp_gt_u32_e32 vcc, s20, v5
	s_and_saveexec_b64 s[20:21], vcc
	s_xor_b64 s[20:21], exec, s[20:21]
	s_cbranch_execz .LBB150_947
; %bb.942:
	s_mov_b32 s22, 0x3c7fffff
	v_cmp_lt_u32_e32 vcc, s22, v5
                                        ; implicit-def: $vgpr4
	s_and_saveexec_b64 s[22:23], vcc
	s_xor_b64 s[22:23], exec, s[22:23]
; %bb.943:
	v_bfe_u32 v4, v2, 20, 1
	s_mov_b32 s24, 0x407ffff
	v_add3_u32 v4, v2, v4, s24
	v_lshrrev_b32_e32 v5, 20, v4
	v_and_b32_e32 v4, 0xff00000, v4
	s_mov_b32 s24, 0x7f00000
	v_mov_b32_e32 v6, 0x7e
	v_cmp_ne_u32_e32 vcc, s24, v4
	v_cndmask_b32_e32 v4, v6, v5, vcc
; %bb.944:
	s_andn2_saveexec_b64 s[22:23], s[22:23]
; %bb.945:
	s_mov_b32 s24, 0x46800000
	v_add_f32_e64 v4, |v2|, s24
; %bb.946:
	s_or_b64 exec, exec, s[22:23]
                                        ; implicit-def: $vgpr5
.LBB150_947:
	s_andn2_saveexec_b64 s[20:21], s[20:21]
; %bb.948:
	s_mov_b32 s22, 0x7f800000
	v_mov_b32_e32 v4, 0x7e
	v_mov_b32_e32 v6, 0x7f
	v_cmp_lt_u32_e32 vcc, s22, v5
	v_cndmask_b32_e32 v4, v4, v6, vcc
; %bb.949:
	s_or_b64 exec, exec, s[20:21]
	v_lshrrev_b32_e32 v2, 24, v2
	s_movk_i32 s20, 0x80
	v_and_or_b32 v2, v2, s20, v4
	global_store_byte v[0:1], v2, off
.LBB150_950:
	s_mov_b64 s[20:21], 0
.LBB150_951:
	s_andn2_b64 vcc, exec, s[20:21]
	s_cbranch_vccnz .LBB150_961
; %bb.952:
	v_bfe_i32 v2, v3, 0, 8
	v_cvt_f32_i32_sdwa v2, sext(v2) dst_sel:DWORD dst_unused:UNUSED_PAD src0_sel:WORD_0
	s_mov_b32 s20, 0x47800000
                                        ; implicit-def: $vgpr4
	v_and_b32_e32 v5, 0x7fffffff, v2
	v_cmp_gt_u32_e32 vcc, s20, v5
	s_and_saveexec_b64 s[20:21], vcc
	s_xor_b64 s[20:21], exec, s[20:21]
	s_cbranch_execz .LBB150_958
; %bb.953:
	s_mov_b32 s22, 0x387fffff
	v_cmp_lt_u32_e32 vcc, s22, v5
                                        ; implicit-def: $vgpr4
	s_and_saveexec_b64 s[22:23], vcc
	s_xor_b64 s[22:23], exec, s[22:23]
; %bb.954:
	v_bfe_u32 v4, v2, 21, 1
	s_mov_b32 s24, 0x80fffff
	v_add3_u32 v4, v2, v4, s24
	v_lshrrev_b32_e32 v4, 21, v4
; %bb.955:
	s_andn2_saveexec_b64 s[22:23], s[22:23]
; %bb.956:
	s_mov_b32 s24, 0x43000000
	v_add_f32_e64 v4, |v2|, s24
; %bb.957:
	s_or_b64 exec, exec, s[22:23]
                                        ; implicit-def: $vgpr5
.LBB150_958:
	s_andn2_saveexec_b64 s[20:21], s[20:21]
; %bb.959:
	s_mov_b32 s22, 0x7f800000
	v_mov_b32_e32 v4, 0x7c
	v_mov_b32_e32 v6, 0x7f
	v_cmp_lt_u32_e32 vcc, s22, v5
	v_cndmask_b32_e32 v4, v4, v6, vcc
; %bb.960:
	s_or_b64 exec, exec, s[20:21]
	v_lshrrev_b32_e32 v2, 24, v2
	s_movk_i32 s20, 0x80
	v_and_or_b32 v2, v2, s20, v4
	global_store_byte v[0:1], v2, off
.LBB150_961:
	s_mov_b64 s[20:21], 0
.LBB150_962:
	s_andn2_b64 vcc, exec, s[20:21]
	s_mov_b64 s[20:21], 0
	s_cbranch_vccnz .LBB150_970
; %bb.963:
	s_cmp_gt_i32 s27, 14
	s_mov_b64 s[22:23], -1
	s_cbranch_scc0 .LBB150_967
; %bb.964:
	s_cmp_eq_u32 s27, 15
	s_mov_b64 s[0:1], -1
	s_cbranch_scc0 .LBB150_966
; %bb.965:
	v_bfe_i32 v2, v3, 0, 8
	v_cvt_f32_i32_sdwa v2, sext(v2) dst_sel:DWORD dst_unused:UNUSED_PAD src0_sel:WORD_0
	s_movk_i32 s0, 0x7fff
	v_bfe_u32 v4, v2, 16, 1
	v_add3_u32 v2, v2, v4, s0
	global_store_short_d16_hi v[0:1], v2, off
	s_mov_b64 s[0:1], 0
.LBB150_966:
	s_mov_b64 s[22:23], 0
.LBB150_967:
	s_and_b64 vcc, exec, s[22:23]
	s_cbranch_vccz .LBB150_970
; %bb.968:
	s_cmp_lg_u32 s27, 11
	s_cselect_b64 s[22:23], -1, 0
	s_andn2_b64 s[0:1], s[0:1], exec
	s_and_b64 s[22:23], s[22:23], exec
	s_mov_b64 s[20:21], -1
	s_or_b64 s[0:1], s[0:1], s[22:23]
	s_branch .LBB150_970
.LBB150_969:
	s_mov_b64 s[20:21], 0
.LBB150_970:
	s_andn2_b64 s[6:7], s[6:7], exec
	s_and_b64 s[0:1], s[0:1], exec
	s_and_b64 s[18:19], s[18:19], exec
	s_and_b64 s[20:21], s[20:21], exec
	s_or_b64 s[6:7], s[6:7], s[0:1]
	s_or_b64 exec, exec, s[14:15]
	s_and_saveexec_b64 s[0:1], s[6:7]
	s_cbranch_execz .LBB150_899
.LBB150_971:
	s_or_b64 s[16:17], s[16:17], exec
	s_andn2_b64 s[20:21], s[20:21], exec
	s_trap 2
	s_or_b64 exec, exec, s[0:1]
	s_and_saveexec_b64 s[0:1], s[20:21]
	s_xor_b64 s[0:1], exec, s[0:1]
	s_cbranch_execnz .LBB150_900
.LBB150_972:
	s_or_b64 exec, exec, s[0:1]
	s_and_saveexec_b64 s[0:1], s[18:19]
	s_xor_b64 s[0:1], exec, s[0:1]
	s_cbranch_execz .LBB150_1010
.LBB150_973:
	s_sext_i32_i16 s14, s26
	s_cmp_lt_i32 s14, 5
	s_mov_b64 s[6:7], -1
	s_cbranch_scc1 .LBB150_994
; %bb.974:
	s_cmp_lt_i32 s14, 8
	s_cbranch_scc1 .LBB150_984
; %bb.975:
	s_cmp_lt_i32 s14, 9
	s_cbranch_scc1 .LBB150_981
; %bb.976:
	s_cmp_gt_i32 s14, 9
	s_cbranch_scc0 .LBB150_978
; %bb.977:
	s_waitcnt vmcnt(0)
	v_bfe_i32 v2, v3, 0, 8
	v_bfe_i32 v2, v2, 0, 16
	v_cvt_f64_i32_e32 v[4:5], v2
	v_mov_b32_e32 v6, 0
	v_mov_b32_e32 v7, v6
	s_mov_b64 s[6:7], 0
	global_store_dwordx4 v[0:1], v[4:7], off
.LBB150_978:
	s_andn2_b64 vcc, exec, s[6:7]
	s_cbranch_vccnz .LBB150_980
; %bb.979:
	s_waitcnt vmcnt(0)
	v_bfe_i32 v2, v3, 0, 8
	v_cvt_f32_i32_sdwa v4, sext(v2) dst_sel:DWORD dst_unused:UNUSED_PAD src0_sel:WORD_0
	v_mov_b32_e32 v5, 0
	global_store_dwordx2 v[0:1], v[4:5], off
.LBB150_980:
	s_mov_b64 s[6:7], 0
.LBB150_981:
	s_andn2_b64 vcc, exec, s[6:7]
	s_cbranch_vccnz .LBB150_983
; %bb.982:
	s_waitcnt vmcnt(0)
	v_cvt_f16_i16_sdwa v2, sext(v3) dst_sel:DWORD dst_unused:UNUSED_PAD src0_sel:BYTE_0
	global_store_dword v[0:1], v2, off
.LBB150_983:
	s_mov_b64 s[6:7], 0
.LBB150_984:
	s_andn2_b64 vcc, exec, s[6:7]
	s_cbranch_vccnz .LBB150_993
; %bb.985:
	s_sext_i32_i16 s14, s26
	s_cmp_lt_i32 s14, 6
	s_mov_b64 s[6:7], -1
	s_cbranch_scc1 .LBB150_991
; %bb.986:
	s_cmp_gt_i32 s14, 6
	s_cbranch_scc0 .LBB150_988
; %bb.987:
	s_waitcnt vmcnt(0)
	v_bfe_i32 v2, v3, 0, 8
	v_bfe_i32 v2, v2, 0, 16
	v_cvt_f64_i32_e32 v[4:5], v2
	s_mov_b64 s[6:7], 0
	global_store_dwordx2 v[0:1], v[4:5], off
.LBB150_988:
	s_andn2_b64 vcc, exec, s[6:7]
	s_cbranch_vccnz .LBB150_990
; %bb.989:
	s_waitcnt vmcnt(0)
	v_bfe_i32 v2, v3, 0, 8
	v_cvt_f32_i32_sdwa v2, sext(v2) dst_sel:DWORD dst_unused:UNUSED_PAD src0_sel:WORD_0
	global_store_dword v[0:1], v2, off
.LBB150_990:
	s_mov_b64 s[6:7], 0
.LBB150_991:
	s_andn2_b64 vcc, exec, s[6:7]
	s_cbranch_vccnz .LBB150_993
; %bb.992:
	s_waitcnt vmcnt(0)
	v_cvt_f16_i16_sdwa v2, sext(v3) dst_sel:DWORD dst_unused:UNUSED_PAD src0_sel:BYTE_0
	global_store_short v[0:1], v2, off
.LBB150_993:
	s_mov_b64 s[6:7], 0
.LBB150_994:
	s_andn2_b64 vcc, exec, s[6:7]
	s_cbranch_vccnz .LBB150_1010
; %bb.995:
	s_sext_i32_i16 s14, s26
	s_cmp_lt_i32 s14, 2
	s_mov_b64 s[6:7], -1
	s_cbranch_scc1 .LBB150_1005
; %bb.996:
	s_cmp_lt_i32 s14, 3
	s_cbranch_scc1 .LBB150_1002
; %bb.997:
	s_cmp_gt_i32 s14, 3
	s_cbranch_scc0 .LBB150_999
; %bb.998:
	s_waitcnt vmcnt(0)
	v_bfe_i32 v4, v3, 0, 8
	v_ashrrev_i32_e32 v5, 31, v4
	s_mov_b64 s[6:7], 0
	global_store_dwordx2 v[0:1], v[4:5], off
.LBB150_999:
	s_andn2_b64 vcc, exec, s[6:7]
	s_cbranch_vccnz .LBB150_1001
; %bb.1000:
	s_waitcnt vmcnt(0)
	v_bfe_i32 v2, v3, 0, 8
	global_store_dword v[0:1], v2, off
.LBB150_1001:
	s_mov_b64 s[6:7], 0
.LBB150_1002:
	s_andn2_b64 vcc, exec, s[6:7]
	s_cbranch_vccnz .LBB150_1004
; %bb.1003:
	s_waitcnt vmcnt(0)
	v_bfe_i32 v2, v3, 0, 8
	global_store_short v[0:1], v2, off
.LBB150_1004:
	s_mov_b64 s[6:7], 0
.LBB150_1005:
	s_andn2_b64 vcc, exec, s[6:7]
	s_cbranch_vccnz .LBB150_1010
; %bb.1006:
	s_sext_i32_i16 s6, s26
	s_cmp_gt_i32 s6, 0
	s_mov_b64 s[6:7], -1
	s_cbranch_scc0 .LBB150_1008
; %bb.1007:
	s_mov_b64 s[6:7], 0
	s_waitcnt vmcnt(0)
	global_store_byte v[0:1], v3, off
.LBB150_1008:
	s_andn2_b64 vcc, exec, s[6:7]
	s_cbranch_vccnz .LBB150_1010
; %bb.1009:
	s_waitcnt vmcnt(0)
	global_store_byte v[0:1], v3, off
.LBB150_1010:
	s_or_b64 exec, exec, s[0:1]
	s_and_b64 s[6:7], s[16:17], exec
                                        ; implicit-def: $vgpr9
                                        ; implicit-def: $vgpr10
.LBB150_1011:
	s_or_saveexec_b64 s[4:5], s[4:5]
	s_mov_b64 s[0:1], 0
                                        ; implicit-def: $sgpr20
                                        ; implicit-def: $vgpr0_vgpr1
                                        ; implicit-def: $vgpr2
	s_xor_b64 exec, exec, s[4:5]
	s_cbranch_execz .LBB150_1942
; %bb.1012:
	s_waitcnt vmcnt(0)
	v_mul_lo_u32 v2, s3, v9
	v_mov_b32_e32 v1, s11
	s_and_b32 s20, s42, 0xff
	s_cmp_lt_i32 s20, 11
	v_ashrrev_i32_e32 v3, 31, v2
	v_add_co_u32_e32 v0, vcc, s10, v2
	v_addc_co_u32_e32 v1, vcc, v1, v3, vcc
	s_cbranch_scc1 .LBB150_1019
; %bb.1013:
	s_and_b32 s18, 0xffff, s20
	s_cmp_gt_i32 s18, 25
	s_cbranch_scc0 .LBB150_1021
; %bb.1014:
	s_cmp_gt_i32 s18, 28
	s_cbranch_scc0 .LBB150_1022
; %bb.1015:
	;; [unrolled: 3-line block ×4, first 2 shown]
	s_cmp_eq_u32 s18, 46
	s_mov_b64 s[14:15], 0
	s_cbranch_scc0 .LBB150_1027
; %bb.1018:
	global_load_dword v3, v[0:1], off
	s_mov_b64 s[16:17], -1
	s_waitcnt vmcnt(0)
	v_lshlrev_b32_e32 v3, 16, v3
	v_cvt_i32_f32_e32 v6, v3
	s_branch .LBB150_1028
.LBB150_1019:
	s_mov_b64 s[16:17], 0
                                        ; implicit-def: $vgpr6
	s_mov_b64 s[14:15], s[6:7]
	s_cbranch_execnz .LBB150_1086
.LBB150_1020:
	s_andn2_b64 vcc, exec, s[16:17]
	s_cbranch_vccz .LBB150_1131
	s_branch .LBB150_1940
.LBB150_1021:
	s_mov_b64 s[16:17], 0
                                        ; implicit-def: $vgpr6
	s_cbranch_execnz .LBB150_1053
	s_branch .LBB150_1082
.LBB150_1022:
	s_mov_b64 s[16:17], 0
                                        ; implicit-def: $vgpr6
	s_cbranch_execz .LBB150_1052
	s_branch .LBB150_1037
.LBB150_1023:
	s_mov_b64 s[16:17], 0
                                        ; implicit-def: $vgpr6
	s_cbranch_execnz .LBB150_1033
	s_branch .LBB150_1036
.LBB150_1024:
	s_mov_b64 s[14:15], -1
	s_mov_b64 s[16:17], 0
                                        ; implicit-def: $vgpr6
	s_branch .LBB150_1028
.LBB150_1025:
	s_andn2_saveexec_b64 s[22:23], s[22:23]
	s_cbranch_execz .LBB150_924
.LBB150_1026:
	s_mov_b32 s24, 0x46000000
	v_add_f32_e64 v4, |v2|, s24
	v_and_b32_e32 v4, 0xff, v4
	v_cmp_ne_u32_e32 vcc, 0, v4
	s_andn2_b64 s[20:21], s[20:21], exec
	s_and_b64 s[24:25], vcc, exec
	s_or_b64 s[20:21], s[20:21], s[24:25]
	s_or_b64 exec, exec, s[22:23]
	v_mov_b32_e32 v5, 0
	s_and_saveexec_b64 s[22:23], s[20:21]
	s_cbranch_execnz .LBB150_925
	s_branch .LBB150_926
.LBB150_1027:
	s_mov_b64 s[0:1], -1
                                        ; implicit-def: $vgpr6
	s_mov_b64 s[16:17], 0
.LBB150_1028:
	s_and_b64 vcc, exec, s[14:15]
	s_cbranch_vccz .LBB150_1031
; %bb.1029:
	s_cmp_eq_u32 s18, 44
	s_cbranch_scc0 .LBB150_1032
; %bb.1030:
	global_load_ubyte v3, v[0:1], off
	s_mov_b64 s[0:1], 0
	s_mov_b64 s[16:17], -1
	s_waitcnt vmcnt(0)
	v_lshlrev_b32_e32 v4, 23, v3
	v_cvt_i32_f32_e32 v4, v4
	v_cmp_ne_u32_e32 vcc, 0, v3
	v_cndmask_b32_e32 v6, 0, v4, vcc
.LBB150_1031:
	s_branch .LBB150_1036
.LBB150_1032:
	s_mov_b64 s[0:1], -1
                                        ; implicit-def: $vgpr6
	s_branch .LBB150_1036
.LBB150_1033:
	s_cmp_eq_u32 s18, 29
	s_cbranch_scc0 .LBB150_1035
; %bb.1034:
	global_load_dwordx2 v[6:7], v[0:1], off
	s_mov_b64 s[0:1], 0
	s_mov_b64 s[16:17], -1
	s_branch .LBB150_1036
.LBB150_1035:
	s_mov_b64 s[0:1], -1
                                        ; implicit-def: $vgpr6
.LBB150_1036:
	s_branch .LBB150_1052
.LBB150_1037:
	s_cmp_lt_i32 s18, 27
	s_cbranch_scc1 .LBB150_1040
; %bb.1038:
	s_cmp_gt_i32 s18, 27
	s_cbranch_scc0 .LBB150_1041
; %bb.1039:
	global_load_dword v6, v[0:1], off
	s_mov_b64 s[14:15], 0
	s_branch .LBB150_1042
.LBB150_1040:
	s_mov_b64 s[14:15], -1
                                        ; implicit-def: $vgpr6
	s_branch .LBB150_1045
.LBB150_1041:
	s_mov_b64 s[14:15], -1
                                        ; implicit-def: $vgpr6
.LBB150_1042:
	s_andn2_b64 vcc, exec, s[14:15]
	s_cbranch_vccnz .LBB150_1044
; %bb.1043:
	global_load_ushort v6, v[0:1], off
.LBB150_1044:
	s_mov_b64 s[14:15], 0
.LBB150_1045:
	s_andn2_b64 vcc, exec, s[14:15]
	s_cbranch_vccnz .LBB150_1051
; %bb.1046:
	global_load_ubyte v3, v[0:1], off
	s_movk_i32 s14, 0x7f
	s_mov_b64 s[16:17], 0
	s_waitcnt vmcnt(0)
	v_cmp_lt_i16_e32 vcc, s14, v3
	s_and_saveexec_b64 s[14:15], vcc
	s_xor_b64 s[14:15], exec, s[14:15]
	s_cbranch_execz .LBB150_1062
; %bb.1047:
	s_movk_i32 s16, 0x80
	v_cmp_ne_u16_e32 vcc, s16, v3
	s_and_b64 s[16:17], vcc, exec
	s_andn2_saveexec_b64 s[14:15], s[14:15]
	s_cbranch_execnz .LBB150_1063
.LBB150_1048:
	s_or_b64 exec, exec, s[14:15]
	v_mov_b32_e32 v6, 0
	s_and_saveexec_b64 s[14:15], s[16:17]
	s_cbranch_execz .LBB150_1050
.LBB150_1049:
	v_lshlrev_b32_e32 v4, 24, v3
	v_and_b32_e32 v3, 0xffff, v3
	v_and_b32_e32 v5, 7, v3
	v_ffbh_u32_e32 v7, v5
	v_min_u32_e32 v7, 32, v7
	v_subrev_u32_e32 v8, 28, v7
	v_bfe_u32 v6, v3, 3, 4
	v_lshlrev_b32_e32 v3, v8, v3
	v_sub_u32_e32 v7, 29, v7
	v_and_b32_e32 v3, 7, v3
	v_cmp_eq_u32_e32 vcc, 0, v6
	v_cndmask_b32_e32 v6, v6, v7, vcc
	v_cndmask_b32_e32 v3, v5, v3, vcc
	v_mov_b32_e32 v5, 0x3b800000
	v_lshlrev_b32_e32 v3, 20, v3
	v_and_b32_e32 v4, 0x80000000, v4
	v_lshl_add_u32 v5, v6, 23, v5
	v_or3_b32 v3, v4, v5, v3
	v_cvt_i32_f32_e32 v6, v3
.LBB150_1050:
	s_or_b64 exec, exec, s[14:15]
.LBB150_1051:
	s_mov_b64 s[16:17], -1
.LBB150_1052:
	s_branch .LBB150_1082
.LBB150_1053:
	s_cmp_gt_i32 s18, 22
	s_cbranch_scc0 .LBB150_1061
; %bb.1054:
	s_cmp_lt_i32 s18, 24
	s_cbranch_scc1 .LBB150_1064
; %bb.1055:
	s_cmp_gt_i32 s18, 24
	s_cbranch_scc0 .LBB150_1065
; %bb.1056:
	global_load_ubyte v3, v[0:1], off
	s_movk_i32 s12, 0x7f
	s_mov_b64 s[14:15], 0
	s_waitcnt vmcnt(0)
	v_cmp_lt_i16_e32 vcc, s12, v3
	s_and_saveexec_b64 s[12:13], vcc
	s_xor_b64 s[12:13], exec, s[12:13]
	s_cbranch_execz .LBB150_1076
; %bb.1057:
	s_movk_i32 s14, 0x80
	v_cmp_ne_u16_e32 vcc, s14, v3
	s_and_b64 s[14:15], vcc, exec
	s_andn2_saveexec_b64 s[12:13], s[12:13]
	s_cbranch_execnz .LBB150_1077
.LBB150_1058:
	s_or_b64 exec, exec, s[12:13]
	v_mov_b32_e32 v6, 0
	s_and_saveexec_b64 s[12:13], s[14:15]
	s_cbranch_execz .LBB150_1060
.LBB150_1059:
	v_lshlrev_b32_e32 v4, 24, v3
	v_and_b32_e32 v3, 0xffff, v3
	v_and_b32_e32 v5, 3, v3
	v_ffbh_u32_e32 v7, v5
	v_min_u32_e32 v7, 32, v7
	v_subrev_u32_e32 v8, 29, v7
	v_bfe_u32 v6, v3, 2, 5
	v_lshlrev_b32_e32 v3, v8, v3
	v_sub_u32_e32 v7, 30, v7
	v_and_b32_e32 v3, 3, v3
	v_cmp_eq_u32_e32 vcc, 0, v6
	v_cndmask_b32_e32 v6, v6, v7, vcc
	v_cndmask_b32_e32 v3, v5, v3, vcc
	v_mov_b32_e32 v5, 0x37800000
	v_lshlrev_b32_e32 v3, 21, v3
	v_and_b32_e32 v4, 0x80000000, v4
	v_lshl_add_u32 v5, v6, 23, v5
	v_or3_b32 v3, v4, v5, v3
	v_cvt_i32_f32_e32 v6, v3
.LBB150_1060:
	s_or_b64 exec, exec, s[12:13]
	s_mov_b64 s[12:13], 0
	s_branch .LBB150_1066
.LBB150_1061:
                                        ; implicit-def: $vgpr6
	s_mov_b64 s[12:13], 0
	s_branch .LBB150_1072
.LBB150_1062:
	s_andn2_saveexec_b64 s[14:15], s[14:15]
	s_cbranch_execz .LBB150_1048
.LBB150_1063:
	v_cmp_ne_u16_e32 vcc, 0, v3
	s_andn2_b64 s[16:17], s[16:17], exec
	s_and_b64 s[22:23], vcc, exec
	s_or_b64 s[16:17], s[16:17], s[22:23]
	s_or_b64 exec, exec, s[14:15]
	v_mov_b32_e32 v6, 0
	s_and_saveexec_b64 s[14:15], s[16:17]
	s_cbranch_execnz .LBB150_1049
	s_branch .LBB150_1050
.LBB150_1064:
	s_mov_b64 s[12:13], -1
                                        ; implicit-def: $vgpr6
	s_branch .LBB150_1069
.LBB150_1065:
	s_mov_b64 s[12:13], -1
                                        ; implicit-def: $vgpr6
.LBB150_1066:
	s_and_b64 vcc, exec, s[12:13]
	s_cbranch_vccz .LBB150_1068
; %bb.1067:
	global_load_ubyte v3, v[0:1], off
	s_mov_b32 s12, 0x7f800000
	s_waitcnt vmcnt(0)
	v_lshlrev_b32_e32 v3, 24, v3
	v_and_b32_e32 v4, 0x7f000000, v3
	v_ffbh_u32_e32 v5, v4
	v_min_u32_e32 v5, 32, v5
	v_sub_u32_e64 v5, v5, 4 clamp
	v_lshlrev_b32_e32 v7, v5, v4
	v_lshlrev_b32_e32 v5, 23, v5
	v_lshrrev_b32_e32 v7, 4, v7
	v_add_u32_e32 v6, 0x1000000, v4
	v_sub_u32_e32 v5, v7, v5
	v_ashrrev_i32_e32 v6, 8, v6
	v_add_u32_e32 v5, 0x3c000000, v5
	v_and_or_b32 v5, v6, s12, v5
	v_cmp_ne_u32_e32 vcc, 0, v4
	v_cndmask_b32_e32 v4, 0, v5, vcc
	s_brev_b32 s12, 1
	v_and_or_b32 v3, v3, s12, v4
	v_cvt_i32_f32_e32 v6, v3
.LBB150_1068:
	s_mov_b64 s[12:13], 0
.LBB150_1069:
	s_andn2_b64 vcc, exec, s[12:13]
	s_cbranch_vccnz .LBB150_1071
; %bb.1070:
	global_load_ubyte v3, v[0:1], off
	s_movk_i32 s12, 0x7f00
	s_brev_b32 s13, 16
	s_waitcnt vmcnt(0)
	v_lshlrev_b16_e32 v4, 8, v3
	v_lshlrev_b32_e32 v3, 25, v3
	v_lshrrev_b32_e32 v5, 4, v3
	v_and_or_b32 v6, v4, s12, 0.5
	v_or_b32_e32 v5, 0x70000000, v5
	v_add_f32_e32 v6, -0.5, v6
	v_mul_f32_e32 v5, 0x7800000, v5
	v_cmp_gt_u32_e32 vcc, s13, v3
	v_bfe_i32 v4, v4, 0, 16
	v_cndmask_b32_e32 v3, v5, v6, vcc
	s_brev_b32 s12, 1
	v_and_or_b32 v3, v4, s12, v3
	v_cvt_i32_f32_e32 v6, v3
.LBB150_1071:
	s_mov_b64 s[16:17], -1
	s_mov_b64 s[12:13], 0
	s_cbranch_execnz .LBB150_1082
.LBB150_1072:
	s_cmp_gt_i32 s18, 14
	s_cbranch_scc0 .LBB150_1075
; %bb.1073:
	s_cmp_eq_u32 s18, 15
	s_cbranch_scc0 .LBB150_1078
; %bb.1074:
	global_load_ushort v3, v[0:1], off
	s_mov_b64 s[0:1], 0
	s_mov_b64 s[16:17], -1
	s_waitcnt vmcnt(0)
	v_lshlrev_b32_e32 v3, 16, v3
	v_cvt_i32_f32_e32 v6, v3
	s_branch .LBB150_1079
.LBB150_1075:
	s_mov_b64 s[14:15], -1
                                        ; implicit-def: $vgpr6
	s_branch .LBB150_1080
.LBB150_1076:
	s_andn2_saveexec_b64 s[12:13], s[12:13]
	s_cbranch_execz .LBB150_1058
.LBB150_1077:
	v_cmp_ne_u16_e32 vcc, 0, v3
	s_andn2_b64 s[14:15], s[14:15], exec
	s_and_b64 s[16:17], vcc, exec
	s_or_b64 s[14:15], s[14:15], s[16:17]
	s_or_b64 exec, exec, s[12:13]
	v_mov_b32_e32 v6, 0
	s_and_saveexec_b64 s[12:13], s[14:15]
	s_cbranch_execnz .LBB150_1059
	s_branch .LBB150_1060
.LBB150_1078:
	s_mov_b64 s[0:1], -1
                                        ; implicit-def: $vgpr6
.LBB150_1079:
	s_mov_b64 s[14:15], 0
.LBB150_1080:
	s_and_b64 vcc, exec, s[14:15]
	s_cbranch_vccz .LBB150_1082
; %bb.1081:
	s_cmp_lg_u32 s18, 11
	s_mov_b64 s[12:13], -1
	s_cselect_b64 s[0:1], -1, 0
.LBB150_1082:
	s_and_b64 vcc, exec, s[0:1]
	s_mov_b64 s[14:15], s[6:7]
	s_cbranch_vccnz .LBB150_1143
; %bb.1083:
	s_andn2_b64 vcc, exec, s[12:13]
	s_cbranch_vccnz .LBB150_1085
.LBB150_1084:
	global_load_ubyte v3, v[0:1], off
	s_mov_b64 s[16:17], -1
	s_waitcnt vmcnt(0)
	v_cmp_ne_u16_e32 vcc, 0, v3
	v_cndmask_b32_e64 v6, 0, 1, vcc
.LBB150_1085:
	s_branch .LBB150_1020
.LBB150_1086:
	s_and_b32 s12, 0xffff, s20
	s_cmp_lt_i32 s12, 5
	s_cbranch_scc1 .LBB150_1091
; %bb.1087:
	s_cmp_lt_i32 s12, 8
	s_cbranch_scc1 .LBB150_1092
; %bb.1088:
	;; [unrolled: 3-line block ×3, first 2 shown]
	s_cmp_gt_i32 s12, 9
	s_cbranch_scc0 .LBB150_1094
; %bb.1090:
	global_load_dwordx2 v[3:4], v[0:1], off
	s_mov_b64 s[0:1], 0
	s_waitcnt vmcnt(0)
	v_cvt_i32_f64_e32 v6, v[3:4]
	s_branch .LBB150_1095
.LBB150_1091:
                                        ; implicit-def: $vgpr6
	s_branch .LBB150_1112
.LBB150_1092:
                                        ; implicit-def: $vgpr6
	s_branch .LBB150_1101
.LBB150_1093:
	s_mov_b64 s[0:1], -1
                                        ; implicit-def: $vgpr6
	s_branch .LBB150_1098
.LBB150_1094:
	s_mov_b64 s[0:1], -1
                                        ; implicit-def: $vgpr6
.LBB150_1095:
	s_andn2_b64 vcc, exec, s[0:1]
	s_cbranch_vccnz .LBB150_1097
; %bb.1096:
	global_load_dword v3, v[0:1], off
	s_waitcnt vmcnt(0)
	v_cvt_i32_f32_e32 v6, v3
.LBB150_1097:
	s_mov_b64 s[0:1], 0
.LBB150_1098:
	s_andn2_b64 vcc, exec, s[0:1]
	s_cbranch_vccnz .LBB150_1100
; %bb.1099:
	global_load_dword v3, v[0:1], off
	s_waitcnt vmcnt(0)
	v_cvt_i16_f16_e32 v6, v3
.LBB150_1100:
	s_cbranch_execnz .LBB150_1111
.LBB150_1101:
	s_cmp_lt_i32 s12, 6
	s_cbranch_scc1 .LBB150_1104
; %bb.1102:
	s_cmp_gt_i32 s12, 6
	s_cbranch_scc0 .LBB150_1105
; %bb.1103:
	global_load_dwordx2 v[3:4], v[0:1], off
	s_mov_b64 s[0:1], 0
	s_waitcnt vmcnt(0)
	v_cvt_i32_f64_e32 v6, v[3:4]
	s_branch .LBB150_1106
.LBB150_1104:
	s_mov_b64 s[0:1], -1
                                        ; implicit-def: $vgpr6
	s_branch .LBB150_1109
.LBB150_1105:
	s_mov_b64 s[0:1], -1
                                        ; implicit-def: $vgpr6
.LBB150_1106:
	s_andn2_b64 vcc, exec, s[0:1]
	s_cbranch_vccnz .LBB150_1108
; %bb.1107:
	global_load_dword v3, v[0:1], off
	s_waitcnt vmcnt(0)
	v_cvt_i32_f32_e32 v6, v3
.LBB150_1108:
	s_mov_b64 s[0:1], 0
.LBB150_1109:
	s_andn2_b64 vcc, exec, s[0:1]
	s_cbranch_vccnz .LBB150_1111
; %bb.1110:
	global_load_ushort v3, v[0:1], off
	s_waitcnt vmcnt(0)
	v_cvt_i16_f16_e32 v6, v3
.LBB150_1111:
	s_cbranch_execnz .LBB150_1130
.LBB150_1112:
	s_cmp_lt_i32 s12, 2
	s_cbranch_scc1 .LBB150_1116
; %bb.1113:
	s_cmp_lt_i32 s12, 3
	s_cbranch_scc1 .LBB150_1117
; %bb.1114:
	s_cmp_gt_i32 s12, 3
	s_cbranch_scc0 .LBB150_1118
; %bb.1115:
	global_load_dwordx2 v[6:7], v[0:1], off
	s_mov_b64 s[0:1], 0
	s_branch .LBB150_1119
.LBB150_1116:
                                        ; implicit-def: $vgpr6
	s_branch .LBB150_1125
.LBB150_1117:
	s_mov_b64 s[0:1], -1
                                        ; implicit-def: $vgpr6
	s_branch .LBB150_1122
.LBB150_1118:
	s_mov_b64 s[0:1], -1
                                        ; implicit-def: $vgpr6
.LBB150_1119:
	s_andn2_b64 vcc, exec, s[0:1]
	s_cbranch_vccnz .LBB150_1121
; %bb.1120:
	global_load_dword v6, v[0:1], off
.LBB150_1121:
	s_mov_b64 s[0:1], 0
.LBB150_1122:
	s_andn2_b64 vcc, exec, s[0:1]
	s_cbranch_vccnz .LBB150_1124
; %bb.1123:
	global_load_ushort v6, v[0:1], off
.LBB150_1124:
	s_cbranch_execnz .LBB150_1130
.LBB150_1125:
	s_cmp_gt_i32 s12, 0
	s_cbranch_scc0 .LBB150_1127
; %bb.1126:
	global_load_ubyte v6, v[0:1], off
	s_mov_b64 s[0:1], 0
	s_branch .LBB150_1128
.LBB150_1127:
	s_mov_b64 s[0:1], -1
                                        ; implicit-def: $vgpr6
.LBB150_1128:
	s_andn2_b64 vcc, exec, s[0:1]
	s_cbranch_vccnz .LBB150_1130
; %bb.1129:
	global_load_ubyte v6, v[0:1], off
.LBB150_1130:
.LBB150_1131:
	s_lshl_b32 s3, s3, 7
	v_add_u32_e32 v2, s3, v2
	v_ashrrev_i32_e32 v1, 31, v2
	v_mov_b32_e32 v3, s11
	v_add_co_u32_e32 v0, vcc, s10, v2
	s_cmp_lt_i32 s20, 11
	v_addc_co_u32_e32 v1, vcc, v3, v1, vcc
	s_cbranch_scc1 .LBB150_1138
; %bb.1132:
	s_and_b32 s21, 0xffff, s20
	s_cmp_gt_i32 s21, 25
	s_mov_b64 s[12:13], 0
	s_cbranch_scc0 .LBB150_1140
; %bb.1133:
	s_cmp_gt_i32 s21, 28
	s_cbranch_scc0 .LBB150_1141
; %bb.1134:
	s_cmp_gt_i32 s21, 43
	;; [unrolled: 3-line block ×3, first 2 shown]
	s_cbranch_scc0 .LBB150_1144
; %bb.1136:
	s_cmp_eq_u32 s21, 46
	s_mov_b64 s[18:19], 0
	s_cbranch_scc0 .LBB150_1147
; %bb.1137:
	global_load_dword v3, v[0:1], off
	s_mov_b64 s[0:1], 0
	s_mov_b64 s[16:17], -1
	s_waitcnt vmcnt(0)
	v_lshlrev_b32_e32 v3, 16, v3
	v_cvt_i32_f32_e32 v4, v3
	s_branch .LBB150_1148
.LBB150_1138:
	s_mov_b64 s[16:17], 0
                                        ; implicit-def: $vgpr4
	s_cbranch_execnz .LBB150_1209
.LBB150_1139:
	s_andn2_b64 vcc, exec, s[16:17]
	s_cbranch_vccnz .LBB150_1940
	s_branch .LBB150_1256
.LBB150_1140:
	s_mov_b64 s[16:17], 0
	s_mov_b64 s[0:1], 0
                                        ; implicit-def: $vgpr4
	s_cbranch_execnz .LBB150_1175
	s_branch .LBB150_1205
.LBB150_1141:
	s_mov_b64 s[18:19], -1
	s_mov_b64 s[16:17], 0
	s_mov_b64 s[0:1], 0
                                        ; implicit-def: $vgpr4
	s_branch .LBB150_1158
.LBB150_1142:
	s_mov_b64 s[18:19], -1
	s_mov_b64 s[16:17], 0
	s_mov_b64 s[0:1], 0
                                        ; implicit-def: $vgpr4
	s_branch .LBB150_1153
.LBB150_1143:
	s_or_b64 s[14:15], s[6:7], exec
	s_trap 2
	s_cbranch_execz .LBB150_1084
	s_branch .LBB150_1085
.LBB150_1144:
	s_mov_b64 s[18:19], -1
	s_mov_b64 s[16:17], 0
	s_mov_b64 s[0:1], 0
                                        ; implicit-def: $vgpr4
	s_branch .LBB150_1148
.LBB150_1145:
	s_andn2_saveexec_b64 s[24:25], s[24:25]
	s_cbranch_execz .LBB150_936
.LBB150_1146:
	s_mov_b32 s28, 0x42800000
	v_add_f32_e64 v4, |v2|, s28
	v_and_b32_e32 v4, 0xff, v4
	v_cmp_ne_u32_e32 vcc, 0, v4
	s_andn2_b64 s[22:23], s[22:23], exec
	s_and_b64 s[28:29], vcc, exec
	s_or_b64 s[22:23], s[22:23], s[28:29]
	s_or_b64 exec, exec, s[24:25]
	v_mov_b32_e32 v5, 0
	s_and_saveexec_b64 s[24:25], s[22:23]
	s_cbranch_execnz .LBB150_937
	s_branch .LBB150_938
.LBB150_1147:
	s_mov_b64 s[0:1], -1
                                        ; implicit-def: $vgpr4
	s_mov_b64 s[16:17], 0
.LBB150_1148:
	s_and_b64 vcc, exec, s[18:19]
	s_cbranch_vccz .LBB150_1152
; %bb.1149:
	s_cmp_eq_u32 s21, 44
	s_cbranch_scc0 .LBB150_1151
; %bb.1150:
	global_load_ubyte v3, v[0:1], off
	s_mov_b64 s[0:1], 0
	s_mov_b64 s[16:17], -1
	s_waitcnt vmcnt(0)
	v_lshlrev_b32_e32 v4, 23, v3
	v_cvt_i32_f32_e32 v4, v4
	v_cmp_ne_u32_e32 vcc, 0, v3
	v_cndmask_b32_e32 v4, 0, v4, vcc
	s_branch .LBB150_1152
.LBB150_1151:
	s_mov_b64 s[0:1], -1
                                        ; implicit-def: $vgpr4
.LBB150_1152:
	s_mov_b64 s[18:19], 0
.LBB150_1153:
	s_and_b64 vcc, exec, s[18:19]
	s_cbranch_vccz .LBB150_1157
; %bb.1154:
	s_cmp_eq_u32 s21, 29
	s_cbranch_scc0 .LBB150_1156
; %bb.1155:
	global_load_dwordx2 v[4:5], v[0:1], off
	s_mov_b64 s[0:1], 0
	s_mov_b64 s[16:17], -1
	s_branch .LBB150_1157
.LBB150_1156:
	s_mov_b64 s[0:1], -1
                                        ; implicit-def: $vgpr4
.LBB150_1157:
	s_mov_b64 s[18:19], 0
.LBB150_1158:
	s_and_b64 vcc, exec, s[18:19]
	s_cbranch_vccz .LBB150_1174
; %bb.1159:
	s_cmp_lt_i32 s21, 27
	s_cbranch_scc1 .LBB150_1162
; %bb.1160:
	s_cmp_gt_i32 s21, 27
	s_cbranch_scc0 .LBB150_1163
; %bb.1161:
	global_load_dword v4, v[0:1], off
	s_mov_b64 s[16:17], 0
	s_branch .LBB150_1164
.LBB150_1162:
	s_mov_b64 s[16:17], -1
                                        ; implicit-def: $vgpr4
	s_branch .LBB150_1167
.LBB150_1163:
	s_mov_b64 s[16:17], -1
                                        ; implicit-def: $vgpr4
.LBB150_1164:
	s_andn2_b64 vcc, exec, s[16:17]
	s_cbranch_vccnz .LBB150_1166
; %bb.1165:
	global_load_ushort v4, v[0:1], off
.LBB150_1166:
	s_mov_b64 s[16:17], 0
.LBB150_1167:
	s_andn2_b64 vcc, exec, s[16:17]
	s_cbranch_vccnz .LBB150_1173
; %bb.1168:
	global_load_ubyte v3, v[0:1], off
	s_movk_i32 s16, 0x7f
	s_mov_b64 s[18:19], 0
	s_waitcnt vmcnt(0)
	v_cmp_lt_i16_e32 vcc, s16, v3
	s_and_saveexec_b64 s[16:17], vcc
	s_xor_b64 s[16:17], exec, s[16:17]
	s_cbranch_execz .LBB150_1184
; %bb.1169:
	s_movk_i32 s18, 0x80
	v_cmp_ne_u16_e32 vcc, s18, v3
	s_and_b64 s[18:19], vcc, exec
	s_andn2_saveexec_b64 s[16:17], s[16:17]
	s_cbranch_execnz .LBB150_1185
.LBB150_1170:
	s_or_b64 exec, exec, s[16:17]
	v_mov_b32_e32 v4, 0
	s_and_saveexec_b64 s[16:17], s[18:19]
	s_cbranch_execz .LBB150_1172
.LBB150_1171:
	v_lshlrev_b32_e32 v4, 24, v3
	v_and_b32_e32 v3, 0xffff, v3
	v_and_b32_e32 v5, 7, v3
	v_ffbh_u32_e32 v8, v5
	v_min_u32_e32 v8, 32, v8
	v_subrev_u32_e32 v11, 28, v8
	v_bfe_u32 v7, v3, 3, 4
	v_lshlrev_b32_e32 v3, v11, v3
	v_sub_u32_e32 v8, 29, v8
	v_and_b32_e32 v3, 7, v3
	v_cmp_eq_u32_e32 vcc, 0, v7
	v_cndmask_b32_e32 v7, v7, v8, vcc
	v_cndmask_b32_e32 v3, v5, v3, vcc
	v_mov_b32_e32 v5, 0x3b800000
	v_lshlrev_b32_e32 v3, 20, v3
	v_and_b32_e32 v4, 0x80000000, v4
	v_lshl_add_u32 v5, v7, 23, v5
	v_or3_b32 v3, v4, v5, v3
	v_cvt_i32_f32_e32 v4, v3
.LBB150_1172:
	s_or_b64 exec, exec, s[16:17]
.LBB150_1173:
	s_mov_b64 s[16:17], -1
.LBB150_1174:
	s_branch .LBB150_1205
.LBB150_1175:
	s_cmp_gt_i32 s21, 22
	s_cbranch_scc0 .LBB150_1183
; %bb.1176:
	s_cmp_lt_i32 s21, 24
	s_cbranch_scc1 .LBB150_1186
; %bb.1177:
	s_cmp_gt_i32 s21, 24
	s_cbranch_scc0 .LBB150_1187
; %bb.1178:
	global_load_ubyte v3, v[0:1], off
	s_movk_i32 s12, 0x7f
	s_mov_b64 s[16:17], 0
	s_waitcnt vmcnt(0)
	v_cmp_lt_i16_e32 vcc, s12, v3
	s_and_saveexec_b64 s[12:13], vcc
	s_xor_b64 s[12:13], exec, s[12:13]
	s_cbranch_execz .LBB150_1199
; %bb.1179:
	s_movk_i32 s16, 0x80
	v_cmp_ne_u16_e32 vcc, s16, v3
	s_and_b64 s[16:17], vcc, exec
	s_andn2_saveexec_b64 s[12:13], s[12:13]
	s_cbranch_execnz .LBB150_1200
.LBB150_1180:
	s_or_b64 exec, exec, s[12:13]
	v_mov_b32_e32 v4, 0
	s_and_saveexec_b64 s[12:13], s[16:17]
	s_cbranch_execz .LBB150_1182
.LBB150_1181:
	v_lshlrev_b32_e32 v4, 24, v3
	v_and_b32_e32 v3, 0xffff, v3
	v_and_b32_e32 v5, 3, v3
	v_ffbh_u32_e32 v8, v5
	v_min_u32_e32 v8, 32, v8
	v_subrev_u32_e32 v11, 29, v8
	v_bfe_u32 v7, v3, 2, 5
	v_lshlrev_b32_e32 v3, v11, v3
	v_sub_u32_e32 v8, 30, v8
	v_and_b32_e32 v3, 3, v3
	v_cmp_eq_u32_e32 vcc, 0, v7
	v_cndmask_b32_e32 v7, v7, v8, vcc
	v_cndmask_b32_e32 v3, v5, v3, vcc
	v_mov_b32_e32 v5, 0x37800000
	v_lshlrev_b32_e32 v3, 21, v3
	v_and_b32_e32 v4, 0x80000000, v4
	v_lshl_add_u32 v5, v7, 23, v5
	v_or3_b32 v3, v4, v5, v3
	v_cvt_i32_f32_e32 v4, v3
.LBB150_1182:
	s_or_b64 exec, exec, s[12:13]
	s_mov_b64 s[12:13], 0
	s_branch .LBB150_1188
.LBB150_1183:
	s_mov_b64 s[12:13], -1
                                        ; implicit-def: $vgpr4
	s_branch .LBB150_1194
.LBB150_1184:
	s_andn2_saveexec_b64 s[16:17], s[16:17]
	s_cbranch_execz .LBB150_1170
.LBB150_1185:
	v_cmp_ne_u16_e32 vcc, 0, v3
	s_andn2_b64 s[18:19], s[18:19], exec
	s_and_b64 s[22:23], vcc, exec
	s_or_b64 s[18:19], s[18:19], s[22:23]
	s_or_b64 exec, exec, s[16:17]
	v_mov_b32_e32 v4, 0
	s_and_saveexec_b64 s[16:17], s[18:19]
	s_cbranch_execnz .LBB150_1171
	s_branch .LBB150_1172
.LBB150_1186:
	s_mov_b64 s[12:13], -1
                                        ; implicit-def: $vgpr4
	s_branch .LBB150_1191
.LBB150_1187:
	s_mov_b64 s[12:13], -1
                                        ; implicit-def: $vgpr4
.LBB150_1188:
	s_and_b64 vcc, exec, s[12:13]
	s_cbranch_vccz .LBB150_1190
; %bb.1189:
	global_load_ubyte v3, v[0:1], off
	s_mov_b32 s12, 0x7f800000
	s_waitcnt vmcnt(0)
	v_lshlrev_b32_e32 v3, 24, v3
	v_and_b32_e32 v4, 0x7f000000, v3
	v_ffbh_u32_e32 v5, v4
	v_min_u32_e32 v5, 32, v5
	v_sub_u32_e64 v5, v5, 4 clamp
	v_lshlrev_b32_e32 v8, v5, v4
	v_lshlrev_b32_e32 v5, 23, v5
	v_lshrrev_b32_e32 v8, 4, v8
	v_add_u32_e32 v7, 0x1000000, v4
	v_sub_u32_e32 v5, v8, v5
	v_ashrrev_i32_e32 v7, 8, v7
	v_add_u32_e32 v5, 0x3c000000, v5
	v_and_or_b32 v5, v7, s12, v5
	v_cmp_ne_u32_e32 vcc, 0, v4
	v_cndmask_b32_e32 v4, 0, v5, vcc
	s_brev_b32 s12, 1
	v_and_or_b32 v3, v3, s12, v4
	v_cvt_i32_f32_e32 v4, v3
.LBB150_1190:
	s_mov_b64 s[12:13], 0
.LBB150_1191:
	s_andn2_b64 vcc, exec, s[12:13]
	s_cbranch_vccnz .LBB150_1193
; %bb.1192:
	global_load_ubyte v3, v[0:1], off
	s_movk_i32 s12, 0x7f00
	s_brev_b32 s13, 16
	s_waitcnt vmcnt(0)
	v_lshlrev_b16_e32 v4, 8, v3
	v_lshlrev_b32_e32 v3, 25, v3
	v_lshrrev_b32_e32 v5, 4, v3
	v_and_or_b32 v7, v4, s12, 0.5
	v_or_b32_e32 v5, 0x70000000, v5
	v_add_f32_e32 v7, -0.5, v7
	v_mul_f32_e32 v5, 0x7800000, v5
	v_cmp_gt_u32_e32 vcc, s13, v3
	v_bfe_i32 v4, v4, 0, 16
	v_cndmask_b32_e32 v3, v5, v7, vcc
	s_brev_b32 s12, 1
	v_and_or_b32 v3, v4, s12, v3
	v_cvt_i32_f32_e32 v4, v3
.LBB150_1193:
	s_mov_b64 s[12:13], 0
	s_mov_b64 s[16:17], -1
.LBB150_1194:
	s_andn2_b64 vcc, exec, s[12:13]
	s_mov_b64 s[12:13], 0
	s_cbranch_vccnz .LBB150_1205
; %bb.1195:
	s_cmp_gt_i32 s21, 14
	s_cbranch_scc0 .LBB150_1198
; %bb.1196:
	s_cmp_eq_u32 s21, 15
	s_cbranch_scc0 .LBB150_1201
; %bb.1197:
	global_load_ushort v3, v[0:1], off
	s_mov_b64 s[0:1], 0
	s_mov_b64 s[16:17], -1
	s_waitcnt vmcnt(0)
	v_lshlrev_b32_e32 v3, 16, v3
	v_cvt_i32_f32_e32 v4, v3
	s_branch .LBB150_1202
.LBB150_1198:
	s_mov_b64 s[18:19], -1
                                        ; implicit-def: $vgpr4
	s_branch .LBB150_1203
.LBB150_1199:
	s_andn2_saveexec_b64 s[12:13], s[12:13]
	s_cbranch_execz .LBB150_1180
.LBB150_1200:
	v_cmp_ne_u16_e32 vcc, 0, v3
	s_andn2_b64 s[16:17], s[16:17], exec
	s_and_b64 s[18:19], vcc, exec
	s_or_b64 s[16:17], s[16:17], s[18:19]
	s_or_b64 exec, exec, s[12:13]
	v_mov_b32_e32 v4, 0
	s_and_saveexec_b64 s[12:13], s[16:17]
	s_cbranch_execnz .LBB150_1181
	s_branch .LBB150_1182
.LBB150_1201:
	s_mov_b64 s[0:1], -1
                                        ; implicit-def: $vgpr4
.LBB150_1202:
	s_mov_b64 s[18:19], 0
.LBB150_1203:
	s_and_b64 vcc, exec, s[18:19]
	s_cbranch_vccz .LBB150_1205
; %bb.1204:
	s_cmp_lg_u32 s21, 11
	s_mov_b64 s[12:13], -1
	s_cselect_b64 s[0:1], -1, 0
.LBB150_1205:
	s_and_b64 vcc, exec, s[0:1]
	s_cbranch_vccnz .LBB150_1268
; %bb.1206:
	s_andn2_b64 vcc, exec, s[12:13]
	s_cbranch_vccnz .LBB150_1208
.LBB150_1207:
	global_load_ubyte v3, v[0:1], off
	s_mov_b64 s[16:17], -1
	s_waitcnt vmcnt(0)
	v_cmp_ne_u16_e32 vcc, 0, v3
	v_cndmask_b32_e64 v4, 0, 1, vcc
.LBB150_1208:
	s_branch .LBB150_1139
.LBB150_1209:
	s_and_b32 s12, 0xffff, s20
	s_cmp_lt_i32 s12, 5
	s_cbranch_scc1 .LBB150_1214
; %bb.1210:
	s_cmp_lt_i32 s12, 8
	s_cbranch_scc1 .LBB150_1215
; %bb.1211:
	;; [unrolled: 3-line block ×3, first 2 shown]
	s_cmp_gt_i32 s12, 9
	s_cbranch_scc0 .LBB150_1217
; %bb.1213:
	global_load_dwordx2 v[3:4], v[0:1], off
	s_mov_b64 s[0:1], 0
	s_waitcnt vmcnt(0)
	v_cvt_i32_f64_e32 v4, v[3:4]
	s_branch .LBB150_1218
.LBB150_1214:
                                        ; implicit-def: $vgpr4
	s_branch .LBB150_1236
.LBB150_1215:
	s_mov_b64 s[0:1], -1
                                        ; implicit-def: $vgpr4
	s_branch .LBB150_1224
.LBB150_1216:
	s_mov_b64 s[0:1], -1
                                        ; implicit-def: $vgpr4
	s_branch .LBB150_1221
.LBB150_1217:
	s_mov_b64 s[0:1], -1
                                        ; implicit-def: $vgpr4
.LBB150_1218:
	s_andn2_b64 vcc, exec, s[0:1]
	s_cbranch_vccnz .LBB150_1220
; %bb.1219:
	global_load_dword v3, v[0:1], off
	s_waitcnt vmcnt(0)
	v_cvt_i32_f32_e32 v4, v3
.LBB150_1220:
	s_mov_b64 s[0:1], 0
.LBB150_1221:
	s_andn2_b64 vcc, exec, s[0:1]
	s_cbranch_vccnz .LBB150_1223
; %bb.1222:
	global_load_dword v3, v[0:1], off
	s_waitcnt vmcnt(0)
	v_cvt_i16_f16_e32 v4, v3
.LBB150_1223:
	s_mov_b64 s[0:1], 0
.LBB150_1224:
	s_andn2_b64 vcc, exec, s[0:1]
	s_cbranch_vccnz .LBB150_1235
; %bb.1225:
	s_cmp_lt_i32 s12, 6
	s_cbranch_scc1 .LBB150_1228
; %bb.1226:
	s_cmp_gt_i32 s12, 6
	s_cbranch_scc0 .LBB150_1229
; %bb.1227:
	global_load_dwordx2 v[3:4], v[0:1], off
	s_mov_b64 s[0:1], 0
	s_waitcnt vmcnt(0)
	v_cvt_i32_f64_e32 v4, v[3:4]
	s_branch .LBB150_1230
.LBB150_1228:
	s_mov_b64 s[0:1], -1
                                        ; implicit-def: $vgpr4
	s_branch .LBB150_1233
.LBB150_1229:
	s_mov_b64 s[0:1], -1
                                        ; implicit-def: $vgpr4
.LBB150_1230:
	s_andn2_b64 vcc, exec, s[0:1]
	s_cbranch_vccnz .LBB150_1232
; %bb.1231:
	global_load_dword v3, v[0:1], off
	s_waitcnt vmcnt(0)
	v_cvt_i32_f32_e32 v4, v3
.LBB150_1232:
	s_mov_b64 s[0:1], 0
.LBB150_1233:
	s_andn2_b64 vcc, exec, s[0:1]
	s_cbranch_vccnz .LBB150_1235
; %bb.1234:
	global_load_ushort v3, v[0:1], off
	s_waitcnt vmcnt(0)
	v_cvt_i16_f16_e32 v4, v3
.LBB150_1235:
	s_cbranch_execnz .LBB150_1255
.LBB150_1236:
	s_cmp_lt_i32 s12, 2
	s_cbranch_scc1 .LBB150_1240
; %bb.1237:
	s_cmp_lt_i32 s12, 3
	s_cbranch_scc1 .LBB150_1241
; %bb.1238:
	s_cmp_gt_i32 s12, 3
	s_cbranch_scc0 .LBB150_1242
; %bb.1239:
	global_load_dwordx2 v[4:5], v[0:1], off
	s_mov_b64 s[0:1], 0
	s_branch .LBB150_1243
.LBB150_1240:
	s_mov_b64 s[0:1], -1
                                        ; implicit-def: $vgpr4
	s_branch .LBB150_1249
.LBB150_1241:
	s_mov_b64 s[0:1], -1
                                        ; implicit-def: $vgpr4
	s_branch .LBB150_1246
.LBB150_1242:
	s_mov_b64 s[0:1], -1
                                        ; implicit-def: $vgpr4
.LBB150_1243:
	s_andn2_b64 vcc, exec, s[0:1]
	s_cbranch_vccnz .LBB150_1245
; %bb.1244:
	global_load_dword v4, v[0:1], off
.LBB150_1245:
	s_mov_b64 s[0:1], 0
.LBB150_1246:
	s_andn2_b64 vcc, exec, s[0:1]
	s_cbranch_vccnz .LBB150_1248
; %bb.1247:
	global_load_ushort v4, v[0:1], off
.LBB150_1248:
	s_mov_b64 s[0:1], 0
.LBB150_1249:
	s_andn2_b64 vcc, exec, s[0:1]
	s_cbranch_vccnz .LBB150_1255
; %bb.1250:
	s_cmp_gt_i32 s12, 0
	s_cbranch_scc0 .LBB150_1252
; %bb.1251:
	global_load_ubyte v4, v[0:1], off
	s_mov_b64 s[0:1], 0
	s_branch .LBB150_1253
.LBB150_1252:
	s_mov_b64 s[0:1], -1
                                        ; implicit-def: $vgpr4
.LBB150_1253:
	s_andn2_b64 vcc, exec, s[0:1]
	s_cbranch_vccnz .LBB150_1255
; %bb.1254:
	global_load_ubyte v4, v[0:1], off
.LBB150_1255:
.LBB150_1256:
	s_waitcnt vmcnt(0)
	v_add_u32_e32 v5, s3, v2
	v_ashrrev_i32_e32 v1, 31, v5
	v_mov_b32_e32 v2, s11
	v_add_co_u32_e32 v0, vcc, s10, v5
	s_cmp_lt_i32 s20, 11
	v_addc_co_u32_e32 v1, vcc, v2, v1, vcc
	s_cbranch_scc1 .LBB150_1263
; %bb.1257:
	s_and_b32 s21, 0xffff, s20
	s_cmp_gt_i32 s21, 25
	s_mov_b64 s[12:13], 0
	s_cbranch_scc0 .LBB150_1265
; %bb.1258:
	s_cmp_gt_i32 s21, 28
	s_cbranch_scc0 .LBB150_1266
; %bb.1259:
	s_cmp_gt_i32 s21, 43
	;; [unrolled: 3-line block ×3, first 2 shown]
	s_cbranch_scc0 .LBB150_1269
; %bb.1261:
	s_cmp_eq_u32 s21, 46
	s_mov_b64 s[18:19], 0
	s_cbranch_scc0 .LBB150_1270
; %bb.1262:
	global_load_dword v2, v[0:1], off
	s_mov_b64 s[0:1], 0
	s_mov_b64 s[16:17], -1
	s_waitcnt vmcnt(0)
	v_lshlrev_b32_e32 v2, 16, v2
	v_cvt_i32_f32_e32 v2, v2
	s_branch .LBB150_1271
.LBB150_1263:
	s_mov_b64 s[16:17], 0
                                        ; implicit-def: $vgpr2
	s_cbranch_execnz .LBB150_1333
.LBB150_1264:
	s_andn2_b64 vcc, exec, s[16:17]
	s_cbranch_vccnz .LBB150_1940
	s_branch .LBB150_1381
.LBB150_1265:
	s_mov_b64 s[18:19], -1
	s_mov_b64 s[16:17], 0
	s_mov_b64 s[0:1], 0
                                        ; implicit-def: $vgpr2
	s_branch .LBB150_1298
.LBB150_1266:
	s_mov_b64 s[18:19], -1
	s_mov_b64 s[16:17], 0
	s_mov_b64 s[0:1], 0
                                        ; implicit-def: $vgpr2
	s_branch .LBB150_1281
.LBB150_1267:
	s_mov_b64 s[18:19], -1
	s_mov_b64 s[16:17], 0
	s_mov_b64 s[0:1], 0
                                        ; implicit-def: $vgpr2
	s_branch .LBB150_1276
.LBB150_1268:
	s_trap 2
	s_or_b64 s[14:15], s[14:15], exec
	s_cbranch_execz .LBB150_1207
	s_branch .LBB150_1208
.LBB150_1269:
	s_mov_b64 s[18:19], -1
	s_mov_b64 s[16:17], 0
	s_mov_b64 s[0:1], 0
                                        ; implicit-def: $vgpr2
	s_branch .LBB150_1271
.LBB150_1270:
	s_mov_b64 s[0:1], -1
                                        ; implicit-def: $vgpr2
	s_mov_b64 s[16:17], 0
.LBB150_1271:
	s_and_b64 vcc, exec, s[18:19]
	s_cbranch_vccz .LBB150_1275
; %bb.1272:
	s_cmp_eq_u32 s21, 44
	s_cbranch_scc0 .LBB150_1274
; %bb.1273:
	global_load_ubyte v2, v[0:1], off
	s_mov_b64 s[0:1], 0
	s_mov_b64 s[16:17], -1
	s_waitcnt vmcnt(0)
	v_lshlrev_b32_e32 v3, 23, v2
	v_cvt_i32_f32_e32 v3, v3
	v_cmp_ne_u32_e32 vcc, 0, v2
	v_cndmask_b32_e32 v2, 0, v3, vcc
	s_branch .LBB150_1275
.LBB150_1274:
	s_mov_b64 s[0:1], -1
                                        ; implicit-def: $vgpr2
.LBB150_1275:
	s_mov_b64 s[18:19], 0
.LBB150_1276:
	s_and_b64 vcc, exec, s[18:19]
	s_cbranch_vccz .LBB150_1280
; %bb.1277:
	s_cmp_eq_u32 s21, 29
	s_cbranch_scc0 .LBB150_1279
; %bb.1278:
	global_load_dwordx2 v[2:3], v[0:1], off
	s_mov_b64 s[0:1], 0
	s_mov_b64 s[16:17], -1
	s_branch .LBB150_1280
.LBB150_1279:
	s_mov_b64 s[0:1], -1
                                        ; implicit-def: $vgpr2
.LBB150_1280:
	s_mov_b64 s[18:19], 0
.LBB150_1281:
	s_and_b64 vcc, exec, s[18:19]
	s_cbranch_vccz .LBB150_1297
; %bb.1282:
	s_cmp_lt_i32 s21, 27
	s_cbranch_scc1 .LBB150_1285
; %bb.1283:
	s_cmp_gt_i32 s21, 27
	s_cbranch_scc0 .LBB150_1286
; %bb.1284:
	global_load_dword v2, v[0:1], off
	s_mov_b64 s[16:17], 0
	s_branch .LBB150_1287
.LBB150_1285:
	s_mov_b64 s[16:17], -1
                                        ; implicit-def: $vgpr2
	s_branch .LBB150_1290
.LBB150_1286:
	s_mov_b64 s[16:17], -1
                                        ; implicit-def: $vgpr2
.LBB150_1287:
	s_andn2_b64 vcc, exec, s[16:17]
	s_cbranch_vccnz .LBB150_1289
; %bb.1288:
	global_load_ushort v2, v[0:1], off
.LBB150_1289:
	s_mov_b64 s[16:17], 0
.LBB150_1290:
	s_andn2_b64 vcc, exec, s[16:17]
	s_cbranch_vccnz .LBB150_1296
; %bb.1291:
	global_load_ubyte v3, v[0:1], off
	s_movk_i32 s16, 0x7f
	s_mov_b64 s[18:19], 0
	s_waitcnt vmcnt(0)
	v_cmp_lt_i16_e32 vcc, s16, v3
	s_and_saveexec_b64 s[16:17], vcc
	s_xor_b64 s[16:17], exec, s[16:17]
	s_cbranch_execz .LBB150_1308
; %bb.1292:
	s_movk_i32 s18, 0x80
	v_cmp_ne_u16_e32 vcc, s18, v3
	s_and_b64 s[18:19], vcc, exec
	s_andn2_saveexec_b64 s[16:17], s[16:17]
	s_cbranch_execnz .LBB150_1309
.LBB150_1293:
	s_or_b64 exec, exec, s[16:17]
	v_mov_b32_e32 v2, 0
	s_and_saveexec_b64 s[16:17], s[18:19]
	s_cbranch_execz .LBB150_1295
.LBB150_1294:
	v_lshlrev_b32_e32 v2, 24, v3
	v_and_b32_e32 v3, 0xffff, v3
	v_and_b32_e32 v7, 7, v3
	v_ffbh_u32_e32 v11, v7
	v_min_u32_e32 v11, 32, v11
	v_subrev_u32_e32 v12, 28, v11
	v_bfe_u32 v8, v3, 3, 4
	v_lshlrev_b32_e32 v3, v12, v3
	v_sub_u32_e32 v11, 29, v11
	v_and_b32_e32 v3, 7, v3
	v_cmp_eq_u32_e32 vcc, 0, v8
	v_cndmask_b32_e32 v8, v8, v11, vcc
	v_cndmask_b32_e32 v3, v7, v3, vcc
	v_mov_b32_e32 v7, 0x3b800000
	v_lshlrev_b32_e32 v3, 20, v3
	v_and_b32_e32 v2, 0x80000000, v2
	v_lshl_add_u32 v7, v8, 23, v7
	v_or3_b32 v2, v2, v7, v3
	v_cvt_i32_f32_e32 v2, v2
.LBB150_1295:
	s_or_b64 exec, exec, s[16:17]
.LBB150_1296:
	s_mov_b64 s[16:17], -1
.LBB150_1297:
	s_mov_b64 s[18:19], 0
.LBB150_1298:
	s_and_b64 vcc, exec, s[18:19]
	s_cbranch_vccz .LBB150_1329
; %bb.1299:
	s_cmp_gt_i32 s21, 22
	s_cbranch_scc0 .LBB150_1307
; %bb.1300:
	s_cmp_lt_i32 s21, 24
	s_cbranch_scc1 .LBB150_1310
; %bb.1301:
	s_cmp_gt_i32 s21, 24
	s_cbranch_scc0 .LBB150_1311
; %bb.1302:
	global_load_ubyte v3, v[0:1], off
	s_movk_i32 s12, 0x7f
	s_mov_b64 s[16:17], 0
	s_waitcnt vmcnt(0)
	v_cmp_lt_i16_e32 vcc, s12, v3
	s_and_saveexec_b64 s[12:13], vcc
	s_xor_b64 s[12:13], exec, s[12:13]
	s_cbranch_execz .LBB150_1323
; %bb.1303:
	s_movk_i32 s16, 0x80
	v_cmp_ne_u16_e32 vcc, s16, v3
	s_and_b64 s[16:17], vcc, exec
	s_andn2_saveexec_b64 s[12:13], s[12:13]
	s_cbranch_execnz .LBB150_1324
.LBB150_1304:
	s_or_b64 exec, exec, s[12:13]
	v_mov_b32_e32 v2, 0
	s_and_saveexec_b64 s[12:13], s[16:17]
	s_cbranch_execz .LBB150_1306
.LBB150_1305:
	v_lshlrev_b32_e32 v2, 24, v3
	v_and_b32_e32 v3, 0xffff, v3
	v_and_b32_e32 v7, 3, v3
	v_ffbh_u32_e32 v11, v7
	v_min_u32_e32 v11, 32, v11
	v_subrev_u32_e32 v12, 29, v11
	v_bfe_u32 v8, v3, 2, 5
	v_lshlrev_b32_e32 v3, v12, v3
	v_sub_u32_e32 v11, 30, v11
	v_and_b32_e32 v3, 3, v3
	v_cmp_eq_u32_e32 vcc, 0, v8
	v_cndmask_b32_e32 v8, v8, v11, vcc
	v_cndmask_b32_e32 v3, v7, v3, vcc
	v_mov_b32_e32 v7, 0x37800000
	v_lshlrev_b32_e32 v3, 21, v3
	v_and_b32_e32 v2, 0x80000000, v2
	v_lshl_add_u32 v7, v8, 23, v7
	v_or3_b32 v2, v2, v7, v3
	v_cvt_i32_f32_e32 v2, v2
.LBB150_1306:
	s_or_b64 exec, exec, s[12:13]
	s_mov_b64 s[12:13], 0
	s_branch .LBB150_1312
.LBB150_1307:
	s_mov_b64 s[12:13], -1
                                        ; implicit-def: $vgpr2
	s_branch .LBB150_1318
.LBB150_1308:
	s_andn2_saveexec_b64 s[16:17], s[16:17]
	s_cbranch_execz .LBB150_1293
.LBB150_1309:
	v_cmp_ne_u16_e32 vcc, 0, v3
	s_andn2_b64 s[18:19], s[18:19], exec
	s_and_b64 s[22:23], vcc, exec
	s_or_b64 s[18:19], s[18:19], s[22:23]
	s_or_b64 exec, exec, s[16:17]
	v_mov_b32_e32 v2, 0
	s_and_saveexec_b64 s[16:17], s[18:19]
	s_cbranch_execnz .LBB150_1294
	s_branch .LBB150_1295
.LBB150_1310:
	s_mov_b64 s[12:13], -1
                                        ; implicit-def: $vgpr2
	s_branch .LBB150_1315
.LBB150_1311:
	s_mov_b64 s[12:13], -1
                                        ; implicit-def: $vgpr2
.LBB150_1312:
	s_and_b64 vcc, exec, s[12:13]
	s_cbranch_vccz .LBB150_1314
; %bb.1313:
	global_load_ubyte v2, v[0:1], off
	s_mov_b32 s12, 0x7f800000
	s_waitcnt vmcnt(0)
	v_lshlrev_b32_e32 v2, 24, v2
	v_and_b32_e32 v3, 0x7f000000, v2
	v_ffbh_u32_e32 v7, v3
	v_min_u32_e32 v7, 32, v7
	v_sub_u32_e64 v7, v7, 4 clamp
	v_lshlrev_b32_e32 v11, v7, v3
	v_lshlrev_b32_e32 v7, 23, v7
	v_lshrrev_b32_e32 v11, 4, v11
	v_add_u32_e32 v8, 0x1000000, v3
	v_sub_u32_e32 v7, v11, v7
	v_ashrrev_i32_e32 v8, 8, v8
	v_add_u32_e32 v7, 0x3c000000, v7
	v_and_or_b32 v7, v8, s12, v7
	v_cmp_ne_u32_e32 vcc, 0, v3
	v_cndmask_b32_e32 v3, 0, v7, vcc
	s_brev_b32 s12, 1
	v_and_or_b32 v2, v2, s12, v3
	v_cvt_i32_f32_e32 v2, v2
.LBB150_1314:
	s_mov_b64 s[12:13], 0
.LBB150_1315:
	s_andn2_b64 vcc, exec, s[12:13]
	s_cbranch_vccnz .LBB150_1317
; %bb.1316:
	global_load_ubyte v2, v[0:1], off
	s_movk_i32 s12, 0x7f00
	s_brev_b32 s13, 16
	s_waitcnt vmcnt(0)
	v_lshlrev_b16_e32 v3, 8, v2
	v_lshlrev_b32_e32 v2, 25, v2
	v_lshrrev_b32_e32 v7, 4, v2
	v_and_or_b32 v8, v3, s12, 0.5
	v_or_b32_e32 v7, 0x70000000, v7
	v_add_f32_e32 v8, -0.5, v8
	v_mul_f32_e32 v7, 0x7800000, v7
	v_cmp_gt_u32_e32 vcc, s13, v2
	v_bfe_i32 v3, v3, 0, 16
	v_cndmask_b32_e32 v2, v7, v8, vcc
	s_brev_b32 s12, 1
	v_and_or_b32 v2, v3, s12, v2
	v_cvt_i32_f32_e32 v2, v2
.LBB150_1317:
	s_mov_b64 s[12:13], 0
	s_mov_b64 s[16:17], -1
.LBB150_1318:
	s_andn2_b64 vcc, exec, s[12:13]
	s_mov_b64 s[12:13], 0
	s_cbranch_vccnz .LBB150_1329
; %bb.1319:
	s_cmp_gt_i32 s21, 14
	s_cbranch_scc0 .LBB150_1322
; %bb.1320:
	s_cmp_eq_u32 s21, 15
	s_cbranch_scc0 .LBB150_1325
; %bb.1321:
	global_load_ushort v2, v[0:1], off
	s_mov_b64 s[0:1], 0
	s_mov_b64 s[16:17], -1
	s_waitcnt vmcnt(0)
	v_lshlrev_b32_e32 v2, 16, v2
	v_cvt_i32_f32_e32 v2, v2
	s_branch .LBB150_1326
.LBB150_1322:
	s_mov_b64 s[18:19], -1
                                        ; implicit-def: $vgpr2
	s_branch .LBB150_1327
.LBB150_1323:
	s_andn2_saveexec_b64 s[12:13], s[12:13]
	s_cbranch_execz .LBB150_1304
.LBB150_1324:
	v_cmp_ne_u16_e32 vcc, 0, v3
	s_andn2_b64 s[16:17], s[16:17], exec
	s_and_b64 s[18:19], vcc, exec
	s_or_b64 s[16:17], s[16:17], s[18:19]
	s_or_b64 exec, exec, s[12:13]
	v_mov_b32_e32 v2, 0
	s_and_saveexec_b64 s[12:13], s[16:17]
	s_cbranch_execnz .LBB150_1305
	s_branch .LBB150_1306
.LBB150_1325:
	s_mov_b64 s[0:1], -1
                                        ; implicit-def: $vgpr2
.LBB150_1326:
	s_mov_b64 s[18:19], 0
.LBB150_1327:
	s_and_b64 vcc, exec, s[18:19]
	s_cbranch_vccz .LBB150_1329
; %bb.1328:
	s_cmp_lg_u32 s21, 11
	s_mov_b64 s[12:13], -1
	s_cselect_b64 s[0:1], -1, 0
.LBB150_1329:
	s_and_b64 vcc, exec, s[0:1]
	s_cbranch_vccnz .LBB150_1392
; %bb.1330:
	s_andn2_b64 vcc, exec, s[12:13]
	s_cbranch_vccnz .LBB150_1332
.LBB150_1331:
	global_load_ubyte v2, v[0:1], off
	s_mov_b64 s[16:17], -1
	s_waitcnt vmcnt(0)
	v_cmp_ne_u16_e32 vcc, 0, v2
	v_cndmask_b32_e64 v2, 0, 1, vcc
.LBB150_1332:
	s_branch .LBB150_1264
.LBB150_1333:
	s_and_b32 s12, 0xffff, s20
	s_cmp_lt_i32 s12, 5
	s_cbranch_scc1 .LBB150_1338
; %bb.1334:
	s_cmp_lt_i32 s12, 8
	s_cbranch_scc1 .LBB150_1339
; %bb.1335:
	;; [unrolled: 3-line block ×3, first 2 shown]
	s_cmp_gt_i32 s12, 9
	s_cbranch_scc0 .LBB150_1341
; %bb.1337:
	global_load_dwordx2 v[2:3], v[0:1], off
	s_mov_b64 s[0:1], 0
	s_waitcnt vmcnt(0)
	v_cvt_i32_f64_e32 v2, v[2:3]
	s_branch .LBB150_1342
.LBB150_1338:
	s_mov_b64 s[0:1], -1
                                        ; implicit-def: $vgpr2
	s_branch .LBB150_1360
.LBB150_1339:
	s_mov_b64 s[0:1], -1
                                        ; implicit-def: $vgpr2
	s_branch .LBB150_1348
.LBB150_1340:
	s_mov_b64 s[0:1], -1
                                        ; implicit-def: $vgpr2
	s_branch .LBB150_1345
.LBB150_1341:
	s_mov_b64 s[0:1], -1
                                        ; implicit-def: $vgpr2
.LBB150_1342:
	s_andn2_b64 vcc, exec, s[0:1]
	s_cbranch_vccnz .LBB150_1344
; %bb.1343:
	global_load_dword v2, v[0:1], off
	s_waitcnt vmcnt(0)
	v_cvt_i32_f32_e32 v2, v2
.LBB150_1344:
	s_mov_b64 s[0:1], 0
.LBB150_1345:
	s_andn2_b64 vcc, exec, s[0:1]
	s_cbranch_vccnz .LBB150_1347
; %bb.1346:
	global_load_dword v2, v[0:1], off
	s_waitcnt vmcnt(0)
	v_cvt_i16_f16_e32 v2, v2
.LBB150_1347:
	s_mov_b64 s[0:1], 0
.LBB150_1348:
	s_andn2_b64 vcc, exec, s[0:1]
	s_cbranch_vccnz .LBB150_1359
; %bb.1349:
	s_cmp_lt_i32 s12, 6
	s_cbranch_scc1 .LBB150_1352
; %bb.1350:
	s_cmp_gt_i32 s12, 6
	s_cbranch_scc0 .LBB150_1353
; %bb.1351:
	global_load_dwordx2 v[2:3], v[0:1], off
	s_mov_b64 s[0:1], 0
	s_waitcnt vmcnt(0)
	v_cvt_i32_f64_e32 v2, v[2:3]
	s_branch .LBB150_1354
.LBB150_1352:
	s_mov_b64 s[0:1], -1
                                        ; implicit-def: $vgpr2
	s_branch .LBB150_1357
.LBB150_1353:
	s_mov_b64 s[0:1], -1
                                        ; implicit-def: $vgpr2
.LBB150_1354:
	s_andn2_b64 vcc, exec, s[0:1]
	s_cbranch_vccnz .LBB150_1356
; %bb.1355:
	global_load_dword v2, v[0:1], off
	s_waitcnt vmcnt(0)
	v_cvt_i32_f32_e32 v2, v2
.LBB150_1356:
	s_mov_b64 s[0:1], 0
.LBB150_1357:
	s_andn2_b64 vcc, exec, s[0:1]
	s_cbranch_vccnz .LBB150_1359
; %bb.1358:
	global_load_ushort v2, v[0:1], off
	s_waitcnt vmcnt(0)
	v_cvt_i16_f16_e32 v2, v2
.LBB150_1359:
	s_mov_b64 s[0:1], 0
.LBB150_1360:
	s_andn2_b64 vcc, exec, s[0:1]
	s_cbranch_vccnz .LBB150_1380
; %bb.1361:
	s_cmp_lt_i32 s12, 2
	s_cbranch_scc1 .LBB150_1365
; %bb.1362:
	s_cmp_lt_i32 s12, 3
	s_cbranch_scc1 .LBB150_1366
; %bb.1363:
	s_cmp_gt_i32 s12, 3
	s_cbranch_scc0 .LBB150_1367
; %bb.1364:
	global_load_dwordx2 v[2:3], v[0:1], off
	s_mov_b64 s[0:1], 0
	s_branch .LBB150_1368
.LBB150_1365:
	s_mov_b64 s[0:1], -1
                                        ; implicit-def: $vgpr2
	s_branch .LBB150_1374
.LBB150_1366:
	s_mov_b64 s[0:1], -1
                                        ; implicit-def: $vgpr2
	s_branch .LBB150_1371
.LBB150_1367:
	s_mov_b64 s[0:1], -1
                                        ; implicit-def: $vgpr2
.LBB150_1368:
	s_andn2_b64 vcc, exec, s[0:1]
	s_cbranch_vccnz .LBB150_1370
; %bb.1369:
	global_load_dword v2, v[0:1], off
.LBB150_1370:
	s_mov_b64 s[0:1], 0
.LBB150_1371:
	s_andn2_b64 vcc, exec, s[0:1]
	s_cbranch_vccnz .LBB150_1373
; %bb.1372:
	global_load_ushort v2, v[0:1], off
.LBB150_1373:
	s_mov_b64 s[0:1], 0
.LBB150_1374:
	s_andn2_b64 vcc, exec, s[0:1]
	s_cbranch_vccnz .LBB150_1380
; %bb.1375:
	s_cmp_gt_i32 s12, 0
	s_cbranch_scc0 .LBB150_1377
; %bb.1376:
	global_load_ubyte v2, v[0:1], off
	s_mov_b64 s[0:1], 0
	s_branch .LBB150_1378
.LBB150_1377:
	s_mov_b64 s[0:1], -1
                                        ; implicit-def: $vgpr2
.LBB150_1378:
	s_andn2_b64 vcc, exec, s[0:1]
	s_cbranch_vccnz .LBB150_1380
; %bb.1379:
	global_load_ubyte v2, v[0:1], off
.LBB150_1380:
.LBB150_1381:
	v_add_u32_e32 v0, s3, v5
	v_ashrrev_i32_e32 v1, 31, v0
	s_waitcnt vmcnt(0)
	v_mov_b32_e32 v3, s11
	v_add_co_u32_e32 v7, vcc, s10, v0
	s_cmp_lt_i32 s20, 11
	v_addc_co_u32_e32 v8, vcc, v3, v1, vcc
	s_cbranch_scc1 .LBB150_1388
; %bb.1382:
	s_and_b32 s3, 0xffff, s20
	s_cmp_gt_i32 s3, 25
	s_mov_b64 s[10:11], 0
	s_cbranch_scc0 .LBB150_1389
; %bb.1383:
	s_cmp_gt_i32 s3, 28
	s_cbranch_scc0 .LBB150_1390
; %bb.1384:
	s_cmp_gt_i32 s3, 43
	;; [unrolled: 3-line block ×3, first 2 shown]
	s_cbranch_scc0 .LBB150_1393
; %bb.1386:
	s_cmp_eq_u32 s3, 46
	s_mov_b64 s[16:17], 0
	s_cbranch_scc0 .LBB150_1394
; %bb.1387:
	global_load_dword v0, v[7:8], off
	s_mov_b64 s[0:1], 0
	s_mov_b64 s[12:13], -1
	s_waitcnt vmcnt(0)
	v_lshlrev_b32_e32 v0, 16, v0
	v_cvt_i32_f32_e32 v0, v0
	s_branch .LBB150_1395
.LBB150_1388:
	s_mov_b64 s[0:1], -1
	s_mov_b64 s[12:13], 0
                                        ; implicit-def: $vgpr0
	s_branch .LBB150_1457
.LBB150_1389:
	s_mov_b64 s[16:17], -1
	s_mov_b64 s[12:13], 0
	s_mov_b64 s[0:1], 0
                                        ; implicit-def: $vgpr0
	s_branch .LBB150_1422
.LBB150_1390:
	s_mov_b64 s[16:17], -1
	s_mov_b64 s[12:13], 0
	s_mov_b64 s[0:1], 0
                                        ; implicit-def: $vgpr0
	s_branch .LBB150_1405
.LBB150_1391:
	s_mov_b64 s[16:17], -1
	s_mov_b64 s[12:13], 0
	s_mov_b64 s[0:1], 0
                                        ; implicit-def: $vgpr0
	s_branch .LBB150_1400
.LBB150_1392:
	s_trap 2
	s_or_b64 s[14:15], s[14:15], exec
	s_cbranch_execz .LBB150_1331
	s_branch .LBB150_1332
.LBB150_1393:
	s_mov_b64 s[16:17], -1
	s_mov_b64 s[12:13], 0
	s_mov_b64 s[0:1], 0
                                        ; implicit-def: $vgpr0
	s_branch .LBB150_1395
.LBB150_1394:
	s_mov_b64 s[0:1], -1
                                        ; implicit-def: $vgpr0
	s_mov_b64 s[12:13], 0
.LBB150_1395:
	s_and_b64 vcc, exec, s[16:17]
	s_cbranch_vccz .LBB150_1399
; %bb.1396:
	s_cmp_eq_u32 s3, 44
	s_cbranch_scc0 .LBB150_1398
; %bb.1397:
	global_load_ubyte v0, v[7:8], off
	s_mov_b64 s[0:1], 0
	s_mov_b64 s[12:13], -1
	s_waitcnt vmcnt(0)
	v_lshlrev_b32_e32 v1, 23, v0
	v_cvt_i32_f32_e32 v1, v1
	v_cmp_ne_u32_e32 vcc, 0, v0
	v_cndmask_b32_e32 v0, 0, v1, vcc
	s_branch .LBB150_1399
.LBB150_1398:
	s_mov_b64 s[0:1], -1
                                        ; implicit-def: $vgpr0
.LBB150_1399:
	s_mov_b64 s[16:17], 0
.LBB150_1400:
	s_and_b64 vcc, exec, s[16:17]
	s_cbranch_vccz .LBB150_1404
; %bb.1401:
	s_cmp_eq_u32 s3, 29
	s_cbranch_scc0 .LBB150_1403
; %bb.1402:
	global_load_dwordx2 v[0:1], v[7:8], off
	s_mov_b64 s[0:1], 0
	s_mov_b64 s[12:13], -1
	s_branch .LBB150_1404
.LBB150_1403:
	s_mov_b64 s[0:1], -1
                                        ; implicit-def: $vgpr0
.LBB150_1404:
	s_mov_b64 s[16:17], 0
.LBB150_1405:
	s_and_b64 vcc, exec, s[16:17]
	s_cbranch_vccz .LBB150_1421
; %bb.1406:
	s_cmp_lt_i32 s3, 27
	s_cbranch_scc1 .LBB150_1409
; %bb.1407:
	s_cmp_gt_i32 s3, 27
	s_cbranch_scc0 .LBB150_1410
; %bb.1408:
	global_load_dword v0, v[7:8], off
	s_mov_b64 s[12:13], 0
	s_branch .LBB150_1411
.LBB150_1409:
	s_mov_b64 s[12:13], -1
                                        ; implicit-def: $vgpr0
	s_branch .LBB150_1414
.LBB150_1410:
	s_mov_b64 s[12:13], -1
                                        ; implicit-def: $vgpr0
.LBB150_1411:
	s_andn2_b64 vcc, exec, s[12:13]
	s_cbranch_vccnz .LBB150_1413
; %bb.1412:
	global_load_ushort v0, v[7:8], off
.LBB150_1413:
	s_mov_b64 s[12:13], 0
.LBB150_1414:
	s_andn2_b64 vcc, exec, s[12:13]
	s_cbranch_vccnz .LBB150_1420
; %bb.1415:
	global_load_ubyte v1, v[7:8], off
	s_movk_i32 s12, 0x7f
	s_mov_b64 s[16:17], 0
	s_waitcnt vmcnt(0)
	v_cmp_lt_i16_e32 vcc, s12, v1
	s_and_saveexec_b64 s[12:13], vcc
	s_xor_b64 s[12:13], exec, s[12:13]
	s_cbranch_execz .LBB150_1432
; %bb.1416:
	s_movk_i32 s16, 0x80
	v_cmp_ne_u16_e32 vcc, s16, v1
	s_and_b64 s[16:17], vcc, exec
	s_andn2_saveexec_b64 s[12:13], s[12:13]
	s_cbranch_execnz .LBB150_1433
.LBB150_1417:
	s_or_b64 exec, exec, s[12:13]
	v_mov_b32_e32 v0, 0
	s_and_saveexec_b64 s[12:13], s[16:17]
	s_cbranch_execz .LBB150_1419
.LBB150_1418:
	v_lshlrev_b32_e32 v0, 24, v1
	v_and_b32_e32 v1, 0xffff, v1
	v_and_b32_e32 v3, 7, v1
	v_ffbh_u32_e32 v11, v3
	v_min_u32_e32 v11, 32, v11
	v_subrev_u32_e32 v12, 28, v11
	v_bfe_u32 v5, v1, 3, 4
	v_lshlrev_b32_e32 v1, v12, v1
	v_sub_u32_e32 v11, 29, v11
	v_and_b32_e32 v1, 7, v1
	v_cmp_eq_u32_e32 vcc, 0, v5
	v_cndmask_b32_e32 v5, v5, v11, vcc
	v_cndmask_b32_e32 v1, v3, v1, vcc
	v_mov_b32_e32 v3, 0x3b800000
	v_lshlrev_b32_e32 v1, 20, v1
	v_and_b32_e32 v0, 0x80000000, v0
	v_lshl_add_u32 v3, v5, 23, v3
	v_or3_b32 v0, v0, v3, v1
	v_cvt_i32_f32_e32 v0, v0
.LBB150_1419:
	s_or_b64 exec, exec, s[12:13]
.LBB150_1420:
	s_mov_b64 s[12:13], -1
.LBB150_1421:
	s_mov_b64 s[16:17], 0
.LBB150_1422:
	s_and_b64 vcc, exec, s[16:17]
	s_cbranch_vccz .LBB150_1453
; %bb.1423:
	s_cmp_gt_i32 s3, 22
	s_cbranch_scc0 .LBB150_1431
; %bb.1424:
	s_cmp_lt_i32 s3, 24
	s_cbranch_scc1 .LBB150_1434
; %bb.1425:
	s_cmp_gt_i32 s3, 24
	s_cbranch_scc0 .LBB150_1435
; %bb.1426:
	global_load_ubyte v1, v[7:8], off
	s_movk_i32 s10, 0x7f
	s_mov_b64 s[12:13], 0
	s_waitcnt vmcnt(0)
	v_cmp_lt_i16_e32 vcc, s10, v1
	s_and_saveexec_b64 s[10:11], vcc
	s_xor_b64 s[10:11], exec, s[10:11]
	s_cbranch_execz .LBB150_1447
; %bb.1427:
	s_movk_i32 s12, 0x80
	v_cmp_ne_u16_e32 vcc, s12, v1
	s_and_b64 s[12:13], vcc, exec
	s_andn2_saveexec_b64 s[10:11], s[10:11]
	s_cbranch_execnz .LBB150_1448
.LBB150_1428:
	s_or_b64 exec, exec, s[10:11]
	v_mov_b32_e32 v0, 0
	s_and_saveexec_b64 s[10:11], s[12:13]
	s_cbranch_execz .LBB150_1430
.LBB150_1429:
	v_lshlrev_b32_e32 v0, 24, v1
	v_and_b32_e32 v1, 0xffff, v1
	v_and_b32_e32 v3, 3, v1
	v_ffbh_u32_e32 v11, v3
	v_min_u32_e32 v11, 32, v11
	v_subrev_u32_e32 v12, 29, v11
	v_bfe_u32 v5, v1, 2, 5
	v_lshlrev_b32_e32 v1, v12, v1
	v_sub_u32_e32 v11, 30, v11
	v_and_b32_e32 v1, 3, v1
	v_cmp_eq_u32_e32 vcc, 0, v5
	v_cndmask_b32_e32 v5, v5, v11, vcc
	v_cndmask_b32_e32 v1, v3, v1, vcc
	v_mov_b32_e32 v3, 0x37800000
	v_lshlrev_b32_e32 v1, 21, v1
	v_and_b32_e32 v0, 0x80000000, v0
	v_lshl_add_u32 v3, v5, 23, v3
	v_or3_b32 v0, v0, v3, v1
	v_cvt_i32_f32_e32 v0, v0
.LBB150_1430:
	s_or_b64 exec, exec, s[10:11]
	s_mov_b64 s[10:11], 0
	s_branch .LBB150_1436
.LBB150_1431:
	s_mov_b64 s[10:11], -1
                                        ; implicit-def: $vgpr0
	s_branch .LBB150_1442
.LBB150_1432:
	s_andn2_saveexec_b64 s[12:13], s[12:13]
	s_cbranch_execz .LBB150_1417
.LBB150_1433:
	v_cmp_ne_u16_e32 vcc, 0, v1
	s_andn2_b64 s[16:17], s[16:17], exec
	s_and_b64 s[18:19], vcc, exec
	s_or_b64 s[16:17], s[16:17], s[18:19]
	s_or_b64 exec, exec, s[12:13]
	v_mov_b32_e32 v0, 0
	s_and_saveexec_b64 s[12:13], s[16:17]
	s_cbranch_execnz .LBB150_1418
	s_branch .LBB150_1419
.LBB150_1434:
	s_mov_b64 s[10:11], -1
                                        ; implicit-def: $vgpr0
	s_branch .LBB150_1439
.LBB150_1435:
	s_mov_b64 s[10:11], -1
                                        ; implicit-def: $vgpr0
.LBB150_1436:
	s_and_b64 vcc, exec, s[10:11]
	s_cbranch_vccz .LBB150_1438
; %bb.1437:
	global_load_ubyte v0, v[7:8], off
	s_mov_b32 s10, 0x7f800000
	s_waitcnt vmcnt(0)
	v_lshlrev_b32_e32 v0, 24, v0
	v_and_b32_e32 v1, 0x7f000000, v0
	v_ffbh_u32_e32 v3, v1
	v_min_u32_e32 v3, 32, v3
	v_sub_u32_e64 v3, v3, 4 clamp
	v_lshlrev_b32_e32 v11, v3, v1
	v_lshlrev_b32_e32 v3, 23, v3
	v_lshrrev_b32_e32 v11, 4, v11
	v_add_u32_e32 v5, 0x1000000, v1
	v_sub_u32_e32 v3, v11, v3
	v_ashrrev_i32_e32 v5, 8, v5
	v_add_u32_e32 v3, 0x3c000000, v3
	v_and_or_b32 v3, v5, s10, v3
	v_cmp_ne_u32_e32 vcc, 0, v1
	v_cndmask_b32_e32 v1, 0, v3, vcc
	s_brev_b32 s10, 1
	v_and_or_b32 v0, v0, s10, v1
	v_cvt_i32_f32_e32 v0, v0
.LBB150_1438:
	s_mov_b64 s[10:11], 0
.LBB150_1439:
	s_andn2_b64 vcc, exec, s[10:11]
	s_cbranch_vccnz .LBB150_1441
; %bb.1440:
	global_load_ubyte v0, v[7:8], off
	s_movk_i32 s10, 0x7f00
	s_brev_b32 s11, 16
	s_waitcnt vmcnt(0)
	v_lshlrev_b16_e32 v1, 8, v0
	v_lshlrev_b32_e32 v0, 25, v0
	v_lshrrev_b32_e32 v3, 4, v0
	v_and_or_b32 v5, v1, s10, 0.5
	v_or_b32_e32 v3, 0x70000000, v3
	v_add_f32_e32 v5, -0.5, v5
	v_mul_f32_e32 v3, 0x7800000, v3
	v_cmp_gt_u32_e32 vcc, s11, v0
	v_bfe_i32 v1, v1, 0, 16
	v_cndmask_b32_e32 v0, v3, v5, vcc
	s_brev_b32 s10, 1
	v_and_or_b32 v0, v1, s10, v0
	v_cvt_i32_f32_e32 v0, v0
.LBB150_1441:
	s_mov_b64 s[10:11], 0
	s_mov_b64 s[12:13], -1
.LBB150_1442:
	s_andn2_b64 vcc, exec, s[10:11]
	s_mov_b64 s[10:11], 0
	s_cbranch_vccnz .LBB150_1453
; %bb.1443:
	s_cmp_gt_i32 s3, 14
	s_cbranch_scc0 .LBB150_1446
; %bb.1444:
	s_cmp_eq_u32 s3, 15
	s_cbranch_scc0 .LBB150_1449
; %bb.1445:
	global_load_ushort v0, v[7:8], off
	s_mov_b64 s[0:1], 0
	s_mov_b64 s[12:13], -1
	s_waitcnt vmcnt(0)
	v_lshlrev_b32_e32 v0, 16, v0
	v_cvt_i32_f32_e32 v0, v0
	s_branch .LBB150_1450
.LBB150_1446:
	s_mov_b64 s[16:17], -1
                                        ; implicit-def: $vgpr0
	s_branch .LBB150_1451
.LBB150_1447:
	s_andn2_saveexec_b64 s[10:11], s[10:11]
	s_cbranch_execz .LBB150_1428
.LBB150_1448:
	v_cmp_ne_u16_e32 vcc, 0, v1
	s_andn2_b64 s[12:13], s[12:13], exec
	s_and_b64 s[16:17], vcc, exec
	s_or_b64 s[12:13], s[12:13], s[16:17]
	s_or_b64 exec, exec, s[10:11]
	v_mov_b32_e32 v0, 0
	s_and_saveexec_b64 s[10:11], s[12:13]
	s_cbranch_execnz .LBB150_1429
	s_branch .LBB150_1430
.LBB150_1449:
	s_mov_b64 s[0:1], -1
                                        ; implicit-def: $vgpr0
.LBB150_1450:
	s_mov_b64 s[16:17], 0
.LBB150_1451:
	s_and_b64 vcc, exec, s[16:17]
	s_cbranch_vccz .LBB150_1453
; %bb.1452:
	s_cmp_lg_u32 s3, 11
	s_mov_b64 s[10:11], -1
	s_cselect_b64 s[0:1], -1, 0
.LBB150_1453:
	s_and_b64 vcc, exec, s[0:1]
	s_cbranch_vccnz .LBB150_1986
; %bb.1454:
	s_andn2_b64 vcc, exec, s[10:11]
	s_cbranch_vccnz .LBB150_1456
.LBB150_1455:
	global_load_ubyte v0, v[7:8], off
	s_mov_b64 s[12:13], -1
	s_waitcnt vmcnt(0)
	v_cmp_ne_u16_e32 vcc, 0, v0
	v_cndmask_b32_e64 v0, 0, 1, vcc
.LBB150_1456:
	s_mov_b64 s[0:1], 0
.LBB150_1457:
	s_and_b64 vcc, exec, s[0:1]
	s_cbranch_vccz .LBB150_1506
; %bb.1458:
	s_and_b32 s3, 0xffff, s20
	s_cmp_lt_i32 s3, 5
	s_cbranch_scc1 .LBB150_1463
; %bb.1459:
	s_cmp_lt_i32 s3, 8
	s_cbranch_scc1 .LBB150_1464
; %bb.1460:
	;; [unrolled: 3-line block ×3, first 2 shown]
	s_cmp_gt_i32 s3, 9
	s_cbranch_scc0 .LBB150_1466
; %bb.1462:
	global_load_dwordx2 v[0:1], v[7:8], off
	s_mov_b64 s[0:1], 0
	s_waitcnt vmcnt(0)
	v_cvt_i32_f64_e32 v0, v[0:1]
	s_branch .LBB150_1467
.LBB150_1463:
	s_mov_b64 s[0:1], -1
                                        ; implicit-def: $vgpr0
	s_branch .LBB150_1485
.LBB150_1464:
	s_mov_b64 s[0:1], -1
                                        ; implicit-def: $vgpr0
	s_branch .LBB150_1473
.LBB150_1465:
	s_mov_b64 s[0:1], -1
                                        ; implicit-def: $vgpr0
	s_branch .LBB150_1470
.LBB150_1466:
	s_mov_b64 s[0:1], -1
                                        ; implicit-def: $vgpr0
.LBB150_1467:
	s_andn2_b64 vcc, exec, s[0:1]
	s_cbranch_vccnz .LBB150_1469
; %bb.1468:
	global_load_dword v0, v[7:8], off
	s_waitcnt vmcnt(0)
	v_cvt_i32_f32_e32 v0, v0
.LBB150_1469:
	s_mov_b64 s[0:1], 0
.LBB150_1470:
	s_andn2_b64 vcc, exec, s[0:1]
	s_cbranch_vccnz .LBB150_1472
; %bb.1471:
	global_load_dword v0, v[7:8], off
	s_waitcnt vmcnt(0)
	v_cvt_i16_f16_e32 v0, v0
.LBB150_1472:
	s_mov_b64 s[0:1], 0
.LBB150_1473:
	s_andn2_b64 vcc, exec, s[0:1]
	s_cbranch_vccnz .LBB150_1484
; %bb.1474:
	s_cmp_lt_i32 s3, 6
	s_cbranch_scc1 .LBB150_1477
; %bb.1475:
	s_cmp_gt_i32 s3, 6
	s_cbranch_scc0 .LBB150_1478
; %bb.1476:
	global_load_dwordx2 v[0:1], v[7:8], off
	s_mov_b64 s[0:1], 0
	s_waitcnt vmcnt(0)
	v_cvt_i32_f64_e32 v0, v[0:1]
	s_branch .LBB150_1479
.LBB150_1477:
	s_mov_b64 s[0:1], -1
                                        ; implicit-def: $vgpr0
	s_branch .LBB150_1482
.LBB150_1478:
	s_mov_b64 s[0:1], -1
                                        ; implicit-def: $vgpr0
.LBB150_1479:
	s_andn2_b64 vcc, exec, s[0:1]
	s_cbranch_vccnz .LBB150_1481
; %bb.1480:
	global_load_dword v0, v[7:8], off
	s_waitcnt vmcnt(0)
	v_cvt_i32_f32_e32 v0, v0
.LBB150_1481:
	s_mov_b64 s[0:1], 0
.LBB150_1482:
	s_andn2_b64 vcc, exec, s[0:1]
	s_cbranch_vccnz .LBB150_1484
; %bb.1483:
	global_load_ushort v0, v[7:8], off
	s_waitcnt vmcnt(0)
	v_cvt_i16_f16_e32 v0, v0
.LBB150_1484:
	s_mov_b64 s[0:1], 0
.LBB150_1485:
	s_andn2_b64 vcc, exec, s[0:1]
	s_cbranch_vccnz .LBB150_1505
; %bb.1486:
	s_cmp_lt_i32 s3, 2
	s_cbranch_scc1 .LBB150_1490
; %bb.1487:
	s_cmp_lt_i32 s3, 3
	s_cbranch_scc1 .LBB150_1491
; %bb.1488:
	s_cmp_gt_i32 s3, 3
	s_cbranch_scc0 .LBB150_1492
; %bb.1489:
	global_load_dwordx2 v[0:1], v[7:8], off
	s_mov_b64 s[0:1], 0
	s_branch .LBB150_1493
.LBB150_1490:
	s_mov_b64 s[0:1], -1
                                        ; implicit-def: $vgpr0
	s_branch .LBB150_1499
.LBB150_1491:
	s_mov_b64 s[0:1], -1
                                        ; implicit-def: $vgpr0
	s_branch .LBB150_1496
.LBB150_1492:
	s_mov_b64 s[0:1], -1
                                        ; implicit-def: $vgpr0
.LBB150_1493:
	s_andn2_b64 vcc, exec, s[0:1]
	s_cbranch_vccnz .LBB150_1495
; %bb.1494:
	global_load_dword v0, v[7:8], off
.LBB150_1495:
	s_mov_b64 s[0:1], 0
.LBB150_1496:
	s_andn2_b64 vcc, exec, s[0:1]
	s_cbranch_vccnz .LBB150_1498
; %bb.1497:
	global_load_ushort v0, v[7:8], off
.LBB150_1498:
	s_mov_b64 s[0:1], 0
.LBB150_1499:
	s_andn2_b64 vcc, exec, s[0:1]
	s_cbranch_vccnz .LBB150_1505
; %bb.1500:
	s_cmp_gt_i32 s3, 0
	s_cbranch_scc0 .LBB150_1502
; %bb.1501:
	global_load_ubyte v0, v[7:8], off
	s_mov_b64 s[0:1], 0
	s_branch .LBB150_1503
.LBB150_1502:
	s_mov_b64 s[0:1], -1
                                        ; implicit-def: $vgpr0
.LBB150_1503:
	s_andn2_b64 vcc, exec, s[0:1]
	s_cbranch_vccnz .LBB150_1505
; %bb.1504:
	global_load_ubyte v0, v[7:8], off
.LBB150_1505:
	s_mov_b64 s[12:13], -1
.LBB150_1506:
	s_andn2_b64 vcc, exec, s[12:13]
	s_cbranch_vccnz .LBB150_1940
; %bb.1507:
	v_bfe_i32 v7, v10, 0, 8
	s_waitcnt vmcnt(0)
	v_mov_b32_e32 v1, 7
	v_lshrrev_b32_sdwa v8, v1, sext(v7) dst_sel:DWORD dst_unused:UNUSED_PAD src0_sel:DWORD src1_sel:WORD_0
	v_mul_lo_u32 v1, s2, v9
	v_mov_b32_e32 v3, 6
	v_ashrrev_i32_e32 v5, v6, v7
	v_cmp_gt_u16_sdwa vcc, v6, v3 src0_sel:BYTE_0 src1_sel:DWORD
	v_cndmask_b32_e32 v3, v5, v8, vcc
	v_ashrrev_i32_e32 v6, 31, v1
	v_mov_b32_e32 v9, s9
	s_and_b32 s20, s33, 0xff
	v_add_co_u32_e32 v5, vcc, s8, v1
	s_cmp_lt_i32 s20, 11
	v_addc_co_u32_e32 v6, vcc, v9, v6, vcc
	s_cbranch_scc1 .LBB150_1585
; %bb.1508:
	s_and_b32 s3, 0xffff, s20
	s_mov_b64 s[16:17], -1
	s_mov_b64 s[10:11], 0
	s_cmp_gt_i32 s3, 25
	s_mov_b64 s[12:13], 0
	s_mov_b64 s[0:1], 0
	s_cbranch_scc0 .LBB150_1541
; %bb.1509:
	s_cmp_gt_i32 s3, 28
	s_cbranch_scc0 .LBB150_1524
; %bb.1510:
	s_cmp_gt_i32 s3, 43
	;; [unrolled: 3-line block ×3, first 2 shown]
	s_cbranch_scc0 .LBB150_1514
; %bb.1512:
	s_mov_b64 s[0:1], -1
	s_mov_b64 s[16:17], 0
	s_cmp_eq_u32 s3, 46
	s_cbranch_scc0 .LBB150_1514
; %bb.1513:
	v_bfe_i32 v9, v3, 0, 8
	v_cvt_f32_i32_sdwa v9, sext(v9) dst_sel:DWORD dst_unused:UNUSED_PAD src0_sel:WORD_0
	s_movk_i32 s12, 0x7fff
	s_mov_b64 s[0:1], 0
	v_bfe_u32 v10, v9, 16, 1
	v_add3_u32 v9, v9, v10, s12
	v_lshrrev_b32_e32 v9, 16, v9
	global_store_dword v[5:6], v9, off
	s_mov_b64 s[12:13], -1
.LBB150_1514:
	s_and_b64 vcc, exec, s[16:17]
	s_cbranch_vccz .LBB150_1519
; %bb.1515:
	s_cmp_eq_u32 s3, 44
	s_mov_b64 s[0:1], -1
	s_cbranch_scc0 .LBB150_1519
; %bb.1516:
	v_bfe_i32 v9, v3, 0, 8
	v_cvt_f32_i32_sdwa v9, sext(v9) dst_sel:DWORD dst_unused:UNUSED_PAD src0_sel:WORD_0
	s_movk_i32 s0, 0xff
	v_mov_b32_e32 v11, 0xff
	v_bfe_u32 v10, v9, 23, 8
	v_cmp_ne_u32_e32 vcc, s0, v10
	s_and_saveexec_b64 s[12:13], vcc
; %bb.1517:
	s_mov_b32 s0, 0x3fffff
	v_lshrrev_b32_e32 v11, 23, v9
	v_and_b32_e32 v12, 0x400000, v9
	v_and_or_b32 v9, v9, s0, v10
	v_cmp_ne_u32_e32 vcc, 0, v12
	v_cmp_ne_u32_e64 s[0:1], 0, v9
	s_and_b64 s[0:1], vcc, s[0:1]
	v_cndmask_b32_e64 v9, 0, 1, s[0:1]
	v_add_u32_e32 v11, v11, v9
; %bb.1518:
	s_or_b64 exec, exec, s[12:13]
	s_mov_b64 s[0:1], 0
	s_mov_b64 s[12:13], -1
	global_store_byte v[5:6], v11, off
.LBB150_1519:
	s_mov_b64 s[16:17], 0
.LBB150_1520:
	s_and_b64 vcc, exec, s[16:17]
	s_cbranch_vccz .LBB150_1523
; %bb.1521:
	s_cmp_eq_u32 s3, 29
	s_mov_b64 s[0:1], -1
	s_cbranch_scc0 .LBB150_1523
; %bb.1522:
	v_bfe_i32 v9, v3, 0, 8
	v_ashrrev_i32_e32 v10, 31, v9
	global_store_dwordx2 v[5:6], v[9:10], off
	s_mov_b64 s[0:1], 0
	s_mov_b64 s[12:13], -1
.LBB150_1523:
	s_mov_b64 s[16:17], 0
.LBB150_1524:
	s_and_b64 vcc, exec, s[16:17]
	s_cbranch_vccz .LBB150_1540
; %bb.1525:
	s_cmp_lt_i32 s3, 27
	s_mov_b64 s[12:13], -1
	s_cbranch_scc1 .LBB150_1531
; %bb.1526:
	s_cmp_gt_i32 s3, 27
	s_cbranch_scc0 .LBB150_1528
; %bb.1527:
	v_bfe_i32 v9, v3, 0, 8
	s_mov_b64 s[12:13], 0
	global_store_dword v[5:6], v9, off
.LBB150_1528:
	s_andn2_b64 vcc, exec, s[12:13]
	s_cbranch_vccnz .LBB150_1530
; %bb.1529:
	v_bfe_i32 v9, v3, 0, 8
	global_store_short v[5:6], v9, off
.LBB150_1530:
	s_mov_b64 s[12:13], 0
.LBB150_1531:
	s_andn2_b64 vcc, exec, s[12:13]
	s_cbranch_vccnz .LBB150_1539
; %bb.1532:
	v_bfe_i32 v9, v3, 0, 8
	v_cvt_f32_i32_sdwa v9, sext(v9) dst_sel:DWORD dst_unused:UNUSED_PAD src0_sel:WORD_0
	s_mov_b32 s12, 0x43800000
	v_mov_b32_e32 v11, 0x80
	v_and_b32_e32 v10, 0x7fffffff, v9
	v_cmp_gt_u32_e32 vcc, s12, v10
	s_and_saveexec_b64 s[12:13], vcc
	s_cbranch_execz .LBB150_1538
; %bb.1533:
	s_mov_b32 s16, 0x3bffffff
	v_cmp_lt_u32_e32 vcc, s16, v10
	s_mov_b64 s[16:17], 0
                                        ; implicit-def: $vgpr10
	s_and_saveexec_b64 s[18:19], vcc
	s_xor_b64 s[18:19], exec, s[18:19]
	s_cbranch_execz .LBB150_1987
; %bb.1534:
	v_bfe_u32 v10, v9, 20, 1
	s_mov_b32 s21, 0x487ffff
	v_add3_u32 v10, v9, v10, s21
	s_mov_b64 s[16:17], exec
	v_lshrrev_b32_e32 v10, 20, v10
	s_andn2_saveexec_b64 s[18:19], s[18:19]
	s_cbranch_execnz .LBB150_1988
.LBB150_1535:
	s_or_b64 exec, exec, s[18:19]
	v_mov_b32_e32 v11, 0
	s_and_saveexec_b64 s[18:19], s[16:17]
.LBB150_1536:
	v_lshrrev_b32_e32 v9, 24, v9
	s_movk_i32 s16, 0x80
	v_and_or_b32 v11, v9, s16, v10
.LBB150_1537:
	s_or_b64 exec, exec, s[18:19]
.LBB150_1538:
	s_or_b64 exec, exec, s[12:13]
	global_store_byte v[5:6], v11, off
.LBB150_1539:
	s_mov_b64 s[12:13], -1
.LBB150_1540:
	s_mov_b64 s[16:17], 0
.LBB150_1541:
	s_and_b64 vcc, exec, s[16:17]
	s_cbranch_vccz .LBB150_1581
; %bb.1542:
	s_cmp_gt_i32 s3, 22
	s_mov_b64 s[10:11], -1
	s_cbranch_scc0 .LBB150_1574
; %bb.1543:
	s_cmp_lt_i32 s3, 24
	s_cbranch_scc1 .LBB150_1563
; %bb.1544:
	s_cmp_gt_i32 s3, 24
	s_cbranch_scc0 .LBB150_1552
; %bb.1545:
	v_bfe_i32 v9, v3, 0, 8
	v_cvt_f32_i32_sdwa v9, sext(v9) dst_sel:DWORD dst_unused:UNUSED_PAD src0_sel:WORD_0
	s_mov_b32 s10, 0x47800000
	v_mov_b32_e32 v11, 0x80
	v_and_b32_e32 v10, 0x7fffffff, v9
	v_cmp_gt_u32_e32 vcc, s10, v10
	s_and_saveexec_b64 s[10:11], vcc
	s_cbranch_execz .LBB150_1551
; %bb.1546:
	s_mov_b32 s12, 0x37ffffff
	v_cmp_lt_u32_e32 vcc, s12, v10
	s_mov_b64 s[12:13], 0
                                        ; implicit-def: $vgpr10
	s_and_saveexec_b64 s[16:17], vcc
	s_xor_b64 s[16:17], exec, s[16:17]
	s_cbranch_execz .LBB150_1990
; %bb.1547:
	v_bfe_u32 v10, v9, 21, 1
	s_mov_b32 s18, 0x88fffff
	v_add3_u32 v10, v9, v10, s18
	s_mov_b64 s[12:13], exec
	v_lshrrev_b32_e32 v10, 21, v10
	s_andn2_saveexec_b64 s[16:17], s[16:17]
	s_cbranch_execnz .LBB150_1991
.LBB150_1548:
	s_or_b64 exec, exec, s[16:17]
	v_mov_b32_e32 v11, 0
	s_and_saveexec_b64 s[16:17], s[12:13]
.LBB150_1549:
	v_lshrrev_b32_e32 v9, 24, v9
	s_movk_i32 s12, 0x80
	v_and_or_b32 v11, v9, s12, v10
.LBB150_1550:
	s_or_b64 exec, exec, s[16:17]
.LBB150_1551:
	s_or_b64 exec, exec, s[10:11]
	s_mov_b64 s[10:11], 0
	global_store_byte v[5:6], v11, off
.LBB150_1552:
	s_and_b64 vcc, exec, s[10:11]
	s_cbranch_vccz .LBB150_1562
; %bb.1553:
	v_bfe_i32 v9, v3, 0, 8
	v_cvt_f32_i32_sdwa v9, sext(v9) dst_sel:DWORD dst_unused:UNUSED_PAD src0_sel:WORD_0
	s_mov_b32 s10, 0x43f00000
                                        ; implicit-def: $vgpr10
	v_and_b32_e32 v11, 0x7fffffff, v9
	v_cmp_gt_u32_e32 vcc, s10, v11
	s_and_saveexec_b64 s[10:11], vcc
	s_xor_b64 s[10:11], exec, s[10:11]
	s_cbranch_execz .LBB150_1559
; %bb.1554:
	s_mov_b32 s12, 0x3c7fffff
	v_cmp_lt_u32_e32 vcc, s12, v11
                                        ; implicit-def: $vgpr10
	s_and_saveexec_b64 s[12:13], vcc
	s_xor_b64 s[12:13], exec, s[12:13]
; %bb.1555:
	v_bfe_u32 v10, v9, 20, 1
	s_mov_b32 s16, 0x407ffff
	v_add3_u32 v10, v9, v10, s16
	v_lshrrev_b32_e32 v11, 20, v10
	v_and_b32_e32 v10, 0xff00000, v10
	s_mov_b32 s16, 0x7f00000
	v_mov_b32_e32 v12, 0x7e
	v_cmp_ne_u32_e32 vcc, s16, v10
	v_cndmask_b32_e32 v10, v12, v11, vcc
; %bb.1556:
	s_andn2_saveexec_b64 s[12:13], s[12:13]
; %bb.1557:
	s_mov_b32 s16, 0x46800000
	v_add_f32_e64 v10, |v9|, s16
; %bb.1558:
	s_or_b64 exec, exec, s[12:13]
                                        ; implicit-def: $vgpr11
.LBB150_1559:
	s_andn2_saveexec_b64 s[10:11], s[10:11]
; %bb.1560:
	s_mov_b32 s12, 0x7f800000
	v_mov_b32_e32 v10, 0x7e
	v_mov_b32_e32 v12, 0x7f
	v_cmp_lt_u32_e32 vcc, s12, v11
	v_cndmask_b32_e32 v10, v10, v12, vcc
; %bb.1561:
	s_or_b64 exec, exec, s[10:11]
	v_lshrrev_b32_e32 v9, 24, v9
	s_movk_i32 s10, 0x80
	v_and_or_b32 v9, v9, s10, v10
	global_store_byte v[5:6], v9, off
.LBB150_1562:
	s_mov_b64 s[10:11], 0
.LBB150_1563:
	s_andn2_b64 vcc, exec, s[10:11]
	s_cbranch_vccnz .LBB150_1573
; %bb.1564:
	v_bfe_i32 v9, v3, 0, 8
	v_cvt_f32_i32_sdwa v9, sext(v9) dst_sel:DWORD dst_unused:UNUSED_PAD src0_sel:WORD_0
	s_mov_b32 s10, 0x47800000
                                        ; implicit-def: $vgpr10
	v_and_b32_e32 v11, 0x7fffffff, v9
	v_cmp_gt_u32_e32 vcc, s10, v11
	s_and_saveexec_b64 s[10:11], vcc
	s_xor_b64 s[10:11], exec, s[10:11]
	s_cbranch_execz .LBB150_1570
; %bb.1565:
	s_mov_b32 s12, 0x387fffff
	v_cmp_lt_u32_e32 vcc, s12, v11
                                        ; implicit-def: $vgpr10
	s_and_saveexec_b64 s[12:13], vcc
	s_xor_b64 s[12:13], exec, s[12:13]
; %bb.1566:
	v_bfe_u32 v10, v9, 21, 1
	s_mov_b32 s16, 0x80fffff
	v_add3_u32 v10, v9, v10, s16
	v_lshrrev_b32_e32 v10, 21, v10
; %bb.1567:
	s_andn2_saveexec_b64 s[12:13], s[12:13]
; %bb.1568:
	s_mov_b32 s16, 0x43000000
	v_add_f32_e64 v10, |v9|, s16
; %bb.1569:
	s_or_b64 exec, exec, s[12:13]
                                        ; implicit-def: $vgpr11
.LBB150_1570:
	s_andn2_saveexec_b64 s[10:11], s[10:11]
; %bb.1571:
	s_mov_b32 s12, 0x7f800000
	v_mov_b32_e32 v10, 0x7c
	v_mov_b32_e32 v12, 0x7f
	v_cmp_lt_u32_e32 vcc, s12, v11
	v_cndmask_b32_e32 v10, v10, v12, vcc
; %bb.1572:
	s_or_b64 exec, exec, s[10:11]
	v_lshrrev_b32_e32 v9, 24, v9
	s_movk_i32 s10, 0x80
	v_and_or_b32 v9, v9, s10, v10
	global_store_byte v[5:6], v9, off
.LBB150_1573:
	s_mov_b64 s[10:11], 0
	s_mov_b64 s[12:13], -1
.LBB150_1574:
	s_andn2_b64 vcc, exec, s[10:11]
	s_mov_b64 s[10:11], 0
	s_cbranch_vccnz .LBB150_1581
; %bb.1575:
	s_cmp_gt_i32 s3, 14
	s_mov_b64 s[16:17], -1
	s_cbranch_scc0 .LBB150_1579
; %bb.1576:
	s_cmp_eq_u32 s3, 15
	s_mov_b64 s[0:1], -1
	s_cbranch_scc0 .LBB150_1578
; %bb.1577:
	v_bfe_i32 v9, v3, 0, 8
	v_cvt_f32_i32_sdwa v9, sext(v9) dst_sel:DWORD dst_unused:UNUSED_PAD src0_sel:WORD_0
	s_movk_i32 s10, 0x7fff
	s_mov_b64 s[0:1], 0
	s_mov_b64 s[12:13], -1
	v_bfe_u32 v10, v9, 16, 1
	v_add3_u32 v9, v9, v10, s10
	global_store_short_d16_hi v[5:6], v9, off
.LBB150_1578:
	s_mov_b64 s[16:17], 0
.LBB150_1579:
	s_mov_b64 s[10:11], 0
	s_and_b64 vcc, exec, s[16:17]
	s_cbranch_vccz .LBB150_1581
; %bb.1580:
	s_cmp_lg_u32 s3, 11
	s_mov_b64 s[10:11], -1
	s_cselect_b64 s[0:1], -1, 0
.LBB150_1581:
	s_and_b64 vcc, exec, s[0:1]
	s_cbranch_vccnz .LBB150_1989
; %bb.1582:
	s_andn2_b64 vcc, exec, s[10:11]
	s_cbranch_vccnz .LBB150_1584
.LBB150_1583:
	v_mov_b32_e32 v9, 0
	v_cmp_ne_u16_sdwa s[0:1], v3, v9 src0_sel:BYTE_0 src1_sel:DWORD
	v_cndmask_b32_e64 v9, 0, 1, s[0:1]
	s_mov_b64 s[12:13], -1
	global_store_byte v[5:6], v9, off
.LBB150_1584:
	s_mov_b64 s[0:1], 0
	s_branch .LBB150_1586
.LBB150_1585:
	s_mov_b64 s[0:1], -1
	s_mov_b64 s[12:13], 0
.LBB150_1586:
	s_and_b64 vcc, exec, s[0:1]
	s_cbranch_vccz .LBB150_1625
; %bb.1587:
	s_and_b32 s3, 0xffff, s20
	s_cmp_lt_i32 s3, 5
	s_mov_b64 s[0:1], -1
	s_cbranch_scc1 .LBB150_1608
; %bb.1588:
	s_cmp_lt_i32 s3, 8
	s_cbranch_scc1 .LBB150_1598
; %bb.1589:
	s_cmp_lt_i32 s3, 9
	s_cbranch_scc1 .LBB150_1595
; %bb.1590:
	s_cmp_gt_i32 s3, 9
	s_cbranch_scc0 .LBB150_1592
; %bb.1591:
	v_bfe_i32 v9, v3, 0, 8
	v_bfe_i32 v9, v9, 0, 16
	v_cvt_f64_i32_e32 v[9:10], v9
	v_mov_b32_e32 v11, 0
	v_mov_b32_e32 v12, v11
	s_mov_b64 s[0:1], 0
	global_store_dwordx4 v[5:6], v[9:12], off
.LBB150_1592:
	s_andn2_b64 vcc, exec, s[0:1]
	s_cbranch_vccnz .LBB150_1594
; %bb.1593:
	v_bfe_i32 v9, v3, 0, 8
	v_cvt_f32_i32_sdwa v9, sext(v9) dst_sel:DWORD dst_unused:UNUSED_PAD src0_sel:WORD_0
	v_mov_b32_e32 v10, 0
	global_store_dwordx2 v[5:6], v[9:10], off
.LBB150_1594:
	s_mov_b64 s[0:1], 0
.LBB150_1595:
	s_andn2_b64 vcc, exec, s[0:1]
	s_cbranch_vccnz .LBB150_1597
; %bb.1596:
	v_cvt_f16_i16_sdwa v9, sext(v3) dst_sel:DWORD dst_unused:UNUSED_PAD src0_sel:BYTE_0
	global_store_dword v[5:6], v9, off
.LBB150_1597:
	s_mov_b64 s[0:1], 0
.LBB150_1598:
	s_andn2_b64 vcc, exec, s[0:1]
	s_cbranch_vccnz .LBB150_1607
; %bb.1599:
	s_cmp_lt_i32 s3, 6
	s_mov_b64 s[0:1], -1
	s_cbranch_scc1 .LBB150_1605
; %bb.1600:
	s_cmp_gt_i32 s3, 6
	s_cbranch_scc0 .LBB150_1602
; %bb.1601:
	v_bfe_i32 v9, v3, 0, 8
	v_bfe_i32 v9, v9, 0, 16
	v_cvt_f64_i32_e32 v[9:10], v9
	s_mov_b64 s[0:1], 0
	global_store_dwordx2 v[5:6], v[9:10], off
.LBB150_1602:
	s_andn2_b64 vcc, exec, s[0:1]
	s_cbranch_vccnz .LBB150_1604
; %bb.1603:
	v_bfe_i32 v9, v3, 0, 8
	v_cvt_f32_i32_sdwa v9, sext(v9) dst_sel:DWORD dst_unused:UNUSED_PAD src0_sel:WORD_0
	global_store_dword v[5:6], v9, off
.LBB150_1604:
	s_mov_b64 s[0:1], 0
.LBB150_1605:
	s_andn2_b64 vcc, exec, s[0:1]
	s_cbranch_vccnz .LBB150_1607
; %bb.1606:
	v_cvt_f16_i16_sdwa v9, sext(v3) dst_sel:DWORD dst_unused:UNUSED_PAD src0_sel:BYTE_0
	global_store_short v[5:6], v9, off
.LBB150_1607:
	s_mov_b64 s[0:1], 0
.LBB150_1608:
	s_andn2_b64 vcc, exec, s[0:1]
	s_cbranch_vccnz .LBB150_1624
; %bb.1609:
	s_cmp_lt_i32 s3, 2
	s_mov_b64 s[0:1], -1
	s_cbranch_scc1 .LBB150_1619
; %bb.1610:
	s_cmp_lt_i32 s3, 3
	s_cbranch_scc1 .LBB150_1616
; %bb.1611:
	s_cmp_gt_i32 s3, 3
	s_cbranch_scc0 .LBB150_1613
; %bb.1612:
	v_bfe_i32 v9, v3, 0, 8
	v_ashrrev_i32_e32 v10, 31, v9
	global_store_dwordx2 v[5:6], v[9:10], off
	s_mov_b64 s[0:1], 0
.LBB150_1613:
	s_andn2_b64 vcc, exec, s[0:1]
	s_cbranch_vccnz .LBB150_1615
; %bb.1614:
	v_bfe_i32 v9, v3, 0, 8
	global_store_dword v[5:6], v9, off
.LBB150_1615:
	s_mov_b64 s[0:1], 0
.LBB150_1616:
	s_andn2_b64 vcc, exec, s[0:1]
	s_cbranch_vccnz .LBB150_1618
; %bb.1617:
	v_bfe_i32 v9, v3, 0, 8
	global_store_short v[5:6], v9, off
.LBB150_1618:
	s_mov_b64 s[0:1], 0
.LBB150_1619:
	s_andn2_b64 vcc, exec, s[0:1]
	s_cbranch_vccnz .LBB150_1624
; %bb.1620:
	s_cmp_gt_i32 s3, 0
	s_mov_b64 s[0:1], -1
	s_cbranch_scc0 .LBB150_1622
; %bb.1621:
	global_store_byte v[5:6], v3, off
	s_mov_b64 s[0:1], 0
.LBB150_1622:
	s_andn2_b64 vcc, exec, s[0:1]
	s_cbranch_vccnz .LBB150_1624
; %bb.1623:
	global_store_byte v[5:6], v3, off
.LBB150_1624:
	s_mov_b64 s[12:13], -1
.LBB150_1625:
	s_andn2_b64 vcc, exec, s[12:13]
	s_cbranch_vccnz .LBB150_1940
; %bb.1626:
	v_mov_b32_e32 v3, 6
	s_lshl_b32 s18, s2, 7
	v_ashrrev_i32_e32 v5, v4, v7
	v_cmp_gt_u16_sdwa vcc, v4, v3 src0_sel:BYTE_0 src1_sel:DWORD
	v_add_u32_e32 v1, s18, v1
	v_cndmask_b32_e32 v5, v5, v8, vcc
	v_ashrrev_i32_e32 v4, 31, v1
	v_mov_b32_e32 v6, s9
	v_add_co_u32_e32 v3, vcc, s8, v1
	s_cmp_lt_i32 s20, 11
	v_addc_co_u32_e32 v4, vcc, v6, v4, vcc
	s_cbranch_scc1 .LBB150_1704
; %bb.1627:
	s_and_b32 s19, 0xffff, s20
	s_mov_b64 s[12:13], -1
	s_mov_b64 s[2:3], 0
	s_cmp_gt_i32 s19, 25
	s_mov_b64 s[10:11], 0
	s_mov_b64 s[0:1], 0
	s_cbranch_scc0 .LBB150_1660
; %bb.1628:
	s_cmp_gt_i32 s19, 28
	s_cbranch_scc0 .LBB150_1643
; %bb.1629:
	s_cmp_gt_i32 s19, 43
	s_cbranch_scc0 .LBB150_1639
; %bb.1630:
	s_cmp_gt_i32 s19, 45
	s_cbranch_scc0 .LBB150_1633
; %bb.1631:
	s_mov_b64 s[0:1], -1
	s_mov_b64 s[12:13], 0
	s_cmp_eq_u32 s19, 46
	s_cbranch_scc0 .LBB150_1633
; %bb.1632:
	v_bfe_i32 v6, v5, 0, 8
	v_cvt_f32_i32_sdwa v6, sext(v6) dst_sel:DWORD dst_unused:UNUSED_PAD src0_sel:WORD_0
	s_movk_i32 s10, 0x7fff
	s_mov_b64 s[0:1], 0
	v_bfe_u32 v9, v6, 16, 1
	v_add3_u32 v6, v6, v9, s10
	v_lshrrev_b32_e32 v6, 16, v6
	global_store_dword v[3:4], v6, off
	s_mov_b64 s[10:11], -1
.LBB150_1633:
	s_and_b64 vcc, exec, s[12:13]
	s_cbranch_vccz .LBB150_1638
; %bb.1634:
	s_cmp_eq_u32 s19, 44
	s_mov_b64 s[0:1], -1
	s_cbranch_scc0 .LBB150_1638
; %bb.1635:
	v_bfe_i32 v6, v5, 0, 8
	v_cvt_f32_i32_sdwa v6, sext(v6) dst_sel:DWORD dst_unused:UNUSED_PAD src0_sel:WORD_0
	s_movk_i32 s0, 0xff
	v_mov_b32_e32 v10, 0xff
	v_bfe_u32 v9, v6, 23, 8
	v_cmp_ne_u32_e32 vcc, s0, v9
	s_and_saveexec_b64 s[10:11], vcc
; %bb.1636:
	s_mov_b32 s0, 0x3fffff
	v_lshrrev_b32_e32 v10, 23, v6
	v_and_b32_e32 v11, 0x400000, v6
	v_and_or_b32 v6, v6, s0, v9
	v_cmp_ne_u32_e32 vcc, 0, v11
	v_cmp_ne_u32_e64 s[0:1], 0, v6
	s_and_b64 s[0:1], vcc, s[0:1]
	v_cndmask_b32_e64 v6, 0, 1, s[0:1]
	v_add_u32_e32 v10, v10, v6
; %bb.1637:
	s_or_b64 exec, exec, s[10:11]
	s_mov_b64 s[0:1], 0
	s_mov_b64 s[10:11], -1
	global_store_byte v[3:4], v10, off
.LBB150_1638:
	s_mov_b64 s[12:13], 0
.LBB150_1639:
	s_and_b64 vcc, exec, s[12:13]
	s_cbranch_vccz .LBB150_1642
; %bb.1640:
	s_cmp_eq_u32 s19, 29
	s_mov_b64 s[0:1], -1
	s_cbranch_scc0 .LBB150_1642
; %bb.1641:
	v_bfe_i32 v9, v5, 0, 8
	v_ashrrev_i32_e32 v10, 31, v9
	global_store_dwordx2 v[3:4], v[9:10], off
	s_mov_b64 s[0:1], 0
	s_mov_b64 s[10:11], -1
.LBB150_1642:
	s_mov_b64 s[12:13], 0
.LBB150_1643:
	s_and_b64 vcc, exec, s[12:13]
	s_cbranch_vccz .LBB150_1659
; %bb.1644:
	s_cmp_lt_i32 s19, 27
	s_mov_b64 s[10:11], -1
	s_cbranch_scc1 .LBB150_1650
; %bb.1645:
	s_cmp_gt_i32 s19, 27
	s_cbranch_scc0 .LBB150_1647
; %bb.1646:
	v_bfe_i32 v6, v5, 0, 8
	s_mov_b64 s[10:11], 0
	global_store_dword v[3:4], v6, off
.LBB150_1647:
	s_andn2_b64 vcc, exec, s[10:11]
	s_cbranch_vccnz .LBB150_1649
; %bb.1648:
	v_bfe_i32 v6, v5, 0, 8
	global_store_short v[3:4], v6, off
.LBB150_1649:
	s_mov_b64 s[10:11], 0
.LBB150_1650:
	s_andn2_b64 vcc, exec, s[10:11]
	s_cbranch_vccnz .LBB150_1658
; %bb.1651:
	v_bfe_i32 v6, v5, 0, 8
	v_cvt_f32_i32_sdwa v6, sext(v6) dst_sel:DWORD dst_unused:UNUSED_PAD src0_sel:WORD_0
	s_mov_b32 s10, 0x43800000
	v_mov_b32_e32 v10, 0x80
	v_and_b32_e32 v9, 0x7fffffff, v6
	v_cmp_gt_u32_e32 vcc, s10, v9
	s_and_saveexec_b64 s[10:11], vcc
	s_cbranch_execz .LBB150_1657
; %bb.1652:
	s_mov_b32 s12, 0x3bffffff
	v_cmp_lt_u32_e32 vcc, s12, v9
	s_mov_b64 s[12:13], 0
                                        ; implicit-def: $vgpr9
	s_and_saveexec_b64 s[16:17], vcc
	s_xor_b64 s[16:17], exec, s[16:17]
	s_cbranch_execz .LBB150_1992
; %bb.1653:
	v_bfe_u32 v9, v6, 20, 1
	s_mov_b32 s21, 0x487ffff
	v_add3_u32 v9, v6, v9, s21
	s_mov_b64 s[12:13], exec
	v_lshrrev_b32_e32 v9, 20, v9
	s_andn2_saveexec_b64 s[16:17], s[16:17]
	s_cbranch_execnz .LBB150_1993
.LBB150_1654:
	s_or_b64 exec, exec, s[16:17]
	v_mov_b32_e32 v10, 0
	s_and_saveexec_b64 s[16:17], s[12:13]
.LBB150_1655:
	v_lshrrev_b32_e32 v6, 24, v6
	s_movk_i32 s12, 0x80
	v_and_or_b32 v10, v6, s12, v9
.LBB150_1656:
	s_or_b64 exec, exec, s[16:17]
.LBB150_1657:
	s_or_b64 exec, exec, s[10:11]
	global_store_byte v[3:4], v10, off
.LBB150_1658:
	s_mov_b64 s[10:11], -1
.LBB150_1659:
	s_mov_b64 s[12:13], 0
.LBB150_1660:
	s_and_b64 vcc, exec, s[12:13]
	s_cbranch_vccz .LBB150_1700
; %bb.1661:
	s_cmp_gt_i32 s19, 22
	s_mov_b64 s[2:3], -1
	s_cbranch_scc0 .LBB150_1693
; %bb.1662:
	s_cmp_lt_i32 s19, 24
	s_cbranch_scc1 .LBB150_1682
; %bb.1663:
	s_cmp_gt_i32 s19, 24
	s_cbranch_scc0 .LBB150_1671
; %bb.1664:
	v_bfe_i32 v6, v5, 0, 8
	v_cvt_f32_i32_sdwa v6, sext(v6) dst_sel:DWORD dst_unused:UNUSED_PAD src0_sel:WORD_0
	s_mov_b32 s2, 0x47800000
	v_mov_b32_e32 v10, 0x80
	v_and_b32_e32 v9, 0x7fffffff, v6
	v_cmp_gt_u32_e32 vcc, s2, v9
	s_and_saveexec_b64 s[2:3], vcc
	s_cbranch_execz .LBB150_1670
; %bb.1665:
	s_mov_b32 s10, 0x37ffffff
	v_cmp_lt_u32_e32 vcc, s10, v9
	s_mov_b64 s[10:11], 0
                                        ; implicit-def: $vgpr9
	s_and_saveexec_b64 s[12:13], vcc
	s_xor_b64 s[12:13], exec, s[12:13]
	s_cbranch_execz .LBB150_1995
; %bb.1666:
	v_bfe_u32 v9, v6, 21, 1
	s_mov_b32 s16, 0x88fffff
	v_add3_u32 v9, v6, v9, s16
	s_mov_b64 s[10:11], exec
	v_lshrrev_b32_e32 v9, 21, v9
	s_andn2_saveexec_b64 s[12:13], s[12:13]
	s_cbranch_execnz .LBB150_1996
.LBB150_1667:
	s_or_b64 exec, exec, s[12:13]
	v_mov_b32_e32 v10, 0
	s_and_saveexec_b64 s[12:13], s[10:11]
.LBB150_1668:
	v_lshrrev_b32_e32 v6, 24, v6
	s_movk_i32 s10, 0x80
	v_and_or_b32 v10, v6, s10, v9
.LBB150_1669:
	s_or_b64 exec, exec, s[12:13]
.LBB150_1670:
	s_or_b64 exec, exec, s[2:3]
	s_mov_b64 s[2:3], 0
	global_store_byte v[3:4], v10, off
.LBB150_1671:
	s_and_b64 vcc, exec, s[2:3]
	s_cbranch_vccz .LBB150_1681
; %bb.1672:
	v_bfe_i32 v6, v5, 0, 8
	v_cvt_f32_i32_sdwa v6, sext(v6) dst_sel:DWORD dst_unused:UNUSED_PAD src0_sel:WORD_0
	s_mov_b32 s2, 0x43f00000
                                        ; implicit-def: $vgpr9
	v_and_b32_e32 v10, 0x7fffffff, v6
	v_cmp_gt_u32_e32 vcc, s2, v10
	s_and_saveexec_b64 s[2:3], vcc
	s_xor_b64 s[2:3], exec, s[2:3]
	s_cbranch_execz .LBB150_1678
; %bb.1673:
	s_mov_b32 s10, 0x3c7fffff
	v_cmp_lt_u32_e32 vcc, s10, v10
                                        ; implicit-def: $vgpr9
	s_and_saveexec_b64 s[10:11], vcc
	s_xor_b64 s[10:11], exec, s[10:11]
; %bb.1674:
	v_bfe_u32 v9, v6, 20, 1
	s_mov_b32 s12, 0x407ffff
	v_add3_u32 v9, v6, v9, s12
	v_lshrrev_b32_e32 v10, 20, v9
	v_and_b32_e32 v9, 0xff00000, v9
	s_mov_b32 s12, 0x7f00000
	v_mov_b32_e32 v11, 0x7e
	v_cmp_ne_u32_e32 vcc, s12, v9
	v_cndmask_b32_e32 v9, v11, v10, vcc
; %bb.1675:
	s_andn2_saveexec_b64 s[10:11], s[10:11]
; %bb.1676:
	s_mov_b32 s12, 0x46800000
	v_add_f32_e64 v9, |v6|, s12
; %bb.1677:
	s_or_b64 exec, exec, s[10:11]
                                        ; implicit-def: $vgpr10
.LBB150_1678:
	s_andn2_saveexec_b64 s[2:3], s[2:3]
; %bb.1679:
	s_mov_b32 s10, 0x7f800000
	v_mov_b32_e32 v9, 0x7e
	v_mov_b32_e32 v11, 0x7f
	v_cmp_lt_u32_e32 vcc, s10, v10
	v_cndmask_b32_e32 v9, v9, v11, vcc
; %bb.1680:
	s_or_b64 exec, exec, s[2:3]
	v_lshrrev_b32_e32 v6, 24, v6
	s_movk_i32 s2, 0x80
	v_and_or_b32 v6, v6, s2, v9
	global_store_byte v[3:4], v6, off
.LBB150_1681:
	s_mov_b64 s[2:3], 0
.LBB150_1682:
	s_andn2_b64 vcc, exec, s[2:3]
	s_cbranch_vccnz .LBB150_1692
; %bb.1683:
	v_bfe_i32 v6, v5, 0, 8
	v_cvt_f32_i32_sdwa v6, sext(v6) dst_sel:DWORD dst_unused:UNUSED_PAD src0_sel:WORD_0
	s_mov_b32 s2, 0x47800000
                                        ; implicit-def: $vgpr9
	v_and_b32_e32 v10, 0x7fffffff, v6
	v_cmp_gt_u32_e32 vcc, s2, v10
	s_and_saveexec_b64 s[2:3], vcc
	s_xor_b64 s[2:3], exec, s[2:3]
	s_cbranch_execz .LBB150_1689
; %bb.1684:
	s_mov_b32 s10, 0x387fffff
	v_cmp_lt_u32_e32 vcc, s10, v10
                                        ; implicit-def: $vgpr9
	s_and_saveexec_b64 s[10:11], vcc
	s_xor_b64 s[10:11], exec, s[10:11]
; %bb.1685:
	v_bfe_u32 v9, v6, 21, 1
	s_mov_b32 s12, 0x80fffff
	v_add3_u32 v9, v6, v9, s12
	v_lshrrev_b32_e32 v9, 21, v9
; %bb.1686:
	s_andn2_saveexec_b64 s[10:11], s[10:11]
; %bb.1687:
	s_mov_b32 s12, 0x43000000
	v_add_f32_e64 v9, |v6|, s12
; %bb.1688:
	s_or_b64 exec, exec, s[10:11]
                                        ; implicit-def: $vgpr10
.LBB150_1689:
	s_andn2_saveexec_b64 s[2:3], s[2:3]
; %bb.1690:
	s_mov_b32 s10, 0x7f800000
	v_mov_b32_e32 v9, 0x7c
	v_mov_b32_e32 v11, 0x7f
	v_cmp_lt_u32_e32 vcc, s10, v10
	v_cndmask_b32_e32 v9, v9, v11, vcc
; %bb.1691:
	s_or_b64 exec, exec, s[2:3]
	v_lshrrev_b32_e32 v6, 24, v6
	s_movk_i32 s2, 0x80
	v_and_or_b32 v6, v6, s2, v9
	global_store_byte v[3:4], v6, off
.LBB150_1692:
	s_mov_b64 s[2:3], 0
	s_mov_b64 s[10:11], -1
.LBB150_1693:
	s_andn2_b64 vcc, exec, s[2:3]
	s_mov_b64 s[2:3], 0
	s_cbranch_vccnz .LBB150_1700
; %bb.1694:
	s_cmp_gt_i32 s19, 14
	s_mov_b64 s[12:13], -1
	s_cbranch_scc0 .LBB150_1698
; %bb.1695:
	s_cmp_eq_u32 s19, 15
	s_mov_b64 s[0:1], -1
	s_cbranch_scc0 .LBB150_1697
; %bb.1696:
	v_bfe_i32 v6, v5, 0, 8
	v_cvt_f32_i32_sdwa v6, sext(v6) dst_sel:DWORD dst_unused:UNUSED_PAD src0_sel:WORD_0
	s_movk_i32 s2, 0x7fff
	s_mov_b64 s[0:1], 0
	s_mov_b64 s[10:11], -1
	v_bfe_u32 v9, v6, 16, 1
	v_add3_u32 v6, v6, v9, s2
	global_store_short_d16_hi v[3:4], v6, off
.LBB150_1697:
	s_mov_b64 s[12:13], 0
.LBB150_1698:
	s_mov_b64 s[2:3], 0
	s_and_b64 vcc, exec, s[12:13]
	s_cbranch_vccz .LBB150_1700
; %bb.1699:
	s_cmp_lg_u32 s19, 11
	s_mov_b64 s[2:3], -1
	s_cselect_b64 s[0:1], -1, 0
.LBB150_1700:
	s_and_b64 vcc, exec, s[0:1]
	s_cbranch_vccnz .LBB150_1994
; %bb.1701:
	s_andn2_b64 vcc, exec, s[2:3]
	s_cbranch_vccnz .LBB150_1703
.LBB150_1702:
	v_mov_b32_e32 v6, 0
	v_cmp_ne_u16_sdwa s[0:1], v5, v6 src0_sel:BYTE_0 src1_sel:DWORD
	v_cndmask_b32_e64 v6, 0, 1, s[0:1]
	s_mov_b64 s[10:11], -1
	global_store_byte v[3:4], v6, off
.LBB150_1703:
	s_mov_b64 s[0:1], 0
	s_branch .LBB150_1705
.LBB150_1704:
	s_mov_b64 s[0:1], -1
	s_mov_b64 s[10:11], 0
.LBB150_1705:
	s_and_b64 vcc, exec, s[0:1]
	s_cbranch_vccz .LBB150_1744
; %bb.1706:
	s_and_b32 s2, 0xffff, s20
	s_cmp_lt_i32 s2, 5
	s_mov_b64 s[0:1], -1
	s_cbranch_scc1 .LBB150_1727
; %bb.1707:
	s_cmp_lt_i32 s2, 8
	s_cbranch_scc1 .LBB150_1717
; %bb.1708:
	s_cmp_lt_i32 s2, 9
	s_cbranch_scc1 .LBB150_1714
; %bb.1709:
	s_cmp_gt_i32 s2, 9
	s_cbranch_scc0 .LBB150_1711
; %bb.1710:
	v_bfe_i32 v6, v5, 0, 8
	v_bfe_i32 v6, v6, 0, 16
	v_cvt_f64_i32_e32 v[9:10], v6
	v_mov_b32_e32 v11, 0
	v_mov_b32_e32 v12, v11
	s_mov_b64 s[0:1], 0
	global_store_dwordx4 v[3:4], v[9:12], off
.LBB150_1711:
	s_andn2_b64 vcc, exec, s[0:1]
	s_cbranch_vccnz .LBB150_1713
; %bb.1712:
	v_bfe_i32 v6, v5, 0, 8
	v_cvt_f32_i32_sdwa v9, sext(v6) dst_sel:DWORD dst_unused:UNUSED_PAD src0_sel:WORD_0
	v_mov_b32_e32 v10, 0
	global_store_dwordx2 v[3:4], v[9:10], off
.LBB150_1713:
	s_mov_b64 s[0:1], 0
.LBB150_1714:
	s_andn2_b64 vcc, exec, s[0:1]
	s_cbranch_vccnz .LBB150_1716
; %bb.1715:
	v_cvt_f16_i16_sdwa v6, sext(v5) dst_sel:DWORD dst_unused:UNUSED_PAD src0_sel:BYTE_0
	global_store_dword v[3:4], v6, off
.LBB150_1716:
	s_mov_b64 s[0:1], 0
.LBB150_1717:
	s_andn2_b64 vcc, exec, s[0:1]
	s_cbranch_vccnz .LBB150_1726
; %bb.1718:
	s_cmp_lt_i32 s2, 6
	s_mov_b64 s[0:1], -1
	s_cbranch_scc1 .LBB150_1724
; %bb.1719:
	s_cmp_gt_i32 s2, 6
	s_cbranch_scc0 .LBB150_1721
; %bb.1720:
	v_bfe_i32 v6, v5, 0, 8
	v_bfe_i32 v6, v6, 0, 16
	v_cvt_f64_i32_e32 v[9:10], v6
	s_mov_b64 s[0:1], 0
	global_store_dwordx2 v[3:4], v[9:10], off
.LBB150_1721:
	s_andn2_b64 vcc, exec, s[0:1]
	s_cbranch_vccnz .LBB150_1723
; %bb.1722:
	v_bfe_i32 v6, v5, 0, 8
	v_cvt_f32_i32_sdwa v6, sext(v6) dst_sel:DWORD dst_unused:UNUSED_PAD src0_sel:WORD_0
	global_store_dword v[3:4], v6, off
.LBB150_1723:
	s_mov_b64 s[0:1], 0
.LBB150_1724:
	s_andn2_b64 vcc, exec, s[0:1]
	s_cbranch_vccnz .LBB150_1726
; %bb.1725:
	v_cvt_f16_i16_sdwa v6, sext(v5) dst_sel:DWORD dst_unused:UNUSED_PAD src0_sel:BYTE_0
	global_store_short v[3:4], v6, off
.LBB150_1726:
	s_mov_b64 s[0:1], 0
.LBB150_1727:
	s_andn2_b64 vcc, exec, s[0:1]
	s_cbranch_vccnz .LBB150_1743
; %bb.1728:
	s_cmp_lt_i32 s2, 2
	s_mov_b64 s[0:1], -1
	s_cbranch_scc1 .LBB150_1738
; %bb.1729:
	s_cmp_lt_i32 s2, 3
	s_cbranch_scc1 .LBB150_1735
; %bb.1730:
	s_cmp_gt_i32 s2, 3
	s_cbranch_scc0 .LBB150_1732
; %bb.1731:
	v_bfe_i32 v9, v5, 0, 8
	v_ashrrev_i32_e32 v10, 31, v9
	global_store_dwordx2 v[3:4], v[9:10], off
	s_mov_b64 s[0:1], 0
.LBB150_1732:
	s_andn2_b64 vcc, exec, s[0:1]
	s_cbranch_vccnz .LBB150_1734
; %bb.1733:
	v_bfe_i32 v6, v5, 0, 8
	global_store_dword v[3:4], v6, off
.LBB150_1734:
	s_mov_b64 s[0:1], 0
.LBB150_1735:
	s_andn2_b64 vcc, exec, s[0:1]
	s_cbranch_vccnz .LBB150_1737
; %bb.1736:
	v_bfe_i32 v6, v5, 0, 8
	global_store_short v[3:4], v6, off
.LBB150_1737:
	s_mov_b64 s[0:1], 0
.LBB150_1738:
	s_andn2_b64 vcc, exec, s[0:1]
	s_cbranch_vccnz .LBB150_1743
; %bb.1739:
	s_cmp_gt_i32 s2, 0
	s_mov_b64 s[0:1], -1
	s_cbranch_scc0 .LBB150_1741
; %bb.1740:
	global_store_byte v[3:4], v5, off
	s_mov_b64 s[0:1], 0
.LBB150_1741:
	s_andn2_b64 vcc, exec, s[0:1]
	s_cbranch_vccnz .LBB150_1743
; %bb.1742:
	global_store_byte v[3:4], v5, off
.LBB150_1743:
	s_mov_b64 s[10:11], -1
.LBB150_1744:
	s_andn2_b64 vcc, exec, s[10:11]
	s_cbranch_vccnz .LBB150_1940
; %bb.1745:
	v_mov_b32_e32 v3, 6
	v_ashrrev_i32_e32 v4, v2, v7
	v_cmp_gt_u16_sdwa vcc, v2, v3 src0_sel:BYTE_0 src1_sel:DWORD
	v_add_u32_e32 v3, s18, v1
	v_cndmask_b32_e32 v4, v4, v8, vcc
	v_ashrrev_i32_e32 v2, 31, v3
	v_mov_b32_e32 v5, s9
	v_add_co_u32_e32 v1, vcc, s8, v3
	s_cmp_lt_i32 s20, 11
	v_addc_co_u32_e32 v2, vcc, v5, v2, vcc
	s_cbranch_scc1 .LBB150_1823
; %bb.1746:
	s_and_b32 s19, 0xffff, s20
	s_mov_b64 s[12:13], -1
	s_mov_b64 s[2:3], 0
	s_cmp_gt_i32 s19, 25
	s_mov_b64 s[10:11], 0
	s_mov_b64 s[0:1], 0
	s_cbranch_scc0 .LBB150_1779
; %bb.1747:
	s_cmp_gt_i32 s19, 28
	s_cbranch_scc0 .LBB150_1762
; %bb.1748:
	s_cmp_gt_i32 s19, 43
	;; [unrolled: 3-line block ×3, first 2 shown]
	s_cbranch_scc0 .LBB150_1752
; %bb.1750:
	s_mov_b64 s[0:1], -1
	s_mov_b64 s[12:13], 0
	s_cmp_eq_u32 s19, 46
	s_cbranch_scc0 .LBB150_1752
; %bb.1751:
	v_bfe_i32 v5, v4, 0, 8
	v_cvt_f32_i32_sdwa v5, sext(v5) dst_sel:DWORD dst_unused:UNUSED_PAD src0_sel:WORD_0
	s_movk_i32 s10, 0x7fff
	s_mov_b64 s[0:1], 0
	v_bfe_u32 v6, v5, 16, 1
	v_add3_u32 v5, v5, v6, s10
	v_lshrrev_b32_e32 v5, 16, v5
	global_store_dword v[1:2], v5, off
	s_mov_b64 s[10:11], -1
.LBB150_1752:
	s_and_b64 vcc, exec, s[12:13]
	s_cbranch_vccz .LBB150_1757
; %bb.1753:
	s_cmp_eq_u32 s19, 44
	s_mov_b64 s[0:1], -1
	s_cbranch_scc0 .LBB150_1757
; %bb.1754:
	v_bfe_i32 v5, v4, 0, 8
	v_cvt_f32_i32_sdwa v5, sext(v5) dst_sel:DWORD dst_unused:UNUSED_PAD src0_sel:WORD_0
	s_movk_i32 s0, 0xff
	v_mov_b32_e32 v9, 0xff
	v_bfe_u32 v6, v5, 23, 8
	v_cmp_ne_u32_e32 vcc, s0, v6
	s_and_saveexec_b64 s[10:11], vcc
; %bb.1755:
	s_mov_b32 s0, 0x3fffff
	v_lshrrev_b32_e32 v9, 23, v5
	v_and_b32_e32 v10, 0x400000, v5
	v_and_or_b32 v5, v5, s0, v6
	v_cmp_ne_u32_e32 vcc, 0, v10
	v_cmp_ne_u32_e64 s[0:1], 0, v5
	s_and_b64 s[0:1], vcc, s[0:1]
	v_cndmask_b32_e64 v5, 0, 1, s[0:1]
	v_add_u32_e32 v9, v9, v5
; %bb.1756:
	s_or_b64 exec, exec, s[10:11]
	s_mov_b64 s[0:1], 0
	s_mov_b64 s[10:11], -1
	global_store_byte v[1:2], v9, off
.LBB150_1757:
	s_mov_b64 s[12:13], 0
.LBB150_1758:
	s_and_b64 vcc, exec, s[12:13]
	s_cbranch_vccz .LBB150_1761
; %bb.1759:
	s_cmp_eq_u32 s19, 29
	s_mov_b64 s[0:1], -1
	s_cbranch_scc0 .LBB150_1761
; %bb.1760:
	v_bfe_i32 v5, v4, 0, 8
	v_ashrrev_i32_e32 v6, 31, v5
	global_store_dwordx2 v[1:2], v[5:6], off
	s_mov_b64 s[0:1], 0
	s_mov_b64 s[10:11], -1
.LBB150_1761:
	s_mov_b64 s[12:13], 0
.LBB150_1762:
	s_and_b64 vcc, exec, s[12:13]
	s_cbranch_vccz .LBB150_1778
; %bb.1763:
	s_cmp_lt_i32 s19, 27
	s_mov_b64 s[10:11], -1
	s_cbranch_scc1 .LBB150_1769
; %bb.1764:
	s_cmp_gt_i32 s19, 27
	s_cbranch_scc0 .LBB150_1766
; %bb.1765:
	v_bfe_i32 v5, v4, 0, 8
	s_mov_b64 s[10:11], 0
	global_store_dword v[1:2], v5, off
.LBB150_1766:
	s_andn2_b64 vcc, exec, s[10:11]
	s_cbranch_vccnz .LBB150_1768
; %bb.1767:
	v_bfe_i32 v5, v4, 0, 8
	global_store_short v[1:2], v5, off
.LBB150_1768:
	s_mov_b64 s[10:11], 0
.LBB150_1769:
	s_andn2_b64 vcc, exec, s[10:11]
	s_cbranch_vccnz .LBB150_1777
; %bb.1770:
	v_bfe_i32 v5, v4, 0, 8
	v_cvt_f32_i32_sdwa v5, sext(v5) dst_sel:DWORD dst_unused:UNUSED_PAD src0_sel:WORD_0
	s_mov_b32 s10, 0x43800000
	v_mov_b32_e32 v9, 0x80
	v_and_b32_e32 v6, 0x7fffffff, v5
	v_cmp_gt_u32_e32 vcc, s10, v6
	s_and_saveexec_b64 s[10:11], vcc
	s_cbranch_execz .LBB150_1776
; %bb.1771:
	s_mov_b32 s12, 0x3bffffff
	v_cmp_lt_u32_e32 vcc, s12, v6
	s_mov_b64 s[12:13], 0
                                        ; implicit-def: $vgpr6
	s_and_saveexec_b64 s[16:17], vcc
	s_xor_b64 s[16:17], exec, s[16:17]
	s_cbranch_execz .LBB150_1997
; %bb.1772:
	v_bfe_u32 v6, v5, 20, 1
	s_mov_b32 s21, 0x487ffff
	v_add3_u32 v6, v5, v6, s21
	s_mov_b64 s[12:13], exec
	v_lshrrev_b32_e32 v6, 20, v6
	s_andn2_saveexec_b64 s[16:17], s[16:17]
	s_cbranch_execnz .LBB150_1998
.LBB150_1773:
	s_or_b64 exec, exec, s[16:17]
	v_mov_b32_e32 v9, 0
	s_and_saveexec_b64 s[16:17], s[12:13]
.LBB150_1774:
	v_lshrrev_b32_e32 v5, 24, v5
	s_movk_i32 s12, 0x80
	v_and_or_b32 v9, v5, s12, v6
.LBB150_1775:
	s_or_b64 exec, exec, s[16:17]
.LBB150_1776:
	s_or_b64 exec, exec, s[10:11]
	global_store_byte v[1:2], v9, off
.LBB150_1777:
	s_mov_b64 s[10:11], -1
.LBB150_1778:
	s_mov_b64 s[12:13], 0
.LBB150_1779:
	s_and_b64 vcc, exec, s[12:13]
	s_cbranch_vccz .LBB150_1819
; %bb.1780:
	s_cmp_gt_i32 s19, 22
	s_mov_b64 s[2:3], -1
	s_cbranch_scc0 .LBB150_1812
; %bb.1781:
	s_cmp_lt_i32 s19, 24
	s_cbranch_scc1 .LBB150_1801
; %bb.1782:
	s_cmp_gt_i32 s19, 24
	s_cbranch_scc0 .LBB150_1790
; %bb.1783:
	v_bfe_i32 v5, v4, 0, 8
	v_cvt_f32_i32_sdwa v5, sext(v5) dst_sel:DWORD dst_unused:UNUSED_PAD src0_sel:WORD_0
	s_mov_b32 s2, 0x47800000
	v_mov_b32_e32 v9, 0x80
	v_and_b32_e32 v6, 0x7fffffff, v5
	v_cmp_gt_u32_e32 vcc, s2, v6
	s_and_saveexec_b64 s[2:3], vcc
	s_cbranch_execz .LBB150_1789
; %bb.1784:
	s_mov_b32 s10, 0x37ffffff
	v_cmp_lt_u32_e32 vcc, s10, v6
	s_mov_b64 s[10:11], 0
                                        ; implicit-def: $vgpr6
	s_and_saveexec_b64 s[12:13], vcc
	s_xor_b64 s[12:13], exec, s[12:13]
	s_cbranch_execz .LBB150_2000
; %bb.1785:
	v_bfe_u32 v6, v5, 21, 1
	s_mov_b32 s16, 0x88fffff
	v_add3_u32 v6, v5, v6, s16
	s_mov_b64 s[10:11], exec
	v_lshrrev_b32_e32 v6, 21, v6
	s_andn2_saveexec_b64 s[12:13], s[12:13]
	s_cbranch_execnz .LBB150_2001
.LBB150_1786:
	s_or_b64 exec, exec, s[12:13]
	v_mov_b32_e32 v9, 0
	s_and_saveexec_b64 s[12:13], s[10:11]
.LBB150_1787:
	v_lshrrev_b32_e32 v5, 24, v5
	s_movk_i32 s10, 0x80
	v_and_or_b32 v9, v5, s10, v6
.LBB150_1788:
	s_or_b64 exec, exec, s[12:13]
.LBB150_1789:
	s_or_b64 exec, exec, s[2:3]
	s_mov_b64 s[2:3], 0
	global_store_byte v[1:2], v9, off
.LBB150_1790:
	s_and_b64 vcc, exec, s[2:3]
	s_cbranch_vccz .LBB150_1800
; %bb.1791:
	v_bfe_i32 v5, v4, 0, 8
	v_cvt_f32_i32_sdwa v5, sext(v5) dst_sel:DWORD dst_unused:UNUSED_PAD src0_sel:WORD_0
	s_mov_b32 s2, 0x43f00000
                                        ; implicit-def: $vgpr6
	v_and_b32_e32 v9, 0x7fffffff, v5
	v_cmp_gt_u32_e32 vcc, s2, v9
	s_and_saveexec_b64 s[2:3], vcc
	s_xor_b64 s[2:3], exec, s[2:3]
	s_cbranch_execz .LBB150_1797
; %bb.1792:
	s_mov_b32 s10, 0x3c7fffff
	v_cmp_lt_u32_e32 vcc, s10, v9
                                        ; implicit-def: $vgpr6
	s_and_saveexec_b64 s[10:11], vcc
	s_xor_b64 s[10:11], exec, s[10:11]
; %bb.1793:
	v_bfe_u32 v6, v5, 20, 1
	s_mov_b32 s12, 0x407ffff
	v_add3_u32 v6, v5, v6, s12
	v_lshrrev_b32_e32 v9, 20, v6
	v_and_b32_e32 v6, 0xff00000, v6
	s_mov_b32 s12, 0x7f00000
	v_mov_b32_e32 v10, 0x7e
	v_cmp_ne_u32_e32 vcc, s12, v6
	v_cndmask_b32_e32 v6, v10, v9, vcc
; %bb.1794:
	s_andn2_saveexec_b64 s[10:11], s[10:11]
; %bb.1795:
	s_mov_b32 s12, 0x46800000
	v_add_f32_e64 v6, |v5|, s12
; %bb.1796:
	s_or_b64 exec, exec, s[10:11]
                                        ; implicit-def: $vgpr9
.LBB150_1797:
	s_andn2_saveexec_b64 s[2:3], s[2:3]
; %bb.1798:
	s_mov_b32 s10, 0x7f800000
	v_mov_b32_e32 v6, 0x7e
	v_mov_b32_e32 v10, 0x7f
	v_cmp_lt_u32_e32 vcc, s10, v9
	v_cndmask_b32_e32 v6, v6, v10, vcc
; %bb.1799:
	s_or_b64 exec, exec, s[2:3]
	v_lshrrev_b32_e32 v5, 24, v5
	s_movk_i32 s2, 0x80
	v_and_or_b32 v5, v5, s2, v6
	global_store_byte v[1:2], v5, off
.LBB150_1800:
	s_mov_b64 s[2:3], 0
.LBB150_1801:
	s_andn2_b64 vcc, exec, s[2:3]
	s_cbranch_vccnz .LBB150_1811
; %bb.1802:
	v_bfe_i32 v5, v4, 0, 8
	v_cvt_f32_i32_sdwa v5, sext(v5) dst_sel:DWORD dst_unused:UNUSED_PAD src0_sel:WORD_0
	s_mov_b32 s2, 0x47800000
                                        ; implicit-def: $vgpr6
	v_and_b32_e32 v9, 0x7fffffff, v5
	v_cmp_gt_u32_e32 vcc, s2, v9
	s_and_saveexec_b64 s[2:3], vcc
	s_xor_b64 s[2:3], exec, s[2:3]
	s_cbranch_execz .LBB150_1808
; %bb.1803:
	s_mov_b32 s10, 0x387fffff
	v_cmp_lt_u32_e32 vcc, s10, v9
                                        ; implicit-def: $vgpr6
	s_and_saveexec_b64 s[10:11], vcc
	s_xor_b64 s[10:11], exec, s[10:11]
; %bb.1804:
	v_bfe_u32 v6, v5, 21, 1
	s_mov_b32 s12, 0x80fffff
	v_add3_u32 v6, v5, v6, s12
	v_lshrrev_b32_e32 v6, 21, v6
; %bb.1805:
	s_andn2_saveexec_b64 s[10:11], s[10:11]
; %bb.1806:
	s_mov_b32 s12, 0x43000000
	v_add_f32_e64 v6, |v5|, s12
; %bb.1807:
	s_or_b64 exec, exec, s[10:11]
                                        ; implicit-def: $vgpr9
.LBB150_1808:
	s_andn2_saveexec_b64 s[2:3], s[2:3]
; %bb.1809:
	s_mov_b32 s10, 0x7f800000
	v_mov_b32_e32 v6, 0x7c
	v_mov_b32_e32 v10, 0x7f
	v_cmp_lt_u32_e32 vcc, s10, v9
	v_cndmask_b32_e32 v6, v6, v10, vcc
; %bb.1810:
	s_or_b64 exec, exec, s[2:3]
	v_lshrrev_b32_e32 v5, 24, v5
	s_movk_i32 s2, 0x80
	v_and_or_b32 v5, v5, s2, v6
	global_store_byte v[1:2], v5, off
.LBB150_1811:
	s_mov_b64 s[2:3], 0
	s_mov_b64 s[10:11], -1
.LBB150_1812:
	s_andn2_b64 vcc, exec, s[2:3]
	s_mov_b64 s[2:3], 0
	s_cbranch_vccnz .LBB150_1819
; %bb.1813:
	s_cmp_gt_i32 s19, 14
	s_mov_b64 s[12:13], -1
	s_cbranch_scc0 .LBB150_1817
; %bb.1814:
	s_cmp_eq_u32 s19, 15
	s_mov_b64 s[0:1], -1
	s_cbranch_scc0 .LBB150_1816
; %bb.1815:
	v_bfe_i32 v5, v4, 0, 8
	v_cvt_f32_i32_sdwa v5, sext(v5) dst_sel:DWORD dst_unused:UNUSED_PAD src0_sel:WORD_0
	s_movk_i32 s2, 0x7fff
	s_mov_b64 s[0:1], 0
	s_mov_b64 s[10:11], -1
	v_bfe_u32 v6, v5, 16, 1
	v_add3_u32 v5, v5, v6, s2
	global_store_short_d16_hi v[1:2], v5, off
.LBB150_1816:
	s_mov_b64 s[12:13], 0
.LBB150_1817:
	s_mov_b64 s[2:3], 0
	s_and_b64 vcc, exec, s[12:13]
	s_cbranch_vccz .LBB150_1819
; %bb.1818:
	s_cmp_lg_u32 s19, 11
	s_mov_b64 s[2:3], -1
	s_cselect_b64 s[0:1], -1, 0
.LBB150_1819:
	s_and_b64 vcc, exec, s[0:1]
	s_cbranch_vccnz .LBB150_1999
; %bb.1820:
	s_andn2_b64 vcc, exec, s[2:3]
	s_cbranch_vccnz .LBB150_1822
.LBB150_1821:
	v_mov_b32_e32 v5, 0
	v_cmp_ne_u16_sdwa s[0:1], v4, v5 src0_sel:BYTE_0 src1_sel:DWORD
	v_cndmask_b32_e64 v5, 0, 1, s[0:1]
	s_mov_b64 s[10:11], -1
	global_store_byte v[1:2], v5, off
.LBB150_1822:
	s_mov_b64 s[0:1], 0
	s_branch .LBB150_1824
.LBB150_1823:
	s_mov_b64 s[0:1], -1
	s_mov_b64 s[10:11], 0
.LBB150_1824:
	s_and_b64 vcc, exec, s[0:1]
	s_cbranch_vccz .LBB150_1863
; %bb.1825:
	s_and_b32 s2, 0xffff, s20
	s_cmp_lt_i32 s2, 5
	s_mov_b64 s[0:1], -1
	s_cbranch_scc1 .LBB150_1846
; %bb.1826:
	s_cmp_lt_i32 s2, 8
	s_cbranch_scc1 .LBB150_1836
; %bb.1827:
	s_cmp_lt_i32 s2, 9
	s_cbranch_scc1 .LBB150_1833
; %bb.1828:
	s_cmp_gt_i32 s2, 9
	s_cbranch_scc0 .LBB150_1830
; %bb.1829:
	v_bfe_i32 v5, v4, 0, 8
	v_bfe_i32 v5, v5, 0, 16
	v_cvt_f64_i32_e32 v[9:10], v5
	v_mov_b32_e32 v11, 0
	v_mov_b32_e32 v12, v11
	s_mov_b64 s[0:1], 0
	global_store_dwordx4 v[1:2], v[9:12], off
.LBB150_1830:
	s_andn2_b64 vcc, exec, s[0:1]
	s_cbranch_vccnz .LBB150_1832
; %bb.1831:
	v_bfe_i32 v5, v4, 0, 8
	v_cvt_f32_i32_sdwa v5, sext(v5) dst_sel:DWORD dst_unused:UNUSED_PAD src0_sel:WORD_0
	v_mov_b32_e32 v6, 0
	global_store_dwordx2 v[1:2], v[5:6], off
.LBB150_1832:
	s_mov_b64 s[0:1], 0
.LBB150_1833:
	s_andn2_b64 vcc, exec, s[0:1]
	s_cbranch_vccnz .LBB150_1835
; %bb.1834:
	v_cvt_f16_i16_sdwa v5, sext(v4) dst_sel:DWORD dst_unused:UNUSED_PAD src0_sel:BYTE_0
	global_store_dword v[1:2], v5, off
.LBB150_1835:
	s_mov_b64 s[0:1], 0
.LBB150_1836:
	s_andn2_b64 vcc, exec, s[0:1]
	s_cbranch_vccnz .LBB150_1845
; %bb.1837:
	s_cmp_lt_i32 s2, 6
	s_mov_b64 s[0:1], -1
	s_cbranch_scc1 .LBB150_1843
; %bb.1838:
	s_cmp_gt_i32 s2, 6
	s_cbranch_scc0 .LBB150_1840
; %bb.1839:
	v_bfe_i32 v5, v4, 0, 8
	v_bfe_i32 v5, v5, 0, 16
	v_cvt_f64_i32_e32 v[5:6], v5
	s_mov_b64 s[0:1], 0
	global_store_dwordx2 v[1:2], v[5:6], off
.LBB150_1840:
	s_andn2_b64 vcc, exec, s[0:1]
	s_cbranch_vccnz .LBB150_1842
; %bb.1841:
	v_bfe_i32 v5, v4, 0, 8
	v_cvt_f32_i32_sdwa v5, sext(v5) dst_sel:DWORD dst_unused:UNUSED_PAD src0_sel:WORD_0
	global_store_dword v[1:2], v5, off
.LBB150_1842:
	s_mov_b64 s[0:1], 0
.LBB150_1843:
	s_andn2_b64 vcc, exec, s[0:1]
	s_cbranch_vccnz .LBB150_1845
; %bb.1844:
	v_cvt_f16_i16_sdwa v5, sext(v4) dst_sel:DWORD dst_unused:UNUSED_PAD src0_sel:BYTE_0
	global_store_short v[1:2], v5, off
.LBB150_1845:
	s_mov_b64 s[0:1], 0
.LBB150_1846:
	s_andn2_b64 vcc, exec, s[0:1]
	s_cbranch_vccnz .LBB150_1862
; %bb.1847:
	s_cmp_lt_i32 s2, 2
	s_mov_b64 s[0:1], -1
	s_cbranch_scc1 .LBB150_1857
; %bb.1848:
	s_cmp_lt_i32 s2, 3
	s_cbranch_scc1 .LBB150_1854
; %bb.1849:
	s_cmp_gt_i32 s2, 3
	s_cbranch_scc0 .LBB150_1851
; %bb.1850:
	v_bfe_i32 v5, v4, 0, 8
	v_ashrrev_i32_e32 v6, 31, v5
	global_store_dwordx2 v[1:2], v[5:6], off
	s_mov_b64 s[0:1], 0
.LBB150_1851:
	s_andn2_b64 vcc, exec, s[0:1]
	s_cbranch_vccnz .LBB150_1853
; %bb.1852:
	v_bfe_i32 v5, v4, 0, 8
	global_store_dword v[1:2], v5, off
.LBB150_1853:
	s_mov_b64 s[0:1], 0
.LBB150_1854:
	s_andn2_b64 vcc, exec, s[0:1]
	s_cbranch_vccnz .LBB150_1856
; %bb.1855:
	v_bfe_i32 v5, v4, 0, 8
	global_store_short v[1:2], v5, off
.LBB150_1856:
	s_mov_b64 s[0:1], 0
.LBB150_1857:
	s_andn2_b64 vcc, exec, s[0:1]
	s_cbranch_vccnz .LBB150_1862
; %bb.1858:
	s_cmp_gt_i32 s2, 0
	s_mov_b64 s[0:1], -1
	s_cbranch_scc0 .LBB150_1860
; %bb.1859:
	global_store_byte v[1:2], v4, off
	s_mov_b64 s[0:1], 0
.LBB150_1860:
	s_andn2_b64 vcc, exec, s[0:1]
	s_cbranch_vccnz .LBB150_1862
; %bb.1861:
	global_store_byte v[1:2], v4, off
.LBB150_1862:
	s_mov_b64 s[10:11], -1
.LBB150_1863:
	s_andn2_b64 vcc, exec, s[10:11]
	s_cbranch_vccnz .LBB150_1940
; %bb.1864:
	v_mov_b32_e32 v1, 6
	v_ashrrev_i32_e32 v2, v0, v7
	v_cmp_gt_u16_sdwa vcc, v0, v1 src0_sel:BYTE_0 src1_sel:DWORD
	v_add_u32_e32 v0, s18, v3
	v_cndmask_b32_e32 v2, v2, v8, vcc
	v_ashrrev_i32_e32 v1, 31, v0
	v_mov_b32_e32 v3, s9
	v_add_co_u32_e32 v0, vcc, s8, v0
	s_cmp_lt_i32 s20, 11
	v_addc_co_u32_e32 v1, vcc, v3, v1, vcc
	s_cbranch_scc1 .LBB150_1985
; %bb.1865:
	s_and_b32 s16, 0xffff, s20
	s_mov_b64 s[8:9], -1
	s_mov_b64 s[2:3], 0
	s_cmp_gt_i32 s16, 25
	s_mov_b64 s[0:1], 0
	s_cbranch_scc0 .LBB150_1898
; %bb.1866:
	s_cmp_gt_i32 s16, 28
	s_cbranch_scc0 .LBB150_1882
; %bb.1867:
	s_cmp_gt_i32 s16, 43
	;; [unrolled: 3-line block ×3, first 2 shown]
	s_cbranch_scc0 .LBB150_1872
; %bb.1869:
	s_cmp_eq_u32 s16, 46
	s_mov_b64 s[0:1], -1
	s_cbranch_scc0 .LBB150_1871
; %bb.1870:
	v_bfe_i32 v3, v2, 0, 8
	v_cvt_f32_i32_sdwa v3, sext(v3) dst_sel:DWORD dst_unused:UNUSED_PAD src0_sel:WORD_0
	s_movk_i32 s0, 0x7fff
	v_bfe_u32 v4, v3, 16, 1
	v_add3_u32 v3, v3, v4, s0
	v_lshrrev_b32_e32 v3, 16, v3
	global_store_dword v[0:1], v3, off
	s_mov_b64 s[0:1], 0
.LBB150_1871:
	s_mov_b64 s[8:9], 0
.LBB150_1872:
	s_and_b64 vcc, exec, s[8:9]
	s_cbranch_vccz .LBB150_1877
; %bb.1873:
	s_cmp_eq_u32 s16, 44
	s_mov_b64 s[0:1], -1
	s_cbranch_scc0 .LBB150_1877
; %bb.1874:
	v_bfe_i32 v3, v2, 0, 8
	v_cvt_f32_i32_sdwa v3, sext(v3) dst_sel:DWORD dst_unused:UNUSED_PAD src0_sel:WORD_0
	s_movk_i32 s0, 0xff
	v_mov_b32_e32 v5, 0xff
	v_bfe_u32 v4, v3, 23, 8
	v_cmp_ne_u32_e32 vcc, s0, v4
	s_and_saveexec_b64 s[8:9], vcc
; %bb.1875:
	s_mov_b32 s0, 0x3fffff
	v_lshrrev_b32_e32 v5, 23, v3
	v_and_b32_e32 v6, 0x400000, v3
	v_and_or_b32 v3, v3, s0, v4
	v_cmp_ne_u32_e32 vcc, 0, v6
	v_cmp_ne_u32_e64 s[0:1], 0, v3
	s_and_b64 s[0:1], vcc, s[0:1]
	v_cndmask_b32_e64 v3, 0, 1, s[0:1]
	v_add_u32_e32 v5, v5, v3
; %bb.1876:
	s_or_b64 exec, exec, s[8:9]
	s_mov_b64 s[0:1], 0
	global_store_byte v[0:1], v5, off
.LBB150_1877:
	s_mov_b64 s[8:9], 0
.LBB150_1878:
	s_and_b64 vcc, exec, s[8:9]
	s_cbranch_vccz .LBB150_1881
; %bb.1879:
	s_cmp_eq_u32 s16, 29
	s_mov_b64 s[0:1], -1
	s_cbranch_scc0 .LBB150_1881
; %bb.1880:
	v_bfe_i32 v3, v2, 0, 8
	v_ashrrev_i32_e32 v4, 31, v3
	global_store_dwordx2 v[0:1], v[3:4], off
	s_mov_b64 s[0:1], 0
.LBB150_1881:
	s_mov_b64 s[8:9], 0
.LBB150_1882:
	s_and_b64 vcc, exec, s[8:9]
	s_cbranch_vccz .LBB150_1897
; %bb.1883:
	s_cmp_lt_i32 s16, 27
	s_mov_b64 s[8:9], -1
	s_cbranch_scc1 .LBB150_1889
; %bb.1884:
	s_cmp_gt_i32 s16, 27
	s_cbranch_scc0 .LBB150_1886
; %bb.1885:
	v_bfe_i32 v3, v2, 0, 8
	global_store_dword v[0:1], v3, off
	s_mov_b64 s[8:9], 0
.LBB150_1886:
	s_andn2_b64 vcc, exec, s[8:9]
	s_cbranch_vccnz .LBB150_1888
; %bb.1887:
	v_bfe_i32 v3, v2, 0, 8
	global_store_short v[0:1], v3, off
.LBB150_1888:
	s_mov_b64 s[8:9], 0
.LBB150_1889:
	s_andn2_b64 vcc, exec, s[8:9]
	s_cbranch_vccnz .LBB150_1897
; %bb.1890:
	v_bfe_i32 v3, v2, 0, 8
	v_cvt_f32_i32_sdwa v3, sext(v3) dst_sel:DWORD dst_unused:UNUSED_PAD src0_sel:WORD_0
	s_mov_b32 s8, 0x43800000
	v_mov_b32_e32 v5, 0x80
	v_and_b32_e32 v4, 0x7fffffff, v3
	v_cmp_gt_u32_e32 vcc, s8, v4
	s_and_saveexec_b64 s[8:9], vcc
	s_cbranch_execz .LBB150_1896
; %bb.1891:
	s_mov_b32 s10, 0x3bffffff
	v_cmp_lt_u32_e32 vcc, s10, v4
	s_mov_b64 s[10:11], 0
                                        ; implicit-def: $vgpr4
	s_and_saveexec_b64 s[12:13], vcc
	s_xor_b64 s[12:13], exec, s[12:13]
	s_cbranch_execz .LBB150_2002
; %bb.1892:
	v_bfe_u32 v4, v3, 20, 1
	s_mov_b32 s17, 0x487ffff
	v_add3_u32 v4, v3, v4, s17
	s_mov_b64 s[10:11], exec
	v_lshrrev_b32_e32 v4, 20, v4
	s_andn2_saveexec_b64 s[12:13], s[12:13]
	s_cbranch_execnz .LBB150_2003
.LBB150_1893:
	s_or_b64 exec, exec, s[12:13]
	v_mov_b32_e32 v5, 0
	s_and_saveexec_b64 s[12:13], s[10:11]
.LBB150_1894:
	v_lshrrev_b32_e32 v3, 24, v3
	s_movk_i32 s10, 0x80
	v_and_or_b32 v5, v3, s10, v4
.LBB150_1895:
	s_or_b64 exec, exec, s[12:13]
.LBB150_1896:
	s_or_b64 exec, exec, s[8:9]
	global_store_byte v[0:1], v5, off
.LBB150_1897:
	s_mov_b64 s[8:9], 0
.LBB150_1898:
	s_and_b64 vcc, exec, s[8:9]
	s_cbranch_vccz .LBB150_1938
; %bb.1899:
	s_cmp_gt_i32 s16, 22
	s_mov_b64 s[2:3], -1
	s_cbranch_scc0 .LBB150_1931
; %bb.1900:
	s_cmp_lt_i32 s16, 24
	s_cbranch_scc1 .LBB150_1920
; %bb.1901:
	s_cmp_gt_i32 s16, 24
	s_cbranch_scc0 .LBB150_1909
; %bb.1902:
	v_bfe_i32 v3, v2, 0, 8
	v_cvt_f32_i32_sdwa v3, sext(v3) dst_sel:DWORD dst_unused:UNUSED_PAD src0_sel:WORD_0
	s_mov_b32 s2, 0x47800000
	v_mov_b32_e32 v5, 0x80
	v_and_b32_e32 v4, 0x7fffffff, v3
	v_cmp_gt_u32_e32 vcc, s2, v4
	s_and_saveexec_b64 s[2:3], vcc
	s_cbranch_execz .LBB150_1908
; %bb.1903:
	s_mov_b32 s8, 0x37ffffff
	v_cmp_lt_u32_e32 vcc, s8, v4
	s_mov_b64 s[8:9], 0
                                        ; implicit-def: $vgpr4
	s_and_saveexec_b64 s[10:11], vcc
	s_xor_b64 s[10:11], exec, s[10:11]
	s_cbranch_execz .LBB150_2005
; %bb.1904:
	v_bfe_u32 v4, v3, 21, 1
	s_mov_b32 s12, 0x88fffff
	v_add3_u32 v4, v3, v4, s12
	s_mov_b64 s[8:9], exec
	v_lshrrev_b32_e32 v4, 21, v4
	s_andn2_saveexec_b64 s[10:11], s[10:11]
	s_cbranch_execnz .LBB150_2006
.LBB150_1905:
	s_or_b64 exec, exec, s[10:11]
	v_mov_b32_e32 v5, 0
	s_and_saveexec_b64 s[10:11], s[8:9]
.LBB150_1906:
	v_lshrrev_b32_e32 v3, 24, v3
	s_movk_i32 s8, 0x80
	v_and_or_b32 v5, v3, s8, v4
.LBB150_1907:
	s_or_b64 exec, exec, s[10:11]
.LBB150_1908:
	s_or_b64 exec, exec, s[2:3]
	s_mov_b64 s[2:3], 0
	global_store_byte v[0:1], v5, off
.LBB150_1909:
	s_and_b64 vcc, exec, s[2:3]
	s_cbranch_vccz .LBB150_1919
; %bb.1910:
	v_bfe_i32 v3, v2, 0, 8
	v_cvt_f32_i32_sdwa v3, sext(v3) dst_sel:DWORD dst_unused:UNUSED_PAD src0_sel:WORD_0
	s_mov_b32 s2, 0x43f00000
                                        ; implicit-def: $vgpr4
	v_and_b32_e32 v5, 0x7fffffff, v3
	v_cmp_gt_u32_e32 vcc, s2, v5
	s_and_saveexec_b64 s[2:3], vcc
	s_xor_b64 s[2:3], exec, s[2:3]
	s_cbranch_execz .LBB150_1916
; %bb.1911:
	s_mov_b32 s8, 0x3c7fffff
	v_cmp_lt_u32_e32 vcc, s8, v5
                                        ; implicit-def: $vgpr4
	s_and_saveexec_b64 s[8:9], vcc
	s_xor_b64 s[8:9], exec, s[8:9]
; %bb.1912:
	v_bfe_u32 v4, v3, 20, 1
	s_mov_b32 s10, 0x407ffff
	v_add3_u32 v4, v3, v4, s10
	v_lshrrev_b32_e32 v5, 20, v4
	v_and_b32_e32 v4, 0xff00000, v4
	s_mov_b32 s10, 0x7f00000
	v_mov_b32_e32 v6, 0x7e
	v_cmp_ne_u32_e32 vcc, s10, v4
	v_cndmask_b32_e32 v4, v6, v5, vcc
; %bb.1913:
	s_andn2_saveexec_b64 s[8:9], s[8:9]
; %bb.1914:
	s_mov_b32 s10, 0x46800000
	v_add_f32_e64 v4, |v3|, s10
; %bb.1915:
	s_or_b64 exec, exec, s[8:9]
                                        ; implicit-def: $vgpr5
.LBB150_1916:
	s_andn2_saveexec_b64 s[2:3], s[2:3]
; %bb.1917:
	s_mov_b32 s8, 0x7f800000
	v_mov_b32_e32 v4, 0x7e
	v_mov_b32_e32 v6, 0x7f
	v_cmp_lt_u32_e32 vcc, s8, v5
	v_cndmask_b32_e32 v4, v4, v6, vcc
; %bb.1918:
	s_or_b64 exec, exec, s[2:3]
	v_lshrrev_b32_e32 v3, 24, v3
	s_movk_i32 s2, 0x80
	v_and_or_b32 v3, v3, s2, v4
	global_store_byte v[0:1], v3, off
.LBB150_1919:
	s_mov_b64 s[2:3], 0
.LBB150_1920:
	s_andn2_b64 vcc, exec, s[2:3]
	s_cbranch_vccnz .LBB150_1930
; %bb.1921:
	v_bfe_i32 v3, v2, 0, 8
	v_cvt_f32_i32_sdwa v3, sext(v3) dst_sel:DWORD dst_unused:UNUSED_PAD src0_sel:WORD_0
	s_mov_b32 s2, 0x47800000
                                        ; implicit-def: $vgpr4
	v_and_b32_e32 v5, 0x7fffffff, v3
	v_cmp_gt_u32_e32 vcc, s2, v5
	s_and_saveexec_b64 s[2:3], vcc
	s_xor_b64 s[2:3], exec, s[2:3]
	s_cbranch_execz .LBB150_1927
; %bb.1922:
	s_mov_b32 s8, 0x387fffff
	v_cmp_lt_u32_e32 vcc, s8, v5
                                        ; implicit-def: $vgpr4
	s_and_saveexec_b64 s[8:9], vcc
	s_xor_b64 s[8:9], exec, s[8:9]
; %bb.1923:
	v_bfe_u32 v4, v3, 21, 1
	s_mov_b32 s10, 0x80fffff
	v_add3_u32 v4, v3, v4, s10
	v_lshrrev_b32_e32 v4, 21, v4
; %bb.1924:
	s_andn2_saveexec_b64 s[8:9], s[8:9]
; %bb.1925:
	s_mov_b32 s10, 0x43000000
	v_add_f32_e64 v4, |v3|, s10
; %bb.1926:
	s_or_b64 exec, exec, s[8:9]
                                        ; implicit-def: $vgpr5
.LBB150_1927:
	s_andn2_saveexec_b64 s[2:3], s[2:3]
; %bb.1928:
	s_mov_b32 s8, 0x7f800000
	v_mov_b32_e32 v4, 0x7c
	v_mov_b32_e32 v6, 0x7f
	v_cmp_lt_u32_e32 vcc, s8, v5
	v_cndmask_b32_e32 v4, v4, v6, vcc
; %bb.1929:
	s_or_b64 exec, exec, s[2:3]
	v_lshrrev_b32_e32 v3, 24, v3
	s_movk_i32 s2, 0x80
	v_and_or_b32 v3, v3, s2, v4
	global_store_byte v[0:1], v3, off
.LBB150_1930:
	s_mov_b64 s[2:3], 0
.LBB150_1931:
	s_andn2_b64 vcc, exec, s[2:3]
	s_mov_b64 s[2:3], 0
	s_cbranch_vccnz .LBB150_1938
; %bb.1932:
	s_cmp_gt_i32 s16, 14
	s_mov_b64 s[8:9], -1
	s_cbranch_scc0 .LBB150_1936
; %bb.1933:
	s_cmp_eq_u32 s16, 15
	s_mov_b64 s[0:1], -1
	s_cbranch_scc0 .LBB150_1935
; %bb.1934:
	v_bfe_i32 v3, v2, 0, 8
	v_cvt_f32_i32_sdwa v3, sext(v3) dst_sel:DWORD dst_unused:UNUSED_PAD src0_sel:WORD_0
	s_movk_i32 s0, 0x7fff
	v_bfe_u32 v4, v3, 16, 1
	v_add3_u32 v3, v3, v4, s0
	global_store_short_d16_hi v[0:1], v3, off
	s_mov_b64 s[0:1], 0
.LBB150_1935:
	s_mov_b64 s[8:9], 0
.LBB150_1936:
	s_and_b64 vcc, exec, s[8:9]
	s_cbranch_vccz .LBB150_1938
; %bb.1937:
	s_cmp_lg_u32 s16, 11
	s_mov_b64 s[2:3], -1
	s_cselect_b64 s[0:1], -1, 0
.LBB150_1938:
	s_and_b64 vcc, exec, s[0:1]
	s_cbranch_vccnz .LBB150_2004
.LBB150_1939:
	s_mov_b64 s[0:1], 0
	s_branch .LBB150_1941
.LBB150_1940:
	s_mov_b64 s[0:1], 0
	s_mov_b64 s[2:3], 0
                                        ; implicit-def: $sgpr20
                                        ; implicit-def: $vgpr0_vgpr1
                                        ; implicit-def: $vgpr2
.LBB150_1941:
	s_and_b64 s[12:13], s[2:3], exec
	s_andn2_b64 s[2:3], s[6:7], exec
	s_and_b64 s[6:7], s[14:15], exec
	s_and_b64 s[0:1], s[0:1], exec
	s_or_b64 s[6:7], s[2:3], s[6:7]
.LBB150_1942:
	s_or_b64 exec, exec, s[4:5]
	s_and_saveexec_b64 s[2:3], s[6:7]
	s_cbranch_execz .LBB150_1945
; %bb.1943:
	; divergent unreachable
	s_or_b64 exec, exec, s[2:3]
	s_and_saveexec_b64 s[2:3], s[12:13]
	s_xor_b64 s[2:3], exec, s[2:3]
	s_cbranch_execnz .LBB150_1946
.LBB150_1944:
	s_or_b64 exec, exec, s[2:3]
	s_and_saveexec_b64 s[2:3], s[0:1]
	s_cbranch_execnz .LBB150_1947
	s_branch .LBB150_1984
.LBB150_1945:
	s_or_b64 exec, exec, s[2:3]
	s_and_saveexec_b64 s[2:3], s[12:13]
	s_xor_b64 s[2:3], exec, s[2:3]
	s_cbranch_execz .LBB150_1944
.LBB150_1946:
	s_waitcnt vmcnt(0)
	v_mov_b32_e32 v3, 0
	v_cmp_ne_u16_sdwa s[4:5], v2, v3 src0_sel:BYTE_0 src1_sel:DWORD
	v_cndmask_b32_e64 v3, 0, 1, s[4:5]
	global_store_byte v[0:1], v3, off
	s_or_b64 exec, exec, s[2:3]
	s_and_saveexec_b64 s[2:3], s[0:1]
	s_cbranch_execz .LBB150_1984
.LBB150_1947:
	s_sext_i32_i16 s2, s20
	s_cmp_lt_i32 s2, 5
	s_mov_b64 s[0:1], -1
	s_cbranch_scc1 .LBB150_1968
; %bb.1948:
	s_cmp_lt_i32 s2, 8
	s_cbranch_scc1 .LBB150_1958
; %bb.1949:
	s_cmp_lt_i32 s2, 9
	s_cbranch_scc1 .LBB150_1955
; %bb.1950:
	s_cmp_gt_i32 s2, 9
	s_cbranch_scc0 .LBB150_1952
; %bb.1951:
	s_waitcnt vmcnt(0)
	v_bfe_i32 v3, v2, 0, 8
	v_bfe_i32 v3, v3, 0, 16
	v_cvt_f64_i32_e32 v[3:4], v3
	v_mov_b32_e32 v5, 0
	v_mov_b32_e32 v6, v5
	s_mov_b64 s[0:1], 0
	global_store_dwordx4 v[0:1], v[3:6], off
.LBB150_1952:
	s_andn2_b64 vcc, exec, s[0:1]
	s_cbranch_vccnz .LBB150_1954
; %bb.1953:
	s_waitcnt vmcnt(0)
	v_bfe_i32 v3, v2, 0, 8
	v_cvt_f32_i32_sdwa v3, sext(v3) dst_sel:DWORD dst_unused:UNUSED_PAD src0_sel:WORD_0
	v_mov_b32_e32 v4, 0
	global_store_dwordx2 v[0:1], v[3:4], off
.LBB150_1954:
	s_mov_b64 s[0:1], 0
.LBB150_1955:
	s_andn2_b64 vcc, exec, s[0:1]
	s_cbranch_vccnz .LBB150_1957
; %bb.1956:
	s_waitcnt vmcnt(0)
	v_cvt_f16_i16_sdwa v3, sext(v2) dst_sel:DWORD dst_unused:UNUSED_PAD src0_sel:BYTE_0
	global_store_dword v[0:1], v3, off
.LBB150_1957:
	s_mov_b64 s[0:1], 0
.LBB150_1958:
	s_andn2_b64 vcc, exec, s[0:1]
	s_cbranch_vccnz .LBB150_1967
; %bb.1959:
	s_sext_i32_i16 s2, s20
	s_cmp_lt_i32 s2, 6
	s_mov_b64 s[0:1], -1
	s_cbranch_scc1 .LBB150_1965
; %bb.1960:
	s_cmp_gt_i32 s2, 6
	s_cbranch_scc0 .LBB150_1962
; %bb.1961:
	s_waitcnt vmcnt(0)
	v_bfe_i32 v3, v2, 0, 8
	v_bfe_i32 v3, v3, 0, 16
	v_cvt_f64_i32_e32 v[3:4], v3
	s_mov_b64 s[0:1], 0
	global_store_dwordx2 v[0:1], v[3:4], off
.LBB150_1962:
	s_andn2_b64 vcc, exec, s[0:1]
	s_cbranch_vccnz .LBB150_1964
; %bb.1963:
	s_waitcnt vmcnt(0)
	v_bfe_i32 v3, v2, 0, 8
	v_cvt_f32_i32_sdwa v3, sext(v3) dst_sel:DWORD dst_unused:UNUSED_PAD src0_sel:WORD_0
	global_store_dword v[0:1], v3, off
.LBB150_1964:
	s_mov_b64 s[0:1], 0
.LBB150_1965:
	s_andn2_b64 vcc, exec, s[0:1]
	s_cbranch_vccnz .LBB150_1967
; %bb.1966:
	s_waitcnt vmcnt(0)
	v_cvt_f16_i16_sdwa v3, sext(v2) dst_sel:DWORD dst_unused:UNUSED_PAD src0_sel:BYTE_0
	global_store_short v[0:1], v3, off
.LBB150_1967:
	s_mov_b64 s[0:1], 0
.LBB150_1968:
	s_andn2_b64 vcc, exec, s[0:1]
	s_cbranch_vccnz .LBB150_1984
; %bb.1969:
	s_sext_i32_i16 s2, s20
	s_cmp_lt_i32 s2, 2
	s_mov_b64 s[0:1], -1
	s_cbranch_scc1 .LBB150_1979
; %bb.1970:
	s_cmp_lt_i32 s2, 3
	s_cbranch_scc1 .LBB150_1976
; %bb.1971:
	s_cmp_gt_i32 s2, 3
	s_cbranch_scc0 .LBB150_1973
; %bb.1972:
	s_waitcnt vmcnt(0)
	v_bfe_i32 v3, v2, 0, 8
	v_ashrrev_i32_e32 v4, 31, v3
	global_store_dwordx2 v[0:1], v[3:4], off
	s_mov_b64 s[0:1], 0
.LBB150_1973:
	s_andn2_b64 vcc, exec, s[0:1]
	s_cbranch_vccnz .LBB150_1975
; %bb.1974:
	s_waitcnt vmcnt(0)
	v_bfe_i32 v3, v2, 0, 8
	global_store_dword v[0:1], v3, off
.LBB150_1975:
	s_mov_b64 s[0:1], 0
.LBB150_1976:
	s_andn2_b64 vcc, exec, s[0:1]
	s_cbranch_vccnz .LBB150_1978
; %bb.1977:
	s_waitcnt vmcnt(0)
	v_bfe_i32 v3, v2, 0, 8
	global_store_short v[0:1], v3, off
.LBB150_1978:
	s_mov_b64 s[0:1], 0
.LBB150_1979:
	s_andn2_b64 vcc, exec, s[0:1]
	s_cbranch_vccnz .LBB150_1984
; %bb.1980:
	s_sext_i32_i16 s0, s20
	s_cmp_gt_i32 s0, 0
	s_mov_b64 s[0:1], -1
	s_cbranch_scc0 .LBB150_1982
; %bb.1981:
	s_waitcnt vmcnt(0)
	global_store_byte v[0:1], v2, off
	s_mov_b64 s[0:1], 0
.LBB150_1982:
	s_andn2_b64 vcc, exec, s[0:1]
	s_cbranch_vccnz .LBB150_1984
; %bb.1983:
	s_waitcnt vmcnt(0)
	global_store_byte v[0:1], v2, off
	s_endpgm
.LBB150_1984:
	s_endpgm
.LBB150_1985:
	s_mov_b64 s[2:3], 0
	s_mov_b64 s[0:1], -1
	s_branch .LBB150_1941
.LBB150_1986:
	s_trap 2
	s_or_b64 s[14:15], s[14:15], exec
	s_cbranch_execz .LBB150_1455
	s_branch .LBB150_1456
.LBB150_1987:
	s_andn2_saveexec_b64 s[18:19], s[18:19]
	s_cbranch_execz .LBB150_1535
.LBB150_1988:
	s_mov_b32 s21, 0x46000000
	v_add_f32_e64 v10, |v9|, s21
	v_and_b32_e32 v10, 0xff, v10
	v_cmp_ne_u32_e32 vcc, 0, v10
	s_andn2_b64 s[16:17], s[16:17], exec
	s_and_b64 s[22:23], vcc, exec
	s_or_b64 s[16:17], s[16:17], s[22:23]
	s_or_b64 exec, exec, s[18:19]
	v_mov_b32_e32 v11, 0
	s_and_saveexec_b64 s[18:19], s[16:17]
	s_cbranch_execnz .LBB150_1536
	s_branch .LBB150_1537
.LBB150_1989:
	s_trap 2
	s_or_b64 s[14:15], s[14:15], exec
	s_cbranch_execz .LBB150_1583
	s_branch .LBB150_1584
.LBB150_1990:
	s_andn2_saveexec_b64 s[16:17], s[16:17]
	s_cbranch_execz .LBB150_1548
.LBB150_1991:
	s_mov_b32 s18, 0x42800000
	v_add_f32_e64 v10, |v9|, s18
	v_and_b32_e32 v10, 0xff, v10
	v_cmp_ne_u32_e32 vcc, 0, v10
	s_andn2_b64 s[12:13], s[12:13], exec
	s_and_b64 s[18:19], vcc, exec
	s_or_b64 s[12:13], s[12:13], s[18:19]
	s_or_b64 exec, exec, s[16:17]
	v_mov_b32_e32 v11, 0
	s_and_saveexec_b64 s[16:17], s[12:13]
	s_cbranch_execnz .LBB150_1549
	s_branch .LBB150_1550
.LBB150_1992:
	s_andn2_saveexec_b64 s[16:17], s[16:17]
	s_cbranch_execz .LBB150_1654
.LBB150_1993:
	s_mov_b32 s21, 0x46000000
	v_add_f32_e64 v9, |v6|, s21
	v_and_b32_e32 v9, 0xff, v9
	v_cmp_ne_u32_e32 vcc, 0, v9
	s_andn2_b64 s[12:13], s[12:13], exec
	s_and_b64 s[22:23], vcc, exec
	s_or_b64 s[12:13], s[12:13], s[22:23]
	s_or_b64 exec, exec, s[16:17]
	v_mov_b32_e32 v10, 0
	s_and_saveexec_b64 s[16:17], s[12:13]
	s_cbranch_execnz .LBB150_1655
	s_branch .LBB150_1656
.LBB150_1994:
	s_trap 2
	s_or_b64 s[14:15], s[14:15], exec
	s_cbranch_execz .LBB150_1702
	s_branch .LBB150_1703
.LBB150_1995:
	s_andn2_saveexec_b64 s[12:13], s[12:13]
	s_cbranch_execz .LBB150_1667
.LBB150_1996:
	s_mov_b32 s16, 0x42800000
	v_add_f32_e64 v9, |v6|, s16
	v_and_b32_e32 v9, 0xff, v9
	v_cmp_ne_u32_e32 vcc, 0, v9
	s_andn2_b64 s[10:11], s[10:11], exec
	s_and_b64 s[16:17], vcc, exec
	s_or_b64 s[10:11], s[10:11], s[16:17]
	s_or_b64 exec, exec, s[12:13]
	v_mov_b32_e32 v10, 0
	s_and_saveexec_b64 s[12:13], s[10:11]
	s_cbranch_execnz .LBB150_1668
	s_branch .LBB150_1669
.LBB150_1997:
	s_andn2_saveexec_b64 s[16:17], s[16:17]
	s_cbranch_execz .LBB150_1773
.LBB150_1998:
	s_mov_b32 s21, 0x46000000
	v_add_f32_e64 v6, |v5|, s21
	v_and_b32_e32 v6, 0xff, v6
	v_cmp_ne_u32_e32 vcc, 0, v6
	s_andn2_b64 s[12:13], s[12:13], exec
	s_and_b64 s[22:23], vcc, exec
	s_or_b64 s[12:13], s[12:13], s[22:23]
	s_or_b64 exec, exec, s[16:17]
	v_mov_b32_e32 v9, 0
	s_and_saveexec_b64 s[16:17], s[12:13]
	s_cbranch_execnz .LBB150_1774
	s_branch .LBB150_1775
.LBB150_1999:
	s_trap 2
	s_or_b64 s[14:15], s[14:15], exec
	s_cbranch_execz .LBB150_1821
	s_branch .LBB150_1822
.LBB150_2000:
	s_andn2_saveexec_b64 s[12:13], s[12:13]
	s_cbranch_execz .LBB150_1786
.LBB150_2001:
	s_mov_b32 s16, 0x42800000
	v_add_f32_e64 v6, |v5|, s16
	v_and_b32_e32 v6, 0xff, v6
	v_cmp_ne_u32_e32 vcc, 0, v6
	s_andn2_b64 s[10:11], s[10:11], exec
	s_and_b64 s[16:17], vcc, exec
	s_or_b64 s[10:11], s[10:11], s[16:17]
	s_or_b64 exec, exec, s[12:13]
	v_mov_b32_e32 v9, 0
	s_and_saveexec_b64 s[12:13], s[10:11]
	s_cbranch_execnz .LBB150_1787
	s_branch .LBB150_1788
.LBB150_2002:
	s_andn2_saveexec_b64 s[12:13], s[12:13]
	s_cbranch_execz .LBB150_1893
.LBB150_2003:
	s_mov_b32 s17, 0x46000000
	v_add_f32_e64 v4, |v3|, s17
	v_and_b32_e32 v4, 0xff, v4
	v_cmp_ne_u32_e32 vcc, 0, v4
	s_andn2_b64 s[10:11], s[10:11], exec
	s_and_b64 s[18:19], vcc, exec
	s_or_b64 s[10:11], s[10:11], s[18:19]
	s_or_b64 exec, exec, s[12:13]
	v_mov_b32_e32 v5, 0
	s_and_saveexec_b64 s[12:13], s[10:11]
	s_cbranch_execnz .LBB150_1894
	s_branch .LBB150_1895
.LBB150_2004:
	s_mov_b64 s[2:3], 0
	s_or_b64 s[14:15], s[14:15], exec
	s_trap 2
	s_branch .LBB150_1939
.LBB150_2005:
	s_andn2_saveexec_b64 s[10:11], s[10:11]
	s_cbranch_execz .LBB150_1905
.LBB150_2006:
	s_mov_b32 s12, 0x42800000
	v_add_f32_e64 v4, |v3|, s12
	v_and_b32_e32 v4, 0xff, v4
	v_cmp_ne_u32_e32 vcc, 0, v4
	s_andn2_b64 s[8:9], s[8:9], exec
	s_and_b64 s[12:13], vcc, exec
	s_or_b64 s[8:9], s[8:9], s[12:13]
	s_or_b64 exec, exec, s[10:11]
	v_mov_b32_e32 v5, 0
	s_and_saveexec_b64 s[10:11], s[8:9]
	s_cbranch_execnz .LBB150_1906
	s_branch .LBB150_1907
	.section	.rodata,"a",@progbits
	.p2align	6, 0x0
	.amdhsa_kernel _ZN2at6native32elementwise_kernel_manual_unrollILi128ELi4EZNS0_15gpu_kernel_implINS0_13AUnaryFunctorIaaaZZZNS0_18rshift_kernel_cudaERNS_18TensorIteratorBaseEENKUlvE_clEvENKUlvE0_clEvEUlaaE_EEEEvS5_RKT_EUlibE_EEviT1_
		.amdhsa_group_segment_fixed_size 0
		.amdhsa_private_segment_fixed_size 0
		.amdhsa_kernarg_size 40
		.amdhsa_user_sgpr_count 6
		.amdhsa_user_sgpr_private_segment_buffer 1
		.amdhsa_user_sgpr_dispatch_ptr 0
		.amdhsa_user_sgpr_queue_ptr 0
		.amdhsa_user_sgpr_kernarg_segment_ptr 1
		.amdhsa_user_sgpr_dispatch_id 0
		.amdhsa_user_sgpr_flat_scratch_init 0
		.amdhsa_user_sgpr_private_segment_size 0
		.amdhsa_uses_dynamic_stack 0
		.amdhsa_system_sgpr_private_segment_wavefront_offset 0
		.amdhsa_system_sgpr_workgroup_id_x 1
		.amdhsa_system_sgpr_workgroup_id_y 0
		.amdhsa_system_sgpr_workgroup_id_z 0
		.amdhsa_system_sgpr_workgroup_info 0
		.amdhsa_system_vgpr_workitem_id 0
		.amdhsa_next_free_vgpr 14
		.amdhsa_next_free_sgpr 46
		.amdhsa_reserve_vcc 1
		.amdhsa_reserve_flat_scratch 0
		.amdhsa_float_round_mode_32 0
		.amdhsa_float_round_mode_16_64 0
		.amdhsa_float_denorm_mode_32 3
		.amdhsa_float_denorm_mode_16_64 3
		.amdhsa_dx10_clamp 1
		.amdhsa_ieee_mode 1
		.amdhsa_fp16_overflow 0
		.amdhsa_exception_fp_ieee_invalid_op 0
		.amdhsa_exception_fp_denorm_src 0
		.amdhsa_exception_fp_ieee_div_zero 0
		.amdhsa_exception_fp_ieee_overflow 0
		.amdhsa_exception_fp_ieee_underflow 0
		.amdhsa_exception_fp_ieee_inexact 0
		.amdhsa_exception_int_div_zero 0
	.end_amdhsa_kernel
	.section	.text._ZN2at6native32elementwise_kernel_manual_unrollILi128ELi4EZNS0_15gpu_kernel_implINS0_13AUnaryFunctorIaaaZZZNS0_18rshift_kernel_cudaERNS_18TensorIteratorBaseEENKUlvE_clEvENKUlvE0_clEvEUlaaE_EEEEvS5_RKT_EUlibE_EEviT1_,"axG",@progbits,_ZN2at6native32elementwise_kernel_manual_unrollILi128ELi4EZNS0_15gpu_kernel_implINS0_13AUnaryFunctorIaaaZZZNS0_18rshift_kernel_cudaERNS_18TensorIteratorBaseEENKUlvE_clEvENKUlvE0_clEvEUlaaE_EEEEvS5_RKT_EUlibE_EEviT1_,comdat
.Lfunc_end150:
	.size	_ZN2at6native32elementwise_kernel_manual_unrollILi128ELi4EZNS0_15gpu_kernel_implINS0_13AUnaryFunctorIaaaZZZNS0_18rshift_kernel_cudaERNS_18TensorIteratorBaseEENKUlvE_clEvENKUlvE0_clEvEUlaaE_EEEEvS5_RKT_EUlibE_EEviT1_, .Lfunc_end150-_ZN2at6native32elementwise_kernel_manual_unrollILi128ELi4EZNS0_15gpu_kernel_implINS0_13AUnaryFunctorIaaaZZZNS0_18rshift_kernel_cudaERNS_18TensorIteratorBaseEENKUlvE_clEvENKUlvE0_clEvEUlaaE_EEEEvS5_RKT_EUlibE_EEviT1_
                                        ; -- End function
	.set _ZN2at6native32elementwise_kernel_manual_unrollILi128ELi4EZNS0_15gpu_kernel_implINS0_13AUnaryFunctorIaaaZZZNS0_18rshift_kernel_cudaERNS_18TensorIteratorBaseEENKUlvE_clEvENKUlvE0_clEvEUlaaE_EEEEvS5_RKT_EUlibE_EEviT1_.num_vgpr, 14
	.set _ZN2at6native32elementwise_kernel_manual_unrollILi128ELi4EZNS0_15gpu_kernel_implINS0_13AUnaryFunctorIaaaZZZNS0_18rshift_kernel_cudaERNS_18TensorIteratorBaseEENKUlvE_clEvENKUlvE0_clEvEUlaaE_EEEEvS5_RKT_EUlibE_EEviT1_.num_agpr, 0
	.set _ZN2at6native32elementwise_kernel_manual_unrollILi128ELi4EZNS0_15gpu_kernel_implINS0_13AUnaryFunctorIaaaZZZNS0_18rshift_kernel_cudaERNS_18TensorIteratorBaseEENKUlvE_clEvENKUlvE0_clEvEUlaaE_EEEEvS5_RKT_EUlibE_EEviT1_.numbered_sgpr, 46
	.set _ZN2at6native32elementwise_kernel_manual_unrollILi128ELi4EZNS0_15gpu_kernel_implINS0_13AUnaryFunctorIaaaZZZNS0_18rshift_kernel_cudaERNS_18TensorIteratorBaseEENKUlvE_clEvENKUlvE0_clEvEUlaaE_EEEEvS5_RKT_EUlibE_EEviT1_.num_named_barrier, 0
	.set _ZN2at6native32elementwise_kernel_manual_unrollILi128ELi4EZNS0_15gpu_kernel_implINS0_13AUnaryFunctorIaaaZZZNS0_18rshift_kernel_cudaERNS_18TensorIteratorBaseEENKUlvE_clEvENKUlvE0_clEvEUlaaE_EEEEvS5_RKT_EUlibE_EEviT1_.private_seg_size, 0
	.set _ZN2at6native32elementwise_kernel_manual_unrollILi128ELi4EZNS0_15gpu_kernel_implINS0_13AUnaryFunctorIaaaZZZNS0_18rshift_kernel_cudaERNS_18TensorIteratorBaseEENKUlvE_clEvENKUlvE0_clEvEUlaaE_EEEEvS5_RKT_EUlibE_EEviT1_.uses_vcc, 1
	.set _ZN2at6native32elementwise_kernel_manual_unrollILi128ELi4EZNS0_15gpu_kernel_implINS0_13AUnaryFunctorIaaaZZZNS0_18rshift_kernel_cudaERNS_18TensorIteratorBaseEENKUlvE_clEvENKUlvE0_clEvEUlaaE_EEEEvS5_RKT_EUlibE_EEviT1_.uses_flat_scratch, 0
	.set _ZN2at6native32elementwise_kernel_manual_unrollILi128ELi4EZNS0_15gpu_kernel_implINS0_13AUnaryFunctorIaaaZZZNS0_18rshift_kernel_cudaERNS_18TensorIteratorBaseEENKUlvE_clEvENKUlvE0_clEvEUlaaE_EEEEvS5_RKT_EUlibE_EEviT1_.has_dyn_sized_stack, 0
	.set _ZN2at6native32elementwise_kernel_manual_unrollILi128ELi4EZNS0_15gpu_kernel_implINS0_13AUnaryFunctorIaaaZZZNS0_18rshift_kernel_cudaERNS_18TensorIteratorBaseEENKUlvE_clEvENKUlvE0_clEvEUlaaE_EEEEvS5_RKT_EUlibE_EEviT1_.has_recursion, 0
	.set _ZN2at6native32elementwise_kernel_manual_unrollILi128ELi4EZNS0_15gpu_kernel_implINS0_13AUnaryFunctorIaaaZZZNS0_18rshift_kernel_cudaERNS_18TensorIteratorBaseEENKUlvE_clEvENKUlvE0_clEvEUlaaE_EEEEvS5_RKT_EUlibE_EEviT1_.has_indirect_call, 0
	.section	.AMDGPU.csdata,"",@progbits
; Kernel info:
; codeLenInByte = 31128
; TotalNumSgprs: 50
; NumVgprs: 14
; ScratchSize: 0
; MemoryBound: 1
; FloatMode: 240
; IeeeMode: 1
; LDSByteSize: 0 bytes/workgroup (compile time only)
; SGPRBlocks: 6
; VGPRBlocks: 3
; NumSGPRsForWavesPerEU: 50
; NumVGPRsForWavesPerEU: 14
; Occupancy: 10
; WaveLimiterHint : 0
; COMPUTE_PGM_RSRC2:SCRATCH_EN: 0
; COMPUTE_PGM_RSRC2:USER_SGPR: 6
; COMPUTE_PGM_RSRC2:TRAP_HANDLER: 0
; COMPUTE_PGM_RSRC2:TGID_X_EN: 1
; COMPUTE_PGM_RSRC2:TGID_Y_EN: 0
; COMPUTE_PGM_RSRC2:TGID_Z_EN: 0
; COMPUTE_PGM_RSRC2:TIDIG_COMP_CNT: 0
	.section	.text._ZN2at6native32elementwise_kernel_manual_unrollILi128ELi4EZNS0_15gpu_kernel_implINS0_13AUnaryFunctorIaaaZZZNS0_18rshift_kernel_cudaERNS_18TensorIteratorBaseEENKUlvE_clEvENKUlvE0_clEvEUlaaE_EEEEvS5_RKT_EUlibE0_EEviT1_,"axG",@progbits,_ZN2at6native32elementwise_kernel_manual_unrollILi128ELi4EZNS0_15gpu_kernel_implINS0_13AUnaryFunctorIaaaZZZNS0_18rshift_kernel_cudaERNS_18TensorIteratorBaseEENKUlvE_clEvENKUlvE0_clEvEUlaaE_EEEEvS5_RKT_EUlibE0_EEviT1_,comdat
	.globl	_ZN2at6native32elementwise_kernel_manual_unrollILi128ELi4EZNS0_15gpu_kernel_implINS0_13AUnaryFunctorIaaaZZZNS0_18rshift_kernel_cudaERNS_18TensorIteratorBaseEENKUlvE_clEvENKUlvE0_clEvEUlaaE_EEEEvS5_RKT_EUlibE0_EEviT1_ ; -- Begin function _ZN2at6native32elementwise_kernel_manual_unrollILi128ELi4EZNS0_15gpu_kernel_implINS0_13AUnaryFunctorIaaaZZZNS0_18rshift_kernel_cudaERNS_18TensorIteratorBaseEENKUlvE_clEvENKUlvE0_clEvEUlaaE_EEEEvS5_RKT_EUlibE0_EEviT1_
	.p2align	8
	.type	_ZN2at6native32elementwise_kernel_manual_unrollILi128ELi4EZNS0_15gpu_kernel_implINS0_13AUnaryFunctorIaaaZZZNS0_18rshift_kernel_cudaERNS_18TensorIteratorBaseEENKUlvE_clEvENKUlvE0_clEvEUlaaE_EEEEvS5_RKT_EUlibE0_EEviT1_,@function
_ZN2at6native32elementwise_kernel_manual_unrollILi128ELi4EZNS0_15gpu_kernel_implINS0_13AUnaryFunctorIaaaZZZNS0_18rshift_kernel_cudaERNS_18TensorIteratorBaseEENKUlvE_clEvENKUlvE0_clEvEUlaaE_EEEEvS5_RKT_EUlibE0_EEviT1_: ; @_ZN2at6native32elementwise_kernel_manual_unrollILi128ELi4EZNS0_15gpu_kernel_implINS0_13AUnaryFunctorIaaaZZZNS0_18rshift_kernel_cudaERNS_18TensorIteratorBaseEENKUlvE_clEvENKUlvE0_clEvEUlaaE_EEEEvS5_RKT_EUlibE0_EEviT1_
; %bb.0:
	s_load_dword s70, s[4:5], 0x0
	s_load_dword s33, s[4:5], 0x8
	s_add_u32 s34, s4, 8
	s_addc_u32 s35, s5, 0
	v_lshl_or_b32 v8, s6, 9, v0
	v_or_b32_e32 v15, 0x180, v8
	s_waitcnt lgkmcnt(0)
	s_add_i32 s72, s33, -1
	s_cmp_gt_u32 s72, 1
	v_cmp_le_i32_e32 vcc, s70, v15
	s_cselect_b64 s[40:41], -1, 0
	s_mov_b64 s[6:7], 0
	s_mov_b64 s[28:29], 0
	s_and_saveexec_b64 s[0:1], vcc
	s_xor_b64 s[42:43], exec, s[0:1]
	s_cbranch_execz .LBB151_1070
; %bb.1:
	v_mov_b32_e32 v0, 0
	global_load_ushort v1, v0, s[34:35] offset:345
	global_load_sbyte v2, v0, s[34:35] offset:347
	s_load_dwordx4 s[36:39], s[34:35], 0x4
	s_load_dwordx2 s[44:45], s[34:35], 0x14
	s_load_dwordx4 s[28:31], s[34:35], 0xc4
	s_load_dwordx4 s[24:27], s[34:35], 0x148
	s_cmp_lg_u32 s33, 0
	s_cselect_b64 s[50:51], -1, 0
	s_add_u32 s48, s34, 0xc4
	s_addc_u32 s49, s35, 0
	s_min_u32 s76, s72, 15
	v_mov_b32_e32 v0, 7
	s_cmp_gt_u32 s33, 1
	v_cmp_gt_i32_e32 vcc, s70, v8
	s_mov_b64 s[2:3], -1
	s_mov_b64 s[60:61], 0
	s_mov_b64 s[54:55], 0
	s_cselect_b64 s[46:47], -1, 0
	s_mov_b64 s[52:53], 0
	s_waitcnt vmcnt(1)
	v_bfe_i32 v3, v1, 0, 8
	v_readfirstlane_b32 s0, v1
	s_waitcnt vmcnt(0)
	v_readfirstlane_b32 s75, v2
	s_lshr_b32 s73, s0, 8
	v_lshrrev_b32_sdwa v5, v0, sext(v3) dst_sel:DWORD dst_unused:UNUSED_PAD src0_sel:DWORD src1_sel:WORD_0
	s_sext_i32_i8 s74, s0
	s_and_saveexec_b64 s[56:57], vcc
	s_cbranch_execz .LBB151_262
; %bb.2:
	s_andn2_b64 vcc, exec, s[40:41]
	s_cbranch_vccnz .LBB151_7
; %bb.3:
	s_andn2_b64 vcc, exec, s[50:51]
	s_cbranch_vccnz .LBB151_8
; %bb.4:
	s_add_i32 s59, s76, 1
	s_cmp_eq_u32 s72, 2
	s_cbranch_scc1 .LBB151_9
; %bb.5:
	s_and_b32 s58, s59, 28
	v_mov_b32_e32 v2, 0
	s_mov_b32 s62, 0
	s_mov_b64 s[52:53], s[34:35]
	s_mov_b64 s[54:55], s[48:49]
	v_mov_b32_e32 v0, 0
	v_mov_b32_e32 v1, v8
.LBB151_6:                              ; =>This Inner Loop Header: Depth=1
	s_load_dwordx8 s[16:23], s[52:53], 0x4
	s_load_dwordx4 s[0:3], s[52:53], 0x24
	s_load_dwordx8 s[8:15], s[54:55], 0x0
	s_add_u32 s52, s52, 48
	s_addc_u32 s53, s53, 0
	s_waitcnt lgkmcnt(0)
	v_mul_hi_u32 v3, s17, v1
	s_add_i32 s62, s62, 4
	s_add_u32 s54, s54, 32
	s_addc_u32 s55, s55, 0
	v_add_u32_e32 v3, v1, v3
	v_lshrrev_b32_e32 v3, s18, v3
	v_mul_lo_u32 v4, v3, s16
	v_mul_hi_u32 v6, s20, v3
	s_cmp_lg_u32 s58, s62
	v_sub_u32_e32 v1, v1, v4
	v_add_u32_e32 v4, v3, v6
	v_mul_lo_u32 v6, v1, s8
	v_mul_lo_u32 v7, v1, s9
	v_lshrrev_b32_e32 v1, s21, v4
	v_mul_lo_u32 v4, v1, s19
	v_mul_hi_u32 v9, s23, v1
	v_sub_u32_e32 v3, v3, v4
	v_add_u32_e32 v4, v1, v9
	v_lshrrev_b32_e32 v4, s0, v4
	v_mul_hi_u32 v10, s2, v4
	v_mul_lo_u32 v11, v4, s22
	v_mul_lo_u32 v9, v3, s10
	;; [unrolled: 1-line block ×3, first 2 shown]
	v_sub_u32_e32 v11, v1, v11
	v_add_u32_e32 v1, v4, v10
	v_lshrrev_b32_e32 v1, s3, v1
	v_mul_lo_u32 v10, v1, s1
	v_mul_lo_u32 v12, v11, s12
	;; [unrolled: 1-line block ×3, first 2 shown]
	v_add3_u32 v0, v6, v0, v9
	v_sub_u32_e32 v4, v4, v10
	v_mul_lo_u32 v10, v4, s14
	v_mul_lo_u32 v4, v4, s15
	v_add3_u32 v2, v7, v2, v3
	v_add3_u32 v0, v12, v0, v10
	;; [unrolled: 1-line block ×3, first 2 shown]
	s_cbranch_scc1 .LBB151_6
	s_branch .LBB151_10
.LBB151_7:
                                        ; implicit-def: $vgpr0
                                        ; implicit-def: $vgpr2
	s_branch .LBB151_14
.LBB151_8:
	v_mov_b32_e32 v0, 0
	v_mov_b32_e32 v2, 0
	s_branch .LBB151_13
.LBB151_9:
	s_mov_b32 s58, 0
	v_mov_b32_e32 v0, 0
	v_mov_b32_e32 v2, 0
	;; [unrolled: 1-line block ×3, first 2 shown]
.LBB151_10:
	s_and_b32 s8, s59, 3
	s_cmp_eq_u32 s8, 0
	s_cbranch_scc1 .LBB151_13
; %bb.11:
	s_lshl_b32 s0, s58, 3
	s_add_u32 s0, s34, s0
	s_addc_u32 s1, s35, 0
	s_add_u32 s0, s0, 0xc4
	s_addc_u32 s1, s1, 0
	s_mul_i32 s2, s58, 12
	s_add_u32 s2, s34, s2
	s_addc_u32 s3, s35, 0
.LBB151_12:                             ; =>This Inner Loop Header: Depth=1
	s_load_dwordx2 s[10:11], s[2:3], 0x4
	s_load_dword s9, s[2:3], 0xc
	s_load_dwordx2 s[12:13], s[0:1], 0x0
	s_add_u32 s2, s2, 12
	s_addc_u32 s3, s3, 0
	s_waitcnt lgkmcnt(0)
	v_mul_hi_u32 v3, s11, v1
	s_add_u32 s0, s0, 8
	s_addc_u32 s1, s1, 0
	s_add_i32 s8, s8, -1
	v_add_u32_e32 v3, v1, v3
	v_lshrrev_b32_e32 v4, s9, v3
	v_mul_lo_u32 v3, v4, s10
	s_cmp_lg_u32 s8, 0
	v_sub_u32_e32 v3, v1, v3
	v_mad_u64_u32 v[0:1], s[10:11], v3, s12, v[0:1]
	v_mad_u64_u32 v[2:3], s[10:11], v3, s13, v[2:3]
	v_mov_b32_e32 v1, v4
	s_cbranch_scc1 .LBB151_12
.LBB151_13:
	s_cbranch_execnz .LBB151_16
.LBB151_14:
	s_waitcnt lgkmcnt(0)
	v_mul_hi_u32 v0, s37, v8
	s_andn2_b64 vcc, exec, s[46:47]
	v_add_u32_e32 v0, v8, v0
	v_lshrrev_b32_e32 v1, s38, v0
	v_mul_lo_u32 v0, v1, s36
	v_sub_u32_e32 v2, v8, v0
	v_mul_lo_u32 v0, v2, s28
	v_mul_lo_u32 v2, v2, s29
	s_cbranch_vccnz .LBB151_16
; %bb.15:
	v_mul_hi_u32 v3, s44, v1
	v_add_u32_e32 v3, v1, v3
	v_lshrrev_b32_e32 v3, s45, v3
	v_mul_lo_u32 v3, v3, s39
	v_sub_u32_e32 v3, v1, v3
	v_mad_u64_u32 v[0:1], s[0:1], v3, s30, v[0:1]
	v_mad_u64_u32 v[2:3], s[0:1], v3, s31, v[2:3]
.LBB151_16:
	s_waitcnt lgkmcnt(0)
	v_mov_b32_e32 v3, s27
	s_and_b32 s10, s75, 0xff
	v_add_co_u32_e32 v1, vcc, s26, v2
	s_cmp_lt_i32 s10, 11
	v_addc_co_u32_e32 v2, vcc, 0, v3, vcc
	s_cbranch_scc1 .LBB151_23
; %bb.17:
	s_and_b32 s11, 0xffff, s10
	s_cmp_gt_i32 s11, 25
	s_cbranch_scc0 .LBB151_32
; %bb.18:
	s_cmp_gt_i32 s11, 28
	s_cbranch_scc0 .LBB151_35
; %bb.19:
	;; [unrolled: 3-line block ×4, first 2 shown]
	s_cmp_eq_u32 s11, 46
	s_mov_b64 s[8:9], 0
	s_cbranch_scc0 .LBB151_41
; %bb.22:
	global_load_dword v3, v[1:2], off
	s_mov_b64 s[0:1], -1
	s_mov_b64 s[2:3], 0
	s_waitcnt vmcnt(0)
	v_lshlrev_b32_e32 v3, 16, v3
	v_cvt_i32_f32_e32 v3, v3
	s_branch .LBB151_43
.LBB151_23:
	s_mov_b64 s[2:3], 0
                                        ; implicit-def: $vgpr3
	s_mov_b64 s[0:1], 0
	s_cbranch_execnz .LBB151_212
.LBB151_24:
	s_andn2_b64 vcc, exec, s[0:1]
	s_cbranch_vccnz .LBB151_259
.LBB151_25:
	v_mov_b32_e32 v1, 6
	s_waitcnt vmcnt(0)
	v_ashrrev_i32_e64 v2, v3, s74
	v_cmp_gt_u16_sdwa vcc, v3, v1 src0_sel:BYTE_0 src1_sel:DWORD
	v_cndmask_b32_e32 v2, v2, v5, vcc
	v_mov_b32_e32 v1, s25
	s_and_b32 s14, s73, 0xff
	v_add_co_u32_e32 v0, vcc, s24, v0
	s_cmp_lt_i32 s14, 11
	v_addc_co_u32_e32 v1, vcc, 0, v1, vcc
	s_cbranch_scc1 .LBB151_33
; %bb.26:
	s_and_b32 s15, 0xffff, s14
	s_cmp_gt_i32 s15, 25
	s_cbranch_scc0 .LBB151_36
; %bb.27:
	s_cmp_gt_i32 s15, 28
	s_cbranch_scc0 .LBB151_38
; %bb.28:
	;; [unrolled: 3-line block ×4, first 2 shown]
	s_mov_b64 s[10:11], 0
	s_mov_b64 s[0:1], -1
	s_cmp_eq_u32 s15, 46
	s_mov_b64 s[8:9], 0
	s_cbranch_scc0 .LBB151_47
; %bb.31:
	v_bfe_i32 v3, v2, 0, 8
	v_cvt_f32_i32_sdwa v3, sext(v3) dst_sel:DWORD dst_unused:UNUSED_PAD src0_sel:WORD_0
	s_movk_i32 s0, 0x7fff
	s_mov_b64 s[8:9], -1
	v_bfe_u32 v4, v3, 16, 1
	v_add3_u32 v3, v3, v4, s0
	v_lshrrev_b32_e32 v3, 16, v3
	global_store_dword v[0:1], v3, off
	s_mov_b64 s[0:1], 0
	s_branch .LBB151_47
.LBB151_32:
	s_mov_b64 s[2:3], 0
	s_mov_b64 s[0:1], 0
                                        ; implicit-def: $vgpr3
	s_cbranch_execnz .LBB151_179
	s_branch .LBB151_211
.LBB151_33:
	s_mov_b64 s[0:1], 0
	s_mov_b64 s[8:9], 0
	s_cbranch_execnz .LBB151_116
.LBB151_34:
	s_andn2_b64 vcc, exec, s[8:9]
	s_cbranch_vccnz .LBB151_260
	s_branch .LBB151_154
.LBB151_35:
	s_mov_b64 s[8:9], -1
	s_mov_b64 s[2:3], 0
	s_mov_b64 s[0:1], 0
                                        ; implicit-def: $vgpr3
	s_branch .LBB151_162
.LBB151_36:
	s_mov_b64 s[10:11], -1
	s_mov_b64 s[0:1], 0
	s_mov_b64 s[8:9], 0
	s_branch .LBB151_74
.LBB151_37:
	s_mov_b64 s[8:9], -1
	s_mov_b64 s[2:3], 0
	s_mov_b64 s[0:1], 0
                                        ; implicit-def: $vgpr3
	s_branch .LBB151_157
.LBB151_38:
	s_mov_b64 s[10:11], -1
	s_mov_b64 s[0:1], 0
	s_mov_b64 s[8:9], 0
	s_branch .LBB151_57
.LBB151_39:
	s_mov_b64 s[8:9], -1
	s_mov_b64 s[2:3], 0
	s_branch .LBB151_42
.LBB151_40:
	s_mov_b64 s[10:11], -1
	s_mov_b64 s[0:1], 0
	s_mov_b64 s[8:9], 0
	s_branch .LBB151_53
.LBB151_41:
	s_mov_b64 s[2:3], -1
.LBB151_42:
	s_mov_b64 s[0:1], 0
                                        ; implicit-def: $vgpr3
.LBB151_43:
	s_and_b64 vcc, exec, s[8:9]
	s_cbranch_vccz .LBB151_156
; %bb.44:
	s_cmp_eq_u32 s11, 44
	s_cbranch_scc0 .LBB151_155
; %bb.45:
	global_load_ubyte v3, v[1:2], off
	s_mov_b64 s[0:1], -1
	s_mov_b64 s[2:3], 0
	s_waitcnt vmcnt(0)
	v_lshlrev_b32_e32 v4, 23, v3
	v_cvt_i32_f32_e32 v4, v4
	v_cmp_ne_u32_e32 vcc, 0, v3
	v_cndmask_b32_e32 v3, 0, v4, vcc
	s_branch .LBB151_156
.LBB151_46:
	s_mov_b64 s[10:11], -1
	s_mov_b64 s[0:1], 0
	s_mov_b64 s[8:9], 0
.LBB151_47:
	s_and_b64 vcc, exec, s[10:11]
	s_cbranch_vccz .LBB151_52
; %bb.48:
	s_cmp_eq_u32 s15, 44
	s_mov_b64 s[0:1], -1
	s_cbranch_scc0 .LBB151_52
; %bb.49:
	v_bfe_i32 v3, v2, 0, 8
	v_cvt_f32_i32_sdwa v3, sext(v3) dst_sel:DWORD dst_unused:UNUSED_PAD src0_sel:WORD_0
	s_movk_i32 s0, 0xff
	v_mov_b32_e32 v6, 0xff
	v_bfe_u32 v4, v3, 23, 8
	v_cmp_ne_u32_e32 vcc, s0, v4
	s_and_saveexec_b64 s[8:9], vcc
; %bb.50:
	s_mov_b32 s0, 0x3fffff
	v_lshrrev_b32_e32 v6, 23, v3
	v_and_b32_e32 v7, 0x400000, v3
	v_and_or_b32 v3, v3, s0, v4
	v_cmp_ne_u32_e32 vcc, 0, v7
	v_cmp_ne_u32_e64 s[0:1], 0, v3
	s_and_b64 s[0:1], vcc, s[0:1]
	v_cndmask_b32_e64 v3, 0, 1, s[0:1]
	v_add_u32_e32 v6, v6, v3
; %bb.51:
	s_or_b64 exec, exec, s[8:9]
	s_mov_b64 s[8:9], -1
	s_mov_b64 s[0:1], 0
	global_store_byte v[0:1], v6, off
.LBB151_52:
	s_mov_b64 s[10:11], 0
.LBB151_53:
	s_and_b64 vcc, exec, s[10:11]
	s_cbranch_vccz .LBB151_56
; %bb.54:
	s_cmp_eq_u32 s15, 29
	s_mov_b64 s[0:1], -1
	s_cbranch_scc0 .LBB151_56
; %bb.55:
	v_bfe_i32 v3, v2, 0, 8
	v_ashrrev_i32_e32 v4, 31, v3
	global_store_dwordx2 v[0:1], v[3:4], off
	s_mov_b64 s[8:9], -1
	s_mov_b64 s[0:1], 0
.LBB151_56:
	s_mov_b64 s[10:11], 0
.LBB151_57:
	s_and_b64 vcc, exec, s[10:11]
	s_cbranch_vccz .LBB151_73
; %bb.58:
	s_cmp_lt_i32 s15, 27
	s_mov_b64 s[8:9], -1
	s_cbranch_scc1 .LBB151_64
; %bb.59:
	s_cmp_gt_i32 s15, 27
	s_cbranch_scc0 .LBB151_61
; %bb.60:
	v_bfe_i32 v3, v2, 0, 8
	s_mov_b64 s[8:9], 0
	global_store_dword v[0:1], v3, off
.LBB151_61:
	s_andn2_b64 vcc, exec, s[8:9]
	s_cbranch_vccnz .LBB151_63
; %bb.62:
	v_bfe_i32 v3, v2, 0, 8
	global_store_short v[0:1], v3, off
.LBB151_63:
	s_mov_b64 s[8:9], 0
.LBB151_64:
	s_andn2_b64 vcc, exec, s[8:9]
	s_cbranch_vccnz .LBB151_72
; %bb.65:
	v_bfe_i32 v3, v2, 0, 8
	v_cvt_f32_i32_sdwa v3, sext(v3) dst_sel:DWORD dst_unused:UNUSED_PAD src0_sel:WORD_0
	s_mov_b32 s8, 0x43800000
	v_mov_b32_e32 v6, 0x80
	v_and_b32_e32 v4, 0x7fffffff, v3
	v_cmp_gt_u32_e32 vcc, s8, v4
	s_and_saveexec_b64 s[8:9], vcc
	s_cbranch_execz .LBB151_71
; %bb.66:
	s_mov_b32 s10, 0x3bffffff
	v_cmp_lt_u32_e32 vcc, s10, v4
	s_mov_b64 s[10:11], 0
                                        ; implicit-def: $vgpr4
	s_and_saveexec_b64 s[12:13], vcc
	s_xor_b64 s[12:13], exec, s[12:13]
	s_cbranch_execz .LBB151_303
; %bb.67:
	v_bfe_u32 v4, v3, 20, 1
	s_mov_b32 s16, 0x487ffff
	v_add3_u32 v4, v3, v4, s16
	s_mov_b64 s[10:11], exec
	v_lshrrev_b32_e32 v4, 20, v4
	s_andn2_saveexec_b64 s[12:13], s[12:13]
	s_cbranch_execnz .LBB151_304
.LBB151_68:
	s_or_b64 exec, exec, s[12:13]
	v_mov_b32_e32 v6, 0
	s_and_saveexec_b64 s[12:13], s[10:11]
.LBB151_69:
	v_lshrrev_b32_e32 v3, 24, v3
	s_movk_i32 s10, 0x80
	v_and_or_b32 v6, v3, s10, v4
.LBB151_70:
	s_or_b64 exec, exec, s[12:13]
.LBB151_71:
	s_or_b64 exec, exec, s[8:9]
	global_store_byte v[0:1], v6, off
.LBB151_72:
	s_mov_b64 s[8:9], -1
.LBB151_73:
	s_mov_b64 s[10:11], 0
.LBB151_74:
	s_and_b64 vcc, exec, s[10:11]
	s_cbranch_vccz .LBB151_115
; %bb.75:
	s_cmp_gt_i32 s15, 22
	s_mov_b64 s[10:11], -1
	s_cbranch_scc0 .LBB151_107
; %bb.76:
	s_cmp_lt_i32 s15, 24
	s_mov_b64 s[8:9], -1
	s_cbranch_scc1 .LBB151_96
; %bb.77:
	s_cmp_gt_i32 s15, 24
	s_cbranch_scc0 .LBB151_85
; %bb.78:
	v_bfe_i32 v3, v2, 0, 8
	v_cvt_f32_i32_sdwa v3, sext(v3) dst_sel:DWORD dst_unused:UNUSED_PAD src0_sel:WORD_0
	s_mov_b32 s8, 0x47800000
	v_mov_b32_e32 v6, 0x80
	v_and_b32_e32 v4, 0x7fffffff, v3
	v_cmp_gt_u32_e32 vcc, s8, v4
	s_and_saveexec_b64 s[8:9], vcc
	s_cbranch_execz .LBB151_84
; %bb.79:
	s_mov_b32 s10, 0x37ffffff
	v_cmp_lt_u32_e32 vcc, s10, v4
	s_mov_b64 s[10:11], 0
                                        ; implicit-def: $vgpr4
	s_and_saveexec_b64 s[12:13], vcc
	s_xor_b64 s[12:13], exec, s[12:13]
	s_cbranch_execz .LBB151_307
; %bb.80:
	v_bfe_u32 v4, v3, 21, 1
	s_mov_b32 s16, 0x88fffff
	v_add3_u32 v4, v3, v4, s16
	s_mov_b64 s[10:11], exec
	v_lshrrev_b32_e32 v4, 21, v4
	s_andn2_saveexec_b64 s[12:13], s[12:13]
	s_cbranch_execnz .LBB151_308
.LBB151_81:
	s_or_b64 exec, exec, s[12:13]
	v_mov_b32_e32 v6, 0
	s_and_saveexec_b64 s[12:13], s[10:11]
.LBB151_82:
	v_lshrrev_b32_e32 v3, 24, v3
	s_movk_i32 s10, 0x80
	v_and_or_b32 v6, v3, s10, v4
.LBB151_83:
	s_or_b64 exec, exec, s[12:13]
.LBB151_84:
	s_or_b64 exec, exec, s[8:9]
	s_mov_b64 s[8:9], 0
	global_store_byte v[0:1], v6, off
.LBB151_85:
	s_and_b64 vcc, exec, s[8:9]
	s_cbranch_vccz .LBB151_95
; %bb.86:
	v_bfe_i32 v3, v2, 0, 8
	v_cvt_f32_i32_sdwa v3, sext(v3) dst_sel:DWORD dst_unused:UNUSED_PAD src0_sel:WORD_0
	s_mov_b32 s8, 0x43f00000
                                        ; implicit-def: $vgpr4
	v_and_b32_e32 v6, 0x7fffffff, v3
	v_cmp_gt_u32_e32 vcc, s8, v6
	s_and_saveexec_b64 s[8:9], vcc
	s_xor_b64 s[8:9], exec, s[8:9]
	s_cbranch_execz .LBB151_92
; %bb.87:
	s_mov_b32 s10, 0x3c7fffff
	v_cmp_lt_u32_e32 vcc, s10, v6
                                        ; implicit-def: $vgpr4
	s_and_saveexec_b64 s[10:11], vcc
	s_xor_b64 s[10:11], exec, s[10:11]
; %bb.88:
	v_bfe_u32 v4, v3, 20, 1
	s_mov_b32 s12, 0x407ffff
	v_add3_u32 v4, v3, v4, s12
	v_lshrrev_b32_e32 v6, 20, v4
	v_and_b32_e32 v4, 0xff00000, v4
	s_mov_b32 s12, 0x7f00000
	v_mov_b32_e32 v7, 0x7e
	v_cmp_ne_u32_e32 vcc, s12, v4
	v_cndmask_b32_e32 v4, v7, v6, vcc
; %bb.89:
	s_andn2_saveexec_b64 s[10:11], s[10:11]
; %bb.90:
	s_mov_b32 s12, 0x46800000
	v_add_f32_e64 v4, |v3|, s12
; %bb.91:
	s_or_b64 exec, exec, s[10:11]
                                        ; implicit-def: $vgpr6
.LBB151_92:
	s_andn2_saveexec_b64 s[8:9], s[8:9]
; %bb.93:
	s_mov_b32 s10, 0x7f800000
	v_mov_b32_e32 v4, 0x7e
	v_mov_b32_e32 v7, 0x7f
	v_cmp_lt_u32_e32 vcc, s10, v6
	v_cndmask_b32_e32 v4, v4, v7, vcc
; %bb.94:
	s_or_b64 exec, exec, s[8:9]
	v_lshrrev_b32_e32 v3, 24, v3
	s_movk_i32 s8, 0x80
	v_and_or_b32 v3, v3, s8, v4
	global_store_byte v[0:1], v3, off
.LBB151_95:
	s_mov_b64 s[8:9], 0
.LBB151_96:
	s_andn2_b64 vcc, exec, s[8:9]
	s_cbranch_vccnz .LBB151_106
; %bb.97:
	v_bfe_i32 v3, v2, 0, 8
	v_cvt_f32_i32_sdwa v3, sext(v3) dst_sel:DWORD dst_unused:UNUSED_PAD src0_sel:WORD_0
	s_mov_b32 s8, 0x47800000
                                        ; implicit-def: $vgpr4
	v_and_b32_e32 v6, 0x7fffffff, v3
	v_cmp_gt_u32_e32 vcc, s8, v6
	s_and_saveexec_b64 s[8:9], vcc
	s_xor_b64 s[8:9], exec, s[8:9]
	s_cbranch_execz .LBB151_103
; %bb.98:
	s_mov_b32 s10, 0x387fffff
	v_cmp_lt_u32_e32 vcc, s10, v6
                                        ; implicit-def: $vgpr4
	s_and_saveexec_b64 s[10:11], vcc
	s_xor_b64 s[10:11], exec, s[10:11]
; %bb.99:
	v_bfe_u32 v4, v3, 21, 1
	s_mov_b32 s12, 0x80fffff
	v_add3_u32 v4, v3, v4, s12
	v_lshrrev_b32_e32 v4, 21, v4
; %bb.100:
	s_andn2_saveexec_b64 s[10:11], s[10:11]
; %bb.101:
	s_mov_b32 s12, 0x43000000
	v_add_f32_e64 v4, |v3|, s12
; %bb.102:
	s_or_b64 exec, exec, s[10:11]
                                        ; implicit-def: $vgpr6
.LBB151_103:
	s_andn2_saveexec_b64 s[8:9], s[8:9]
; %bb.104:
	s_mov_b32 s10, 0x7f800000
	v_mov_b32_e32 v4, 0x7c
	v_mov_b32_e32 v7, 0x7f
	v_cmp_lt_u32_e32 vcc, s10, v6
	v_cndmask_b32_e32 v4, v4, v7, vcc
; %bb.105:
	s_or_b64 exec, exec, s[8:9]
	v_lshrrev_b32_e32 v3, 24, v3
	s_movk_i32 s8, 0x80
	v_and_or_b32 v3, v3, s8, v4
	global_store_byte v[0:1], v3, off
.LBB151_106:
	s_mov_b64 s[10:11], 0
	s_mov_b64 s[8:9], -1
.LBB151_107:
	s_andn2_b64 vcc, exec, s[10:11]
	s_cbranch_vccnz .LBB151_115
; %bb.108:
	s_cmp_gt_i32 s15, 14
	s_mov_b64 s[10:11], -1
	s_cbranch_scc0 .LBB151_112
; %bb.109:
	s_cmp_eq_u32 s15, 15
	s_mov_b64 s[0:1], -1
	s_cbranch_scc0 .LBB151_111
; %bb.110:
	v_bfe_i32 v3, v2, 0, 8
	v_cvt_f32_i32_sdwa v3, sext(v3) dst_sel:DWORD dst_unused:UNUSED_PAD src0_sel:WORD_0
	s_movk_i32 s0, 0x7fff
	s_mov_b64 s[8:9], -1
	v_bfe_u32 v4, v3, 16, 1
	v_add3_u32 v3, v3, v4, s0
	global_store_short_d16_hi v[0:1], v3, off
	s_mov_b64 s[0:1], 0
.LBB151_111:
	s_mov_b64 s[10:11], 0
.LBB151_112:
	s_and_b64 vcc, exec, s[10:11]
	s_cbranch_vccz .LBB151_115
; %bb.113:
	s_cmp_eq_u32 s15, 11
	s_mov_b64 s[0:1], -1
	s_cbranch_scc0 .LBB151_115
; %bb.114:
	v_mov_b32_e32 v3, 0
	v_cmp_ne_u16_sdwa s[0:1], v2, v3 src0_sel:BYTE_0 src1_sel:DWORD
	v_cndmask_b32_e64 v3, 0, 1, s[0:1]
	s_mov_b64 s[8:9], -1
	s_mov_b64 s[0:1], 0
	global_store_byte v[0:1], v3, off
.LBB151_115:
	s_branch .LBB151_34
.LBB151_116:
	s_and_b32 s10, 0xffff, s14
	s_cmp_lt_i32 s10, 5
	s_mov_b64 s[8:9], -1
	s_cbranch_scc1 .LBB151_137
; %bb.117:
	s_cmp_lt_i32 s10, 8
	s_cbranch_scc1 .LBB151_127
; %bb.118:
	s_cmp_lt_i32 s10, 9
	s_cbranch_scc1 .LBB151_124
; %bb.119:
	s_cmp_gt_i32 s10, 9
	s_cbranch_scc0 .LBB151_121
; %bb.120:
	v_bfe_i32 v3, v2, 0, 8
	v_bfe_i32 v3, v3, 0, 16
	v_cvt_f64_i32_e32 v[9:10], v3
	v_mov_b32_e32 v11, 0
	v_mov_b32_e32 v12, v11
	s_mov_b64 s[8:9], 0
	global_store_dwordx4 v[0:1], v[9:12], off
.LBB151_121:
	s_andn2_b64 vcc, exec, s[8:9]
	s_cbranch_vccnz .LBB151_123
; %bb.122:
	v_bfe_i32 v3, v2, 0, 8
	v_cvt_f32_i32_sdwa v3, sext(v3) dst_sel:DWORD dst_unused:UNUSED_PAD src0_sel:WORD_0
	v_mov_b32_e32 v4, 0
	global_store_dwordx2 v[0:1], v[3:4], off
.LBB151_123:
	s_mov_b64 s[8:9], 0
.LBB151_124:
	s_andn2_b64 vcc, exec, s[8:9]
	s_cbranch_vccnz .LBB151_126
; %bb.125:
	v_cvt_f16_i16_sdwa v3, sext(v2) dst_sel:DWORD dst_unused:UNUSED_PAD src0_sel:BYTE_0
	global_store_dword v[0:1], v3, off
.LBB151_126:
	s_mov_b64 s[8:9], 0
.LBB151_127:
	s_andn2_b64 vcc, exec, s[8:9]
	s_cbranch_vccnz .LBB151_136
; %bb.128:
	s_cmp_lt_i32 s10, 6
	s_mov_b64 s[8:9], -1
	s_cbranch_scc1 .LBB151_134
; %bb.129:
	s_cmp_gt_i32 s10, 6
	s_cbranch_scc0 .LBB151_131
; %bb.130:
	v_bfe_i32 v3, v2, 0, 8
	v_bfe_i32 v3, v3, 0, 16
	v_cvt_f64_i32_e32 v[3:4], v3
	s_mov_b64 s[8:9], 0
	global_store_dwordx2 v[0:1], v[3:4], off
.LBB151_131:
	s_andn2_b64 vcc, exec, s[8:9]
	s_cbranch_vccnz .LBB151_133
; %bb.132:
	v_bfe_i32 v3, v2, 0, 8
	v_cvt_f32_i32_sdwa v3, sext(v3) dst_sel:DWORD dst_unused:UNUSED_PAD src0_sel:WORD_0
	global_store_dword v[0:1], v3, off
.LBB151_133:
	s_mov_b64 s[8:9], 0
.LBB151_134:
	s_andn2_b64 vcc, exec, s[8:9]
	s_cbranch_vccnz .LBB151_136
; %bb.135:
	v_cvt_f16_i16_sdwa v3, sext(v2) dst_sel:DWORD dst_unused:UNUSED_PAD src0_sel:BYTE_0
	global_store_short v[0:1], v3, off
.LBB151_136:
	s_mov_b64 s[8:9], 0
.LBB151_137:
	s_andn2_b64 vcc, exec, s[8:9]
	s_cbranch_vccnz .LBB151_153
; %bb.138:
	s_cmp_lt_i32 s10, 2
	s_mov_b64 s[8:9], -1
	s_cbranch_scc1 .LBB151_148
; %bb.139:
	s_cmp_lt_i32 s10, 3
	s_cbranch_scc1 .LBB151_145
; %bb.140:
	s_cmp_gt_i32 s10, 3
	s_cbranch_scc0 .LBB151_142
; %bb.141:
	v_bfe_i32 v3, v2, 0, 8
	v_ashrrev_i32_e32 v4, 31, v3
	global_store_dwordx2 v[0:1], v[3:4], off
	s_mov_b64 s[8:9], 0
.LBB151_142:
	s_andn2_b64 vcc, exec, s[8:9]
	s_cbranch_vccnz .LBB151_144
; %bb.143:
	v_bfe_i32 v3, v2, 0, 8
	global_store_dword v[0:1], v3, off
.LBB151_144:
	s_mov_b64 s[8:9], 0
.LBB151_145:
	s_andn2_b64 vcc, exec, s[8:9]
	s_cbranch_vccnz .LBB151_147
; %bb.146:
	v_bfe_i32 v3, v2, 0, 8
	global_store_short v[0:1], v3, off
.LBB151_147:
	s_mov_b64 s[8:9], 0
.LBB151_148:
	s_andn2_b64 vcc, exec, s[8:9]
	s_cbranch_vccnz .LBB151_153
; %bb.149:
	s_cmp_gt_i32 s10, 0
	s_mov_b64 s[8:9], -1
	s_cbranch_scc0 .LBB151_151
; %bb.150:
	global_store_byte v[0:1], v2, off
	s_mov_b64 s[8:9], 0
.LBB151_151:
	s_andn2_b64 vcc, exec, s[8:9]
	s_cbranch_vccnz .LBB151_153
; %bb.152:
	global_store_byte v[0:1], v2, off
.LBB151_153:
.LBB151_154:
	v_add_u32_e32 v8, 0x80, v8
	s_mov_b64 s[8:9], -1
	s_branch .LBB151_261
.LBB151_155:
	s_mov_b64 s[2:3], -1
                                        ; implicit-def: $vgpr3
.LBB151_156:
	s_mov_b64 s[8:9], 0
.LBB151_157:
	s_and_b64 vcc, exec, s[8:9]
	s_cbranch_vccz .LBB151_161
; %bb.158:
	s_cmp_eq_u32 s11, 29
	s_cbranch_scc0 .LBB151_160
; %bb.159:
	global_load_dwordx2 v[3:4], v[1:2], off
	s_mov_b64 s[0:1], -1
	s_mov_b64 s[2:3], 0
	s_branch .LBB151_161
.LBB151_160:
	s_mov_b64 s[2:3], -1
                                        ; implicit-def: $vgpr3
.LBB151_161:
	s_mov_b64 s[8:9], 0
.LBB151_162:
	s_and_b64 vcc, exec, s[8:9]
	s_cbranch_vccz .LBB151_178
; %bb.163:
	s_cmp_lt_i32 s11, 27
	s_cbranch_scc1 .LBB151_166
; %bb.164:
	s_cmp_gt_i32 s11, 27
	s_cbranch_scc0 .LBB151_167
; %bb.165:
	global_load_dword v3, v[1:2], off
	s_mov_b64 s[0:1], 0
	s_branch .LBB151_168
.LBB151_166:
	s_mov_b64 s[0:1], -1
                                        ; implicit-def: $vgpr3
	s_branch .LBB151_171
.LBB151_167:
	s_mov_b64 s[0:1], -1
                                        ; implicit-def: $vgpr3
.LBB151_168:
	s_andn2_b64 vcc, exec, s[0:1]
	s_cbranch_vccnz .LBB151_170
; %bb.169:
	global_load_ushort v3, v[1:2], off
.LBB151_170:
	s_mov_b64 s[0:1], 0
.LBB151_171:
	s_andn2_b64 vcc, exec, s[0:1]
	s_cbranch_vccnz .LBB151_177
; %bb.172:
	global_load_ubyte v4, v[1:2], off
	s_movk_i32 s0, 0x7f
	s_mov_b64 s[8:9], 0
	s_waitcnt vmcnt(0)
	v_cmp_lt_i16_e32 vcc, s0, v4
	s_and_saveexec_b64 s[0:1], vcc
	s_xor_b64 s[0:1], exec, s[0:1]
	s_cbranch_execz .LBB151_188
; %bb.173:
	s_movk_i32 s8, 0x80
	v_cmp_ne_u16_e32 vcc, s8, v4
	s_and_b64 s[8:9], vcc, exec
	s_andn2_saveexec_b64 s[0:1], s[0:1]
	s_cbranch_execnz .LBB151_189
.LBB151_174:
	s_or_b64 exec, exec, s[0:1]
	v_mov_b32_e32 v3, 0
	s_and_saveexec_b64 s[0:1], s[8:9]
	s_cbranch_execz .LBB151_176
.LBB151_175:
	v_lshlrev_b32_e32 v3, 24, v4
	v_and_b32_e32 v4, 0xffff, v4
	v_and_b32_e32 v6, 7, v4
	v_ffbh_u32_e32 v9, v6
	v_min_u32_e32 v9, 32, v9
	v_subrev_u32_e32 v10, 28, v9
	v_bfe_u32 v7, v4, 3, 4
	v_lshlrev_b32_e32 v4, v10, v4
	v_sub_u32_e32 v9, 29, v9
	v_and_b32_e32 v4, 7, v4
	v_cmp_eq_u32_e32 vcc, 0, v7
	v_cndmask_b32_e32 v7, v7, v9, vcc
	v_cndmask_b32_e32 v4, v6, v4, vcc
	v_mov_b32_e32 v6, 0x3b800000
	v_lshlrev_b32_e32 v4, 20, v4
	v_and_b32_e32 v3, 0x80000000, v3
	v_lshl_add_u32 v6, v7, 23, v6
	v_or3_b32 v3, v3, v6, v4
	v_cvt_i32_f32_e32 v3, v3
.LBB151_176:
	s_or_b64 exec, exec, s[0:1]
.LBB151_177:
	s_mov_b64 s[0:1], -1
.LBB151_178:
	s_branch .LBB151_211
.LBB151_179:
	s_cmp_gt_i32 s11, 22
	s_cbranch_scc0 .LBB151_187
; %bb.180:
	s_cmp_lt_i32 s11, 24
	s_cbranch_scc1 .LBB151_190
; %bb.181:
	s_cmp_gt_i32 s11, 24
	s_cbranch_scc0 .LBB151_191
; %bb.182:
	global_load_ubyte v4, v[1:2], off
	s_movk_i32 s0, 0x7f
	s_mov_b64 s[8:9], 0
	s_waitcnt vmcnt(0)
	v_cmp_lt_i16_e32 vcc, s0, v4
	s_and_saveexec_b64 s[0:1], vcc
	s_xor_b64 s[0:1], exec, s[0:1]
	s_cbranch_execz .LBB151_203
; %bb.183:
	s_movk_i32 s8, 0x80
	v_cmp_ne_u16_e32 vcc, s8, v4
	s_and_b64 s[8:9], vcc, exec
	s_andn2_saveexec_b64 s[0:1], s[0:1]
	s_cbranch_execnz .LBB151_204
.LBB151_184:
	s_or_b64 exec, exec, s[0:1]
	v_mov_b32_e32 v3, 0
	s_and_saveexec_b64 s[0:1], s[8:9]
	s_cbranch_execz .LBB151_186
.LBB151_185:
	v_lshlrev_b32_e32 v3, 24, v4
	v_and_b32_e32 v4, 0xffff, v4
	v_and_b32_e32 v6, 3, v4
	v_ffbh_u32_e32 v9, v6
	v_min_u32_e32 v9, 32, v9
	v_subrev_u32_e32 v10, 29, v9
	v_bfe_u32 v7, v4, 2, 5
	v_lshlrev_b32_e32 v4, v10, v4
	v_sub_u32_e32 v9, 30, v9
	v_and_b32_e32 v4, 3, v4
	v_cmp_eq_u32_e32 vcc, 0, v7
	v_cndmask_b32_e32 v7, v7, v9, vcc
	v_cndmask_b32_e32 v4, v6, v4, vcc
	v_mov_b32_e32 v6, 0x37800000
	v_lshlrev_b32_e32 v4, 21, v4
	v_and_b32_e32 v3, 0x80000000, v3
	v_lshl_add_u32 v6, v7, 23, v6
	v_or3_b32 v3, v3, v6, v4
	v_cvt_i32_f32_e32 v3, v3
.LBB151_186:
	s_or_b64 exec, exec, s[0:1]
	s_mov_b64 s[0:1], 0
	s_branch .LBB151_192
.LBB151_187:
	s_mov_b64 s[8:9], -1
                                        ; implicit-def: $vgpr3
	s_branch .LBB151_198
.LBB151_188:
	s_andn2_saveexec_b64 s[0:1], s[0:1]
	s_cbranch_execz .LBB151_174
.LBB151_189:
	v_cmp_ne_u16_e32 vcc, 0, v4
	s_andn2_b64 s[8:9], s[8:9], exec
	s_and_b64 s[12:13], vcc, exec
	s_or_b64 s[8:9], s[8:9], s[12:13]
	s_or_b64 exec, exec, s[0:1]
	v_mov_b32_e32 v3, 0
	s_and_saveexec_b64 s[0:1], s[8:9]
	s_cbranch_execnz .LBB151_175
	s_branch .LBB151_176
.LBB151_190:
	s_mov_b64 s[0:1], -1
                                        ; implicit-def: $vgpr3
	s_branch .LBB151_195
.LBB151_191:
	s_mov_b64 s[0:1], -1
                                        ; implicit-def: $vgpr3
.LBB151_192:
	s_and_b64 vcc, exec, s[0:1]
	s_cbranch_vccz .LBB151_194
; %bb.193:
	global_load_ubyte v3, v[1:2], off
	s_mov_b32 s0, 0x7f800000
	s_waitcnt vmcnt(0)
	v_lshlrev_b32_e32 v3, 24, v3
	v_and_b32_e32 v4, 0x7f000000, v3
	v_ffbh_u32_e32 v6, v4
	v_min_u32_e32 v6, 32, v6
	v_sub_u32_e64 v6, v6, 4 clamp
	v_lshlrev_b32_e32 v9, v6, v4
	v_lshlrev_b32_e32 v6, 23, v6
	v_lshrrev_b32_e32 v9, 4, v9
	v_add_u32_e32 v7, 0x1000000, v4
	v_sub_u32_e32 v6, v9, v6
	v_ashrrev_i32_e32 v7, 8, v7
	v_add_u32_e32 v6, 0x3c000000, v6
	v_and_or_b32 v6, v7, s0, v6
	v_cmp_ne_u32_e32 vcc, 0, v4
	v_cndmask_b32_e32 v4, 0, v6, vcc
	s_brev_b32 s0, 1
	v_and_or_b32 v3, v3, s0, v4
	v_cvt_i32_f32_e32 v3, v3
.LBB151_194:
	s_mov_b64 s[0:1], 0
.LBB151_195:
	s_andn2_b64 vcc, exec, s[0:1]
	s_cbranch_vccnz .LBB151_197
; %bb.196:
	global_load_ubyte v3, v[1:2], off
	s_movk_i32 s0, 0x7f00
	s_brev_b32 s1, 16
	s_waitcnt vmcnt(0)
	v_lshlrev_b16_e32 v4, 8, v3
	v_lshlrev_b32_e32 v3, 25, v3
	v_lshrrev_b32_e32 v6, 4, v3
	v_and_or_b32 v7, v4, s0, 0.5
	v_or_b32_e32 v6, 0x70000000, v6
	v_add_f32_e32 v7, -0.5, v7
	v_mul_f32_e32 v6, 0x7800000, v6
	v_cmp_gt_u32_e32 vcc, s1, v3
	v_bfe_i32 v4, v4, 0, 16
	v_cndmask_b32_e32 v3, v6, v7, vcc
	s_brev_b32 s0, 1
	v_and_or_b32 v3, v4, s0, v3
	v_cvt_i32_f32_e32 v3, v3
.LBB151_197:
	s_mov_b64 s[8:9], 0
	s_mov_b64 s[0:1], -1
.LBB151_198:
	s_andn2_b64 vcc, exec, s[8:9]
	s_cbranch_vccnz .LBB151_211
; %bb.199:
	s_cmp_gt_i32 s11, 14
	s_cbranch_scc0 .LBB151_202
; %bb.200:
	s_cmp_eq_u32 s11, 15
	s_cbranch_scc0 .LBB151_205
; %bb.201:
	global_load_ushort v3, v[1:2], off
	s_mov_b64 s[0:1], -1
	s_mov_b64 s[2:3], 0
	s_waitcnt vmcnt(0)
	v_lshlrev_b32_e32 v3, 16, v3
	v_cvt_i32_f32_e32 v3, v3
	s_branch .LBB151_206
.LBB151_202:
	s_mov_b64 s[8:9], -1
                                        ; implicit-def: $vgpr3
	s_branch .LBB151_207
.LBB151_203:
	s_andn2_saveexec_b64 s[0:1], s[0:1]
	s_cbranch_execz .LBB151_184
.LBB151_204:
	v_cmp_ne_u16_e32 vcc, 0, v4
	s_andn2_b64 s[8:9], s[8:9], exec
	s_and_b64 s[12:13], vcc, exec
	s_or_b64 s[8:9], s[8:9], s[12:13]
	s_or_b64 exec, exec, s[0:1]
	v_mov_b32_e32 v3, 0
	s_and_saveexec_b64 s[0:1], s[8:9]
	s_cbranch_execnz .LBB151_185
	s_branch .LBB151_186
.LBB151_205:
	s_mov_b64 s[2:3], -1
                                        ; implicit-def: $vgpr3
.LBB151_206:
	s_mov_b64 s[8:9], 0
.LBB151_207:
	s_and_b64 vcc, exec, s[8:9]
	s_cbranch_vccz .LBB151_211
; %bb.208:
	s_cmp_eq_u32 s11, 11
	s_cbranch_scc0 .LBB151_210
; %bb.209:
	global_load_ubyte v3, v[1:2], off
	s_mov_b64 s[0:1], -1
	s_mov_b64 s[2:3], 0
	s_waitcnt vmcnt(0)
	v_cmp_ne_u16_e32 vcc, 0, v3
	v_cndmask_b32_e64 v3, 0, 1, vcc
	s_branch .LBB151_211
.LBB151_210:
	s_mov_b64 s[2:3], -1
                                        ; implicit-def: $vgpr3
.LBB151_211:
	s_branch .LBB151_24
.LBB151_212:
	s_and_b32 s8, 0xffff, s10
	s_cmp_lt_i32 s8, 5
	s_cbranch_scc1 .LBB151_217
; %bb.213:
	s_cmp_lt_i32 s8, 8
	s_cbranch_scc1 .LBB151_218
; %bb.214:
	;; [unrolled: 3-line block ×3, first 2 shown]
	s_cmp_gt_i32 s8, 9
	s_cbranch_scc0 .LBB151_220
; %bb.216:
	global_load_dwordx2 v[3:4], v[1:2], off
	s_mov_b64 s[0:1], 0
	s_waitcnt vmcnt(0)
	v_cvt_i32_f64_e32 v3, v[3:4]
	s_branch .LBB151_221
.LBB151_217:
                                        ; implicit-def: $vgpr3
	s_branch .LBB151_239
.LBB151_218:
	s_mov_b64 s[0:1], -1
                                        ; implicit-def: $vgpr3
	s_branch .LBB151_227
.LBB151_219:
	s_mov_b64 s[0:1], -1
                                        ; implicit-def: $vgpr3
	s_branch .LBB151_224
.LBB151_220:
	s_mov_b64 s[0:1], -1
                                        ; implicit-def: $vgpr3
.LBB151_221:
	s_andn2_b64 vcc, exec, s[0:1]
	s_cbranch_vccnz .LBB151_223
; %bb.222:
	global_load_dword v3, v[1:2], off
	s_waitcnt vmcnt(0)
	v_cvt_i32_f32_e32 v3, v3
.LBB151_223:
	s_mov_b64 s[0:1], 0
.LBB151_224:
	s_andn2_b64 vcc, exec, s[0:1]
	s_cbranch_vccnz .LBB151_226
; %bb.225:
	global_load_dword v3, v[1:2], off
	s_waitcnt vmcnt(0)
	v_cvt_i16_f16_e32 v3, v3
.LBB151_226:
	s_mov_b64 s[0:1], 0
.LBB151_227:
	s_andn2_b64 vcc, exec, s[0:1]
	s_cbranch_vccnz .LBB151_238
; %bb.228:
	s_cmp_lt_i32 s8, 6
	s_cbranch_scc1 .LBB151_231
; %bb.229:
	s_cmp_gt_i32 s8, 6
	s_cbranch_scc0 .LBB151_232
; %bb.230:
	global_load_dwordx2 v[3:4], v[1:2], off
	s_mov_b64 s[0:1], 0
	s_waitcnt vmcnt(0)
	v_cvt_i32_f64_e32 v3, v[3:4]
	s_branch .LBB151_233
.LBB151_231:
	s_mov_b64 s[0:1], -1
                                        ; implicit-def: $vgpr3
	s_branch .LBB151_236
.LBB151_232:
	s_mov_b64 s[0:1], -1
                                        ; implicit-def: $vgpr3
.LBB151_233:
	s_andn2_b64 vcc, exec, s[0:1]
	s_cbranch_vccnz .LBB151_235
; %bb.234:
	global_load_dword v3, v[1:2], off
	s_waitcnt vmcnt(0)
	v_cvt_i32_f32_e32 v3, v3
.LBB151_235:
	s_mov_b64 s[0:1], 0
.LBB151_236:
	s_andn2_b64 vcc, exec, s[0:1]
	s_cbranch_vccnz .LBB151_238
; %bb.237:
	global_load_ushort v3, v[1:2], off
	s_waitcnt vmcnt(0)
	v_cvt_i16_f16_e32 v3, v3
.LBB151_238:
	s_cbranch_execnz .LBB151_258
.LBB151_239:
	s_cmp_lt_i32 s8, 2
	s_cbranch_scc1 .LBB151_243
; %bb.240:
	s_cmp_lt_i32 s8, 3
	s_cbranch_scc1 .LBB151_244
; %bb.241:
	s_cmp_gt_i32 s8, 3
	s_cbranch_scc0 .LBB151_245
; %bb.242:
	global_load_dwordx2 v[3:4], v[1:2], off
	s_mov_b64 s[0:1], 0
	s_branch .LBB151_246
.LBB151_243:
	s_mov_b64 s[0:1], -1
                                        ; implicit-def: $vgpr3
	s_branch .LBB151_252
.LBB151_244:
	s_mov_b64 s[0:1], -1
                                        ; implicit-def: $vgpr3
	s_branch .LBB151_249
.LBB151_245:
	s_mov_b64 s[0:1], -1
                                        ; implicit-def: $vgpr3
.LBB151_246:
	s_andn2_b64 vcc, exec, s[0:1]
	s_cbranch_vccnz .LBB151_248
; %bb.247:
	global_load_dword v3, v[1:2], off
.LBB151_248:
	s_mov_b64 s[0:1], 0
.LBB151_249:
	s_andn2_b64 vcc, exec, s[0:1]
	s_cbranch_vccnz .LBB151_251
; %bb.250:
	global_load_ushort v3, v[1:2], off
.LBB151_251:
	s_mov_b64 s[0:1], 0
.LBB151_252:
	s_andn2_b64 vcc, exec, s[0:1]
	s_cbranch_vccnz .LBB151_258
; %bb.253:
	s_cmp_gt_i32 s8, 0
	s_cbranch_scc0 .LBB151_255
; %bb.254:
	global_load_ubyte v3, v[1:2], off
	s_mov_b64 s[0:1], 0
	s_branch .LBB151_256
.LBB151_255:
	s_mov_b64 s[0:1], -1
                                        ; implicit-def: $vgpr3
.LBB151_256:
	s_andn2_b64 vcc, exec, s[0:1]
	s_cbranch_vccnz .LBB151_258
; %bb.257:
	global_load_ubyte v3, v[1:2], off
.LBB151_258:
	s_branch .LBB151_25
.LBB151_259:
	s_mov_b64 s[0:1], 0
.LBB151_260:
	s_mov_b64 s[8:9], 0
                                        ; implicit-def: $vgpr8
.LBB151_261:
	s_and_b64 s[52:53], s[0:1], exec
	s_and_b64 s[54:55], s[2:3], exec
	s_orn2_b64 s[2:3], s[8:9], exec
.LBB151_262:
	s_or_b64 exec, exec, s[56:57]
	s_mov_b64 s[10:11], 0
	s_mov_b64 s[0:1], 0
                                        ; implicit-def: $sgpr14
                                        ; implicit-def: $vgpr1_vgpr2
                                        ; implicit-def: $vgpr0
                                        ; implicit-def: $vgpr3
	s_and_saveexec_b64 s[56:57], s[2:3]
	s_cbranch_execz .LBB151_269
; %bb.263:
	v_cmp_gt_i32_e32 vcc, s70, v8
	s_mov_b64 s[0:1], -1
	s_mov_b64 s[58:59], s[54:55]
	s_mov_b64 s[60:61], s[52:53]
	s_and_saveexec_b64 s[62:63], vcc
	s_cbranch_execz .LBB151_534
; %bb.264:
	s_andn2_b64 vcc, exec, s[40:41]
	s_cbranch_vccnz .LBB151_272
; %bb.265:
	s_andn2_b64 vcc, exec, s[50:51]
	s_cbranch_vccnz .LBB151_273
; %bb.266:
	s_add_i32 s65, s76, 1
	s_cmp_eq_u32 s72, 2
	s_cbranch_scc1 .LBB151_274
; %bb.267:
	s_and_b32 s64, s65, 28
	v_mov_b32_e32 v2, 0
	s_mov_b32 s66, 0
	s_mov_b64 s[58:59], s[34:35]
	s_mov_b64 s[60:61], s[48:49]
	v_mov_b32_e32 v0, 0
	v_mov_b32_e32 v1, v8
.LBB151_268:                            ; =>This Inner Loop Header: Depth=1
	s_load_dwordx8 s[16:23], s[58:59], 0x4
	s_load_dwordx4 s[0:3], s[58:59], 0x24
	s_load_dwordx8 s[8:15], s[60:61], 0x0
	s_add_u32 s58, s58, 48
	s_addc_u32 s59, s59, 0
	s_waitcnt vmcnt(0) lgkmcnt(0)
	v_mul_hi_u32 v3, s17, v1
	s_add_i32 s66, s66, 4
	s_add_u32 s60, s60, 32
	s_addc_u32 s61, s61, 0
	v_add_u32_e32 v3, v1, v3
	v_lshrrev_b32_e32 v3, s18, v3
	v_mul_lo_u32 v4, v3, s16
	v_mul_hi_u32 v6, s20, v3
	s_cmp_eq_u32 s64, s66
	v_sub_u32_e32 v1, v1, v4
	v_add_u32_e32 v4, v3, v6
	v_mul_lo_u32 v6, v1, s8
	v_mul_lo_u32 v7, v1, s9
	v_lshrrev_b32_e32 v1, s21, v4
	v_mul_lo_u32 v4, v1, s19
	v_mul_hi_u32 v9, s23, v1
	v_sub_u32_e32 v3, v3, v4
	v_add_u32_e32 v4, v1, v9
	v_lshrrev_b32_e32 v4, s0, v4
	v_mul_hi_u32 v10, s2, v4
	v_mul_lo_u32 v11, v4, s22
	v_mul_lo_u32 v9, v3, s10
	;; [unrolled: 1-line block ×3, first 2 shown]
	v_sub_u32_e32 v11, v1, v11
	v_add_u32_e32 v1, v4, v10
	v_lshrrev_b32_e32 v1, s3, v1
	v_mul_lo_u32 v10, v1, s1
	v_mul_lo_u32 v12, v11, s12
	v_mul_lo_u32 v11, v11, s13
	v_add3_u32 v0, v6, v0, v9
	v_sub_u32_e32 v4, v4, v10
	v_mul_lo_u32 v10, v4, s14
	v_mul_lo_u32 v4, v4, s15
	v_add3_u32 v2, v7, v2, v3
	v_add3_u32 v0, v12, v0, v10
	;; [unrolled: 1-line block ×3, first 2 shown]
	s_cbranch_scc0 .LBB151_268
	s_branch .LBB151_275
.LBB151_269:
	s_or_b64 exec, exec, s[56:57]
	s_mov_b64 s[2:3], 0
	s_and_saveexec_b64 s[8:9], s[54:55]
	s_cbranch_execnz .LBB151_902
.LBB151_270:
	s_or_b64 exec, exec, s[8:9]
	s_and_saveexec_b64 s[8:9], s[60:61]
	s_xor_b64 s[8:9], exec, s[8:9]
	s_cbranch_execz .LBB151_903
.LBB151_271:
	global_load_ubyte v3, v[1:2], off
	s_or_b64 s[0:1], s[0:1], exec
	s_waitcnt vmcnt(0)
	v_cmp_ne_u16_e32 vcc, 0, v3
	v_cndmask_b32_e64 v3, 0, 1, vcc
	s_or_b64 exec, exec, s[8:9]
	s_and_saveexec_b64 s[8:9], s[10:11]
	s_cbranch_execz .LBB151_949
	s_branch .LBB151_904
.LBB151_272:
                                        ; implicit-def: $vgpr0
                                        ; implicit-def: $vgpr2
	s_andn2_b64 vcc, exec, s[0:1]
	s_cbranch_vccz .LBB151_279
	s_branch .LBB151_281
.LBB151_273:
	v_mov_b32_e32 v0, 0
	v_mov_b32_e32 v2, 0
	s_branch .LBB151_278
.LBB151_274:
	s_mov_b32 s64, 0
	v_mov_b32_e32 v0, 0
	v_mov_b32_e32 v2, 0
	;; [unrolled: 1-line block ×3, first 2 shown]
.LBB151_275:
	s_and_b32 s8, s65, 3
	s_cmp_eq_u32 s8, 0
	s_cbranch_scc1 .LBB151_278
; %bb.276:
	s_lshl_b32 s0, s64, 3
	s_add_u32 s0, s34, s0
	s_addc_u32 s1, s35, 0
	s_add_u32 s0, s0, 0xc4
	s_addc_u32 s1, s1, 0
	s_mul_i32 s2, s64, 12
	s_add_u32 s2, s34, s2
	s_addc_u32 s3, s35, 0
.LBB151_277:                            ; =>This Inner Loop Header: Depth=1
	s_load_dwordx2 s[10:11], s[2:3], 0x4
	s_load_dword s9, s[2:3], 0xc
	s_load_dwordx2 s[12:13], s[0:1], 0x0
	s_add_u32 s2, s2, 12
	s_addc_u32 s3, s3, 0
	s_waitcnt vmcnt(0) lgkmcnt(0)
	v_mul_hi_u32 v3, s11, v1
	s_add_u32 s0, s0, 8
	s_addc_u32 s1, s1, 0
	s_add_i32 s8, s8, -1
	v_add_u32_e32 v3, v1, v3
	v_lshrrev_b32_e32 v4, s9, v3
	v_mul_lo_u32 v3, v4, s10
	s_cmp_lg_u32 s8, 0
	v_sub_u32_e32 v3, v1, v3
	v_mad_u64_u32 v[0:1], s[10:11], v3, s12, v[0:1]
	v_mad_u64_u32 v[2:3], s[10:11], v3, s13, v[2:3]
	v_mov_b32_e32 v1, v4
	s_cbranch_scc1 .LBB151_277
.LBB151_278:
	s_cbranch_execnz .LBB151_281
.LBB151_279:
	s_waitcnt lgkmcnt(0)
	v_mul_hi_u32 v0, s37, v8
	s_andn2_b64 vcc, exec, s[46:47]
	v_add_u32_e32 v0, v8, v0
	v_lshrrev_b32_e32 v1, s38, v0
	v_mul_lo_u32 v0, v1, s36
	v_sub_u32_e32 v2, v8, v0
	v_mul_lo_u32 v0, v2, s28
	v_mul_lo_u32 v2, v2, s29
	s_cbranch_vccnz .LBB151_281
; %bb.280:
	s_waitcnt vmcnt(0)
	v_mul_hi_u32 v3, s44, v1
	v_add_u32_e32 v3, v1, v3
	v_lshrrev_b32_e32 v3, s45, v3
	v_mul_lo_u32 v3, v3, s39
	v_sub_u32_e32 v3, v1, v3
	v_mad_u64_u32 v[0:1], s[0:1], v3, s30, v[0:1]
	v_mad_u64_u32 v[2:3], s[0:1], v3, s31, v[2:3]
.LBB151_281:
	s_waitcnt vmcnt(0) lgkmcnt(0)
	v_mov_b32_e32 v3, s27
	s_and_b32 s10, s75, 0xff
	v_add_co_u32_e32 v1, vcc, s26, v2
	s_cmp_lt_i32 s10, 11
	v_addc_co_u32_e32 v2, vcc, 0, v3, vcc
	s_cbranch_scc1 .LBB151_288
; %bb.282:
	s_and_b32 s11, 0xffff, s10
	s_cmp_gt_i32 s11, 25
	s_cbranch_scc0 .LBB151_297
; %bb.283:
	s_cmp_gt_i32 s11, 28
	s_cbranch_scc0 .LBB151_299
; %bb.284:
	;; [unrolled: 3-line block ×4, first 2 shown]
	s_cmp_eq_u32 s11, 46
	s_mov_b64 s[8:9], 0
	s_cbranch_scc0 .LBB151_309
; %bb.287:
	global_load_dword v3, v[1:2], off
	s_mov_b64 s[0:1], -1
	s_mov_b64 s[2:3], 0
	s_waitcnt vmcnt(0)
	v_lshlrev_b32_e32 v3, 16, v3
	v_cvt_i32_f32_e32 v3, v3
	s_branch .LBB151_310
.LBB151_288:
	s_mov_b64 s[0:1], 0
                                        ; implicit-def: $vgpr3
	s_mov_b64 s[2:3], s[54:55]
	s_cbranch_execnz .LBB151_483
.LBB151_289:
	s_andn2_b64 vcc, exec, s[0:1]
	s_cbranch_vccnz .LBB151_531
.LBB151_290:
	v_mov_b32_e32 v1, 6
	s_waitcnt vmcnt(0)
	v_ashrrev_i32_e64 v2, v3, s74
	v_cmp_gt_u16_sdwa vcc, v3, v1 src0_sel:BYTE_0 src1_sel:DWORD
	v_cndmask_b32_e32 v2, v2, v5, vcc
	v_mov_b32_e32 v1, s25
	s_and_b32 s14, s73, 0xff
	v_add_co_u32_e32 v0, vcc, s24, v0
	s_cmp_lt_i32 s14, 11
	v_addc_co_u32_e32 v1, vcc, 0, v1, vcc
	s_cbranch_scc1 .LBB151_298
; %bb.291:
	s_and_b32 s15, 0xffff, s14
	s_cmp_gt_i32 s15, 25
	s_cbranch_scc0 .LBB151_300
; %bb.292:
	s_cmp_gt_i32 s15, 28
	s_cbranch_scc0 .LBB151_302
; %bb.293:
	;; [unrolled: 3-line block ×4, first 2 shown]
	s_mov_b64 s[10:11], 0
	s_mov_b64 s[0:1], -1
	s_cmp_eq_u32 s15, 46
	s_mov_b64 s[8:9], 0
	s_cbranch_scc0 .LBB151_314
; %bb.296:
	v_bfe_i32 v3, v2, 0, 8
	v_cvt_f32_i32_sdwa v3, sext(v3) dst_sel:DWORD dst_unused:UNUSED_PAD src0_sel:WORD_0
	s_movk_i32 s0, 0x7fff
	s_mov_b64 s[8:9], -1
	v_bfe_u32 v4, v3, 16, 1
	v_add3_u32 v3, v3, v4, s0
	v_lshrrev_b32_e32 v3, 16, v3
	global_store_dword v[0:1], v3, off
	s_mov_b64 s[0:1], 0
	s_branch .LBB151_314
.LBB151_297:
	s_mov_b64 s[8:9], -1
	s_mov_b64 s[0:1], 0
	s_mov_b64 s[2:3], s[54:55]
                                        ; implicit-def: $vgpr3
	s_branch .LBB151_449
.LBB151_298:
	s_mov_b64 s[10:11], -1
	s_mov_b64 s[8:9], 0
	s_mov_b64 s[0:1], s[52:53]
	s_branch .LBB151_383
.LBB151_299:
	s_mov_b64 s[8:9], -1
	s_mov_b64 s[0:1], 0
	s_mov_b64 s[2:3], s[54:55]
                                        ; implicit-def: $vgpr3
	s_branch .LBB151_432
.LBB151_300:
	s_mov_b64 s[10:11], -1
	s_mov_b64 s[8:9], 0
	s_mov_b64 s[0:1], s[52:53]
	s_branch .LBB151_341
.LBB151_301:
	s_mov_b64 s[8:9], -1
	s_mov_b64 s[0:1], 0
	s_mov_b64 s[2:3], s[54:55]
                                        ; implicit-def: $vgpr3
	s_branch .LBB151_427
.LBB151_302:
	s_mov_b64 s[10:11], -1
	s_mov_b64 s[8:9], 0
	s_mov_b64 s[0:1], s[52:53]
	s_branch .LBB151_324
.LBB151_303:
	s_andn2_saveexec_b64 s[12:13], s[12:13]
	s_cbranch_execz .LBB151_68
.LBB151_304:
	s_mov_b32 s16, 0x46000000
	v_add_f32_e64 v4, |v3|, s16
	v_and_b32_e32 v4, 0xff, v4
	v_cmp_ne_u32_e32 vcc, 0, v4
	s_andn2_b64 s[10:11], s[10:11], exec
	s_and_b64 s[16:17], vcc, exec
	s_or_b64 s[10:11], s[10:11], s[16:17]
	s_or_b64 exec, exec, s[12:13]
	v_mov_b32_e32 v6, 0
	s_and_saveexec_b64 s[12:13], s[10:11]
	s_cbranch_execnz .LBB151_69
	s_branch .LBB151_70
.LBB151_305:
	s_mov_b64 s[8:9], -1
	s_mov_b64 s[0:1], 0
	s_mov_b64 s[2:3], s[54:55]
                                        ; implicit-def: $vgpr3
	s_branch .LBB151_310
.LBB151_306:
	s_mov_b64 s[10:11], -1
	s_mov_b64 s[8:9], 0
	s_mov_b64 s[0:1], s[52:53]
	s_branch .LBB151_320
.LBB151_307:
	s_andn2_saveexec_b64 s[12:13], s[12:13]
	s_cbranch_execz .LBB151_81
.LBB151_308:
	s_mov_b32 s16, 0x42800000
	v_add_f32_e64 v4, |v3|, s16
	v_and_b32_e32 v4, 0xff, v4
	v_cmp_ne_u32_e32 vcc, 0, v4
	s_andn2_b64 s[10:11], s[10:11], exec
	s_and_b64 s[16:17], vcc, exec
	s_or_b64 s[10:11], s[10:11], s[16:17]
	s_or_b64 exec, exec, s[12:13]
	v_mov_b32_e32 v6, 0
	s_and_saveexec_b64 s[12:13], s[10:11]
	s_cbranch_execnz .LBB151_82
	s_branch .LBB151_83
.LBB151_309:
	s_mov_b64 s[2:3], -1
                                        ; implicit-def: $vgpr3
	s_mov_b64 s[0:1], 0
.LBB151_310:
	s_and_b64 vcc, exec, s[8:9]
	s_cbranch_vccz .LBB151_426
; %bb.311:
	s_cmp_eq_u32 s11, 44
	s_cbranch_scc0 .LBB151_425
; %bb.312:
	global_load_ubyte v3, v[1:2], off
	s_mov_b64 s[0:1], -1
	s_mov_b64 s[2:3], 0
	s_waitcnt vmcnt(0)
	v_lshlrev_b32_e32 v4, 23, v3
	v_cvt_i32_f32_e32 v4, v4
	v_cmp_ne_u32_e32 vcc, 0, v3
	v_cndmask_b32_e32 v3, 0, v4, vcc
	s_branch .LBB151_426
.LBB151_313:
	s_mov_b64 s[10:11], -1
	s_mov_b64 s[8:9], 0
	s_mov_b64 s[0:1], s[52:53]
.LBB151_314:
	s_and_b64 vcc, exec, s[10:11]
	s_cbranch_vccz .LBB151_319
; %bb.315:
	s_cmp_eq_u32 s15, 44
	s_mov_b64 s[0:1], -1
	s_cbranch_scc0 .LBB151_319
; %bb.316:
	v_bfe_i32 v3, v2, 0, 8
	v_cvt_f32_i32_sdwa v3, sext(v3) dst_sel:DWORD dst_unused:UNUSED_PAD src0_sel:WORD_0
	s_movk_i32 s0, 0xff
	v_mov_b32_e32 v6, 0xff
	v_bfe_u32 v4, v3, 23, 8
	v_cmp_ne_u32_e32 vcc, s0, v4
	s_and_saveexec_b64 s[8:9], vcc
; %bb.317:
	s_mov_b32 s0, 0x3fffff
	v_lshrrev_b32_e32 v6, 23, v3
	v_and_b32_e32 v7, 0x400000, v3
	v_and_or_b32 v3, v3, s0, v4
	v_cmp_ne_u32_e32 vcc, 0, v7
	v_cmp_ne_u32_e64 s[0:1], 0, v3
	s_and_b64 s[0:1], vcc, s[0:1]
	v_cndmask_b32_e64 v3, 0, 1, s[0:1]
	v_add_u32_e32 v6, v6, v3
; %bb.318:
	s_or_b64 exec, exec, s[8:9]
	s_mov_b64 s[8:9], -1
	s_mov_b64 s[0:1], 0
	global_store_byte v[0:1], v6, off
.LBB151_319:
	s_mov_b64 s[10:11], 0
.LBB151_320:
	s_and_b64 vcc, exec, s[10:11]
	s_cbranch_vccz .LBB151_323
; %bb.321:
	s_cmp_eq_u32 s15, 29
	s_mov_b64 s[0:1], -1
	s_cbranch_scc0 .LBB151_323
; %bb.322:
	v_bfe_i32 v3, v2, 0, 8
	v_ashrrev_i32_e32 v4, 31, v3
	global_store_dwordx2 v[0:1], v[3:4], off
	s_mov_b64 s[8:9], -1
	s_mov_b64 s[0:1], 0
.LBB151_323:
	s_mov_b64 s[10:11], 0
.LBB151_324:
	s_and_b64 vcc, exec, s[10:11]
	s_cbranch_vccz .LBB151_340
; %bb.325:
	s_cmp_lt_i32 s15, 27
	s_mov_b64 s[8:9], -1
	s_cbranch_scc1 .LBB151_331
; %bb.326:
	s_cmp_gt_i32 s15, 27
	s_cbranch_scc0 .LBB151_328
; %bb.327:
	v_bfe_i32 v3, v2, 0, 8
	s_mov_b64 s[8:9], 0
	global_store_dword v[0:1], v3, off
.LBB151_328:
	s_andn2_b64 vcc, exec, s[8:9]
	s_cbranch_vccnz .LBB151_330
; %bb.329:
	v_bfe_i32 v3, v2, 0, 8
	global_store_short v[0:1], v3, off
.LBB151_330:
	s_mov_b64 s[8:9], 0
.LBB151_331:
	s_andn2_b64 vcc, exec, s[8:9]
	s_cbranch_vccnz .LBB151_339
; %bb.332:
	v_bfe_i32 v3, v2, 0, 8
	v_cvt_f32_i32_sdwa v3, sext(v3) dst_sel:DWORD dst_unused:UNUSED_PAD src0_sel:WORD_0
	s_mov_b32 s8, 0x43800000
	v_mov_b32_e32 v6, 0x80
	v_and_b32_e32 v4, 0x7fffffff, v3
	v_cmp_gt_u32_e32 vcc, s8, v4
	s_and_saveexec_b64 s[8:9], vcc
	s_cbranch_execz .LBB151_338
; %bb.333:
	s_mov_b32 s10, 0x3bffffff
	v_cmp_lt_u32_e32 vcc, s10, v4
	s_mov_b64 s[10:11], 0
                                        ; implicit-def: $vgpr4
	s_and_saveexec_b64 s[12:13], vcc
	s_xor_b64 s[12:13], exec, s[12:13]
	s_cbranch_execz .LBB151_562
; %bb.334:
	v_bfe_u32 v4, v3, 20, 1
	s_mov_b32 s16, 0x487ffff
	v_add3_u32 v4, v3, v4, s16
	s_mov_b64 s[10:11], exec
	v_lshrrev_b32_e32 v4, 20, v4
	s_andn2_saveexec_b64 s[12:13], s[12:13]
	s_cbranch_execnz .LBB151_563
.LBB151_335:
	s_or_b64 exec, exec, s[12:13]
	v_mov_b32_e32 v6, 0
	s_and_saveexec_b64 s[12:13], s[10:11]
.LBB151_336:
	v_lshrrev_b32_e32 v3, 24, v3
	s_movk_i32 s10, 0x80
	v_and_or_b32 v6, v3, s10, v4
.LBB151_337:
	s_or_b64 exec, exec, s[12:13]
.LBB151_338:
	s_or_b64 exec, exec, s[8:9]
	global_store_byte v[0:1], v6, off
.LBB151_339:
	s_mov_b64 s[8:9], -1
.LBB151_340:
	s_mov_b64 s[10:11], 0
.LBB151_341:
	s_and_b64 vcc, exec, s[10:11]
	s_cbranch_vccz .LBB151_382
; %bb.342:
	s_cmp_gt_i32 s15, 22
	s_mov_b64 s[10:11], -1
	s_cbranch_scc0 .LBB151_374
; %bb.343:
	s_cmp_lt_i32 s15, 24
	s_mov_b64 s[8:9], -1
	s_cbranch_scc1 .LBB151_363
; %bb.344:
	s_cmp_gt_i32 s15, 24
	s_cbranch_scc0 .LBB151_352
; %bb.345:
	v_bfe_i32 v3, v2, 0, 8
	v_cvt_f32_i32_sdwa v3, sext(v3) dst_sel:DWORD dst_unused:UNUSED_PAD src0_sel:WORD_0
	s_mov_b32 s8, 0x47800000
	v_mov_b32_e32 v6, 0x80
	v_and_b32_e32 v4, 0x7fffffff, v3
	v_cmp_gt_u32_e32 vcc, s8, v4
	s_and_saveexec_b64 s[8:9], vcc
	s_cbranch_execz .LBB151_351
; %bb.346:
	s_mov_b32 s10, 0x37ffffff
	v_cmp_lt_u32_e32 vcc, s10, v4
	s_mov_b64 s[10:11], 0
                                        ; implicit-def: $vgpr4
	s_and_saveexec_b64 s[12:13], vcc
	s_xor_b64 s[12:13], exec, s[12:13]
	s_cbranch_execz .LBB151_565
; %bb.347:
	v_bfe_u32 v4, v3, 21, 1
	s_mov_b32 s16, 0x88fffff
	v_add3_u32 v4, v3, v4, s16
	s_mov_b64 s[10:11], exec
	v_lshrrev_b32_e32 v4, 21, v4
	s_andn2_saveexec_b64 s[12:13], s[12:13]
	s_cbranch_execnz .LBB151_566
.LBB151_348:
	s_or_b64 exec, exec, s[12:13]
	v_mov_b32_e32 v6, 0
	s_and_saveexec_b64 s[12:13], s[10:11]
.LBB151_349:
	v_lshrrev_b32_e32 v3, 24, v3
	s_movk_i32 s10, 0x80
	v_and_or_b32 v6, v3, s10, v4
.LBB151_350:
	s_or_b64 exec, exec, s[12:13]
.LBB151_351:
	s_or_b64 exec, exec, s[8:9]
	s_mov_b64 s[8:9], 0
	global_store_byte v[0:1], v6, off
.LBB151_352:
	s_and_b64 vcc, exec, s[8:9]
	s_cbranch_vccz .LBB151_362
; %bb.353:
	v_bfe_i32 v3, v2, 0, 8
	v_cvt_f32_i32_sdwa v3, sext(v3) dst_sel:DWORD dst_unused:UNUSED_PAD src0_sel:WORD_0
	s_mov_b32 s8, 0x43f00000
                                        ; implicit-def: $vgpr4
	v_and_b32_e32 v6, 0x7fffffff, v3
	v_cmp_gt_u32_e32 vcc, s8, v6
	s_and_saveexec_b64 s[8:9], vcc
	s_xor_b64 s[8:9], exec, s[8:9]
	s_cbranch_execz .LBB151_359
; %bb.354:
	s_mov_b32 s10, 0x3c7fffff
	v_cmp_lt_u32_e32 vcc, s10, v6
                                        ; implicit-def: $vgpr4
	s_and_saveexec_b64 s[10:11], vcc
	s_xor_b64 s[10:11], exec, s[10:11]
; %bb.355:
	v_bfe_u32 v4, v3, 20, 1
	s_mov_b32 s12, 0x407ffff
	v_add3_u32 v4, v3, v4, s12
	v_lshrrev_b32_e32 v6, 20, v4
	v_and_b32_e32 v4, 0xff00000, v4
	s_mov_b32 s12, 0x7f00000
	v_mov_b32_e32 v7, 0x7e
	v_cmp_ne_u32_e32 vcc, s12, v4
	v_cndmask_b32_e32 v4, v7, v6, vcc
; %bb.356:
	s_andn2_saveexec_b64 s[10:11], s[10:11]
; %bb.357:
	s_mov_b32 s12, 0x46800000
	v_add_f32_e64 v4, |v3|, s12
; %bb.358:
	s_or_b64 exec, exec, s[10:11]
                                        ; implicit-def: $vgpr6
.LBB151_359:
	s_andn2_saveexec_b64 s[8:9], s[8:9]
; %bb.360:
	s_mov_b32 s10, 0x7f800000
	v_mov_b32_e32 v4, 0x7e
	v_mov_b32_e32 v7, 0x7f
	v_cmp_lt_u32_e32 vcc, s10, v6
	v_cndmask_b32_e32 v4, v4, v7, vcc
; %bb.361:
	s_or_b64 exec, exec, s[8:9]
	v_lshrrev_b32_e32 v3, 24, v3
	s_movk_i32 s8, 0x80
	v_and_or_b32 v3, v3, s8, v4
	global_store_byte v[0:1], v3, off
.LBB151_362:
	s_mov_b64 s[8:9], 0
.LBB151_363:
	s_andn2_b64 vcc, exec, s[8:9]
	s_cbranch_vccnz .LBB151_373
; %bb.364:
	v_bfe_i32 v3, v2, 0, 8
	v_cvt_f32_i32_sdwa v3, sext(v3) dst_sel:DWORD dst_unused:UNUSED_PAD src0_sel:WORD_0
	s_mov_b32 s8, 0x47800000
                                        ; implicit-def: $vgpr4
	v_and_b32_e32 v6, 0x7fffffff, v3
	v_cmp_gt_u32_e32 vcc, s8, v6
	s_and_saveexec_b64 s[8:9], vcc
	s_xor_b64 s[8:9], exec, s[8:9]
	s_cbranch_execz .LBB151_370
; %bb.365:
	s_mov_b32 s10, 0x387fffff
	v_cmp_lt_u32_e32 vcc, s10, v6
                                        ; implicit-def: $vgpr4
	s_and_saveexec_b64 s[10:11], vcc
	s_xor_b64 s[10:11], exec, s[10:11]
; %bb.366:
	v_bfe_u32 v4, v3, 21, 1
	s_mov_b32 s12, 0x80fffff
	v_add3_u32 v4, v3, v4, s12
	v_lshrrev_b32_e32 v4, 21, v4
; %bb.367:
	s_andn2_saveexec_b64 s[10:11], s[10:11]
; %bb.368:
	s_mov_b32 s12, 0x43000000
	v_add_f32_e64 v4, |v3|, s12
; %bb.369:
	s_or_b64 exec, exec, s[10:11]
                                        ; implicit-def: $vgpr6
.LBB151_370:
	s_andn2_saveexec_b64 s[8:9], s[8:9]
; %bb.371:
	s_mov_b32 s10, 0x7f800000
	v_mov_b32_e32 v4, 0x7c
	v_mov_b32_e32 v7, 0x7f
	v_cmp_lt_u32_e32 vcc, s10, v6
	v_cndmask_b32_e32 v4, v4, v7, vcc
; %bb.372:
	s_or_b64 exec, exec, s[8:9]
	v_lshrrev_b32_e32 v3, 24, v3
	s_movk_i32 s8, 0x80
	v_and_or_b32 v3, v3, s8, v4
	global_store_byte v[0:1], v3, off
.LBB151_373:
	s_mov_b64 s[10:11], 0
	s_mov_b64 s[8:9], -1
.LBB151_374:
	s_andn2_b64 vcc, exec, s[10:11]
	s_cbranch_vccnz .LBB151_382
; %bb.375:
	s_cmp_gt_i32 s15, 14
	s_mov_b64 s[10:11], -1
	s_cbranch_scc0 .LBB151_379
; %bb.376:
	s_cmp_eq_u32 s15, 15
	s_mov_b64 s[0:1], -1
	s_cbranch_scc0 .LBB151_378
; %bb.377:
	v_bfe_i32 v3, v2, 0, 8
	v_cvt_f32_i32_sdwa v3, sext(v3) dst_sel:DWORD dst_unused:UNUSED_PAD src0_sel:WORD_0
	s_movk_i32 s0, 0x7fff
	s_mov_b64 s[8:9], -1
	v_bfe_u32 v4, v3, 16, 1
	v_add3_u32 v3, v3, v4, s0
	global_store_short_d16_hi v[0:1], v3, off
	s_mov_b64 s[0:1], 0
.LBB151_378:
	s_mov_b64 s[10:11], 0
.LBB151_379:
	s_and_b64 vcc, exec, s[10:11]
	s_cbranch_vccz .LBB151_382
; %bb.380:
	s_cmp_eq_u32 s15, 11
	s_mov_b64 s[0:1], -1
	s_cbranch_scc0 .LBB151_382
; %bb.381:
	v_mov_b32_e32 v3, 0
	v_cmp_ne_u16_sdwa s[0:1], v2, v3 src0_sel:BYTE_0 src1_sel:DWORD
	v_cndmask_b32_e64 v3, 0, 1, s[0:1]
	s_mov_b64 s[8:9], -1
	s_mov_b64 s[0:1], 0
	global_store_byte v[0:1], v3, off
.LBB151_382:
	s_mov_b64 s[10:11], 0
.LBB151_383:
	s_and_b64 vcc, exec, s[10:11]
	s_cbranch_vccz .LBB151_422
; %bb.384:
	s_and_b32 s10, 0xffff, s14
	s_cmp_lt_i32 s10, 5
	s_mov_b64 s[8:9], -1
	s_cbranch_scc1 .LBB151_405
; %bb.385:
	s_cmp_lt_i32 s10, 8
	s_cbranch_scc1 .LBB151_395
; %bb.386:
	s_cmp_lt_i32 s10, 9
	s_cbranch_scc1 .LBB151_392
; %bb.387:
	s_cmp_gt_i32 s10, 9
	s_cbranch_scc0 .LBB151_389
; %bb.388:
	v_bfe_i32 v3, v2, 0, 8
	v_bfe_i32 v3, v3, 0, 16
	v_cvt_f64_i32_e32 v[9:10], v3
	v_mov_b32_e32 v11, 0
	v_mov_b32_e32 v12, v11
	s_mov_b64 s[8:9], 0
	global_store_dwordx4 v[0:1], v[9:12], off
.LBB151_389:
	s_andn2_b64 vcc, exec, s[8:9]
	s_cbranch_vccnz .LBB151_391
; %bb.390:
	v_bfe_i32 v3, v2, 0, 8
	v_cvt_f32_i32_sdwa v3, sext(v3) dst_sel:DWORD dst_unused:UNUSED_PAD src0_sel:WORD_0
	v_mov_b32_e32 v4, 0
	global_store_dwordx2 v[0:1], v[3:4], off
.LBB151_391:
	s_mov_b64 s[8:9], 0
.LBB151_392:
	s_andn2_b64 vcc, exec, s[8:9]
	s_cbranch_vccnz .LBB151_394
; %bb.393:
	v_cvt_f16_i16_sdwa v3, sext(v2) dst_sel:DWORD dst_unused:UNUSED_PAD src0_sel:BYTE_0
	global_store_dword v[0:1], v3, off
.LBB151_394:
	s_mov_b64 s[8:9], 0
.LBB151_395:
	s_andn2_b64 vcc, exec, s[8:9]
	s_cbranch_vccnz .LBB151_404
; %bb.396:
	s_cmp_lt_i32 s10, 6
	s_mov_b64 s[8:9], -1
	s_cbranch_scc1 .LBB151_402
; %bb.397:
	s_cmp_gt_i32 s10, 6
	s_cbranch_scc0 .LBB151_399
; %bb.398:
	v_bfe_i32 v3, v2, 0, 8
	v_bfe_i32 v3, v3, 0, 16
	v_cvt_f64_i32_e32 v[3:4], v3
	s_mov_b64 s[8:9], 0
	global_store_dwordx2 v[0:1], v[3:4], off
.LBB151_399:
	s_andn2_b64 vcc, exec, s[8:9]
	s_cbranch_vccnz .LBB151_401
; %bb.400:
	v_bfe_i32 v3, v2, 0, 8
	v_cvt_f32_i32_sdwa v3, sext(v3) dst_sel:DWORD dst_unused:UNUSED_PAD src0_sel:WORD_0
	global_store_dword v[0:1], v3, off
.LBB151_401:
	s_mov_b64 s[8:9], 0
.LBB151_402:
	s_andn2_b64 vcc, exec, s[8:9]
	s_cbranch_vccnz .LBB151_404
; %bb.403:
	v_cvt_f16_i16_sdwa v3, sext(v2) dst_sel:DWORD dst_unused:UNUSED_PAD src0_sel:BYTE_0
	global_store_short v[0:1], v3, off
.LBB151_404:
	s_mov_b64 s[8:9], 0
.LBB151_405:
	s_andn2_b64 vcc, exec, s[8:9]
	s_cbranch_vccnz .LBB151_421
; %bb.406:
	s_cmp_lt_i32 s10, 2
	s_mov_b64 s[8:9], -1
	s_cbranch_scc1 .LBB151_416
; %bb.407:
	s_cmp_lt_i32 s10, 3
	s_cbranch_scc1 .LBB151_413
; %bb.408:
	s_cmp_gt_i32 s10, 3
	s_cbranch_scc0 .LBB151_410
; %bb.409:
	v_bfe_i32 v3, v2, 0, 8
	v_ashrrev_i32_e32 v4, 31, v3
	s_mov_b64 s[8:9], 0
	global_store_dwordx2 v[0:1], v[3:4], off
.LBB151_410:
	s_andn2_b64 vcc, exec, s[8:9]
	s_cbranch_vccnz .LBB151_412
; %bb.411:
	v_bfe_i32 v3, v2, 0, 8
	global_store_dword v[0:1], v3, off
.LBB151_412:
	s_mov_b64 s[8:9], 0
.LBB151_413:
	s_andn2_b64 vcc, exec, s[8:9]
	s_cbranch_vccnz .LBB151_415
; %bb.414:
	v_bfe_i32 v3, v2, 0, 8
	global_store_short v[0:1], v3, off
.LBB151_415:
	s_mov_b64 s[8:9], 0
.LBB151_416:
	s_andn2_b64 vcc, exec, s[8:9]
	s_cbranch_vccnz .LBB151_421
; %bb.417:
	s_cmp_gt_i32 s10, 0
	s_mov_b64 s[8:9], -1
	s_cbranch_scc0 .LBB151_419
; %bb.418:
	s_mov_b64 s[8:9], 0
	global_store_byte v[0:1], v2, off
.LBB151_419:
	s_andn2_b64 vcc, exec, s[8:9]
	s_cbranch_vccnz .LBB151_421
; %bb.420:
	global_store_byte v[0:1], v2, off
.LBB151_421:
	s_mov_b64 s[8:9], -1
.LBB151_422:
	s_andn2_b64 vcc, exec, s[8:9]
	s_cbranch_vccnz .LBB151_424
; %bb.423:
	v_add_u32_e32 v8, 0x80, v8
	s_mov_b64 s[8:9], -1
	s_branch .LBB151_533
.LBB151_424:
	s_mov_b64 s[8:9], 0
	s_branch .LBB151_532
.LBB151_425:
	s_mov_b64 s[2:3], -1
                                        ; implicit-def: $vgpr3
.LBB151_426:
	s_mov_b64 s[8:9], 0
.LBB151_427:
	s_and_b64 vcc, exec, s[8:9]
	s_cbranch_vccz .LBB151_431
; %bb.428:
	s_cmp_eq_u32 s11, 29
	s_cbranch_scc0 .LBB151_430
; %bb.429:
	global_load_dwordx2 v[3:4], v[1:2], off
	s_mov_b64 s[0:1], -1
	s_mov_b64 s[2:3], 0
	s_branch .LBB151_431
.LBB151_430:
	s_mov_b64 s[2:3], -1
                                        ; implicit-def: $vgpr3
.LBB151_431:
	s_mov_b64 s[8:9], 0
.LBB151_432:
	s_and_b64 vcc, exec, s[8:9]
	s_cbranch_vccz .LBB151_448
; %bb.433:
	s_cmp_lt_i32 s11, 27
	s_cbranch_scc1 .LBB151_436
; %bb.434:
	s_cmp_gt_i32 s11, 27
	s_cbranch_scc0 .LBB151_437
; %bb.435:
	global_load_dword v3, v[1:2], off
	s_mov_b64 s[0:1], 0
	s_branch .LBB151_438
.LBB151_436:
	s_mov_b64 s[0:1], -1
                                        ; implicit-def: $vgpr3
	s_branch .LBB151_441
.LBB151_437:
	s_mov_b64 s[0:1], -1
                                        ; implicit-def: $vgpr3
.LBB151_438:
	s_andn2_b64 vcc, exec, s[0:1]
	s_cbranch_vccnz .LBB151_440
; %bb.439:
	global_load_ushort v3, v[1:2], off
.LBB151_440:
	s_mov_b64 s[0:1], 0
.LBB151_441:
	s_andn2_b64 vcc, exec, s[0:1]
	s_cbranch_vccnz .LBB151_447
; %bb.442:
	global_load_ubyte v4, v[1:2], off
	s_movk_i32 s0, 0x7f
	s_mov_b64 s[8:9], 0
	s_waitcnt vmcnt(0)
	v_cmp_lt_i16_e32 vcc, s0, v4
	s_and_saveexec_b64 s[0:1], vcc
	s_xor_b64 s[0:1], exec, s[0:1]
	s_cbranch_execz .LBB151_459
; %bb.443:
	s_movk_i32 s8, 0x80
	v_cmp_ne_u16_e32 vcc, s8, v4
	s_and_b64 s[8:9], vcc, exec
	s_andn2_saveexec_b64 s[0:1], s[0:1]
	s_cbranch_execnz .LBB151_460
.LBB151_444:
	s_or_b64 exec, exec, s[0:1]
	v_mov_b32_e32 v3, 0
	s_and_saveexec_b64 s[0:1], s[8:9]
	s_cbranch_execz .LBB151_446
.LBB151_445:
	v_lshlrev_b32_e32 v3, 24, v4
	v_and_b32_e32 v4, 0xffff, v4
	v_and_b32_e32 v6, 7, v4
	v_ffbh_u32_e32 v9, v6
	v_min_u32_e32 v9, 32, v9
	v_subrev_u32_e32 v10, 28, v9
	v_bfe_u32 v7, v4, 3, 4
	v_lshlrev_b32_e32 v4, v10, v4
	v_sub_u32_e32 v9, 29, v9
	v_and_b32_e32 v4, 7, v4
	v_cmp_eq_u32_e32 vcc, 0, v7
	v_cndmask_b32_e32 v7, v7, v9, vcc
	v_cndmask_b32_e32 v4, v6, v4, vcc
	v_mov_b32_e32 v6, 0x3b800000
	v_lshlrev_b32_e32 v4, 20, v4
	v_and_b32_e32 v3, 0x80000000, v3
	v_lshl_add_u32 v6, v7, 23, v6
	v_or3_b32 v3, v3, v6, v4
	v_cvt_i32_f32_e32 v3, v3
.LBB151_446:
	s_or_b64 exec, exec, s[0:1]
.LBB151_447:
	s_mov_b64 s[0:1], -1
.LBB151_448:
	s_mov_b64 s[8:9], 0
.LBB151_449:
	s_and_b64 vcc, exec, s[8:9]
	s_cbranch_vccz .LBB151_482
; %bb.450:
	s_cmp_gt_i32 s11, 22
	s_cbranch_scc0 .LBB151_458
; %bb.451:
	s_cmp_lt_i32 s11, 24
	s_cbranch_scc1 .LBB151_461
; %bb.452:
	s_cmp_gt_i32 s11, 24
	s_cbranch_scc0 .LBB151_462
; %bb.453:
	global_load_ubyte v4, v[1:2], off
	s_movk_i32 s0, 0x7f
	s_mov_b64 s[8:9], 0
	s_waitcnt vmcnt(0)
	v_cmp_lt_i16_e32 vcc, s0, v4
	s_and_saveexec_b64 s[0:1], vcc
	s_xor_b64 s[0:1], exec, s[0:1]
	s_cbranch_execz .LBB151_474
; %bb.454:
	s_movk_i32 s8, 0x80
	v_cmp_ne_u16_e32 vcc, s8, v4
	s_and_b64 s[8:9], vcc, exec
	s_andn2_saveexec_b64 s[0:1], s[0:1]
	s_cbranch_execnz .LBB151_475
.LBB151_455:
	s_or_b64 exec, exec, s[0:1]
	v_mov_b32_e32 v3, 0
	s_and_saveexec_b64 s[0:1], s[8:9]
	s_cbranch_execz .LBB151_457
.LBB151_456:
	v_lshlrev_b32_e32 v3, 24, v4
	v_and_b32_e32 v4, 0xffff, v4
	v_and_b32_e32 v6, 3, v4
	v_ffbh_u32_e32 v9, v6
	v_min_u32_e32 v9, 32, v9
	v_subrev_u32_e32 v10, 29, v9
	v_bfe_u32 v7, v4, 2, 5
	v_lshlrev_b32_e32 v4, v10, v4
	v_sub_u32_e32 v9, 30, v9
	v_and_b32_e32 v4, 3, v4
	v_cmp_eq_u32_e32 vcc, 0, v7
	v_cndmask_b32_e32 v7, v7, v9, vcc
	v_cndmask_b32_e32 v4, v6, v4, vcc
	v_mov_b32_e32 v6, 0x37800000
	v_lshlrev_b32_e32 v4, 21, v4
	v_and_b32_e32 v3, 0x80000000, v3
	v_lshl_add_u32 v6, v7, 23, v6
	v_or3_b32 v3, v3, v6, v4
	v_cvt_i32_f32_e32 v3, v3
.LBB151_457:
	s_or_b64 exec, exec, s[0:1]
	s_mov_b64 s[0:1], 0
	s_branch .LBB151_463
.LBB151_458:
	s_mov_b64 s[8:9], -1
                                        ; implicit-def: $vgpr3
	s_branch .LBB151_469
.LBB151_459:
	s_andn2_saveexec_b64 s[0:1], s[0:1]
	s_cbranch_execz .LBB151_444
.LBB151_460:
	v_cmp_ne_u16_e32 vcc, 0, v4
	s_andn2_b64 s[8:9], s[8:9], exec
	s_and_b64 s[12:13], vcc, exec
	s_or_b64 s[8:9], s[8:9], s[12:13]
	s_or_b64 exec, exec, s[0:1]
	v_mov_b32_e32 v3, 0
	s_and_saveexec_b64 s[0:1], s[8:9]
	s_cbranch_execnz .LBB151_445
	s_branch .LBB151_446
.LBB151_461:
	s_mov_b64 s[0:1], -1
                                        ; implicit-def: $vgpr3
	s_branch .LBB151_466
.LBB151_462:
	s_mov_b64 s[0:1], -1
                                        ; implicit-def: $vgpr3
.LBB151_463:
	s_and_b64 vcc, exec, s[0:1]
	s_cbranch_vccz .LBB151_465
; %bb.464:
	global_load_ubyte v3, v[1:2], off
	s_mov_b32 s0, 0x7f800000
	s_waitcnt vmcnt(0)
	v_lshlrev_b32_e32 v3, 24, v3
	v_and_b32_e32 v4, 0x7f000000, v3
	v_ffbh_u32_e32 v6, v4
	v_min_u32_e32 v6, 32, v6
	v_sub_u32_e64 v6, v6, 4 clamp
	v_lshlrev_b32_e32 v9, v6, v4
	v_lshlrev_b32_e32 v6, 23, v6
	v_lshrrev_b32_e32 v9, 4, v9
	v_add_u32_e32 v7, 0x1000000, v4
	v_sub_u32_e32 v6, v9, v6
	v_ashrrev_i32_e32 v7, 8, v7
	v_add_u32_e32 v6, 0x3c000000, v6
	v_and_or_b32 v6, v7, s0, v6
	v_cmp_ne_u32_e32 vcc, 0, v4
	v_cndmask_b32_e32 v4, 0, v6, vcc
	s_brev_b32 s0, 1
	v_and_or_b32 v3, v3, s0, v4
	v_cvt_i32_f32_e32 v3, v3
.LBB151_465:
	s_mov_b64 s[0:1], 0
.LBB151_466:
	s_andn2_b64 vcc, exec, s[0:1]
	s_cbranch_vccnz .LBB151_468
; %bb.467:
	global_load_ubyte v3, v[1:2], off
	s_movk_i32 s0, 0x7f00
	s_brev_b32 s1, 16
	s_waitcnt vmcnt(0)
	v_lshlrev_b16_e32 v4, 8, v3
	v_lshlrev_b32_e32 v3, 25, v3
	v_lshrrev_b32_e32 v6, 4, v3
	v_and_or_b32 v7, v4, s0, 0.5
	v_or_b32_e32 v6, 0x70000000, v6
	v_add_f32_e32 v7, -0.5, v7
	v_mul_f32_e32 v6, 0x7800000, v6
	v_cmp_gt_u32_e32 vcc, s1, v3
	v_bfe_i32 v4, v4, 0, 16
	v_cndmask_b32_e32 v3, v6, v7, vcc
	s_brev_b32 s0, 1
	v_and_or_b32 v3, v4, s0, v3
	v_cvt_i32_f32_e32 v3, v3
.LBB151_468:
	s_mov_b64 s[8:9], 0
	s_mov_b64 s[0:1], -1
.LBB151_469:
	s_andn2_b64 vcc, exec, s[8:9]
	s_cbranch_vccnz .LBB151_482
; %bb.470:
	s_cmp_gt_i32 s11, 14
	s_cbranch_scc0 .LBB151_473
; %bb.471:
	s_cmp_eq_u32 s11, 15
	s_cbranch_scc0 .LBB151_476
; %bb.472:
	global_load_ushort v3, v[1:2], off
	s_mov_b64 s[0:1], -1
	s_mov_b64 s[2:3], 0
	s_waitcnt vmcnt(0)
	v_lshlrev_b32_e32 v3, 16, v3
	v_cvt_i32_f32_e32 v3, v3
	s_branch .LBB151_477
.LBB151_473:
	s_mov_b64 s[8:9], -1
                                        ; implicit-def: $vgpr3
	s_branch .LBB151_478
.LBB151_474:
	s_andn2_saveexec_b64 s[0:1], s[0:1]
	s_cbranch_execz .LBB151_455
.LBB151_475:
	v_cmp_ne_u16_e32 vcc, 0, v4
	s_andn2_b64 s[8:9], s[8:9], exec
	s_and_b64 s[12:13], vcc, exec
	s_or_b64 s[8:9], s[8:9], s[12:13]
	s_or_b64 exec, exec, s[0:1]
	v_mov_b32_e32 v3, 0
	s_and_saveexec_b64 s[0:1], s[8:9]
	s_cbranch_execnz .LBB151_456
	s_branch .LBB151_457
.LBB151_476:
	s_mov_b64 s[2:3], -1
                                        ; implicit-def: $vgpr3
.LBB151_477:
	s_mov_b64 s[8:9], 0
.LBB151_478:
	s_and_b64 vcc, exec, s[8:9]
	s_cbranch_vccz .LBB151_482
; %bb.479:
	s_cmp_eq_u32 s11, 11
	s_cbranch_scc0 .LBB151_481
; %bb.480:
	global_load_ubyte v3, v[1:2], off
	s_mov_b64 s[0:1], -1
	s_mov_b64 s[2:3], 0
	s_waitcnt vmcnt(0)
	v_cmp_ne_u16_e32 vcc, 0, v3
	v_cndmask_b32_e64 v3, 0, 1, vcc
	s_branch .LBB151_482
.LBB151_481:
	s_mov_b64 s[2:3], -1
                                        ; implicit-def: $vgpr3
.LBB151_482:
	s_branch .LBB151_289
.LBB151_483:
	s_and_b32 s8, 0xffff, s10
	s_cmp_lt_i32 s8, 5
	s_cbranch_scc1 .LBB151_488
; %bb.484:
	s_cmp_lt_i32 s8, 8
	s_cbranch_scc1 .LBB151_489
; %bb.485:
	;; [unrolled: 3-line block ×3, first 2 shown]
	s_cmp_gt_i32 s8, 9
	s_cbranch_scc0 .LBB151_491
; %bb.487:
	global_load_dwordx2 v[3:4], v[1:2], off
	s_mov_b64 s[0:1], 0
	s_waitcnt vmcnt(0)
	v_cvt_i32_f64_e32 v3, v[3:4]
	s_branch .LBB151_492
.LBB151_488:
	s_mov_b64 s[0:1], -1
                                        ; implicit-def: $vgpr3
	s_branch .LBB151_510
.LBB151_489:
	s_mov_b64 s[0:1], -1
                                        ; implicit-def: $vgpr3
	s_branch .LBB151_498
.LBB151_490:
	s_mov_b64 s[0:1], -1
                                        ; implicit-def: $vgpr3
	s_branch .LBB151_495
.LBB151_491:
	s_mov_b64 s[0:1], -1
                                        ; implicit-def: $vgpr3
.LBB151_492:
	s_andn2_b64 vcc, exec, s[0:1]
	s_cbranch_vccnz .LBB151_494
; %bb.493:
	global_load_dword v3, v[1:2], off
	s_waitcnt vmcnt(0)
	v_cvt_i32_f32_e32 v3, v3
.LBB151_494:
	s_mov_b64 s[0:1], 0
.LBB151_495:
	s_andn2_b64 vcc, exec, s[0:1]
	s_cbranch_vccnz .LBB151_497
; %bb.496:
	global_load_dword v3, v[1:2], off
	s_waitcnt vmcnt(0)
	v_cvt_i16_f16_e32 v3, v3
.LBB151_497:
	s_mov_b64 s[0:1], 0
.LBB151_498:
	s_andn2_b64 vcc, exec, s[0:1]
	s_cbranch_vccnz .LBB151_509
; %bb.499:
	s_cmp_lt_i32 s8, 6
	s_cbranch_scc1 .LBB151_502
; %bb.500:
	s_cmp_gt_i32 s8, 6
	s_cbranch_scc0 .LBB151_503
; %bb.501:
	global_load_dwordx2 v[3:4], v[1:2], off
	s_mov_b64 s[0:1], 0
	s_waitcnt vmcnt(0)
	v_cvt_i32_f64_e32 v3, v[3:4]
	s_branch .LBB151_504
.LBB151_502:
	s_mov_b64 s[0:1], -1
                                        ; implicit-def: $vgpr3
	s_branch .LBB151_507
.LBB151_503:
	s_mov_b64 s[0:1], -1
                                        ; implicit-def: $vgpr3
.LBB151_504:
	s_andn2_b64 vcc, exec, s[0:1]
	s_cbranch_vccnz .LBB151_506
; %bb.505:
	global_load_dword v3, v[1:2], off
	s_waitcnt vmcnt(0)
	v_cvt_i32_f32_e32 v3, v3
.LBB151_506:
	s_mov_b64 s[0:1], 0
.LBB151_507:
	s_andn2_b64 vcc, exec, s[0:1]
	s_cbranch_vccnz .LBB151_509
; %bb.508:
	global_load_ushort v3, v[1:2], off
	s_waitcnt vmcnt(0)
	v_cvt_i16_f16_e32 v3, v3
.LBB151_509:
	s_mov_b64 s[0:1], 0
.LBB151_510:
	s_andn2_b64 vcc, exec, s[0:1]
	s_cbranch_vccnz .LBB151_530
; %bb.511:
	s_cmp_lt_i32 s8, 2
	s_cbranch_scc1 .LBB151_515
; %bb.512:
	s_cmp_lt_i32 s8, 3
	s_cbranch_scc1 .LBB151_516
; %bb.513:
	s_cmp_gt_i32 s8, 3
	s_cbranch_scc0 .LBB151_517
; %bb.514:
	global_load_dwordx2 v[3:4], v[1:2], off
	s_mov_b64 s[0:1], 0
	s_branch .LBB151_518
.LBB151_515:
	s_mov_b64 s[0:1], -1
                                        ; implicit-def: $vgpr3
	s_branch .LBB151_524
.LBB151_516:
	s_mov_b64 s[0:1], -1
                                        ; implicit-def: $vgpr3
	s_branch .LBB151_521
.LBB151_517:
	s_mov_b64 s[0:1], -1
                                        ; implicit-def: $vgpr3
.LBB151_518:
	s_andn2_b64 vcc, exec, s[0:1]
	s_cbranch_vccnz .LBB151_520
; %bb.519:
	global_load_dword v3, v[1:2], off
.LBB151_520:
	s_mov_b64 s[0:1], 0
.LBB151_521:
	s_andn2_b64 vcc, exec, s[0:1]
	s_cbranch_vccnz .LBB151_523
; %bb.522:
	global_load_ushort v3, v[1:2], off
.LBB151_523:
	s_mov_b64 s[0:1], 0
.LBB151_524:
	s_andn2_b64 vcc, exec, s[0:1]
	s_cbranch_vccnz .LBB151_530
; %bb.525:
	s_cmp_gt_i32 s8, 0
	s_cbranch_scc0 .LBB151_527
; %bb.526:
	global_load_ubyte v3, v[1:2], off
	s_mov_b64 s[0:1], 0
	s_branch .LBB151_528
.LBB151_527:
	s_mov_b64 s[0:1], -1
                                        ; implicit-def: $vgpr3
.LBB151_528:
	s_andn2_b64 vcc, exec, s[0:1]
	s_cbranch_vccnz .LBB151_530
; %bb.529:
	global_load_ubyte v3, v[1:2], off
.LBB151_530:
	s_branch .LBB151_290
.LBB151_531:
	s_mov_b64 s[8:9], 0
	s_mov_b64 s[0:1], s[52:53]
.LBB151_532:
                                        ; implicit-def: $vgpr8
.LBB151_533:
	s_andn2_b64 s[10:11], s[52:53], exec
	s_and_b64 s[0:1], s[0:1], exec
	s_or_b64 s[60:61], s[10:11], s[0:1]
	s_andn2_b64 s[0:1], s[54:55], exec
	s_and_b64 s[2:3], s[2:3], exec
	s_or_b64 s[58:59], s[0:1], s[2:3]
	s_orn2_b64 s[0:1], s[8:9], exec
.LBB151_534:
	s_or_b64 exec, exec, s[62:63]
	s_mov_b64 s[2:3], 0
	s_mov_b64 s[8:9], 0
	;; [unrolled: 1-line block ×3, first 2 shown]
                                        ; implicit-def: $sgpr14
                                        ; implicit-def: $vgpr1_vgpr2
                                        ; implicit-def: $vgpr0
                                        ; implicit-def: $vgpr3
	s_and_saveexec_b64 s[62:63], s[0:1]
	s_cbranch_execz .LBB151_901
; %bb.535:
	v_cmp_gt_i32_e32 vcc, s70, v8
	s_mov_b64 s[2:3], -1
	s_mov_b64 s[66:67], s[58:59]
	s_mov_b64 s[68:69], s[60:61]
	s_and_saveexec_b64 s[64:65], vcc
	s_cbranch_execz .LBB151_805
; %bb.536:
	s_andn2_b64 vcc, exec, s[40:41]
	s_cbranch_vccnz .LBB151_541
; %bb.537:
	s_andn2_b64 vcc, exec, s[50:51]
	s_cbranch_vccnz .LBB151_542
; %bb.538:
	s_add_i32 s77, s76, 1
	s_cmp_eq_u32 s72, 2
	s_cbranch_scc1 .LBB151_543
; %bb.539:
	s_and_b32 s71, s77, 28
	v_mov_b32_e32 v2, 0
	s_mov_b32 s78, 0
	s_mov_b64 s[66:67], s[34:35]
	s_mov_b64 s[68:69], s[48:49]
	v_mov_b32_e32 v0, 0
	v_mov_b32_e32 v1, v8
.LBB151_540:                            ; =>This Inner Loop Header: Depth=1
	s_load_dwordx8 s[16:23], s[66:67], 0x4
	s_load_dwordx4 s[0:3], s[66:67], 0x24
	s_load_dwordx8 s[8:15], s[68:69], 0x0
	s_add_u32 s66, s66, 48
	s_addc_u32 s67, s67, 0
	s_waitcnt vmcnt(0) lgkmcnt(0)
	v_mul_hi_u32 v3, s17, v1
	s_add_i32 s78, s78, 4
	s_add_u32 s68, s68, 32
	s_addc_u32 s69, s69, 0
	v_add_u32_e32 v3, v1, v3
	v_lshrrev_b32_e32 v3, s18, v3
	v_mul_lo_u32 v4, v3, s16
	v_mul_hi_u32 v6, s20, v3
	s_cmp_eq_u32 s71, s78
	v_sub_u32_e32 v1, v1, v4
	v_add_u32_e32 v4, v3, v6
	v_mul_lo_u32 v6, v1, s8
	v_mul_lo_u32 v7, v1, s9
	v_lshrrev_b32_e32 v1, s21, v4
	v_mul_lo_u32 v4, v1, s19
	v_mul_hi_u32 v9, s23, v1
	v_sub_u32_e32 v3, v3, v4
	v_add_u32_e32 v4, v1, v9
	v_lshrrev_b32_e32 v4, s0, v4
	v_mul_hi_u32 v10, s2, v4
	v_mul_lo_u32 v11, v4, s22
	v_mul_lo_u32 v9, v3, s10
	;; [unrolled: 1-line block ×3, first 2 shown]
	v_sub_u32_e32 v11, v1, v11
	v_add_u32_e32 v1, v4, v10
	v_lshrrev_b32_e32 v1, s3, v1
	v_mul_lo_u32 v10, v1, s1
	v_mul_lo_u32 v12, v11, s12
	;; [unrolled: 1-line block ×3, first 2 shown]
	v_add3_u32 v0, v6, v0, v9
	v_sub_u32_e32 v4, v4, v10
	v_mul_lo_u32 v10, v4, s14
	v_mul_lo_u32 v4, v4, s15
	v_add3_u32 v2, v7, v2, v3
	v_add3_u32 v0, v12, v0, v10
	;; [unrolled: 1-line block ×3, first 2 shown]
	s_cbranch_scc0 .LBB151_540
	s_branch .LBB151_544
.LBB151_541:
	s_mov_b64 s[0:1], -1
                                        ; implicit-def: $vgpr0
                                        ; implicit-def: $vgpr2
	s_branch .LBB151_548
.LBB151_542:
	v_mov_b32_e32 v0, 0
	v_mov_b32_e32 v2, 0
	s_branch .LBB151_547
.LBB151_543:
	s_mov_b32 s71, 0
	v_mov_b32_e32 v0, 0
	v_mov_b32_e32 v2, 0
	;; [unrolled: 1-line block ×3, first 2 shown]
.LBB151_544:
	s_and_b32 s8, s77, 3
	s_cmp_eq_u32 s8, 0
	s_cbranch_scc1 .LBB151_547
; %bb.545:
	s_lshl_b32 s0, s71, 3
	s_add_u32 s0, s34, s0
	s_addc_u32 s1, s35, 0
	s_add_u32 s0, s0, 0xc4
	s_addc_u32 s1, s1, 0
	s_mul_i32 s2, s71, 12
	s_add_u32 s2, s34, s2
	s_addc_u32 s3, s35, 0
.LBB151_546:                            ; =>This Inner Loop Header: Depth=1
	s_load_dwordx2 s[10:11], s[2:3], 0x4
	s_load_dword s9, s[2:3], 0xc
	s_load_dwordx2 s[12:13], s[0:1], 0x0
	s_add_u32 s2, s2, 12
	s_addc_u32 s3, s3, 0
	s_waitcnt vmcnt(0) lgkmcnt(0)
	v_mul_hi_u32 v3, s11, v1
	s_add_u32 s0, s0, 8
	s_addc_u32 s1, s1, 0
	s_add_i32 s8, s8, -1
	v_add_u32_e32 v3, v1, v3
	v_lshrrev_b32_e32 v4, s9, v3
	v_mul_lo_u32 v3, v4, s10
	s_cmp_lg_u32 s8, 0
	v_sub_u32_e32 v3, v1, v3
	v_mad_u64_u32 v[0:1], s[10:11], v3, s12, v[0:1]
	v_mad_u64_u32 v[2:3], s[10:11], v3, s13, v[2:3]
	v_mov_b32_e32 v1, v4
	s_cbranch_scc1 .LBB151_546
.LBB151_547:
	s_mov_b64 s[0:1], 0
.LBB151_548:
	s_andn2_b64 vcc, exec, s[0:1]
	s_cbranch_vccnz .LBB151_551
; %bb.549:
	s_waitcnt lgkmcnt(0)
	v_mul_hi_u32 v0, s37, v8
	s_andn2_b64 vcc, exec, s[46:47]
	v_add_u32_e32 v0, v8, v0
	v_lshrrev_b32_e32 v1, s38, v0
	v_mul_lo_u32 v0, v1, s36
	v_sub_u32_e32 v2, v8, v0
	v_mul_lo_u32 v0, v2, s28
	v_mul_lo_u32 v2, v2, s29
	s_cbranch_vccnz .LBB151_551
; %bb.550:
	s_waitcnt vmcnt(0)
	v_mul_hi_u32 v3, s44, v1
	v_add_u32_e32 v3, v1, v3
	v_lshrrev_b32_e32 v3, s45, v3
	v_mul_lo_u32 v3, v3, s39
	v_sub_u32_e32 v3, v1, v3
	v_mad_u64_u32 v[0:1], s[0:1], v3, s30, v[0:1]
	v_mad_u64_u32 v[2:3], s[0:1], v3, s31, v[2:3]
.LBB151_551:
	s_waitcnt vmcnt(0) lgkmcnt(0)
	v_mov_b32_e32 v3, s27
	s_and_b32 s10, s75, 0xff
	v_add_co_u32_e32 v1, vcc, s26, v2
	s_cmp_lt_i32 s10, 11
	v_addc_co_u32_e32 v2, vcc, 0, v3, vcc
	s_cbranch_scc1 .LBB151_558
; %bb.552:
	s_and_b32 s11, 0xffff, s10
	s_cmp_gt_i32 s11, 25
	s_cbranch_scc0 .LBB151_559
; %bb.553:
	s_cmp_gt_i32 s11, 28
	s_cbranch_scc0 .LBB151_560
; %bb.554:
	s_cmp_gt_i32 s11, 43
	s_cbranch_scc0 .LBB151_561
; %bb.555:
	s_cmp_gt_i32 s11, 45
	s_cbranch_scc0 .LBB151_564
; %bb.556:
	s_cmp_eq_u32 s11, 46
	s_mov_b64 s[8:9], 0
	s_cbranch_scc0 .LBB151_567
; %bb.557:
	global_load_dword v3, v[1:2], off
	s_mov_b64 s[0:1], -1
	s_mov_b64 s[2:3], 0
	s_waitcnt vmcnt(0)
	v_lshlrev_b32_e32 v3, 16, v3
	v_cvt_i32_f32_e32 v3, v3
	s_branch .LBB151_568
.LBB151_558:
	s_mov_b64 s[8:9], -1
	s_mov_b64 s[0:1], 0
                                        ; implicit-def: $vgpr3
	s_mov_b64 s[2:3], s[58:59]
	s_branch .LBB151_629
.LBB151_559:
	s_mov_b64 s[8:9], -1
	s_mov_b64 s[0:1], 0
	s_mov_b64 s[2:3], s[58:59]
                                        ; implicit-def: $vgpr3
	s_branch .LBB151_595
.LBB151_560:
	s_mov_b64 s[8:9], -1
	s_mov_b64 s[0:1], 0
	s_mov_b64 s[2:3], s[58:59]
                                        ; implicit-def: $vgpr3
	s_branch .LBB151_578
.LBB151_561:
	s_mov_b64 s[8:9], -1
	s_mov_b64 s[0:1], 0
	s_mov_b64 s[2:3], s[58:59]
                                        ; implicit-def: $vgpr3
	s_branch .LBB151_573
.LBB151_562:
	s_andn2_saveexec_b64 s[12:13], s[12:13]
	s_cbranch_execz .LBB151_335
.LBB151_563:
	s_mov_b32 s16, 0x46000000
	v_add_f32_e64 v4, |v3|, s16
	v_and_b32_e32 v4, 0xff, v4
	v_cmp_ne_u32_e32 vcc, 0, v4
	s_andn2_b64 s[10:11], s[10:11], exec
	s_and_b64 s[16:17], vcc, exec
	s_or_b64 s[10:11], s[10:11], s[16:17]
	s_or_b64 exec, exec, s[12:13]
	v_mov_b32_e32 v6, 0
	s_and_saveexec_b64 s[12:13], s[10:11]
	s_cbranch_execnz .LBB151_336
	s_branch .LBB151_337
.LBB151_564:
	s_mov_b64 s[8:9], -1
	s_mov_b64 s[0:1], 0
	s_mov_b64 s[2:3], s[58:59]
                                        ; implicit-def: $vgpr3
	s_branch .LBB151_568
.LBB151_565:
	s_andn2_saveexec_b64 s[12:13], s[12:13]
	s_cbranch_execz .LBB151_348
.LBB151_566:
	s_mov_b32 s16, 0x42800000
	v_add_f32_e64 v4, |v3|, s16
	v_and_b32_e32 v4, 0xff, v4
	v_cmp_ne_u32_e32 vcc, 0, v4
	s_andn2_b64 s[10:11], s[10:11], exec
	s_and_b64 s[16:17], vcc, exec
	s_or_b64 s[10:11], s[10:11], s[16:17]
	s_or_b64 exec, exec, s[12:13]
	v_mov_b32_e32 v6, 0
	s_and_saveexec_b64 s[12:13], s[10:11]
	s_cbranch_execnz .LBB151_349
	s_branch .LBB151_350
.LBB151_567:
	s_mov_b64 s[2:3], -1
                                        ; implicit-def: $vgpr3
	s_mov_b64 s[0:1], 0
.LBB151_568:
	s_and_b64 vcc, exec, s[8:9]
	s_cbranch_vccz .LBB151_572
; %bb.569:
	s_cmp_eq_u32 s11, 44
	s_cbranch_scc0 .LBB151_571
; %bb.570:
	global_load_ubyte v3, v[1:2], off
	s_mov_b64 s[0:1], -1
	s_mov_b64 s[2:3], 0
	s_waitcnt vmcnt(0)
	v_lshlrev_b32_e32 v4, 23, v3
	v_cvt_i32_f32_e32 v4, v4
	v_cmp_ne_u32_e32 vcc, 0, v3
	v_cndmask_b32_e32 v3, 0, v4, vcc
	s_branch .LBB151_572
.LBB151_571:
	s_mov_b64 s[2:3], -1
                                        ; implicit-def: $vgpr3
.LBB151_572:
	s_mov_b64 s[8:9], 0
.LBB151_573:
	s_and_b64 vcc, exec, s[8:9]
	s_cbranch_vccz .LBB151_577
; %bb.574:
	s_cmp_eq_u32 s11, 29
	s_cbranch_scc0 .LBB151_576
; %bb.575:
	global_load_dwordx2 v[3:4], v[1:2], off
	s_mov_b64 s[0:1], -1
	s_mov_b64 s[2:3], 0
	s_branch .LBB151_577
.LBB151_576:
	s_mov_b64 s[2:3], -1
                                        ; implicit-def: $vgpr3
.LBB151_577:
	s_mov_b64 s[8:9], 0
.LBB151_578:
	s_and_b64 vcc, exec, s[8:9]
	s_cbranch_vccz .LBB151_594
; %bb.579:
	s_cmp_lt_i32 s11, 27
	s_cbranch_scc1 .LBB151_582
; %bb.580:
	s_cmp_gt_i32 s11, 27
	s_cbranch_scc0 .LBB151_583
; %bb.581:
	global_load_dword v3, v[1:2], off
	s_mov_b64 s[0:1], 0
	s_branch .LBB151_584
.LBB151_582:
	s_mov_b64 s[0:1], -1
                                        ; implicit-def: $vgpr3
	s_branch .LBB151_587
.LBB151_583:
	s_mov_b64 s[0:1], -1
                                        ; implicit-def: $vgpr3
.LBB151_584:
	s_andn2_b64 vcc, exec, s[0:1]
	s_cbranch_vccnz .LBB151_586
; %bb.585:
	global_load_ushort v3, v[1:2], off
.LBB151_586:
	s_mov_b64 s[0:1], 0
.LBB151_587:
	s_andn2_b64 vcc, exec, s[0:1]
	s_cbranch_vccnz .LBB151_593
; %bb.588:
	global_load_ubyte v4, v[1:2], off
	s_movk_i32 s0, 0x7f
	s_mov_b64 s[8:9], 0
	s_waitcnt vmcnt(0)
	v_cmp_lt_i16_e32 vcc, s0, v4
	s_and_saveexec_b64 s[0:1], vcc
	s_xor_b64 s[0:1], exec, s[0:1]
	s_cbranch_execz .LBB151_605
; %bb.589:
	s_movk_i32 s8, 0x80
	v_cmp_ne_u16_e32 vcc, s8, v4
	s_and_b64 s[8:9], vcc, exec
	s_andn2_saveexec_b64 s[0:1], s[0:1]
	s_cbranch_execnz .LBB151_606
.LBB151_590:
	s_or_b64 exec, exec, s[0:1]
	v_mov_b32_e32 v3, 0
	s_and_saveexec_b64 s[0:1], s[8:9]
	s_cbranch_execz .LBB151_592
.LBB151_591:
	v_lshlrev_b32_e32 v3, 24, v4
	v_and_b32_e32 v4, 0xffff, v4
	v_and_b32_e32 v6, 7, v4
	v_ffbh_u32_e32 v9, v6
	v_min_u32_e32 v9, 32, v9
	v_subrev_u32_e32 v10, 28, v9
	v_bfe_u32 v7, v4, 3, 4
	v_lshlrev_b32_e32 v4, v10, v4
	v_sub_u32_e32 v9, 29, v9
	v_and_b32_e32 v4, 7, v4
	v_cmp_eq_u32_e32 vcc, 0, v7
	v_cndmask_b32_e32 v7, v7, v9, vcc
	v_cndmask_b32_e32 v4, v6, v4, vcc
	v_mov_b32_e32 v6, 0x3b800000
	v_lshlrev_b32_e32 v4, 20, v4
	v_and_b32_e32 v3, 0x80000000, v3
	v_lshl_add_u32 v6, v7, 23, v6
	v_or3_b32 v3, v3, v6, v4
	v_cvt_i32_f32_e32 v3, v3
.LBB151_592:
	s_or_b64 exec, exec, s[0:1]
.LBB151_593:
	s_mov_b64 s[0:1], -1
.LBB151_594:
	s_mov_b64 s[8:9], 0
.LBB151_595:
	s_and_b64 vcc, exec, s[8:9]
	s_cbranch_vccz .LBB151_628
; %bb.596:
	s_cmp_gt_i32 s11, 22
	s_cbranch_scc0 .LBB151_604
; %bb.597:
	s_cmp_lt_i32 s11, 24
	s_cbranch_scc1 .LBB151_607
; %bb.598:
	s_cmp_gt_i32 s11, 24
	s_cbranch_scc0 .LBB151_608
; %bb.599:
	global_load_ubyte v4, v[1:2], off
	s_movk_i32 s0, 0x7f
	s_mov_b64 s[8:9], 0
	s_waitcnt vmcnt(0)
	v_cmp_lt_i16_e32 vcc, s0, v4
	s_and_saveexec_b64 s[0:1], vcc
	s_xor_b64 s[0:1], exec, s[0:1]
	s_cbranch_execz .LBB151_620
; %bb.600:
	s_movk_i32 s8, 0x80
	v_cmp_ne_u16_e32 vcc, s8, v4
	s_and_b64 s[8:9], vcc, exec
	s_andn2_saveexec_b64 s[0:1], s[0:1]
	s_cbranch_execnz .LBB151_621
.LBB151_601:
	s_or_b64 exec, exec, s[0:1]
	v_mov_b32_e32 v3, 0
	s_and_saveexec_b64 s[0:1], s[8:9]
	s_cbranch_execz .LBB151_603
.LBB151_602:
	v_lshlrev_b32_e32 v3, 24, v4
	v_and_b32_e32 v4, 0xffff, v4
	v_and_b32_e32 v6, 3, v4
	v_ffbh_u32_e32 v9, v6
	v_min_u32_e32 v9, 32, v9
	v_subrev_u32_e32 v10, 29, v9
	v_bfe_u32 v7, v4, 2, 5
	v_lshlrev_b32_e32 v4, v10, v4
	v_sub_u32_e32 v9, 30, v9
	v_and_b32_e32 v4, 3, v4
	v_cmp_eq_u32_e32 vcc, 0, v7
	v_cndmask_b32_e32 v7, v7, v9, vcc
	v_cndmask_b32_e32 v4, v6, v4, vcc
	v_mov_b32_e32 v6, 0x37800000
	v_lshlrev_b32_e32 v4, 21, v4
	v_and_b32_e32 v3, 0x80000000, v3
	v_lshl_add_u32 v6, v7, 23, v6
	v_or3_b32 v3, v3, v6, v4
	v_cvt_i32_f32_e32 v3, v3
.LBB151_603:
	s_or_b64 exec, exec, s[0:1]
	s_mov_b64 s[0:1], 0
	s_branch .LBB151_609
.LBB151_604:
	s_mov_b64 s[8:9], -1
                                        ; implicit-def: $vgpr3
	s_branch .LBB151_615
.LBB151_605:
	s_andn2_saveexec_b64 s[0:1], s[0:1]
	s_cbranch_execz .LBB151_590
.LBB151_606:
	v_cmp_ne_u16_e32 vcc, 0, v4
	s_andn2_b64 s[8:9], s[8:9], exec
	s_and_b64 s[12:13], vcc, exec
	s_or_b64 s[8:9], s[8:9], s[12:13]
	s_or_b64 exec, exec, s[0:1]
	v_mov_b32_e32 v3, 0
	s_and_saveexec_b64 s[0:1], s[8:9]
	s_cbranch_execnz .LBB151_591
	s_branch .LBB151_592
.LBB151_607:
	s_mov_b64 s[0:1], -1
                                        ; implicit-def: $vgpr3
	s_branch .LBB151_612
.LBB151_608:
	s_mov_b64 s[0:1], -1
                                        ; implicit-def: $vgpr3
.LBB151_609:
	s_and_b64 vcc, exec, s[0:1]
	s_cbranch_vccz .LBB151_611
; %bb.610:
	global_load_ubyte v3, v[1:2], off
	s_mov_b32 s0, 0x7f800000
	s_waitcnt vmcnt(0)
	v_lshlrev_b32_e32 v3, 24, v3
	v_and_b32_e32 v4, 0x7f000000, v3
	v_ffbh_u32_e32 v6, v4
	v_min_u32_e32 v6, 32, v6
	v_sub_u32_e64 v6, v6, 4 clamp
	v_lshlrev_b32_e32 v9, v6, v4
	v_lshlrev_b32_e32 v6, 23, v6
	v_lshrrev_b32_e32 v9, 4, v9
	v_add_u32_e32 v7, 0x1000000, v4
	v_sub_u32_e32 v6, v9, v6
	v_ashrrev_i32_e32 v7, 8, v7
	v_add_u32_e32 v6, 0x3c000000, v6
	v_and_or_b32 v6, v7, s0, v6
	v_cmp_ne_u32_e32 vcc, 0, v4
	v_cndmask_b32_e32 v4, 0, v6, vcc
	s_brev_b32 s0, 1
	v_and_or_b32 v3, v3, s0, v4
	v_cvt_i32_f32_e32 v3, v3
.LBB151_611:
	s_mov_b64 s[0:1], 0
.LBB151_612:
	s_andn2_b64 vcc, exec, s[0:1]
	s_cbranch_vccnz .LBB151_614
; %bb.613:
	global_load_ubyte v3, v[1:2], off
	s_movk_i32 s0, 0x7f00
	s_brev_b32 s1, 16
	s_waitcnt vmcnt(0)
	v_lshlrev_b16_e32 v4, 8, v3
	v_lshlrev_b32_e32 v3, 25, v3
	v_lshrrev_b32_e32 v6, 4, v3
	v_and_or_b32 v7, v4, s0, 0.5
	v_or_b32_e32 v6, 0x70000000, v6
	v_add_f32_e32 v7, -0.5, v7
	v_mul_f32_e32 v6, 0x7800000, v6
	v_cmp_gt_u32_e32 vcc, s1, v3
	v_bfe_i32 v4, v4, 0, 16
	v_cndmask_b32_e32 v3, v6, v7, vcc
	s_brev_b32 s0, 1
	v_and_or_b32 v3, v4, s0, v3
	v_cvt_i32_f32_e32 v3, v3
.LBB151_614:
	s_mov_b64 s[8:9], 0
	s_mov_b64 s[0:1], -1
.LBB151_615:
	s_andn2_b64 vcc, exec, s[8:9]
	s_cbranch_vccnz .LBB151_628
; %bb.616:
	s_cmp_gt_i32 s11, 14
	s_cbranch_scc0 .LBB151_619
; %bb.617:
	s_cmp_eq_u32 s11, 15
	s_cbranch_scc0 .LBB151_622
; %bb.618:
	global_load_ushort v3, v[1:2], off
	s_mov_b64 s[0:1], -1
	s_mov_b64 s[2:3], 0
	s_waitcnt vmcnt(0)
	v_lshlrev_b32_e32 v3, 16, v3
	v_cvt_i32_f32_e32 v3, v3
	s_branch .LBB151_623
.LBB151_619:
	s_mov_b64 s[8:9], -1
                                        ; implicit-def: $vgpr3
	s_branch .LBB151_624
.LBB151_620:
	s_andn2_saveexec_b64 s[0:1], s[0:1]
	s_cbranch_execz .LBB151_601
.LBB151_621:
	v_cmp_ne_u16_e32 vcc, 0, v4
	s_andn2_b64 s[8:9], s[8:9], exec
	s_and_b64 s[12:13], vcc, exec
	s_or_b64 s[8:9], s[8:9], s[12:13]
	s_or_b64 exec, exec, s[0:1]
	v_mov_b32_e32 v3, 0
	s_and_saveexec_b64 s[0:1], s[8:9]
	s_cbranch_execnz .LBB151_602
	s_branch .LBB151_603
.LBB151_622:
	s_mov_b64 s[2:3], -1
                                        ; implicit-def: $vgpr3
.LBB151_623:
	s_mov_b64 s[8:9], 0
.LBB151_624:
	s_and_b64 vcc, exec, s[8:9]
	s_cbranch_vccz .LBB151_628
; %bb.625:
	s_cmp_eq_u32 s11, 11
	s_cbranch_scc0 .LBB151_627
; %bb.626:
	global_load_ubyte v3, v[1:2], off
	s_mov_b64 s[0:1], -1
	s_mov_b64 s[2:3], 0
	s_waitcnt vmcnt(0)
	v_cmp_ne_u16_e32 vcc, 0, v3
	v_cndmask_b32_e64 v3, 0, 1, vcc
	s_branch .LBB151_628
.LBB151_627:
	s_mov_b64 s[2:3], -1
                                        ; implicit-def: $vgpr3
.LBB151_628:
	s_mov_b64 s[8:9], 0
.LBB151_629:
	s_and_b64 vcc, exec, s[8:9]
	s_cbranch_vccz .LBB151_678
; %bb.630:
	s_and_b32 s8, 0xffff, s10
	s_cmp_lt_i32 s8, 5
	s_cbranch_scc1 .LBB151_635
; %bb.631:
	s_cmp_lt_i32 s8, 8
	s_cbranch_scc1 .LBB151_636
; %bb.632:
	;; [unrolled: 3-line block ×3, first 2 shown]
	s_cmp_gt_i32 s8, 9
	s_cbranch_scc0 .LBB151_638
; %bb.634:
	global_load_dwordx2 v[3:4], v[1:2], off
	s_mov_b64 s[0:1], 0
	s_waitcnt vmcnt(0)
	v_cvt_i32_f64_e32 v3, v[3:4]
	s_branch .LBB151_639
.LBB151_635:
	s_mov_b64 s[0:1], -1
                                        ; implicit-def: $vgpr3
	s_branch .LBB151_657
.LBB151_636:
	s_mov_b64 s[0:1], -1
                                        ; implicit-def: $vgpr3
	s_branch .LBB151_645
.LBB151_637:
	s_mov_b64 s[0:1], -1
                                        ; implicit-def: $vgpr3
	s_branch .LBB151_642
.LBB151_638:
	s_mov_b64 s[0:1], -1
                                        ; implicit-def: $vgpr3
.LBB151_639:
	s_andn2_b64 vcc, exec, s[0:1]
	s_cbranch_vccnz .LBB151_641
; %bb.640:
	global_load_dword v3, v[1:2], off
	s_waitcnt vmcnt(0)
	v_cvt_i32_f32_e32 v3, v3
.LBB151_641:
	s_mov_b64 s[0:1], 0
.LBB151_642:
	s_andn2_b64 vcc, exec, s[0:1]
	s_cbranch_vccnz .LBB151_644
; %bb.643:
	global_load_dword v3, v[1:2], off
	s_waitcnt vmcnt(0)
	v_cvt_i16_f16_e32 v3, v3
.LBB151_644:
	s_mov_b64 s[0:1], 0
.LBB151_645:
	s_andn2_b64 vcc, exec, s[0:1]
	s_cbranch_vccnz .LBB151_656
; %bb.646:
	s_cmp_lt_i32 s8, 6
	s_cbranch_scc1 .LBB151_649
; %bb.647:
	s_cmp_gt_i32 s8, 6
	s_cbranch_scc0 .LBB151_650
; %bb.648:
	global_load_dwordx2 v[3:4], v[1:2], off
	s_mov_b64 s[0:1], 0
	s_waitcnt vmcnt(0)
	v_cvt_i32_f64_e32 v3, v[3:4]
	s_branch .LBB151_651
.LBB151_649:
	s_mov_b64 s[0:1], -1
                                        ; implicit-def: $vgpr3
	s_branch .LBB151_654
.LBB151_650:
	s_mov_b64 s[0:1], -1
                                        ; implicit-def: $vgpr3
.LBB151_651:
	s_andn2_b64 vcc, exec, s[0:1]
	s_cbranch_vccnz .LBB151_653
; %bb.652:
	global_load_dword v3, v[1:2], off
	s_waitcnt vmcnt(0)
	v_cvt_i32_f32_e32 v3, v3
.LBB151_653:
	s_mov_b64 s[0:1], 0
.LBB151_654:
	s_andn2_b64 vcc, exec, s[0:1]
	s_cbranch_vccnz .LBB151_656
; %bb.655:
	global_load_ushort v3, v[1:2], off
	s_waitcnt vmcnt(0)
	v_cvt_i16_f16_e32 v3, v3
.LBB151_656:
	s_mov_b64 s[0:1], 0
.LBB151_657:
	s_andn2_b64 vcc, exec, s[0:1]
	s_cbranch_vccnz .LBB151_677
; %bb.658:
	s_cmp_lt_i32 s8, 2
	s_cbranch_scc1 .LBB151_662
; %bb.659:
	s_cmp_lt_i32 s8, 3
	s_cbranch_scc1 .LBB151_663
; %bb.660:
	s_cmp_gt_i32 s8, 3
	s_cbranch_scc0 .LBB151_664
; %bb.661:
	global_load_dwordx2 v[3:4], v[1:2], off
	s_mov_b64 s[0:1], 0
	s_branch .LBB151_665
.LBB151_662:
	s_mov_b64 s[0:1], -1
                                        ; implicit-def: $vgpr3
	s_branch .LBB151_671
.LBB151_663:
	s_mov_b64 s[0:1], -1
                                        ; implicit-def: $vgpr3
	s_branch .LBB151_668
.LBB151_664:
	s_mov_b64 s[0:1], -1
                                        ; implicit-def: $vgpr3
.LBB151_665:
	s_andn2_b64 vcc, exec, s[0:1]
	s_cbranch_vccnz .LBB151_667
; %bb.666:
	global_load_dword v3, v[1:2], off
.LBB151_667:
	s_mov_b64 s[0:1], 0
.LBB151_668:
	s_andn2_b64 vcc, exec, s[0:1]
	s_cbranch_vccnz .LBB151_670
; %bb.669:
	global_load_ushort v3, v[1:2], off
.LBB151_670:
	s_mov_b64 s[0:1], 0
.LBB151_671:
	s_andn2_b64 vcc, exec, s[0:1]
	s_cbranch_vccnz .LBB151_677
; %bb.672:
	s_cmp_gt_i32 s8, 0
	s_cbranch_scc0 .LBB151_674
; %bb.673:
	global_load_ubyte v3, v[1:2], off
	s_mov_b64 s[0:1], 0
	s_branch .LBB151_675
.LBB151_674:
	s_mov_b64 s[0:1], -1
                                        ; implicit-def: $vgpr3
.LBB151_675:
	s_andn2_b64 vcc, exec, s[0:1]
	s_cbranch_vccnz .LBB151_677
; %bb.676:
	global_load_ubyte v3, v[1:2], off
.LBB151_677:
	s_mov_b64 s[0:1], -1
.LBB151_678:
	s_andn2_b64 vcc, exec, s[0:1]
	s_cbranch_vccnz .LBB151_686
; %bb.679:
	v_mov_b32_e32 v1, 6
	s_waitcnt vmcnt(0)
	v_ashrrev_i32_e64 v2, v3, s74
	v_cmp_gt_u16_sdwa vcc, v3, v1 src0_sel:BYTE_0 src1_sel:DWORD
	v_cndmask_b32_e32 v2, v2, v5, vcc
	v_mov_b32_e32 v1, s25
	s_and_b32 s14, s73, 0xff
	v_add_co_u32_e32 v0, vcc, s24, v0
	s_cmp_lt_i32 s14, 11
	v_addc_co_u32_e32 v1, vcc, 0, v1, vcc
	s_cbranch_scc1 .LBB151_687
; %bb.680:
	s_and_b32 s15, 0xffff, s14
	s_cmp_gt_i32 s15, 25
	s_cbranch_scc0 .LBB151_688
; %bb.681:
	s_cmp_gt_i32 s15, 28
	s_cbranch_scc0 .LBB151_689
; %bb.682:
	;; [unrolled: 3-line block ×4, first 2 shown]
	s_mov_b64 s[10:11], 0
	s_mov_b64 s[0:1], -1
	s_cmp_eq_u32 s15, 46
	s_mov_b64 s[8:9], 0
	s_cbranch_scc0 .LBB151_692
; %bb.685:
	v_bfe_i32 v3, v2, 0, 8
	v_cvt_f32_i32_sdwa v3, sext(v3) dst_sel:DWORD dst_unused:UNUSED_PAD src0_sel:WORD_0
	s_movk_i32 s0, 0x7fff
	s_mov_b64 s[8:9], -1
	v_bfe_u32 v4, v3, 16, 1
	v_add3_u32 v3, v3, v4, s0
	v_lshrrev_b32_e32 v3, 16, v3
	global_store_dword v[0:1], v3, off
	s_mov_b64 s[0:1], 0
	s_branch .LBB151_692
.LBB151_686:
	s_mov_b64 s[8:9], 0
	s_mov_b64 s[0:1], s[60:61]
	s_branch .LBB151_803
.LBB151_687:
	s_mov_b64 s[10:11], -1
	s_mov_b64 s[8:9], 0
	s_mov_b64 s[0:1], s[60:61]
	s_branch .LBB151_761
.LBB151_688:
	s_mov_b64 s[10:11], -1
	s_mov_b64 s[8:9], 0
	s_mov_b64 s[0:1], s[60:61]
	s_branch .LBB151_719
.LBB151_689:
	s_mov_b64 s[10:11], -1
	s_mov_b64 s[8:9], 0
	s_mov_b64 s[0:1], s[60:61]
	s_branch .LBB151_702
.LBB151_690:
	s_mov_b64 s[10:11], -1
	s_mov_b64 s[8:9], 0
	s_mov_b64 s[0:1], s[60:61]
	s_branch .LBB151_698
.LBB151_691:
	s_mov_b64 s[10:11], -1
	s_mov_b64 s[8:9], 0
	s_mov_b64 s[0:1], s[60:61]
.LBB151_692:
	s_and_b64 vcc, exec, s[10:11]
	s_cbranch_vccz .LBB151_697
; %bb.693:
	s_cmp_eq_u32 s15, 44
	s_mov_b64 s[0:1], -1
	s_cbranch_scc0 .LBB151_697
; %bb.694:
	v_bfe_i32 v3, v2, 0, 8
	v_cvt_f32_i32_sdwa v3, sext(v3) dst_sel:DWORD dst_unused:UNUSED_PAD src0_sel:WORD_0
	s_movk_i32 s0, 0xff
	v_mov_b32_e32 v6, 0xff
	v_bfe_u32 v4, v3, 23, 8
	v_cmp_ne_u32_e32 vcc, s0, v4
	s_and_saveexec_b64 s[8:9], vcc
; %bb.695:
	s_mov_b32 s0, 0x3fffff
	v_lshrrev_b32_e32 v6, 23, v3
	v_and_b32_e32 v7, 0x400000, v3
	v_and_or_b32 v3, v3, s0, v4
	v_cmp_ne_u32_e32 vcc, 0, v7
	v_cmp_ne_u32_e64 s[0:1], 0, v3
	s_and_b64 s[0:1], vcc, s[0:1]
	v_cndmask_b32_e64 v3, 0, 1, s[0:1]
	v_add_u32_e32 v6, v6, v3
; %bb.696:
	s_or_b64 exec, exec, s[8:9]
	s_mov_b64 s[8:9], -1
	s_mov_b64 s[0:1], 0
	global_store_byte v[0:1], v6, off
.LBB151_697:
	s_mov_b64 s[10:11], 0
.LBB151_698:
	s_and_b64 vcc, exec, s[10:11]
	s_cbranch_vccz .LBB151_701
; %bb.699:
	s_cmp_eq_u32 s15, 29
	s_mov_b64 s[0:1], -1
	s_cbranch_scc0 .LBB151_701
; %bb.700:
	v_bfe_i32 v3, v2, 0, 8
	v_ashrrev_i32_e32 v4, 31, v3
	global_store_dwordx2 v[0:1], v[3:4], off
	s_mov_b64 s[8:9], -1
	s_mov_b64 s[0:1], 0
.LBB151_701:
	s_mov_b64 s[10:11], 0
.LBB151_702:
	s_and_b64 vcc, exec, s[10:11]
	s_cbranch_vccz .LBB151_718
; %bb.703:
	s_cmp_lt_i32 s15, 27
	s_mov_b64 s[8:9], -1
	s_cbranch_scc1 .LBB151_709
; %bb.704:
	s_cmp_gt_i32 s15, 27
	s_cbranch_scc0 .LBB151_706
; %bb.705:
	v_bfe_i32 v3, v2, 0, 8
	s_mov_b64 s[8:9], 0
	global_store_dword v[0:1], v3, off
.LBB151_706:
	s_andn2_b64 vcc, exec, s[8:9]
	s_cbranch_vccnz .LBB151_708
; %bb.707:
	v_bfe_i32 v3, v2, 0, 8
	global_store_short v[0:1], v3, off
.LBB151_708:
	s_mov_b64 s[8:9], 0
.LBB151_709:
	s_andn2_b64 vcc, exec, s[8:9]
	s_cbranch_vccnz .LBB151_717
; %bb.710:
	v_bfe_i32 v3, v2, 0, 8
	v_cvt_f32_i32_sdwa v3, sext(v3) dst_sel:DWORD dst_unused:UNUSED_PAD src0_sel:WORD_0
	s_mov_b32 s8, 0x43800000
	v_mov_b32_e32 v6, 0x80
	v_and_b32_e32 v4, 0x7fffffff, v3
	v_cmp_gt_u32_e32 vcc, s8, v4
	s_and_saveexec_b64 s[8:9], vcc
	s_cbranch_execz .LBB151_716
; %bb.711:
	s_mov_b32 s10, 0x3bffffff
	v_cmp_lt_u32_e32 vcc, s10, v4
	s_mov_b64 s[10:11], 0
                                        ; implicit-def: $vgpr4
	s_and_saveexec_b64 s[12:13], vcc
	s_xor_b64 s[12:13], exec, s[12:13]
	s_cbranch_execz .LBB151_833
; %bb.712:
	v_bfe_u32 v4, v3, 20, 1
	s_mov_b32 s16, 0x487ffff
	v_add3_u32 v4, v3, v4, s16
	s_mov_b64 s[10:11], exec
	v_lshrrev_b32_e32 v4, 20, v4
	s_andn2_saveexec_b64 s[12:13], s[12:13]
	s_cbranch_execnz .LBB151_834
.LBB151_713:
	s_or_b64 exec, exec, s[12:13]
	v_mov_b32_e32 v6, 0
	s_and_saveexec_b64 s[12:13], s[10:11]
.LBB151_714:
	v_lshrrev_b32_e32 v3, 24, v3
	s_movk_i32 s10, 0x80
	v_and_or_b32 v6, v3, s10, v4
.LBB151_715:
	s_or_b64 exec, exec, s[12:13]
.LBB151_716:
	s_or_b64 exec, exec, s[8:9]
	global_store_byte v[0:1], v6, off
.LBB151_717:
	s_mov_b64 s[8:9], -1
.LBB151_718:
	s_mov_b64 s[10:11], 0
.LBB151_719:
	s_and_b64 vcc, exec, s[10:11]
	s_cbranch_vccz .LBB151_760
; %bb.720:
	s_cmp_gt_i32 s15, 22
	s_mov_b64 s[10:11], -1
	s_cbranch_scc0 .LBB151_752
; %bb.721:
	s_cmp_lt_i32 s15, 24
	s_mov_b64 s[8:9], -1
	s_cbranch_scc1 .LBB151_741
; %bb.722:
	s_cmp_gt_i32 s15, 24
	s_cbranch_scc0 .LBB151_730
; %bb.723:
	v_bfe_i32 v3, v2, 0, 8
	v_cvt_f32_i32_sdwa v3, sext(v3) dst_sel:DWORD dst_unused:UNUSED_PAD src0_sel:WORD_0
	s_mov_b32 s8, 0x47800000
	v_mov_b32_e32 v6, 0x80
	v_and_b32_e32 v4, 0x7fffffff, v3
	v_cmp_gt_u32_e32 vcc, s8, v4
	s_and_saveexec_b64 s[8:9], vcc
	s_cbranch_execz .LBB151_729
; %bb.724:
	s_mov_b32 s10, 0x37ffffff
	v_cmp_lt_u32_e32 vcc, s10, v4
	s_mov_b64 s[10:11], 0
                                        ; implicit-def: $vgpr4
	s_and_saveexec_b64 s[12:13], vcc
	s_xor_b64 s[12:13], exec, s[12:13]
	s_cbranch_execz .LBB151_836
; %bb.725:
	v_bfe_u32 v4, v3, 21, 1
	s_mov_b32 s16, 0x88fffff
	v_add3_u32 v4, v3, v4, s16
	s_mov_b64 s[10:11], exec
	v_lshrrev_b32_e32 v4, 21, v4
	s_andn2_saveexec_b64 s[12:13], s[12:13]
	s_cbranch_execnz .LBB151_837
.LBB151_726:
	s_or_b64 exec, exec, s[12:13]
	v_mov_b32_e32 v6, 0
	s_and_saveexec_b64 s[12:13], s[10:11]
.LBB151_727:
	v_lshrrev_b32_e32 v3, 24, v3
	s_movk_i32 s10, 0x80
	v_and_or_b32 v6, v3, s10, v4
.LBB151_728:
	s_or_b64 exec, exec, s[12:13]
.LBB151_729:
	s_or_b64 exec, exec, s[8:9]
	s_mov_b64 s[8:9], 0
	global_store_byte v[0:1], v6, off
.LBB151_730:
	s_and_b64 vcc, exec, s[8:9]
	s_cbranch_vccz .LBB151_740
; %bb.731:
	v_bfe_i32 v3, v2, 0, 8
	v_cvt_f32_i32_sdwa v3, sext(v3) dst_sel:DWORD dst_unused:UNUSED_PAD src0_sel:WORD_0
	s_mov_b32 s8, 0x43f00000
                                        ; implicit-def: $vgpr4
	v_and_b32_e32 v6, 0x7fffffff, v3
	v_cmp_gt_u32_e32 vcc, s8, v6
	s_and_saveexec_b64 s[8:9], vcc
	s_xor_b64 s[8:9], exec, s[8:9]
	s_cbranch_execz .LBB151_737
; %bb.732:
	s_mov_b32 s10, 0x3c7fffff
	v_cmp_lt_u32_e32 vcc, s10, v6
                                        ; implicit-def: $vgpr4
	s_and_saveexec_b64 s[10:11], vcc
	s_xor_b64 s[10:11], exec, s[10:11]
; %bb.733:
	v_bfe_u32 v4, v3, 20, 1
	s_mov_b32 s12, 0x407ffff
	v_add3_u32 v4, v3, v4, s12
	v_lshrrev_b32_e32 v6, 20, v4
	v_and_b32_e32 v4, 0xff00000, v4
	s_mov_b32 s12, 0x7f00000
	v_mov_b32_e32 v7, 0x7e
	v_cmp_ne_u32_e32 vcc, s12, v4
	v_cndmask_b32_e32 v4, v7, v6, vcc
; %bb.734:
	s_andn2_saveexec_b64 s[10:11], s[10:11]
; %bb.735:
	s_mov_b32 s12, 0x46800000
	v_add_f32_e64 v4, |v3|, s12
; %bb.736:
	s_or_b64 exec, exec, s[10:11]
                                        ; implicit-def: $vgpr6
.LBB151_737:
	s_andn2_saveexec_b64 s[8:9], s[8:9]
; %bb.738:
	s_mov_b32 s10, 0x7f800000
	v_mov_b32_e32 v4, 0x7e
	v_mov_b32_e32 v7, 0x7f
	v_cmp_lt_u32_e32 vcc, s10, v6
	v_cndmask_b32_e32 v4, v4, v7, vcc
; %bb.739:
	s_or_b64 exec, exec, s[8:9]
	v_lshrrev_b32_e32 v3, 24, v3
	s_movk_i32 s8, 0x80
	v_and_or_b32 v3, v3, s8, v4
	global_store_byte v[0:1], v3, off
.LBB151_740:
	s_mov_b64 s[8:9], 0
.LBB151_741:
	s_andn2_b64 vcc, exec, s[8:9]
	s_cbranch_vccnz .LBB151_751
; %bb.742:
	v_bfe_i32 v3, v2, 0, 8
	v_cvt_f32_i32_sdwa v3, sext(v3) dst_sel:DWORD dst_unused:UNUSED_PAD src0_sel:WORD_0
	s_mov_b32 s8, 0x47800000
                                        ; implicit-def: $vgpr4
	v_and_b32_e32 v6, 0x7fffffff, v3
	v_cmp_gt_u32_e32 vcc, s8, v6
	s_and_saveexec_b64 s[8:9], vcc
	s_xor_b64 s[8:9], exec, s[8:9]
	s_cbranch_execz .LBB151_748
; %bb.743:
	s_mov_b32 s10, 0x387fffff
	v_cmp_lt_u32_e32 vcc, s10, v6
                                        ; implicit-def: $vgpr4
	s_and_saveexec_b64 s[10:11], vcc
	s_xor_b64 s[10:11], exec, s[10:11]
; %bb.744:
	v_bfe_u32 v4, v3, 21, 1
	s_mov_b32 s12, 0x80fffff
	v_add3_u32 v4, v3, v4, s12
	v_lshrrev_b32_e32 v4, 21, v4
; %bb.745:
	s_andn2_saveexec_b64 s[10:11], s[10:11]
; %bb.746:
	s_mov_b32 s12, 0x43000000
	v_add_f32_e64 v4, |v3|, s12
; %bb.747:
	s_or_b64 exec, exec, s[10:11]
                                        ; implicit-def: $vgpr6
.LBB151_748:
	s_andn2_saveexec_b64 s[8:9], s[8:9]
; %bb.749:
	s_mov_b32 s10, 0x7f800000
	v_mov_b32_e32 v4, 0x7c
	v_mov_b32_e32 v7, 0x7f
	v_cmp_lt_u32_e32 vcc, s10, v6
	v_cndmask_b32_e32 v4, v4, v7, vcc
; %bb.750:
	s_or_b64 exec, exec, s[8:9]
	v_lshrrev_b32_e32 v3, 24, v3
	s_movk_i32 s8, 0x80
	v_and_or_b32 v3, v3, s8, v4
	global_store_byte v[0:1], v3, off
.LBB151_751:
	s_mov_b64 s[10:11], 0
	s_mov_b64 s[8:9], -1
.LBB151_752:
	s_andn2_b64 vcc, exec, s[10:11]
	s_cbranch_vccnz .LBB151_760
; %bb.753:
	s_cmp_gt_i32 s15, 14
	s_mov_b64 s[10:11], -1
	s_cbranch_scc0 .LBB151_757
; %bb.754:
	s_cmp_eq_u32 s15, 15
	s_mov_b64 s[0:1], -1
	s_cbranch_scc0 .LBB151_756
; %bb.755:
	v_bfe_i32 v3, v2, 0, 8
	v_cvt_f32_i32_sdwa v3, sext(v3) dst_sel:DWORD dst_unused:UNUSED_PAD src0_sel:WORD_0
	s_movk_i32 s0, 0x7fff
	s_mov_b64 s[8:9], -1
	v_bfe_u32 v4, v3, 16, 1
	v_add3_u32 v3, v3, v4, s0
	global_store_short_d16_hi v[0:1], v3, off
	s_mov_b64 s[0:1], 0
.LBB151_756:
	s_mov_b64 s[10:11], 0
.LBB151_757:
	s_and_b64 vcc, exec, s[10:11]
	s_cbranch_vccz .LBB151_760
; %bb.758:
	s_cmp_eq_u32 s15, 11
	s_mov_b64 s[0:1], -1
	s_cbranch_scc0 .LBB151_760
; %bb.759:
	v_mov_b32_e32 v3, 0
	v_cmp_ne_u16_sdwa s[0:1], v2, v3 src0_sel:BYTE_0 src1_sel:DWORD
	v_cndmask_b32_e64 v3, 0, 1, s[0:1]
	s_mov_b64 s[8:9], -1
	s_mov_b64 s[0:1], 0
	global_store_byte v[0:1], v3, off
.LBB151_760:
	s_mov_b64 s[10:11], 0
.LBB151_761:
	s_and_b64 vcc, exec, s[10:11]
	s_cbranch_vccz .LBB151_800
; %bb.762:
	s_and_b32 s10, 0xffff, s14
	s_cmp_lt_i32 s10, 5
	s_mov_b64 s[8:9], -1
	s_cbranch_scc1 .LBB151_783
; %bb.763:
	s_cmp_lt_i32 s10, 8
	s_cbranch_scc1 .LBB151_773
; %bb.764:
	s_cmp_lt_i32 s10, 9
	s_cbranch_scc1 .LBB151_770
; %bb.765:
	s_cmp_gt_i32 s10, 9
	s_cbranch_scc0 .LBB151_767
; %bb.766:
	v_bfe_i32 v3, v2, 0, 8
	v_bfe_i32 v3, v3, 0, 16
	v_cvt_f64_i32_e32 v[9:10], v3
	v_mov_b32_e32 v11, 0
	v_mov_b32_e32 v12, v11
	s_mov_b64 s[8:9], 0
	global_store_dwordx4 v[0:1], v[9:12], off
.LBB151_767:
	s_andn2_b64 vcc, exec, s[8:9]
	s_cbranch_vccnz .LBB151_769
; %bb.768:
	v_bfe_i32 v3, v2, 0, 8
	v_cvt_f32_i32_sdwa v3, sext(v3) dst_sel:DWORD dst_unused:UNUSED_PAD src0_sel:WORD_0
	v_mov_b32_e32 v4, 0
	global_store_dwordx2 v[0:1], v[3:4], off
.LBB151_769:
	s_mov_b64 s[8:9], 0
.LBB151_770:
	s_andn2_b64 vcc, exec, s[8:9]
	s_cbranch_vccnz .LBB151_772
; %bb.771:
	v_cvt_f16_i16_sdwa v3, sext(v2) dst_sel:DWORD dst_unused:UNUSED_PAD src0_sel:BYTE_0
	global_store_dword v[0:1], v3, off
.LBB151_772:
	s_mov_b64 s[8:9], 0
.LBB151_773:
	s_andn2_b64 vcc, exec, s[8:9]
	s_cbranch_vccnz .LBB151_782
; %bb.774:
	s_cmp_lt_i32 s10, 6
	s_mov_b64 s[8:9], -1
	s_cbranch_scc1 .LBB151_780
; %bb.775:
	s_cmp_gt_i32 s10, 6
	s_cbranch_scc0 .LBB151_777
; %bb.776:
	v_bfe_i32 v3, v2, 0, 8
	v_bfe_i32 v3, v3, 0, 16
	v_cvt_f64_i32_e32 v[3:4], v3
	s_mov_b64 s[8:9], 0
	global_store_dwordx2 v[0:1], v[3:4], off
.LBB151_777:
	s_andn2_b64 vcc, exec, s[8:9]
	s_cbranch_vccnz .LBB151_779
; %bb.778:
	v_bfe_i32 v3, v2, 0, 8
	v_cvt_f32_i32_sdwa v3, sext(v3) dst_sel:DWORD dst_unused:UNUSED_PAD src0_sel:WORD_0
	global_store_dword v[0:1], v3, off
.LBB151_779:
	s_mov_b64 s[8:9], 0
.LBB151_780:
	s_andn2_b64 vcc, exec, s[8:9]
	s_cbranch_vccnz .LBB151_782
; %bb.781:
	v_cvt_f16_i16_sdwa v3, sext(v2) dst_sel:DWORD dst_unused:UNUSED_PAD src0_sel:BYTE_0
	global_store_short v[0:1], v3, off
.LBB151_782:
	s_mov_b64 s[8:9], 0
.LBB151_783:
	s_andn2_b64 vcc, exec, s[8:9]
	s_cbranch_vccnz .LBB151_799
; %bb.784:
	s_cmp_lt_i32 s10, 2
	s_mov_b64 s[8:9], -1
	s_cbranch_scc1 .LBB151_794
; %bb.785:
	s_cmp_lt_i32 s10, 3
	s_cbranch_scc1 .LBB151_791
; %bb.786:
	s_cmp_gt_i32 s10, 3
	s_cbranch_scc0 .LBB151_788
; %bb.787:
	v_bfe_i32 v3, v2, 0, 8
	v_ashrrev_i32_e32 v4, 31, v3
	s_mov_b64 s[8:9], 0
	global_store_dwordx2 v[0:1], v[3:4], off
.LBB151_788:
	s_andn2_b64 vcc, exec, s[8:9]
	s_cbranch_vccnz .LBB151_790
; %bb.789:
	v_bfe_i32 v3, v2, 0, 8
	global_store_dword v[0:1], v3, off
.LBB151_790:
	s_mov_b64 s[8:9], 0
.LBB151_791:
	s_andn2_b64 vcc, exec, s[8:9]
	s_cbranch_vccnz .LBB151_793
; %bb.792:
	v_bfe_i32 v3, v2, 0, 8
	global_store_short v[0:1], v3, off
.LBB151_793:
	s_mov_b64 s[8:9], 0
.LBB151_794:
	s_andn2_b64 vcc, exec, s[8:9]
	s_cbranch_vccnz .LBB151_799
; %bb.795:
	s_cmp_gt_i32 s10, 0
	s_mov_b64 s[8:9], -1
	s_cbranch_scc0 .LBB151_797
; %bb.796:
	s_mov_b64 s[8:9], 0
	global_store_byte v[0:1], v2, off
.LBB151_797:
	s_andn2_b64 vcc, exec, s[8:9]
	s_cbranch_vccnz .LBB151_799
; %bb.798:
	global_store_byte v[0:1], v2, off
.LBB151_799:
	s_mov_b64 s[8:9], -1
.LBB151_800:
	s_andn2_b64 vcc, exec, s[8:9]
	s_cbranch_vccnz .LBB151_802
; %bb.801:
	v_add_u32_e32 v8, 0x80, v8
	s_mov_b64 s[8:9], -1
	s_branch .LBB151_804
.LBB151_802:
	s_mov_b64 s[8:9], 0
.LBB151_803:
                                        ; implicit-def: $vgpr8
.LBB151_804:
	s_andn2_b64 s[10:11], s[60:61], exec
	s_and_b64 s[0:1], s[0:1], exec
	s_or_b64 s[68:69], s[10:11], s[0:1]
	s_andn2_b64 s[0:1], s[58:59], exec
	s_and_b64 s[2:3], s[2:3], exec
	s_or_b64 s[66:67], s[0:1], s[2:3]
	s_orn2_b64 s[2:3], s[8:9], exec
.LBB151_805:
	s_or_b64 exec, exec, s[64:65]
	s_mov_b64 s[0:1], 0
	s_mov_b64 s[8:9], 0
	;; [unrolled: 1-line block ×3, first 2 shown]
                                        ; implicit-def: $sgpr14
                                        ; implicit-def: $vgpr1_vgpr2
                                        ; implicit-def: $vgpr0
                                        ; implicit-def: $vgpr3
	s_and_saveexec_b64 s[64:65], s[2:3]
	s_cbranch_execz .LBB151_900
; %bb.806:
	v_cmp_gt_i32_e32 vcc, s70, v8
	s_mov_b64 s[2:3], 0
	s_mov_b64 s[12:13], s[66:67]
                                        ; implicit-def: $sgpr14
                                        ; implicit-def: $vgpr1_vgpr2
                                        ; implicit-def: $vgpr0
                                        ; implicit-def: $vgpr3
	s_and_saveexec_b64 s[70:71], vcc
	s_cbranch_execz .LBB151_899
; %bb.807:
	s_andn2_b64 vcc, exec, s[40:41]
	s_cbranch_vccnz .LBB151_812
; %bb.808:
	s_andn2_b64 vcc, exec, s[50:51]
	s_cbranch_vccnz .LBB151_813
; %bb.809:
	s_add_i32 s77, s76, 1
	s_cmp_eq_u32 s72, 2
	s_cbranch_scc1 .LBB151_814
; %bb.810:
	s_and_b32 s76, s77, 28
	v_mov_b32_e32 v2, 0
	s_mov_b32 s78, 0
	s_mov_b64 s[50:51], s[34:35]
	v_mov_b32_e32 v0, 0
	v_mov_b32_e32 v1, v8
.LBB151_811:                            ; =>This Inner Loop Header: Depth=1
	s_load_dwordx8 s[16:23], s[50:51], 0x4
	s_load_dwordx4 s[0:3], s[50:51], 0x24
	s_load_dwordx8 s[8:15], s[48:49], 0x0
	s_add_u32 s50, s50, 48
	s_addc_u32 s51, s51, 0
	s_waitcnt vmcnt(0) lgkmcnt(0)
	v_mul_hi_u32 v3, s17, v1
	s_add_i32 s78, s78, 4
	s_add_u32 s48, s48, 32
	s_addc_u32 s49, s49, 0
	v_add_u32_e32 v3, v1, v3
	v_lshrrev_b32_e32 v3, s18, v3
	v_mul_lo_u32 v4, v3, s16
	v_mul_hi_u32 v6, s20, v3
	s_cmp_eq_u32 s76, s78
	v_sub_u32_e32 v1, v1, v4
	v_add_u32_e32 v4, v3, v6
	v_mul_lo_u32 v6, v1, s8
	v_mul_lo_u32 v7, v1, s9
	v_lshrrev_b32_e32 v1, s21, v4
	v_mul_lo_u32 v4, v1, s19
	v_mul_hi_u32 v9, s23, v1
	v_sub_u32_e32 v3, v3, v4
	v_add_u32_e32 v4, v1, v9
	v_lshrrev_b32_e32 v4, s0, v4
	v_mul_hi_u32 v10, s2, v4
	v_mul_lo_u32 v11, v4, s22
	v_mul_lo_u32 v9, v3, s10
	;; [unrolled: 1-line block ×3, first 2 shown]
	v_sub_u32_e32 v11, v1, v11
	v_add_u32_e32 v1, v4, v10
	v_lshrrev_b32_e32 v1, s3, v1
	v_mul_lo_u32 v10, v1, s1
	v_mul_lo_u32 v12, v11, s12
	;; [unrolled: 1-line block ×3, first 2 shown]
	v_add3_u32 v0, v6, v0, v9
	v_sub_u32_e32 v4, v4, v10
	v_mul_lo_u32 v10, v4, s14
	v_mul_lo_u32 v4, v4, s15
	v_add3_u32 v2, v7, v2, v3
	v_add3_u32 v0, v12, v0, v10
	;; [unrolled: 1-line block ×3, first 2 shown]
	s_cbranch_scc0 .LBB151_811
	s_branch .LBB151_815
.LBB151_812:
	s_mov_b64 s[0:1], -1
                                        ; implicit-def: $vgpr0
                                        ; implicit-def: $vgpr2
	s_branch .LBB151_819
.LBB151_813:
	v_mov_b32_e32 v0, 0
	v_mov_b32_e32 v2, 0
	s_branch .LBB151_818
.LBB151_814:
	s_mov_b32 s76, 0
	v_mov_b32_e32 v0, 0
	v_mov_b32_e32 v2, 0
	;; [unrolled: 1-line block ×3, first 2 shown]
.LBB151_815:
	s_and_b32 s8, s77, 3
	s_cmp_eq_u32 s8, 0
	s_cbranch_scc1 .LBB151_818
; %bb.816:
	s_lshl_b32 s0, s76, 3
	s_add_u32 s0, s34, s0
	s_addc_u32 s1, s35, 0
	s_add_u32 s0, s0, 0xc4
	s_addc_u32 s1, s1, 0
	s_mul_i32 s2, s76, 12
	s_add_u32 s2, s34, s2
	s_addc_u32 s3, s35, 0
.LBB151_817:                            ; =>This Inner Loop Header: Depth=1
	s_load_dwordx2 s[10:11], s[2:3], 0x4
	s_load_dword s9, s[2:3], 0xc
	s_load_dwordx2 s[12:13], s[0:1], 0x0
	s_add_u32 s2, s2, 12
	s_addc_u32 s3, s3, 0
	s_waitcnt vmcnt(0) lgkmcnt(0)
	v_mul_hi_u32 v3, s11, v1
	s_add_u32 s0, s0, 8
	s_addc_u32 s1, s1, 0
	s_add_i32 s8, s8, -1
	v_add_u32_e32 v3, v1, v3
	v_lshrrev_b32_e32 v4, s9, v3
	v_mul_lo_u32 v3, v4, s10
	s_cmp_lg_u32 s8, 0
	v_sub_u32_e32 v3, v1, v3
	v_mad_u64_u32 v[0:1], s[10:11], v3, s12, v[0:1]
	v_mad_u64_u32 v[2:3], s[10:11], v3, s13, v[2:3]
	v_mov_b32_e32 v1, v4
	s_cbranch_scc1 .LBB151_817
.LBB151_818:
	s_mov_b64 s[0:1], 0
.LBB151_819:
	s_andn2_b64 vcc, exec, s[0:1]
	s_cbranch_vccnz .LBB151_822
; %bb.820:
	s_waitcnt lgkmcnt(0)
	v_mul_hi_u32 v0, s37, v8
	s_andn2_b64 vcc, exec, s[46:47]
	v_add_u32_e32 v0, v8, v0
	v_lshrrev_b32_e32 v1, s38, v0
	v_mul_lo_u32 v0, v1, s36
	v_sub_u32_e32 v2, v8, v0
	v_mul_lo_u32 v0, v2, s28
	v_mul_lo_u32 v2, v2, s29
	s_cbranch_vccnz .LBB151_822
; %bb.821:
	s_waitcnt vmcnt(0)
	v_mul_hi_u32 v3, s44, v1
	v_add_u32_e32 v3, v1, v3
	v_lshrrev_b32_e32 v3, s45, v3
	v_mul_lo_u32 v3, v3, s39
	v_sub_u32_e32 v3, v1, v3
	v_mad_u64_u32 v[0:1], s[0:1], v3, s30, v[0:1]
	v_mad_u64_u32 v[2:3], s[0:1], v3, s31, v[2:3]
.LBB151_822:
	s_waitcnt vmcnt(0) lgkmcnt(0)
	v_mov_b32_e32 v3, s27
	s_and_b32 s14, s75, 0xff
	v_add_co_u32_e32 v1, vcc, s26, v2
	s_cmp_lt_i32 s14, 11
	v_addc_co_u32_e32 v2, vcc, 0, v3, vcc
	s_cbranch_scc1 .LBB151_829
; %bb.823:
	s_and_b32 s12, 0xffff, s14
	s_cmp_gt_i32 s12, 25
	s_mov_b64 s[2:3], 0
	s_cbranch_scc0 .LBB151_830
; %bb.824:
	s_cmp_gt_i32 s12, 28
	s_cbranch_scc0 .LBB151_831
; %bb.825:
	s_cmp_gt_i32 s12, 43
	;; [unrolled: 3-line block ×3, first 2 shown]
	s_cbranch_scc0 .LBB151_835
; %bb.827:
	s_cmp_eq_u32 s12, 46
	s_mov_b64 s[10:11], 0
	s_cbranch_scc0 .LBB151_838
; %bb.828:
	global_load_dword v3, v[1:2], off
	s_mov_b64 s[0:1], 0
	s_mov_b64 s[8:9], -1
	s_waitcnt vmcnt(0)
	v_lshlrev_b32_e32 v3, 16, v3
	v_cvt_i32_f32_e32 v3, v3
	s_branch .LBB151_839
.LBB151_829:
	s_mov_b64 s[12:13], -1
	s_mov_b64 s[8:9], 0
	s_mov_b64 s[2:3], 0
	;; [unrolled: 1-line block ×3, first 2 shown]
                                        ; implicit-def: $vgpr3
	s_branch .LBB151_898
.LBB151_830:
	s_mov_b64 s[10:11], -1
	s_mov_b64 s[8:9], 0
	s_mov_b64 s[0:1], s[66:67]
                                        ; implicit-def: $vgpr3
	s_branch .LBB151_866
.LBB151_831:
	s_mov_b64 s[10:11], -1
	s_mov_b64 s[8:9], 0
	s_mov_b64 s[0:1], s[66:67]
                                        ; implicit-def: $vgpr3
	s_branch .LBB151_849
.LBB151_832:
	s_mov_b64 s[10:11], -1
	s_mov_b64 s[8:9], 0
	s_mov_b64 s[0:1], s[66:67]
                                        ; implicit-def: $vgpr3
	s_branch .LBB151_844
.LBB151_833:
	s_andn2_saveexec_b64 s[12:13], s[12:13]
	s_cbranch_execz .LBB151_713
.LBB151_834:
	s_mov_b32 s16, 0x46000000
	v_add_f32_e64 v4, |v3|, s16
	v_and_b32_e32 v4, 0xff, v4
	v_cmp_ne_u32_e32 vcc, 0, v4
	s_andn2_b64 s[10:11], s[10:11], exec
	s_and_b64 s[16:17], vcc, exec
	s_or_b64 s[10:11], s[10:11], s[16:17]
	s_or_b64 exec, exec, s[12:13]
	v_mov_b32_e32 v6, 0
	s_and_saveexec_b64 s[12:13], s[10:11]
	s_cbranch_execnz .LBB151_714
	s_branch .LBB151_715
.LBB151_835:
	s_mov_b64 s[10:11], -1
	s_mov_b64 s[8:9], 0
	s_mov_b64 s[0:1], s[66:67]
                                        ; implicit-def: $vgpr3
	s_branch .LBB151_839
.LBB151_836:
	s_andn2_saveexec_b64 s[12:13], s[12:13]
	s_cbranch_execz .LBB151_726
.LBB151_837:
	s_mov_b32 s16, 0x42800000
	v_add_f32_e64 v4, |v3|, s16
	v_and_b32_e32 v4, 0xff, v4
	v_cmp_ne_u32_e32 vcc, 0, v4
	s_andn2_b64 s[10:11], s[10:11], exec
	s_and_b64 s[16:17], vcc, exec
	s_or_b64 s[10:11], s[10:11], s[16:17]
	s_or_b64 exec, exec, s[12:13]
	v_mov_b32_e32 v6, 0
	s_and_saveexec_b64 s[12:13], s[10:11]
	s_cbranch_execnz .LBB151_727
	s_branch .LBB151_728
.LBB151_838:
	s_mov_b64 s[0:1], -1
                                        ; implicit-def: $vgpr3
	s_mov_b64 s[8:9], 0
.LBB151_839:
	s_and_b64 vcc, exec, s[10:11]
	s_cbranch_vccz .LBB151_843
; %bb.840:
	s_cmp_eq_u32 s12, 44
	s_cbranch_scc0 .LBB151_842
; %bb.841:
	global_load_ubyte v3, v[1:2], off
	s_mov_b64 s[0:1], 0
	s_mov_b64 s[8:9], -1
	s_waitcnt vmcnt(0)
	v_lshlrev_b32_e32 v4, 23, v3
	v_cvt_i32_f32_e32 v4, v4
	v_cmp_ne_u32_e32 vcc, 0, v3
	v_cndmask_b32_e32 v3, 0, v4, vcc
	s_branch .LBB151_843
.LBB151_842:
	s_mov_b64 s[0:1], -1
                                        ; implicit-def: $vgpr3
.LBB151_843:
	s_mov_b64 s[10:11], 0
.LBB151_844:
	s_and_b64 vcc, exec, s[10:11]
	s_cbranch_vccz .LBB151_848
; %bb.845:
	s_cmp_eq_u32 s12, 29
	s_cbranch_scc0 .LBB151_847
; %bb.846:
	global_load_dwordx2 v[3:4], v[1:2], off
	s_mov_b64 s[0:1], 0
	s_mov_b64 s[8:9], -1
	s_branch .LBB151_848
.LBB151_847:
	s_mov_b64 s[0:1], -1
                                        ; implicit-def: $vgpr3
.LBB151_848:
	s_mov_b64 s[10:11], 0
.LBB151_849:
	s_and_b64 vcc, exec, s[10:11]
	s_cbranch_vccz .LBB151_865
; %bb.850:
	s_cmp_lt_i32 s12, 27
	s_cbranch_scc1 .LBB151_853
; %bb.851:
	s_cmp_gt_i32 s12, 27
	s_cbranch_scc0 .LBB151_854
; %bb.852:
	global_load_dword v3, v[1:2], off
	s_mov_b64 s[8:9], 0
	s_branch .LBB151_855
.LBB151_853:
	s_mov_b64 s[8:9], -1
                                        ; implicit-def: $vgpr3
	s_branch .LBB151_858
.LBB151_854:
	s_mov_b64 s[8:9], -1
                                        ; implicit-def: $vgpr3
.LBB151_855:
	s_andn2_b64 vcc, exec, s[8:9]
	s_cbranch_vccnz .LBB151_857
; %bb.856:
	global_load_ushort v3, v[1:2], off
.LBB151_857:
	s_mov_b64 s[8:9], 0
.LBB151_858:
	s_andn2_b64 vcc, exec, s[8:9]
	s_cbranch_vccnz .LBB151_864
; %bb.859:
	global_load_ubyte v4, v[1:2], off
	s_movk_i32 s8, 0x7f
	s_mov_b64 s[10:11], 0
	s_waitcnt vmcnt(0)
	v_cmp_lt_i16_e32 vcc, s8, v4
	s_and_saveexec_b64 s[8:9], vcc
	s_xor_b64 s[8:9], exec, s[8:9]
	s_cbranch_execz .LBB151_876
; %bb.860:
	s_movk_i32 s10, 0x80
	v_cmp_ne_u16_e32 vcc, s10, v4
	s_and_b64 s[10:11], vcc, exec
	s_andn2_saveexec_b64 s[8:9], s[8:9]
	s_cbranch_execnz .LBB151_877
.LBB151_861:
	s_or_b64 exec, exec, s[8:9]
	v_mov_b32_e32 v3, 0
	s_and_saveexec_b64 s[8:9], s[10:11]
	s_cbranch_execz .LBB151_863
.LBB151_862:
	v_lshlrev_b32_e32 v3, 24, v4
	v_and_b32_e32 v4, 0xffff, v4
	v_and_b32_e32 v6, 7, v4
	v_ffbh_u32_e32 v8, v6
	v_min_u32_e32 v8, 32, v8
	v_subrev_u32_e32 v9, 28, v8
	v_bfe_u32 v7, v4, 3, 4
	v_lshlrev_b32_e32 v4, v9, v4
	v_sub_u32_e32 v8, 29, v8
	v_and_b32_e32 v4, 7, v4
	v_cmp_eq_u32_e32 vcc, 0, v7
	v_cndmask_b32_e32 v7, v7, v8, vcc
	v_cndmask_b32_e32 v4, v6, v4, vcc
	v_mov_b32_e32 v6, 0x3b800000
	v_lshlrev_b32_e32 v4, 20, v4
	v_and_b32_e32 v3, 0x80000000, v3
	v_lshl_add_u32 v6, v7, 23, v6
	v_or3_b32 v3, v3, v6, v4
	v_cvt_i32_f32_e32 v3, v3
.LBB151_863:
	s_or_b64 exec, exec, s[8:9]
.LBB151_864:
	s_mov_b64 s[8:9], -1
.LBB151_865:
	s_mov_b64 s[10:11], 0
.LBB151_866:
	s_and_b64 vcc, exec, s[10:11]
	s_cbranch_vccz .LBB151_897
; %bb.867:
	s_cmp_gt_i32 s12, 22
	s_cbranch_scc0 .LBB151_875
; %bb.868:
	s_cmp_lt_i32 s12, 24
	s_cbranch_scc1 .LBB151_878
; %bb.869:
	s_cmp_gt_i32 s12, 24
	s_cbranch_scc0 .LBB151_879
; %bb.870:
	global_load_ubyte v4, v[1:2], off
	s_movk_i32 s2, 0x7f
	s_mov_b64 s[8:9], 0
	s_waitcnt vmcnt(0)
	v_cmp_lt_i16_e32 vcc, s2, v4
	s_and_saveexec_b64 s[2:3], vcc
	s_xor_b64 s[2:3], exec, s[2:3]
	s_cbranch_execz .LBB151_891
; %bb.871:
	s_movk_i32 s8, 0x80
	v_cmp_ne_u16_e32 vcc, s8, v4
	s_and_b64 s[8:9], vcc, exec
	s_andn2_saveexec_b64 s[2:3], s[2:3]
	s_cbranch_execnz .LBB151_892
.LBB151_872:
	s_or_b64 exec, exec, s[2:3]
	v_mov_b32_e32 v3, 0
	s_and_saveexec_b64 s[2:3], s[8:9]
	s_cbranch_execz .LBB151_874
.LBB151_873:
	v_lshlrev_b32_e32 v3, 24, v4
	v_and_b32_e32 v4, 0xffff, v4
	v_and_b32_e32 v6, 3, v4
	v_ffbh_u32_e32 v8, v6
	v_min_u32_e32 v8, 32, v8
	v_subrev_u32_e32 v9, 29, v8
	v_bfe_u32 v7, v4, 2, 5
	v_lshlrev_b32_e32 v4, v9, v4
	v_sub_u32_e32 v8, 30, v8
	v_and_b32_e32 v4, 3, v4
	v_cmp_eq_u32_e32 vcc, 0, v7
	v_cndmask_b32_e32 v7, v7, v8, vcc
	v_cndmask_b32_e32 v4, v6, v4, vcc
	v_mov_b32_e32 v6, 0x37800000
	v_lshlrev_b32_e32 v4, 21, v4
	v_and_b32_e32 v3, 0x80000000, v3
	v_lshl_add_u32 v6, v7, 23, v6
	v_or3_b32 v3, v3, v6, v4
	v_cvt_i32_f32_e32 v3, v3
.LBB151_874:
	s_or_b64 exec, exec, s[2:3]
	s_mov_b64 s[2:3], 0
	s_branch .LBB151_880
.LBB151_875:
	s_mov_b64 s[2:3], -1
                                        ; implicit-def: $vgpr3
	s_branch .LBB151_886
.LBB151_876:
	s_andn2_saveexec_b64 s[8:9], s[8:9]
	s_cbranch_execz .LBB151_861
.LBB151_877:
	v_cmp_ne_u16_e32 vcc, 0, v4
	s_andn2_b64 s[10:11], s[10:11], exec
	s_and_b64 s[16:17], vcc, exec
	s_or_b64 s[10:11], s[10:11], s[16:17]
	s_or_b64 exec, exec, s[8:9]
	v_mov_b32_e32 v3, 0
	s_and_saveexec_b64 s[8:9], s[10:11]
	s_cbranch_execnz .LBB151_862
	s_branch .LBB151_863
.LBB151_878:
	s_mov_b64 s[2:3], -1
                                        ; implicit-def: $vgpr3
	s_branch .LBB151_883
.LBB151_879:
	s_mov_b64 s[2:3], -1
                                        ; implicit-def: $vgpr3
.LBB151_880:
	s_and_b64 vcc, exec, s[2:3]
	s_cbranch_vccz .LBB151_882
; %bb.881:
	global_load_ubyte v3, v[1:2], off
	s_mov_b32 s2, 0x7f800000
	s_waitcnt vmcnt(0)
	v_lshlrev_b32_e32 v3, 24, v3
	v_and_b32_e32 v4, 0x7f000000, v3
	v_ffbh_u32_e32 v6, v4
	v_min_u32_e32 v6, 32, v6
	v_sub_u32_e64 v6, v6, 4 clamp
	v_lshlrev_b32_e32 v8, v6, v4
	v_lshlrev_b32_e32 v6, 23, v6
	v_lshrrev_b32_e32 v8, 4, v8
	v_add_u32_e32 v7, 0x1000000, v4
	v_sub_u32_e32 v6, v8, v6
	v_ashrrev_i32_e32 v7, 8, v7
	v_add_u32_e32 v6, 0x3c000000, v6
	v_and_or_b32 v6, v7, s2, v6
	v_cmp_ne_u32_e32 vcc, 0, v4
	v_cndmask_b32_e32 v4, 0, v6, vcc
	s_brev_b32 s2, 1
	v_and_or_b32 v3, v3, s2, v4
	v_cvt_i32_f32_e32 v3, v3
.LBB151_882:
	s_mov_b64 s[2:3], 0
.LBB151_883:
	s_andn2_b64 vcc, exec, s[2:3]
	s_cbranch_vccnz .LBB151_885
; %bb.884:
	global_load_ubyte v3, v[1:2], off
	s_movk_i32 s2, 0x7f00
	s_brev_b32 s3, 16
	s_waitcnt vmcnt(0)
	v_lshlrev_b16_e32 v4, 8, v3
	v_lshlrev_b32_e32 v3, 25, v3
	v_lshrrev_b32_e32 v6, 4, v3
	v_and_or_b32 v7, v4, s2, 0.5
	v_or_b32_e32 v6, 0x70000000, v6
	v_add_f32_e32 v7, -0.5, v7
	v_mul_f32_e32 v6, 0x7800000, v6
	v_cmp_gt_u32_e32 vcc, s3, v3
	v_bfe_i32 v4, v4, 0, 16
	v_cndmask_b32_e32 v3, v6, v7, vcc
	s_brev_b32 s2, 1
	v_and_or_b32 v3, v4, s2, v3
	v_cvt_i32_f32_e32 v3, v3
.LBB151_885:
	s_mov_b64 s[2:3], 0
	s_mov_b64 s[8:9], -1
.LBB151_886:
	s_andn2_b64 vcc, exec, s[2:3]
	s_mov_b64 s[2:3], 0
	s_cbranch_vccnz .LBB151_897
; %bb.887:
	s_cmp_gt_i32 s12, 14
	s_cbranch_scc0 .LBB151_890
; %bb.888:
	s_cmp_eq_u32 s12, 15
	s_cbranch_scc0 .LBB151_893
; %bb.889:
	global_load_ushort v3, v[1:2], off
	s_mov_b64 s[0:1], 0
	s_mov_b64 s[8:9], -1
	s_waitcnt vmcnt(0)
	v_lshlrev_b32_e32 v3, 16, v3
	v_cvt_i32_f32_e32 v3, v3
	s_branch .LBB151_894
.LBB151_890:
	s_mov_b64 s[10:11], -1
                                        ; implicit-def: $vgpr3
	s_branch .LBB151_895
.LBB151_891:
	s_andn2_saveexec_b64 s[2:3], s[2:3]
	s_cbranch_execz .LBB151_872
.LBB151_892:
	v_cmp_ne_u16_e32 vcc, 0, v4
	s_andn2_b64 s[8:9], s[8:9], exec
	s_and_b64 s[10:11], vcc, exec
	s_or_b64 s[8:9], s[8:9], s[10:11]
	s_or_b64 exec, exec, s[2:3]
	v_mov_b32_e32 v3, 0
	s_and_saveexec_b64 s[2:3], s[8:9]
	s_cbranch_execnz .LBB151_873
	s_branch .LBB151_874
.LBB151_893:
	s_mov_b64 s[0:1], -1
                                        ; implicit-def: $vgpr3
.LBB151_894:
	s_mov_b64 s[10:11], 0
.LBB151_895:
	s_and_b64 vcc, exec, s[10:11]
	s_cbranch_vccz .LBB151_897
; %bb.896:
	s_cmp_lg_u32 s12, 11
	s_cselect_b64 s[10:11], -1, 0
	s_andn2_b64 s[0:1], s[0:1], exec
	s_and_b64 s[10:11], s[10:11], exec
	s_mov_b64 s[2:3], -1
	s_or_b64 s[0:1], s[0:1], s[10:11]
.LBB151_897:
	s_mov_b64 s[12:13], 0
.LBB151_898:
	s_and_b64 s[10:11], s[8:9], exec
	s_and_b64 s[8:9], s[12:13], exec
	s_andn2_b64 s[12:13], s[66:67], exec
	s_and_b64 s[0:1], s[0:1], exec
	s_and_b64 s[2:3], s[2:3], exec
	s_or_b64 s[12:13], s[12:13], s[0:1]
.LBB151_899:
	s_or_b64 exec, exec, s[70:71]
	s_and_b64 s[0:1], s[2:3], exec
	s_andn2_b64 s[2:3], s[66:67], exec
	s_and_b64 s[12:13], s[12:13], exec
	s_and_b64 s[10:11], s[10:11], exec
	;; [unrolled: 1-line block ×3, first 2 shown]
	s_or_b64 s[66:67], s[2:3], s[12:13]
.LBB151_900:
	s_or_b64 exec, exec, s[64:65]
	s_andn2_b64 s[2:3], s[60:61], exec
	s_and_b64 s[12:13], s[68:69], exec
	s_or_b64 s[60:61], s[2:3], s[12:13]
	s_and_b64 s[2:3], s[0:1], exec
	s_andn2_b64 s[0:1], s[58:59], exec
	s_and_b64 s[12:13], s[66:67], exec
	s_and_b64 s[10:11], s[10:11], exec
	;; [unrolled: 1-line block ×3, first 2 shown]
	s_or_b64 s[58:59], s[0:1], s[12:13]
.LBB151_901:
	s_or_b64 exec, exec, s[62:63]
	s_andn2_b64 s[0:1], s[52:53], exec
	s_and_b64 s[12:13], s[60:61], exec
	s_or_b64 s[52:53], s[0:1], s[12:13]
	s_and_b64 s[0:1], s[10:11], exec
	s_and_b64 s[10:11], s[8:9], exec
	;; [unrolled: 1-line block ×3, first 2 shown]
	s_andn2_b64 s[2:3], s[54:55], exec
	s_and_b64 s[8:9], s[58:59], exec
	s_or_b64 s[54:55], s[2:3], s[8:9]
	s_or_b64 exec, exec, s[56:57]
	s_mov_b64 s[2:3], 0
	s_and_saveexec_b64 s[8:9], s[54:55]
	s_cbranch_execz .LBB151_270
.LBB151_902:
	s_mov_b64 s[2:3], exec
	s_andn2_b64 s[60:61], s[60:61], exec
	s_trap 2
	s_or_b64 exec, exec, s[8:9]
	s_and_saveexec_b64 s[8:9], s[60:61]
	s_xor_b64 s[8:9], exec, s[8:9]
	s_cbranch_execnz .LBB151_271
.LBB151_903:
	s_or_b64 exec, exec, s[8:9]
	s_and_saveexec_b64 s[8:9], s[10:11]
	s_cbranch_execz .LBB151_949
.LBB151_904:
	s_sext_i32_i16 s10, s14
	s_cmp_lt_i32 s10, 5
	s_cbranch_scc1 .LBB151_909
; %bb.905:
	s_cmp_lt_i32 s10, 8
	s_cbranch_scc1 .LBB151_910
; %bb.906:
	;; [unrolled: 3-line block ×3, first 2 shown]
	s_cmp_gt_i32 s10, 9
	s_cbranch_scc0 .LBB151_912
; %bb.908:
	global_load_dwordx2 v[3:4], v[1:2], off
	s_mov_b64 s[10:11], 0
	s_waitcnt vmcnt(0)
	v_cvt_i32_f64_e32 v3, v[3:4]
	s_branch .LBB151_913
.LBB151_909:
                                        ; implicit-def: $vgpr3
	s_branch .LBB151_930
.LBB151_910:
                                        ; implicit-def: $vgpr3
	s_branch .LBB151_919
.LBB151_911:
	s_mov_b64 s[10:11], -1
                                        ; implicit-def: $vgpr3
	s_branch .LBB151_916
.LBB151_912:
	s_mov_b64 s[10:11], -1
                                        ; implicit-def: $vgpr3
.LBB151_913:
	s_andn2_b64 vcc, exec, s[10:11]
	s_cbranch_vccnz .LBB151_915
; %bb.914:
	global_load_dword v3, v[1:2], off
	s_waitcnt vmcnt(0)
	v_cvt_i32_f32_e32 v3, v3
.LBB151_915:
	s_mov_b64 s[10:11], 0
.LBB151_916:
	s_andn2_b64 vcc, exec, s[10:11]
	s_cbranch_vccnz .LBB151_918
; %bb.917:
	global_load_dword v3, v[1:2], off
	s_waitcnt vmcnt(0)
	v_cvt_i16_f16_e32 v3, v3
.LBB151_918:
	s_cbranch_execnz .LBB151_929
.LBB151_919:
	s_sext_i32_i16 s10, s14
	s_cmp_lt_i32 s10, 6
	s_cbranch_scc1 .LBB151_922
; %bb.920:
	s_cmp_gt_i32 s10, 6
	s_cbranch_scc0 .LBB151_923
; %bb.921:
	global_load_dwordx2 v[3:4], v[1:2], off
	s_mov_b64 s[10:11], 0
	s_waitcnt vmcnt(0)
	v_cvt_i32_f64_e32 v3, v[3:4]
	s_branch .LBB151_924
.LBB151_922:
	s_mov_b64 s[10:11], -1
                                        ; implicit-def: $vgpr3
	s_branch .LBB151_927
.LBB151_923:
	s_mov_b64 s[10:11], -1
                                        ; implicit-def: $vgpr3
.LBB151_924:
	s_andn2_b64 vcc, exec, s[10:11]
	s_cbranch_vccnz .LBB151_926
; %bb.925:
	global_load_dword v3, v[1:2], off
	s_waitcnt vmcnt(0)
	v_cvt_i32_f32_e32 v3, v3
.LBB151_926:
	s_mov_b64 s[10:11], 0
.LBB151_927:
	s_andn2_b64 vcc, exec, s[10:11]
	s_cbranch_vccnz .LBB151_929
; %bb.928:
	global_load_ushort v3, v[1:2], off
	s_waitcnt vmcnt(0)
	v_cvt_i16_f16_e32 v3, v3
.LBB151_929:
	s_cbranch_execnz .LBB151_948
.LBB151_930:
	s_sext_i32_i16 s10, s14
	s_cmp_lt_i32 s10, 2
	s_cbranch_scc1 .LBB151_934
; %bb.931:
	s_cmp_lt_i32 s10, 3
	s_cbranch_scc1 .LBB151_935
; %bb.932:
	s_cmp_gt_i32 s10, 3
	s_cbranch_scc0 .LBB151_936
; %bb.933:
	global_load_dwordx2 v[3:4], v[1:2], off
	s_mov_b64 s[10:11], 0
	s_branch .LBB151_937
.LBB151_934:
                                        ; implicit-def: $vgpr3
	s_branch .LBB151_943
.LBB151_935:
	s_mov_b64 s[10:11], -1
                                        ; implicit-def: $vgpr3
	s_branch .LBB151_940
.LBB151_936:
	s_mov_b64 s[10:11], -1
                                        ; implicit-def: $vgpr3
.LBB151_937:
	s_andn2_b64 vcc, exec, s[10:11]
	s_cbranch_vccnz .LBB151_939
; %bb.938:
	global_load_dword v3, v[1:2], off
.LBB151_939:
	s_mov_b64 s[10:11], 0
.LBB151_940:
	s_andn2_b64 vcc, exec, s[10:11]
	s_cbranch_vccnz .LBB151_942
; %bb.941:
	global_load_ushort v3, v[1:2], off
.LBB151_942:
	s_cbranch_execnz .LBB151_948
.LBB151_943:
	s_sext_i32_i16 s10, s14
	s_cmp_gt_i32 s10, 0
	s_cbranch_scc0 .LBB151_945
; %bb.944:
	global_load_ubyte v3, v[1:2], off
	s_mov_b64 s[10:11], 0
	s_branch .LBB151_946
.LBB151_945:
	s_mov_b64 s[10:11], -1
                                        ; implicit-def: $vgpr3
.LBB151_946:
	s_andn2_b64 vcc, exec, s[10:11]
	s_cbranch_vccnz .LBB151_948
; %bb.947:
	global_load_ubyte v3, v[1:2], off
.LBB151_948:
	s_or_b64 s[0:1], s[0:1], exec
.LBB151_949:
	s_or_b64 exec, exec, s[8:9]
	s_mov_b64 s[12:13], 0
	s_mov_b64 s[10:11], 0
                                        ; implicit-def: $sgpr18
                                        ; implicit-def: $vgpr1_vgpr2
                                        ; implicit-def: $vgpr4
	s_and_saveexec_b64 s[8:9], s[0:1]
	s_cbranch_execz .LBB151_957
; %bb.950:
	v_mov_b32_e32 v1, 6
	s_waitcnt vmcnt(0)
	v_ashrrev_i32_e64 v2, v3, s74
	v_cmp_gt_u16_sdwa vcc, v3, v1 src0_sel:BYTE_0 src1_sel:DWORD
	v_cndmask_b32_e32 v4, v2, v5, vcc
	s_waitcnt lgkmcnt(0)
	v_mov_b32_e32 v2, s25
	s_and_b32 s18, s73, 0xff
	v_add_co_u32_e32 v1, vcc, s24, v0
	s_cmp_lt_i32 s18, 11
	v_addc_co_u32_e32 v2, vcc, 0, v2, vcc
	s_cbranch_scc1 .LBB151_960
; %bb.951:
	s_and_b32 s19, 0xffff, s18
	s_mov_b64 s[12:13], -1
	s_cmp_gt_i32 s19, 25
	s_mov_b64 s[0:1], s[52:53]
	s_cbranch_scc0 .LBB151_988
; %bb.952:
	s_mov_b64 s[10:11], -1
	s_cmp_gt_i32 s19, 28
	s_mov_b64 s[0:1], s[52:53]
	s_cbranch_scc0 .LBB151_972
; %bb.953:
	s_cmp_gt_i32 s19, 43
	s_mov_b64 s[0:1], s[52:53]
	s_cbranch_scc0 .LBB151_968
; %bb.954:
	;; [unrolled: 4-line block ×3, first 2 shown]
	s_cmp_eq_u32 s19, 46
	s_mov_b64 s[0:1], -1
	s_cbranch_scc0 .LBB151_961
; %bb.956:
	v_bfe_i32 v0, v4, 0, 8
	v_cvt_f32_i32_sdwa v0, sext(v0) dst_sel:DWORD dst_unused:UNUSED_PAD src0_sel:WORD_0
	s_movk_i32 s0, 0x7fff
	s_mov_b64 s[10:11], 0
	v_bfe_u32 v3, v0, 16, 1
	v_add3_u32 v0, v0, v3, s0
	v_lshrrev_b32_e32 v0, 16, v0
	global_store_dword v[1:2], v0, off
	s_mov_b64 s[0:1], 0
	s_branch .LBB151_962
.LBB151_957:
	s_or_b64 exec, exec, s[8:9]
	s_and_saveexec_b64 s[0:1], s[52:53]
	s_cbranch_execnz .LBB151_1030
.LBB151_958:
	s_or_b64 exec, exec, s[0:1]
	s_and_saveexec_b64 s[0:1], s[12:13]
	s_xor_b64 s[0:1], exec, s[0:1]
	s_cbranch_execz .LBB151_1031
.LBB151_959:
	v_mov_b32_e32 v0, 0
	s_waitcnt vmcnt(0)
	v_cmp_ne_u16_sdwa s[8:9], v4, v0 src0_sel:BYTE_0 src1_sel:DWORD
	v_cndmask_b32_e64 v0, 0, 1, s[8:9]
	global_store_byte v[1:2], v0, off
	s_or_b64 exec, exec, s[0:1]
	s_and_saveexec_b64 s[0:1], s[10:11]
	s_xor_b64 s[0:1], exec, s[0:1]
	s_cbranch_execz .LBB151_1069
	s_branch .LBB151_1032
.LBB151_960:
	s_mov_b64 s[10:11], -1
	s_mov_b64 s[0:1], s[52:53]
	s_branch .LBB151_1029
.LBB151_961:
	s_mov_b64 s[10:11], 0
.LBB151_962:
	s_and_b64 vcc, exec, s[10:11]
	s_cbranch_vccz .LBB151_967
; %bb.963:
	s_cmp_eq_u32 s19, 44
	s_mov_b64 s[0:1], -1
	s_cbranch_scc0 .LBB151_967
; %bb.964:
	v_bfe_i32 v0, v4, 0, 8
	v_cvt_f32_i32_sdwa v0, sext(v0) dst_sel:DWORD dst_unused:UNUSED_PAD src0_sel:WORD_0
	s_movk_i32 s0, 0xff
	v_mov_b32_e32 v5, 0xff
	v_bfe_u32 v3, v0, 23, 8
	v_cmp_ne_u32_e32 vcc, s0, v3
	s_and_saveexec_b64 s[10:11], vcc
; %bb.965:
	s_mov_b32 s0, 0x3fffff
	v_lshrrev_b32_e32 v5, 23, v0
	v_and_b32_e32 v6, 0x400000, v0
	v_and_or_b32 v0, v0, s0, v3
	v_cmp_ne_u32_e32 vcc, 0, v6
	v_cmp_ne_u32_e64 s[0:1], 0, v0
	s_and_b64 s[0:1], vcc, s[0:1]
	v_cndmask_b32_e64 v0, 0, 1, s[0:1]
	v_add_u32_e32 v5, v5, v0
; %bb.966:
	s_or_b64 exec, exec, s[10:11]
	s_mov_b64 s[0:1], 0
	global_store_byte v[1:2], v5, off
.LBB151_967:
	s_mov_b64 s[10:11], 0
.LBB151_968:
	s_and_b64 vcc, exec, s[10:11]
	s_cbranch_vccz .LBB151_971
; %bb.969:
	s_cmp_eq_u32 s19, 29
	s_mov_b64 s[0:1], -1
	s_cbranch_scc0 .LBB151_971
; %bb.970:
	v_bfe_i32 v5, v4, 0, 8
	v_ashrrev_i32_e32 v6, 31, v5
	global_store_dwordx2 v[1:2], v[5:6], off
	s_mov_b64 s[0:1], 0
.LBB151_971:
	s_mov_b64 s[10:11], 0
.LBB151_972:
	s_and_b64 vcc, exec, s[10:11]
	s_cbranch_vccz .LBB151_987
; %bb.973:
	s_cmp_lt_i32 s19, 27
	s_mov_b64 s[10:11], -1
	s_cbranch_scc1 .LBB151_979
; %bb.974:
	s_cmp_gt_i32 s19, 27
	s_cbranch_scc0 .LBB151_976
; %bb.975:
	v_bfe_i32 v0, v4, 0, 8
	s_mov_b64 s[10:11], 0
	global_store_dword v[1:2], v0, off
.LBB151_976:
	s_andn2_b64 vcc, exec, s[10:11]
	s_cbranch_vccnz .LBB151_978
; %bb.977:
	v_bfe_i32 v0, v4, 0, 8
	global_store_short v[1:2], v0, off
.LBB151_978:
	s_mov_b64 s[10:11], 0
.LBB151_979:
	s_andn2_b64 vcc, exec, s[10:11]
	s_cbranch_vccnz .LBB151_987
; %bb.980:
	v_bfe_i32 v0, v4, 0, 8
	v_cvt_f32_i32_sdwa v0, sext(v0) dst_sel:DWORD dst_unused:UNUSED_PAD src0_sel:WORD_0
	s_mov_b32 s10, 0x43800000
	v_mov_b32_e32 v5, 0x80
	v_and_b32_e32 v3, 0x7fffffff, v0
	v_cmp_gt_u32_e32 vcc, s10, v3
	s_and_saveexec_b64 s[10:11], vcc
	s_cbranch_execz .LBB151_986
; %bb.981:
	s_mov_b32 s12, 0x3bffffff
	v_cmp_lt_u32_e32 vcc, s12, v3
	s_mov_b64 s[12:13], 0
                                        ; implicit-def: $vgpr3
	s_and_saveexec_b64 s[14:15], vcc
	s_xor_b64 s[14:15], exec, s[14:15]
	s_cbranch_execz .LBB151_1140
; %bb.982:
	v_bfe_u32 v3, v0, 20, 1
	s_mov_b32 s16, 0x487ffff
	v_add3_u32 v3, v0, v3, s16
	s_mov_b64 s[12:13], exec
	v_lshrrev_b32_e32 v3, 20, v3
	s_andn2_saveexec_b64 s[14:15], s[14:15]
	s_cbranch_execnz .LBB151_1141
.LBB151_983:
	s_or_b64 exec, exec, s[14:15]
	v_mov_b32_e32 v5, 0
	s_and_saveexec_b64 s[14:15], s[12:13]
.LBB151_984:
	v_lshrrev_b32_e32 v0, 24, v0
	s_movk_i32 s12, 0x80
	v_and_or_b32 v5, v0, s12, v3
.LBB151_985:
	s_or_b64 exec, exec, s[14:15]
.LBB151_986:
	s_or_b64 exec, exec, s[10:11]
	global_store_byte v[1:2], v5, off
.LBB151_987:
	s_mov_b64 s[12:13], 0
.LBB151_988:
	s_mov_b64 s[10:11], 0
	s_and_b64 vcc, exec, s[12:13]
	s_cbranch_vccz .LBB151_1028
; %bb.989:
	s_cmp_gt_i32 s19, 22
	s_mov_b64 s[12:13], -1
	s_cbranch_scc0 .LBB151_1021
; %bb.990:
	s_cmp_lt_i32 s19, 24
	s_cbranch_scc1 .LBB151_1010
; %bb.991:
	s_cmp_gt_i32 s19, 24
	s_cbranch_scc0 .LBB151_999
; %bb.992:
	v_bfe_i32 v0, v4, 0, 8
	v_cvt_f32_i32_sdwa v0, sext(v0) dst_sel:DWORD dst_unused:UNUSED_PAD src0_sel:WORD_0
	s_mov_b32 s12, 0x47800000
	v_mov_b32_e32 v5, 0x80
	v_and_b32_e32 v3, 0x7fffffff, v0
	v_cmp_gt_u32_e32 vcc, s12, v3
	s_and_saveexec_b64 s[12:13], vcc
	s_cbranch_execz .LBB151_998
; %bb.993:
	s_mov_b32 s14, 0x37ffffff
	v_cmp_lt_u32_e32 vcc, s14, v3
	s_mov_b64 s[14:15], 0
                                        ; implicit-def: $vgpr3
	s_and_saveexec_b64 s[16:17], vcc
	s_xor_b64 s[16:17], exec, s[16:17]
	s_cbranch_execz .LBB151_1260
; %bb.994:
	v_bfe_u32 v3, v0, 21, 1
	s_mov_b32 s20, 0x88fffff
	v_add3_u32 v3, v0, v3, s20
	s_mov_b64 s[14:15], exec
	v_lshrrev_b32_e32 v3, 21, v3
	s_andn2_saveexec_b64 s[16:17], s[16:17]
	s_cbranch_execnz .LBB151_1261
.LBB151_995:
	s_or_b64 exec, exec, s[16:17]
	v_mov_b32_e32 v5, 0
	s_and_saveexec_b64 s[16:17], s[14:15]
.LBB151_996:
	v_lshrrev_b32_e32 v0, 24, v0
	s_movk_i32 s14, 0x80
	v_and_or_b32 v5, v0, s14, v3
.LBB151_997:
	s_or_b64 exec, exec, s[16:17]
.LBB151_998:
	s_or_b64 exec, exec, s[12:13]
	s_mov_b64 s[12:13], 0
	global_store_byte v[1:2], v5, off
.LBB151_999:
	s_and_b64 vcc, exec, s[12:13]
	s_cbranch_vccz .LBB151_1009
; %bb.1000:
	v_bfe_i32 v0, v4, 0, 8
	v_cvt_f32_i32_sdwa v0, sext(v0) dst_sel:DWORD dst_unused:UNUSED_PAD src0_sel:WORD_0
	s_mov_b32 s12, 0x43f00000
                                        ; implicit-def: $vgpr3
	v_and_b32_e32 v5, 0x7fffffff, v0
	v_cmp_gt_u32_e32 vcc, s12, v5
	s_and_saveexec_b64 s[12:13], vcc
	s_xor_b64 s[12:13], exec, s[12:13]
	s_cbranch_execz .LBB151_1006
; %bb.1001:
	s_mov_b32 s14, 0x3c7fffff
	v_cmp_lt_u32_e32 vcc, s14, v5
                                        ; implicit-def: $vgpr3
	s_and_saveexec_b64 s[14:15], vcc
	s_xor_b64 s[14:15], exec, s[14:15]
; %bb.1002:
	v_bfe_u32 v3, v0, 20, 1
	s_mov_b32 s16, 0x407ffff
	v_add3_u32 v3, v0, v3, s16
	v_lshrrev_b32_e32 v5, 20, v3
	v_and_b32_e32 v3, 0xff00000, v3
	s_mov_b32 s16, 0x7f00000
	v_mov_b32_e32 v6, 0x7e
	v_cmp_ne_u32_e32 vcc, s16, v3
	v_cndmask_b32_e32 v3, v6, v5, vcc
; %bb.1003:
	s_andn2_saveexec_b64 s[14:15], s[14:15]
; %bb.1004:
	s_mov_b32 s16, 0x46800000
	v_add_f32_e64 v3, |v0|, s16
; %bb.1005:
	s_or_b64 exec, exec, s[14:15]
                                        ; implicit-def: $vgpr5
.LBB151_1006:
	s_andn2_saveexec_b64 s[12:13], s[12:13]
; %bb.1007:
	s_mov_b32 s14, 0x7f800000
	v_mov_b32_e32 v3, 0x7e
	v_mov_b32_e32 v6, 0x7f
	v_cmp_lt_u32_e32 vcc, s14, v5
	v_cndmask_b32_e32 v3, v3, v6, vcc
; %bb.1008:
	s_or_b64 exec, exec, s[12:13]
	v_lshrrev_b32_e32 v0, 24, v0
	s_movk_i32 s12, 0x80
	v_and_or_b32 v0, v0, s12, v3
	global_store_byte v[1:2], v0, off
.LBB151_1009:
	s_mov_b64 s[12:13], 0
.LBB151_1010:
	s_andn2_b64 vcc, exec, s[12:13]
	s_cbranch_vccnz .LBB151_1020
; %bb.1011:
	v_bfe_i32 v0, v4, 0, 8
	v_cvt_f32_i32_sdwa v0, sext(v0) dst_sel:DWORD dst_unused:UNUSED_PAD src0_sel:WORD_0
	s_mov_b32 s12, 0x47800000
                                        ; implicit-def: $vgpr3
	v_and_b32_e32 v5, 0x7fffffff, v0
	v_cmp_gt_u32_e32 vcc, s12, v5
	s_and_saveexec_b64 s[12:13], vcc
	s_xor_b64 s[12:13], exec, s[12:13]
	s_cbranch_execz .LBB151_1017
; %bb.1012:
	s_mov_b32 s14, 0x387fffff
	v_cmp_lt_u32_e32 vcc, s14, v5
                                        ; implicit-def: $vgpr3
	s_and_saveexec_b64 s[14:15], vcc
	s_xor_b64 s[14:15], exec, s[14:15]
; %bb.1013:
	v_bfe_u32 v3, v0, 21, 1
	s_mov_b32 s16, 0x80fffff
	v_add3_u32 v3, v0, v3, s16
	v_lshrrev_b32_e32 v3, 21, v3
; %bb.1014:
	s_andn2_saveexec_b64 s[14:15], s[14:15]
; %bb.1015:
	s_mov_b32 s16, 0x43000000
	v_add_f32_e64 v3, |v0|, s16
; %bb.1016:
	s_or_b64 exec, exec, s[14:15]
                                        ; implicit-def: $vgpr5
.LBB151_1017:
	s_andn2_saveexec_b64 s[12:13], s[12:13]
; %bb.1018:
	s_mov_b32 s14, 0x7f800000
	v_mov_b32_e32 v3, 0x7c
	v_mov_b32_e32 v6, 0x7f
	v_cmp_lt_u32_e32 vcc, s14, v5
	v_cndmask_b32_e32 v3, v3, v6, vcc
; %bb.1019:
	s_or_b64 exec, exec, s[12:13]
	v_lshrrev_b32_e32 v0, 24, v0
	s_movk_i32 s12, 0x80
	v_and_or_b32 v0, v0, s12, v3
	global_store_byte v[1:2], v0, off
.LBB151_1020:
	s_mov_b64 s[12:13], 0
.LBB151_1021:
	s_andn2_b64 vcc, exec, s[12:13]
	s_mov_b64 s[12:13], 0
	s_cbranch_vccnz .LBB151_1029
; %bb.1022:
	s_cmp_gt_i32 s19, 14
	s_mov_b64 s[14:15], -1
	s_cbranch_scc0 .LBB151_1026
; %bb.1023:
	s_cmp_eq_u32 s19, 15
	s_mov_b64 s[0:1], -1
	s_cbranch_scc0 .LBB151_1025
; %bb.1024:
	v_bfe_i32 v0, v4, 0, 8
	v_cvt_f32_i32_sdwa v0, sext(v0) dst_sel:DWORD dst_unused:UNUSED_PAD src0_sel:WORD_0
	s_movk_i32 s0, 0x7fff
	v_bfe_u32 v3, v0, 16, 1
	v_add3_u32 v0, v0, v3, s0
	global_store_short_d16_hi v[1:2], v0, off
	s_mov_b64 s[0:1], 0
.LBB151_1025:
	s_mov_b64 s[14:15], 0
.LBB151_1026:
	s_and_b64 vcc, exec, s[14:15]
	s_cbranch_vccz .LBB151_1029
; %bb.1027:
	s_cmp_lg_u32 s19, 11
	s_cselect_b64 s[14:15], -1, 0
	s_andn2_b64 s[0:1], s[0:1], exec
	s_and_b64 s[14:15], s[14:15], exec
	s_mov_b64 s[12:13], -1
	s_or_b64 s[0:1], s[0:1], s[14:15]
	s_branch .LBB151_1029
.LBB151_1028:
	s_mov_b64 s[12:13], 0
.LBB151_1029:
	s_andn2_b64 s[14:15], s[52:53], exec
	s_and_b64 s[0:1], s[0:1], exec
	s_and_b64 s[10:11], s[10:11], exec
	;; [unrolled: 1-line block ×3, first 2 shown]
	s_or_b64 s[52:53], s[14:15], s[0:1]
	s_or_b64 exec, exec, s[8:9]
	s_and_saveexec_b64 s[0:1], s[52:53]
	s_cbranch_execz .LBB151_958
.LBB151_1030:
	s_or_b64 s[2:3], s[2:3], exec
	s_andn2_b64 s[12:13], s[12:13], exec
	s_trap 2
	s_or_b64 exec, exec, s[0:1]
	s_and_saveexec_b64 s[0:1], s[12:13]
	s_xor_b64 s[0:1], exec, s[0:1]
	s_cbranch_execnz .LBB151_959
.LBB151_1031:
	s_or_b64 exec, exec, s[0:1]
	s_and_saveexec_b64 s[0:1], s[10:11]
	s_xor_b64 s[0:1], exec, s[0:1]
	s_cbranch_execz .LBB151_1069
.LBB151_1032:
	s_sext_i32_i16 s10, s18
	s_cmp_lt_i32 s10, 5
	s_mov_b64 s[8:9], -1
	s_cbranch_scc1 .LBB151_1053
; %bb.1033:
	s_cmp_lt_i32 s10, 8
	s_cbranch_scc1 .LBB151_1043
; %bb.1034:
	s_cmp_lt_i32 s10, 9
	s_cbranch_scc1 .LBB151_1040
; %bb.1035:
	s_cmp_gt_i32 s10, 9
	s_cbranch_scc0 .LBB151_1037
; %bb.1036:
	s_waitcnt vmcnt(0)
	v_bfe_i32 v0, v4, 0, 8
	v_bfe_i32 v0, v0, 0, 16
	v_cvt_f64_i32_e32 v[5:6], v0
	v_mov_b32_e32 v7, 0
	v_mov_b32_e32 v8, v7
	s_mov_b64 s[8:9], 0
	global_store_dwordx4 v[1:2], v[5:8], off
.LBB151_1037:
	s_andn2_b64 vcc, exec, s[8:9]
	s_cbranch_vccnz .LBB151_1039
; %bb.1038:
	s_waitcnt vmcnt(0)
	v_bfe_i32 v0, v4, 0, 8
	v_cvt_f32_i32_sdwa v5, sext(v0) dst_sel:DWORD dst_unused:UNUSED_PAD src0_sel:WORD_0
	v_mov_b32_e32 v6, 0
	global_store_dwordx2 v[1:2], v[5:6], off
.LBB151_1039:
	s_mov_b64 s[8:9], 0
.LBB151_1040:
	s_andn2_b64 vcc, exec, s[8:9]
	s_cbranch_vccnz .LBB151_1042
; %bb.1041:
	s_waitcnt vmcnt(0)
	v_cvt_f16_i16_sdwa v0, sext(v4) dst_sel:DWORD dst_unused:UNUSED_PAD src0_sel:BYTE_0
	global_store_dword v[1:2], v0, off
.LBB151_1042:
	s_mov_b64 s[8:9], 0
.LBB151_1043:
	s_andn2_b64 vcc, exec, s[8:9]
	s_cbranch_vccnz .LBB151_1052
; %bb.1044:
	s_sext_i32_i16 s10, s18
	s_cmp_lt_i32 s10, 6
	s_mov_b64 s[8:9], -1
	s_cbranch_scc1 .LBB151_1050
; %bb.1045:
	s_cmp_gt_i32 s10, 6
	s_cbranch_scc0 .LBB151_1047
; %bb.1046:
	s_waitcnt vmcnt(0)
	v_bfe_i32 v0, v4, 0, 8
	v_bfe_i32 v0, v0, 0, 16
	v_cvt_f64_i32_e32 v[5:6], v0
	s_mov_b64 s[8:9], 0
	global_store_dwordx2 v[1:2], v[5:6], off
.LBB151_1047:
	s_andn2_b64 vcc, exec, s[8:9]
	s_cbranch_vccnz .LBB151_1049
; %bb.1048:
	s_waitcnt vmcnt(0)
	v_bfe_i32 v0, v4, 0, 8
	v_cvt_f32_i32_sdwa v0, sext(v0) dst_sel:DWORD dst_unused:UNUSED_PAD src0_sel:WORD_0
	global_store_dword v[1:2], v0, off
.LBB151_1049:
	s_mov_b64 s[8:9], 0
.LBB151_1050:
	s_andn2_b64 vcc, exec, s[8:9]
	s_cbranch_vccnz .LBB151_1052
; %bb.1051:
	s_waitcnt vmcnt(0)
	v_cvt_f16_i16_sdwa v0, sext(v4) dst_sel:DWORD dst_unused:UNUSED_PAD src0_sel:BYTE_0
	global_store_short v[1:2], v0, off
.LBB151_1052:
	s_mov_b64 s[8:9], 0
.LBB151_1053:
	s_andn2_b64 vcc, exec, s[8:9]
	s_cbranch_vccnz .LBB151_1069
; %bb.1054:
	s_sext_i32_i16 s10, s18
	s_cmp_lt_i32 s10, 2
	s_mov_b64 s[8:9], -1
	s_cbranch_scc1 .LBB151_1064
; %bb.1055:
	s_cmp_lt_i32 s10, 3
	s_cbranch_scc1 .LBB151_1061
; %bb.1056:
	s_cmp_gt_i32 s10, 3
	s_cbranch_scc0 .LBB151_1058
; %bb.1057:
	s_waitcnt vmcnt(0)
	v_bfe_i32 v5, v4, 0, 8
	v_ashrrev_i32_e32 v6, 31, v5
	s_mov_b64 s[8:9], 0
	global_store_dwordx2 v[1:2], v[5:6], off
.LBB151_1058:
	s_andn2_b64 vcc, exec, s[8:9]
	s_cbranch_vccnz .LBB151_1060
; %bb.1059:
	s_waitcnt vmcnt(0)
	v_bfe_i32 v0, v4, 0, 8
	global_store_dword v[1:2], v0, off
.LBB151_1060:
	s_mov_b64 s[8:9], 0
.LBB151_1061:
	s_andn2_b64 vcc, exec, s[8:9]
	s_cbranch_vccnz .LBB151_1063
; %bb.1062:
	s_waitcnt vmcnt(0)
	v_bfe_i32 v0, v4, 0, 8
	global_store_short v[1:2], v0, off
.LBB151_1063:
	s_mov_b64 s[8:9], 0
.LBB151_1064:
	s_andn2_b64 vcc, exec, s[8:9]
	s_cbranch_vccnz .LBB151_1069
; %bb.1065:
	s_sext_i32_i16 s8, s18
	s_cmp_gt_i32 s8, 0
	s_mov_b64 s[8:9], -1
	s_cbranch_scc0 .LBB151_1067
; %bb.1066:
	s_mov_b64 s[8:9], 0
	s_waitcnt vmcnt(0)
	global_store_byte v[1:2], v4, off
.LBB151_1067:
	s_andn2_b64 vcc, exec, s[8:9]
	s_cbranch_vccnz .LBB151_1069
; %bb.1068:
	s_waitcnt vmcnt(0)
	global_store_byte v[1:2], v4, off
.LBB151_1069:
	s_or_b64 exec, exec, s[0:1]
	s_waitcnt lgkmcnt(0)
	s_and_b64 s[28:29], s[2:3], exec
                                        ; implicit-def: $vgpr15
                                        ; implicit-def: $vgpr8
.LBB151_1070:
	s_or_saveexec_b64 s[30:31], s[42:43]
	s_mov_b64 s[0:1], 0
                                        ; implicit-def: $vgpr0_vgpr1
                                        ; implicit-def: $sgpr14
                                        ; implicit-def: $vgpr2
	s_xor_b64 exec, exec, s[30:31]
	s_cbranch_execz .LBB151_2057
; %bb.1071:
	v_cndmask_b32_e64 v0, 0, 1, s[40:41]
	v_cmp_ne_u32_e64 s[0:1], 1, v0
	s_andn2_b64 vcc, exec, s[40:41]
	s_cbranch_vccnz .LBB151_1077
; %bb.1072:
	s_cmp_lg_u32 s33, 0
	s_mov_b32 s36, 0
	s_cbranch_scc0 .LBB151_1078
; %bb.1073:
	s_min_u32 s37, s72, 15
	s_add_i32 s37, s37, 1
	s_cmp_eq_u32 s72, 2
	s_cbranch_scc1 .LBB151_1079
; %bb.1074:
	s_and_b32 s36, s37, 28
	s_add_u32 s2, s34, 0xc4
	s_addc_u32 s3, s35, 0
	v_mov_b32_e32 v13, 0
	s_mov_b32 s38, 0
	s_mov_b64 s[6:7], s[34:35]
	v_mov_b32_e32 v6, 0
	v_mov_b32_e32 v0, v8
.LBB151_1075:                           ; =>This Inner Loop Header: Depth=1
	s_load_dwordx8 s[16:23], s[6:7], 0x4
	s_load_dwordx4 s[24:27], s[6:7], 0x24
	s_load_dwordx8 s[8:15], s[2:3], 0x0
	s_add_u32 s6, s6, 48
	s_addc_u32 s7, s7, 0
	s_waitcnt lgkmcnt(0)
	v_mul_hi_u32 v1, s17, v0
	s_add_i32 s38, s38, 4
	s_add_u32 s2, s2, 32
	s_addc_u32 s3, s3, 0
	v_add_u32_e32 v1, v0, v1
	v_lshrrev_b32_e32 v1, s18, v1
	v_mul_lo_u32 v2, v1, s16
	s_waitcnt vmcnt(0)
	v_mul_hi_u32 v3, s20, v1
	s_cmp_lg_u32 s36, s38
	v_sub_u32_e32 v0, v0, v2
	v_add_u32_e32 v2, v1, v3
	v_mul_lo_u32 v3, v0, s8
	v_mul_lo_u32 v4, v0, s9
	v_lshrrev_b32_e32 v0, s21, v2
	v_mul_lo_u32 v2, v0, s19
	v_mul_hi_u32 v5, s23, v0
	v_sub_u32_e32 v1, v1, v2
	v_add_u32_e32 v2, v0, v5
	v_lshrrev_b32_e32 v2, s24, v2
	v_mul_hi_u32 v7, s26, v2
	v_mul_lo_u32 v9, v2, s22
	v_mul_lo_u32 v5, v1, s10
	v_mul_lo_u32 v1, v1, s11
	v_sub_u32_e32 v9, v0, v9
	v_add_u32_e32 v0, v2, v7
	v_lshrrev_b32_e32 v0, s27, v0
	v_mul_lo_u32 v7, v0, s25
	v_mul_lo_u32 v10, v9, s12
	;; [unrolled: 1-line block ×3, first 2 shown]
	v_add3_u32 v3, v3, v6, v5
	v_sub_u32_e32 v2, v2, v7
	v_mul_lo_u32 v7, v2, s14
	v_mul_lo_u32 v2, v2, s15
	v_add3_u32 v1, v4, v13, v1
	v_add3_u32 v6, v10, v3, v7
	;; [unrolled: 1-line block ×3, first 2 shown]
	s_cbranch_scc1 .LBB151_1075
; %bb.1076:
	s_and_b32 s8, s37, 3
	s_cmp_eq_u32 s8, 0
	s_cbranch_scc0 .LBB151_1080
	s_branch .LBB151_1082
.LBB151_1077:
                                        ; implicit-def: $vgpr6
                                        ; implicit-def: $vgpr13
	s_branch .LBB151_1083
.LBB151_1078:
	v_mov_b32_e32 v6, 0
	v_mov_b32_e32 v13, 0
	s_branch .LBB151_1082
.LBB151_1079:
	v_mov_b32_e32 v6, 0
	v_mov_b32_e32 v13, 0
	;; [unrolled: 1-line block ×3, first 2 shown]
	s_and_b32 s8, s37, 3
	s_cmp_eq_u32 s8, 0
	s_cbranch_scc1 .LBB151_1082
.LBB151_1080:
	s_lshl_b32 s2, s36, 3
	s_add_u32 s2, s34, s2
	s_addc_u32 s3, s35, 0
	s_add_u32 s2, s2, 0xc4
	s_addc_u32 s3, s3, 0
	s_mul_i32 s6, s36, 12
	s_add_u32 s6, s34, s6
	s_addc_u32 s7, s35, 0
.LBB151_1081:                           ; =>This Inner Loop Header: Depth=1
	s_load_dwordx2 s[10:11], s[6:7], 0x4
	s_load_dword s9, s[6:7], 0xc
	s_load_dwordx2 s[12:13], s[2:3], 0x0
	s_add_u32 s6, s6, 12
	s_addc_u32 s7, s7, 0
	s_waitcnt lgkmcnt(0)
	v_mul_hi_u32 v1, s11, v0
	s_add_u32 s2, s2, 8
	s_addc_u32 s3, s3, 0
	s_add_i32 s8, s8, -1
	v_add_u32_e32 v1, v0, v1
	v_lshrrev_b32_e32 v1, s9, v1
	v_mul_lo_u32 v2, v1, s10
	s_cmp_lg_u32 s8, 0
	v_sub_u32_e32 v0, v0, v2
	v_mad_u64_u32 v[6:7], s[10:11], v0, s12, v[6:7]
	v_mad_u64_u32 v[13:14], s[10:11], v0, s13, v[13:14]
	v_mov_b32_e32 v0, v1
	s_cbranch_scc1 .LBB151_1081
.LBB151_1082:
	s_cbranch_execnz .LBB151_1085
.LBB151_1083:
	s_load_dwordx4 s[8:11], s[34:35], 0x4
	s_load_dwordx2 s[2:3], s[34:35], 0xc4
	s_cmp_lt_u32 s33, 2
	s_waitcnt lgkmcnt(0)
	v_mul_hi_u32 v0, s9, v8
	v_add_u32_e32 v0, v8, v0
	v_lshrrev_b32_e32 v0, s10, v0
	v_mul_lo_u32 v1, v0, s8
	v_sub_u32_e32 v1, v8, v1
	v_mul_lo_u32 v6, v1, s2
	v_mul_lo_u32 v13, v1, s3
	s_cbranch_scc1 .LBB151_1085
; %bb.1084:
	s_load_dwordx4 s[8:11], s[34:35], 0x10
	s_load_dwordx2 s[2:3], s[34:35], 0xcc
	s_waitcnt lgkmcnt(0)
	v_mul_hi_u32 v1, s9, v0
	v_add_u32_e32 v1, v0, v1
	v_lshrrev_b32_e32 v1, s10, v1
	v_mul_lo_u32 v1, v1, s8
	v_sub_u32_e32 v0, v0, v1
	v_mad_u64_u32 v[6:7], s[6:7], v0, s2, v[6:7]
	v_mad_u64_u32 v[13:14], s[2:3], v0, s3, v[13:14]
.LBB151_1085:
	s_and_b64 vcc, exec, s[0:1]
	v_add_u32_e32 v0, 0x80, v8
	s_cbranch_vccnz .LBB151_1091
; %bb.1086:
	s_cmp_lg_u32 s33, 0
	s_mov_b32 s36, 0
	s_cbranch_scc0 .LBB151_1092
; %bb.1087:
	s_min_u32 s37, s72, 15
	s_add_i32 s37, s37, 1
	s_cmp_eq_u32 s72, 2
	s_cbranch_scc1 .LBB151_1093
; %bb.1088:
	s_and_b32 s36, s37, 28
	s_add_u32 s2, s34, 0xc4
	s_addc_u32 s3, s35, 0
	v_mov_b32_e32 v11, 0
	s_mov_b32 s38, 0
	s_mov_b64 s[6:7], s[34:35]
	s_waitcnt vmcnt(0)
	v_mov_b32_e32 v4, 0
	v_mov_b32_e32 v1, v0
.LBB151_1089:                           ; =>This Inner Loop Header: Depth=1
	s_load_dwordx8 s[16:23], s[6:7], 0x4
	s_load_dwordx4 s[24:27], s[6:7], 0x24
	s_load_dwordx8 s[8:15], s[2:3], 0x0
	s_add_u32 s6, s6, 48
	s_addc_u32 s7, s7, 0
	s_waitcnt lgkmcnt(0)
	v_mul_hi_u32 v2, s17, v1
	s_add_i32 s38, s38, 4
	s_add_u32 s2, s2, 32
	s_addc_u32 s3, s3, 0
	v_add_u32_e32 v2, v1, v2
	v_lshrrev_b32_e32 v2, s18, v2
	v_mul_lo_u32 v3, v2, s16
	v_mul_hi_u32 v5, s20, v2
	s_cmp_lg_u32 s36, s38
	v_sub_u32_e32 v1, v1, v3
	v_add_u32_e32 v3, v2, v5
	v_mul_lo_u32 v5, v1, s8
	v_mul_lo_u32 v7, v1, s9
	v_lshrrev_b32_e32 v1, s21, v3
	v_mul_lo_u32 v3, v1, s19
	v_mul_hi_u32 v9, s23, v1
	v_sub_u32_e32 v2, v2, v3
	v_add_u32_e32 v3, v1, v9
	v_lshrrev_b32_e32 v3, s24, v3
	v_mul_hi_u32 v10, s26, v3
	v_mul_lo_u32 v12, v3, s22
	v_mul_lo_u32 v9, v2, s10
	;; [unrolled: 1-line block ×3, first 2 shown]
	v_sub_u32_e32 v12, v1, v12
	v_add_u32_e32 v1, v3, v10
	v_lshrrev_b32_e32 v1, s27, v1
	v_mul_lo_u32 v10, v1, s25
	v_mul_lo_u32 v14, v12, s12
	;; [unrolled: 1-line block ×3, first 2 shown]
	v_add3_u32 v4, v5, v4, v9
	v_sub_u32_e32 v3, v3, v10
	v_mul_lo_u32 v10, v3, s14
	v_mul_lo_u32 v3, v3, s15
	v_add3_u32 v2, v7, v11, v2
	v_add3_u32 v4, v14, v4, v10
	;; [unrolled: 1-line block ×3, first 2 shown]
	s_cbranch_scc1 .LBB151_1089
; %bb.1090:
	s_and_b32 s8, s37, 3
	s_cmp_eq_u32 s8, 0
	s_cbranch_scc0 .LBB151_1094
	s_branch .LBB151_1096
.LBB151_1091:
                                        ; implicit-def: $vgpr4
                                        ; implicit-def: $vgpr11
	s_branch .LBB151_1097
.LBB151_1092:
	s_waitcnt vmcnt(0)
	v_mov_b32_e32 v4, 0
	v_mov_b32_e32 v11, 0
	s_branch .LBB151_1096
.LBB151_1093:
	s_waitcnt vmcnt(0)
	v_mov_b32_e32 v4, 0
	v_mov_b32_e32 v11, 0
	v_mov_b32_e32 v1, v0
	s_and_b32 s8, s37, 3
	s_cmp_eq_u32 s8, 0
	s_cbranch_scc1 .LBB151_1096
.LBB151_1094:
	s_lshl_b32 s2, s36, 3
	s_add_u32 s2, s34, s2
	s_addc_u32 s3, s35, 0
	s_add_u32 s2, s2, 0xc4
	s_addc_u32 s3, s3, 0
	s_mul_i32 s6, s36, 12
	s_add_u32 s6, s34, s6
	s_addc_u32 s7, s35, 0
.LBB151_1095:                           ; =>This Inner Loop Header: Depth=1
	s_load_dwordx2 s[10:11], s[6:7], 0x4
	s_load_dword s9, s[6:7], 0xc
	s_load_dwordx2 s[12:13], s[2:3], 0x0
	s_add_u32 s6, s6, 12
	s_addc_u32 s7, s7, 0
	s_waitcnt lgkmcnt(0)
	v_mul_hi_u32 v2, s11, v1
	s_add_u32 s2, s2, 8
	s_addc_u32 s3, s3, 0
	s_add_i32 s8, s8, -1
	v_add_u32_e32 v2, v1, v2
	v_lshrrev_b32_e32 v2, s9, v2
	v_mul_lo_u32 v3, v2, s10
	s_cmp_lg_u32 s8, 0
	v_sub_u32_e32 v1, v1, v3
	v_mad_u64_u32 v[4:5], s[10:11], v1, s12, v[4:5]
	v_mad_u64_u32 v[11:12], s[10:11], v1, s13, v[11:12]
	v_mov_b32_e32 v1, v2
	s_cbranch_scc1 .LBB151_1095
.LBB151_1096:
	s_cbranch_execnz .LBB151_1099
.LBB151_1097:
	s_load_dwordx4 s[8:11], s[34:35], 0x4
	s_load_dwordx2 s[2:3], s[34:35], 0xc4
	s_cmp_lt_u32 s33, 2
	s_waitcnt lgkmcnt(0)
	v_mul_hi_u32 v1, s9, v0
	v_add_u32_e32 v1, v0, v1
	v_lshrrev_b32_e32 v1, s10, v1
	v_mul_lo_u32 v2, v1, s8
	v_sub_u32_e32 v0, v0, v2
	s_waitcnt vmcnt(0)
	v_mul_lo_u32 v4, v0, s2
	v_mul_lo_u32 v11, v0, s3
	s_cbranch_scc1 .LBB151_1099
; %bb.1098:
	s_load_dwordx4 s[8:11], s[34:35], 0x10
	s_load_dwordx2 s[2:3], s[34:35], 0xcc
	s_waitcnt lgkmcnt(0)
	v_mul_hi_u32 v0, s9, v1
	v_add_u32_e32 v0, v1, v0
	v_lshrrev_b32_e32 v0, s10, v0
	v_mul_lo_u32 v0, v0, s8
	v_sub_u32_e32 v0, v1, v0
	v_mad_u64_u32 v[4:5], s[6:7], v0, s2, v[4:5]
	v_mad_u64_u32 v[11:12], s[2:3], v0, s3, v[11:12]
.LBB151_1099:
	s_and_b64 vcc, exec, s[0:1]
	v_add_u32_e32 v0, 0x100, v8
	s_cbranch_vccnz .LBB151_1105
; %bb.1100:
	s_cmp_lg_u32 s33, 0
	s_mov_b32 s36, 0
	s_cbranch_scc0 .LBB151_1106
; %bb.1101:
	s_min_u32 s37, s72, 15
	s_add_i32 s37, s37, 1
	s_cmp_eq_u32 s72, 2
	s_cbranch_scc1 .LBB151_1107
; %bb.1102:
	s_and_b32 s36, s37, 28
	s_add_u32 s2, s34, 0xc4
	s_addc_u32 s3, s35, 0
	v_mov_b32_e32 v9, 0
	s_mov_b32 s38, 0
	s_mov_b64 s[6:7], s[34:35]
	v_mov_b32_e32 v2, 0
	v_mov_b32_e32 v1, v0
.LBB151_1103:                           ; =>This Inner Loop Header: Depth=1
	s_load_dwordx8 s[16:23], s[6:7], 0x4
	s_load_dwordx4 s[24:27], s[6:7], 0x24
	s_load_dwordx8 s[8:15], s[2:3], 0x0
	s_add_u32 s6, s6, 48
	s_addc_u32 s7, s7, 0
	s_waitcnt vmcnt(0) lgkmcnt(0)
	v_mul_hi_u32 v3, s17, v1
	s_add_i32 s38, s38, 4
	s_add_u32 s2, s2, 32
	s_addc_u32 s3, s3, 0
	v_add_u32_e32 v3, v1, v3
	v_lshrrev_b32_e32 v3, s18, v3
	v_mul_lo_u32 v5, v3, s16
	v_mul_hi_u32 v7, s20, v3
	s_cmp_lg_u32 s36, s38
	v_sub_u32_e32 v1, v1, v5
	v_add_u32_e32 v5, v3, v7
	v_mul_lo_u32 v7, v1, s8
	v_mul_lo_u32 v8, v1, s9
	v_lshrrev_b32_e32 v1, s21, v5
	v_mul_lo_u32 v5, v1, s19
	v_mul_hi_u32 v10, s23, v1
	v_sub_u32_e32 v3, v3, v5
	v_add_u32_e32 v5, v1, v10
	v_lshrrev_b32_e32 v5, s24, v5
	v_mul_hi_u32 v12, s26, v5
	v_mul_lo_u32 v14, v5, s22
	v_mul_lo_u32 v10, v3, s10
	;; [unrolled: 1-line block ×3, first 2 shown]
	v_sub_u32_e32 v14, v1, v14
	v_add_u32_e32 v1, v5, v12
	v_lshrrev_b32_e32 v1, s27, v1
	v_mul_lo_u32 v12, v1, s25
	v_mul_lo_u32 v16, v14, s12
	;; [unrolled: 1-line block ×3, first 2 shown]
	v_add3_u32 v2, v7, v2, v10
	v_sub_u32_e32 v5, v5, v12
	v_mul_lo_u32 v12, v5, s14
	v_mul_lo_u32 v5, v5, s15
	v_add3_u32 v3, v8, v9, v3
	v_add3_u32 v2, v16, v2, v12
	;; [unrolled: 1-line block ×3, first 2 shown]
	s_cbranch_scc1 .LBB151_1103
; %bb.1104:
	s_and_b32 s8, s37, 3
	s_cmp_eq_u32 s8, 0
	s_cbranch_scc0 .LBB151_1108
	s_branch .LBB151_1110
.LBB151_1105:
                                        ; implicit-def: $vgpr2
                                        ; implicit-def: $vgpr9
	s_branch .LBB151_1111
.LBB151_1106:
	v_mov_b32_e32 v2, 0
	v_mov_b32_e32 v9, 0
	s_branch .LBB151_1110
.LBB151_1107:
	v_mov_b32_e32 v2, 0
	v_mov_b32_e32 v9, 0
	;; [unrolled: 1-line block ×3, first 2 shown]
	s_and_b32 s8, s37, 3
	s_cmp_eq_u32 s8, 0
	s_cbranch_scc1 .LBB151_1110
.LBB151_1108:
	s_lshl_b32 s2, s36, 3
	s_add_u32 s2, s34, s2
	s_addc_u32 s3, s35, 0
	s_add_u32 s2, s2, 0xc4
	s_addc_u32 s3, s3, 0
	s_mul_i32 s6, s36, 12
	s_add_u32 s6, s34, s6
	s_addc_u32 s7, s35, 0
.LBB151_1109:                           ; =>This Inner Loop Header: Depth=1
	s_load_dwordx2 s[10:11], s[6:7], 0x4
	s_load_dword s9, s[6:7], 0xc
	s_load_dwordx2 s[12:13], s[2:3], 0x0
	s_add_u32 s6, s6, 12
	s_addc_u32 s7, s7, 0
	s_waitcnt vmcnt(0) lgkmcnt(0)
	v_mul_hi_u32 v3, s11, v1
	s_add_u32 s2, s2, 8
	s_addc_u32 s3, s3, 0
	s_add_i32 s8, s8, -1
	v_add_u32_e32 v3, v1, v3
	v_lshrrev_b32_e32 v5, s9, v3
	v_mul_lo_u32 v3, v5, s10
	s_cmp_lg_u32 s8, 0
	v_sub_u32_e32 v1, v1, v3
	v_mad_u64_u32 v[2:3], s[10:11], v1, s12, v[2:3]
	v_mad_u64_u32 v[9:10], s[10:11], v1, s13, v[9:10]
	v_mov_b32_e32 v1, v5
	s_cbranch_scc1 .LBB151_1109
.LBB151_1110:
	s_cbranch_execnz .LBB151_1113
.LBB151_1111:
	s_load_dwordx4 s[8:11], s[34:35], 0x4
	s_load_dwordx2 s[2:3], s[34:35], 0xc4
	s_cmp_lt_u32 s33, 2
	s_waitcnt lgkmcnt(0)
	v_mul_hi_u32 v1, s9, v0
	v_add_u32_e32 v1, v0, v1
	v_lshrrev_b32_e32 v1, s10, v1
	v_mul_lo_u32 v2, v1, s8
	v_sub_u32_e32 v0, v0, v2
	v_mul_lo_u32 v2, v0, s2
	v_mul_lo_u32 v9, v0, s3
	s_cbranch_scc1 .LBB151_1113
; %bb.1112:
	s_load_dwordx4 s[8:11], s[34:35], 0x10
	s_load_dwordx2 s[2:3], s[34:35], 0xcc
	s_waitcnt lgkmcnt(0)
	v_mul_hi_u32 v0, s9, v1
	v_add_u32_e32 v0, v1, v0
	v_lshrrev_b32_e32 v0, s10, v0
	v_mul_lo_u32 v0, v0, s8
	v_sub_u32_e32 v0, v1, v0
	s_waitcnt vmcnt(0)
	v_mad_u64_u32 v[2:3], s[6:7], v0, s2, v[2:3]
	v_mad_u64_u32 v[9:10], s[2:3], v0, s3, v[9:10]
.LBB151_1113:
	s_and_b64 vcc, exec, s[0:1]
	s_cbranch_vccnz .LBB151_1119
; %bb.1114:
	s_cmp_lg_u32 s33, 0
	s_mov_b32 s26, 0
	s_cbranch_scc0 .LBB151_1120
; %bb.1115:
	s_min_u32 s27, s72, 15
	s_add_i32 s27, s27, 1
	s_cmp_eq_u32 s72, 2
	s_cbranch_scc1 .LBB151_1121
; %bb.1116:
	s_and_b32 s26, s27, 28
	s_add_u32 s6, s34, 0xc4
	s_addc_u32 s7, s35, 0
	v_mov_b32_e32 v7, 0
	s_mov_b32 s36, 0
	s_mov_b64 s[24:25], s[34:35]
	v_mov_b32_e32 v0, 0
	v_mov_b32_e32 v1, v15
.LBB151_1117:                           ; =>This Inner Loop Header: Depth=1
	s_load_dwordx8 s[16:23], s[24:25], 0x4
	s_load_dwordx4 s[0:3], s[24:25], 0x24
	s_load_dwordx8 s[8:15], s[6:7], 0x0
	s_add_u32 s24, s24, 48
	s_addc_u32 s25, s25, 0
	s_waitcnt vmcnt(0) lgkmcnt(0)
	v_mul_hi_u32 v3, s17, v1
	s_add_i32 s36, s36, 4
	s_add_u32 s6, s6, 32
	s_addc_u32 s7, s7, 0
	v_add_u32_e32 v3, v1, v3
	v_lshrrev_b32_e32 v3, s18, v3
	v_mul_lo_u32 v5, v3, s16
	v_mul_hi_u32 v8, s20, v3
	s_cmp_lg_u32 s26, s36
	v_sub_u32_e32 v1, v1, v5
	v_add_u32_e32 v5, v3, v8
	v_mul_lo_u32 v8, v1, s8
	v_mul_lo_u32 v10, v1, s9
	v_lshrrev_b32_e32 v1, s21, v5
	v_mul_lo_u32 v5, v1, s19
	v_mul_hi_u32 v12, s23, v1
	v_sub_u32_e32 v3, v3, v5
	v_add_u32_e32 v5, v1, v12
	v_lshrrev_b32_e32 v5, s0, v5
	v_mul_hi_u32 v14, s2, v5
	v_mul_lo_u32 v16, v5, s22
	v_mul_lo_u32 v12, v3, s10
	;; [unrolled: 1-line block ×3, first 2 shown]
	v_sub_u32_e32 v16, v1, v16
	v_add_u32_e32 v1, v5, v14
	v_lshrrev_b32_e32 v1, s3, v1
	v_mul_lo_u32 v14, v1, s1
	v_mul_lo_u32 v17, v16, s12
	;; [unrolled: 1-line block ×3, first 2 shown]
	v_add3_u32 v0, v8, v0, v12
	v_sub_u32_e32 v5, v5, v14
	v_mul_lo_u32 v14, v5, s14
	v_mul_lo_u32 v5, v5, s15
	v_add3_u32 v3, v10, v7, v3
	v_add3_u32 v0, v17, v0, v14
	;; [unrolled: 1-line block ×3, first 2 shown]
	s_cbranch_scc1 .LBB151_1117
; %bb.1118:
	s_and_b32 s6, s27, 3
	s_cmp_eq_u32 s6, 0
	s_cbranch_scc0 .LBB151_1122
	s_branch .LBB151_1124
.LBB151_1119:
                                        ; implicit-def: $vgpr0
                                        ; implicit-def: $vgpr7
	s_branch .LBB151_1125
.LBB151_1120:
	v_mov_b32_e32 v0, 0
	v_mov_b32_e32 v7, 0
	s_branch .LBB151_1124
.LBB151_1121:
	v_mov_b32_e32 v0, 0
	v_mov_b32_e32 v7, 0
	;; [unrolled: 1-line block ×3, first 2 shown]
	s_and_b32 s6, s27, 3
	s_cmp_eq_u32 s6, 0
	s_cbranch_scc1 .LBB151_1124
.LBB151_1122:
	s_lshl_b32 s0, s26, 3
	s_add_u32 s0, s34, s0
	s_addc_u32 s1, s35, 0
	s_add_u32 s0, s0, 0xc4
	s_addc_u32 s1, s1, 0
	s_mul_i32 s2, s26, 12
	s_add_u32 s2, s34, s2
	s_addc_u32 s3, s35, 0
.LBB151_1123:                           ; =>This Inner Loop Header: Depth=1
	s_load_dwordx2 s[8:9], s[2:3], 0x4
	s_load_dword s7, s[2:3], 0xc
	s_load_dwordx2 s[10:11], s[0:1], 0x0
	s_add_u32 s2, s2, 12
	s_addc_u32 s3, s3, 0
	s_waitcnt vmcnt(0) lgkmcnt(0)
	v_mul_hi_u32 v3, s9, v1
	s_add_u32 s0, s0, 8
	s_addc_u32 s1, s1, 0
	s_add_i32 s6, s6, -1
	v_add_u32_e32 v3, v1, v3
	v_lshrrev_b32_e32 v3, s7, v3
	v_mul_lo_u32 v5, v3, s8
	s_cmp_lg_u32 s6, 0
	v_sub_u32_e32 v5, v1, v5
	v_mad_u64_u32 v[0:1], s[8:9], v5, s10, v[0:1]
	v_mad_u64_u32 v[7:8], s[8:9], v5, s11, v[7:8]
	v_mov_b32_e32 v1, v3
	s_cbranch_scc1 .LBB151_1123
.LBB151_1124:
	s_cbranch_execnz .LBB151_1127
.LBB151_1125:
	s_load_dwordx4 s[0:3], s[34:35], 0x4
	s_load_dwordx2 s[6:7], s[34:35], 0xc4
	s_cmp_lt_u32 s33, 2
	s_waitcnt lgkmcnt(0)
	v_mul_hi_u32 v0, s1, v15
	v_add_u32_e32 v0, v15, v0
	v_lshrrev_b32_e32 v1, s2, v0
	v_mul_lo_u32 v0, v1, s0
	s_waitcnt vmcnt(0)
	v_sub_u32_e32 v3, v15, v0
	v_mul_lo_u32 v0, v3, s6
	v_mul_lo_u32 v7, v3, s7
	s_cbranch_scc1 .LBB151_1127
; %bb.1126:
	s_load_dwordx4 s[0:3], s[34:35], 0x10
	s_load_dwordx2 s[6:7], s[34:35], 0xcc
	s_waitcnt lgkmcnt(0)
	v_mul_hi_u32 v3, s1, v1
	v_add_u32_e32 v3, v1, v3
	v_lshrrev_b32_e32 v3, s2, v3
	v_mul_lo_u32 v3, v3, s0
	v_sub_u32_e32 v3, v1, v3
	v_mad_u64_u32 v[0:1], s[0:1], v3, s6, v[0:1]
	v_mad_u64_u32 v[7:8], s[0:1], v3, s7, v[7:8]
.LBB151_1127:
	s_load_dword s14, s[4:5], 0x160
	s_load_dwordx4 s[8:11], s[34:35], 0x148
	s_waitcnt lgkmcnt(0)
	s_lshr_b32 s12, s14, 24
	v_mov_b32_e32 v1, s11
	v_add_co_u32_e32 v15, vcc, s10, v13
	s_cmp_lt_i32 s12, 11
	v_addc_co_u32_e32 v16, vcc, 0, v1, vcc
	s_cbranch_scc1 .LBB151_1134
; %bb.1128:
	s_and_b32 s13, 0xffff, s12
	s_cmp_gt_i32 s13, 25
	s_mov_b64 s[4:5], 0
	s_cbranch_scc0 .LBB151_1136
; %bb.1129:
	s_cmp_gt_i32 s13, 28
	s_cbranch_scc0 .LBB151_1137
; %bb.1130:
	s_cmp_gt_i32 s13, 43
	;; [unrolled: 3-line block ×3, first 2 shown]
	s_cbranch_scc0 .LBB151_1139
; %bb.1132:
	s_cmp_eq_u32 s13, 46
	s_mov_b64 s[2:3], 0
	s_cbranch_scc0 .LBB151_1142
; %bb.1133:
	global_load_dword v1, v[15:16], off
	s_mov_b64 s[0:1], 0
	s_mov_b64 s[6:7], -1
	s_waitcnt vmcnt(0)
	v_lshlrev_b32_e32 v1, 16, v1
	v_cvt_i32_f32_e32 v13, v1
	s_branch .LBB151_1143
.LBB151_1134:
	s_mov_b64 s[6:7], 0
                                        ; implicit-def: $vgpr13
	s_mov_b64 s[2:3], s[28:29]
	s_cbranch_execnz .LBB151_1201
.LBB151_1135:
	s_andn2_b64 vcc, exec, s[6:7]
	s_cbranch_vccz .LBB151_1246
	s_branch .LBB151_2055
.LBB151_1136:
	s_mov_b64 s[6:7], 0
	s_mov_b64 s[0:1], 0
                                        ; implicit-def: $vgpr13
	s_cbranch_execnz .LBB151_1168
	s_branch .LBB151_1197
.LBB151_1137:
	s_mov_b64 s[6:7], 0
	s_mov_b64 s[0:1], 0
                                        ; implicit-def: $vgpr13
	s_cbranch_execz .LBB151_1167
	s_branch .LBB151_1152
.LBB151_1138:
	s_mov_b64 s[6:7], 0
	s_mov_b64 s[0:1], 0
                                        ; implicit-def: $vgpr13
	s_cbranch_execnz .LBB151_1148
	s_branch .LBB151_1151
.LBB151_1139:
	s_mov_b64 s[2:3], -1
	s_mov_b64 s[6:7], 0
	s_mov_b64 s[0:1], 0
                                        ; implicit-def: $vgpr13
	s_branch .LBB151_1143
.LBB151_1140:
	s_andn2_saveexec_b64 s[14:15], s[14:15]
	s_cbranch_execz .LBB151_983
.LBB151_1141:
	s_mov_b32 s16, 0x46000000
	v_add_f32_e64 v3, |v0|, s16
	v_and_b32_e32 v3, 0xff, v3
	v_cmp_ne_u32_e32 vcc, 0, v3
	s_andn2_b64 s[12:13], s[12:13], exec
	s_and_b64 s[16:17], vcc, exec
	s_or_b64 s[12:13], s[12:13], s[16:17]
	s_or_b64 exec, exec, s[14:15]
	v_mov_b32_e32 v5, 0
	s_and_saveexec_b64 s[14:15], s[12:13]
	s_cbranch_execnz .LBB151_984
	s_branch .LBB151_985
.LBB151_1142:
	s_mov_b64 s[0:1], -1
                                        ; implicit-def: $vgpr13
	s_mov_b64 s[6:7], 0
.LBB151_1143:
	s_and_b64 vcc, exec, s[2:3]
	s_cbranch_vccz .LBB151_1146
; %bb.1144:
	s_cmp_eq_u32 s13, 44
	s_cbranch_scc0 .LBB151_1147
; %bb.1145:
	global_load_ubyte v1, v[15:16], off
	s_mov_b64 s[0:1], 0
	s_mov_b64 s[6:7], -1
	s_waitcnt vmcnt(0)
	v_lshlrev_b32_e32 v3, 23, v1
	v_cvt_i32_f32_e32 v3, v3
	v_cmp_ne_u32_e32 vcc, 0, v1
	v_cndmask_b32_e32 v13, 0, v3, vcc
.LBB151_1146:
	s_branch .LBB151_1151
.LBB151_1147:
	s_mov_b64 s[0:1], -1
                                        ; implicit-def: $vgpr13
	s_branch .LBB151_1151
.LBB151_1148:
	s_cmp_eq_u32 s13, 29
	s_cbranch_scc0 .LBB151_1150
; %bb.1149:
	global_load_dwordx2 v[13:14], v[15:16], off
	s_mov_b64 s[0:1], 0
	s_mov_b64 s[6:7], -1
	s_branch .LBB151_1151
.LBB151_1150:
	s_mov_b64 s[0:1], -1
                                        ; implicit-def: $vgpr13
.LBB151_1151:
	s_branch .LBB151_1167
.LBB151_1152:
	s_cmp_lt_i32 s13, 27
	s_cbranch_scc1 .LBB151_1155
; %bb.1153:
	s_cmp_gt_i32 s13, 27
	s_cbranch_scc0 .LBB151_1156
; %bb.1154:
	global_load_dword v13, v[15:16], off
	s_mov_b64 s[2:3], 0
	s_branch .LBB151_1157
.LBB151_1155:
	s_mov_b64 s[2:3], -1
                                        ; implicit-def: $vgpr13
	s_branch .LBB151_1160
.LBB151_1156:
	s_mov_b64 s[2:3], -1
                                        ; implicit-def: $vgpr13
.LBB151_1157:
	s_andn2_b64 vcc, exec, s[2:3]
	s_cbranch_vccnz .LBB151_1159
; %bb.1158:
	global_load_ushort v13, v[15:16], off
.LBB151_1159:
	s_mov_b64 s[2:3], 0
.LBB151_1160:
	s_andn2_b64 vcc, exec, s[2:3]
	s_cbranch_vccnz .LBB151_1166
; %bb.1161:
	global_load_ubyte v1, v[15:16], off
	s_movk_i32 s2, 0x7f
	s_mov_b64 s[6:7], 0
	s_waitcnt vmcnt(0)
	v_cmp_lt_i16_e32 vcc, s2, v1
	s_and_saveexec_b64 s[2:3], vcc
	s_xor_b64 s[2:3], exec, s[2:3]
	s_cbranch_execz .LBB151_1177
; %bb.1162:
	s_movk_i32 s6, 0x80
	v_cmp_ne_u16_e32 vcc, s6, v1
	s_and_b64 s[6:7], vcc, exec
	s_andn2_saveexec_b64 s[2:3], s[2:3]
	s_cbranch_execnz .LBB151_1178
.LBB151_1163:
	s_or_b64 exec, exec, s[2:3]
	v_mov_b32_e32 v13, 0
	s_and_saveexec_b64 s[2:3], s[6:7]
	s_cbranch_execz .LBB151_1165
.LBB151_1164:
	v_lshlrev_b32_e32 v3, 24, v1
	v_and_b32_e32 v1, 0xffff, v1
	v_and_b32_e32 v5, 7, v1
	v_ffbh_u32_e32 v10, v5
	v_min_u32_e32 v10, 32, v10
	v_subrev_u32_e32 v12, 28, v10
	v_bfe_u32 v8, v1, 3, 4
	v_lshlrev_b32_e32 v1, v12, v1
	v_sub_u32_e32 v10, 29, v10
	v_and_b32_e32 v1, 7, v1
	v_cmp_eq_u32_e32 vcc, 0, v8
	v_cndmask_b32_e32 v8, v8, v10, vcc
	v_cndmask_b32_e32 v1, v5, v1, vcc
	v_mov_b32_e32 v5, 0x3b800000
	v_lshlrev_b32_e32 v1, 20, v1
	v_and_b32_e32 v3, 0x80000000, v3
	v_lshl_add_u32 v5, v8, 23, v5
	v_or3_b32 v1, v3, v5, v1
	v_cvt_i32_f32_e32 v13, v1
.LBB151_1165:
	s_or_b64 exec, exec, s[2:3]
.LBB151_1166:
	s_mov_b64 s[6:7], -1
.LBB151_1167:
	s_branch .LBB151_1197
.LBB151_1168:
	s_cmp_gt_i32 s13, 22
	s_cbranch_scc0 .LBB151_1176
; %bb.1169:
	s_cmp_lt_i32 s13, 24
	s_cbranch_scc1 .LBB151_1179
; %bb.1170:
	s_cmp_gt_i32 s13, 24
	s_cbranch_scc0 .LBB151_1180
; %bb.1171:
	global_load_ubyte v1, v[15:16], off
	s_movk_i32 s2, 0x7f
	s_waitcnt vmcnt(0)
	v_cmp_lt_i16_e32 vcc, s2, v1
	s_and_saveexec_b64 s[2:3], vcc
	s_xor_b64 s[2:3], exec, s[2:3]
	s_cbranch_execz .LBB151_1191
; %bb.1172:
	s_movk_i32 s4, 0x80
	v_cmp_ne_u16_e32 vcc, s4, v1
	s_and_b64 s[4:5], vcc, exec
	s_andn2_saveexec_b64 s[2:3], s[2:3]
	s_cbranch_execnz .LBB151_1192
.LBB151_1173:
	s_or_b64 exec, exec, s[2:3]
	v_mov_b32_e32 v13, 0
	s_and_saveexec_b64 s[2:3], s[4:5]
	s_cbranch_execz .LBB151_1175
.LBB151_1174:
	v_lshlrev_b32_e32 v3, 24, v1
	v_and_b32_e32 v1, 0xffff, v1
	v_and_b32_e32 v5, 3, v1
	v_ffbh_u32_e32 v10, v5
	v_min_u32_e32 v10, 32, v10
	v_subrev_u32_e32 v12, 29, v10
	v_bfe_u32 v8, v1, 2, 5
	v_lshlrev_b32_e32 v1, v12, v1
	v_sub_u32_e32 v10, 30, v10
	v_and_b32_e32 v1, 3, v1
	v_cmp_eq_u32_e32 vcc, 0, v8
	v_cndmask_b32_e32 v8, v8, v10, vcc
	v_cndmask_b32_e32 v1, v5, v1, vcc
	v_mov_b32_e32 v5, 0x37800000
	v_lshlrev_b32_e32 v1, 21, v1
	v_and_b32_e32 v3, 0x80000000, v3
	v_lshl_add_u32 v5, v8, 23, v5
	v_or3_b32 v1, v3, v5, v1
	v_cvt_i32_f32_e32 v13, v1
.LBB151_1175:
	s_or_b64 exec, exec, s[2:3]
	s_mov_b64 s[2:3], 0
	s_branch .LBB151_1181
.LBB151_1176:
                                        ; implicit-def: $vgpr13
	s_mov_b64 s[4:5], 0
	s_branch .LBB151_1187
.LBB151_1177:
	s_andn2_saveexec_b64 s[2:3], s[2:3]
	s_cbranch_execz .LBB151_1163
.LBB151_1178:
	v_cmp_ne_u16_e32 vcc, 0, v1
	s_andn2_b64 s[6:7], s[6:7], exec
	s_and_b64 s[16:17], vcc, exec
	s_or_b64 s[6:7], s[6:7], s[16:17]
	s_or_b64 exec, exec, s[2:3]
	v_mov_b32_e32 v13, 0
	s_and_saveexec_b64 s[2:3], s[6:7]
	s_cbranch_execnz .LBB151_1164
	s_branch .LBB151_1165
.LBB151_1179:
	s_mov_b64 s[2:3], -1
                                        ; implicit-def: $vgpr13
	s_branch .LBB151_1184
.LBB151_1180:
	s_mov_b64 s[2:3], -1
                                        ; implicit-def: $vgpr13
.LBB151_1181:
	s_and_b64 vcc, exec, s[2:3]
	s_cbranch_vccz .LBB151_1183
; %bb.1182:
	global_load_ubyte v1, v[15:16], off
	s_mov_b32 s2, 0x7f800000
	s_waitcnt vmcnt(0)
	v_lshlrev_b32_e32 v1, 24, v1
	v_and_b32_e32 v3, 0x7f000000, v1
	v_ffbh_u32_e32 v5, v3
	v_min_u32_e32 v5, 32, v5
	v_sub_u32_e64 v5, v5, 4 clamp
	v_lshlrev_b32_e32 v10, v5, v3
	v_lshlrev_b32_e32 v5, 23, v5
	v_lshrrev_b32_e32 v10, 4, v10
	v_add_u32_e32 v8, 0x1000000, v3
	v_sub_u32_e32 v5, v10, v5
	v_ashrrev_i32_e32 v8, 8, v8
	v_add_u32_e32 v5, 0x3c000000, v5
	v_and_or_b32 v5, v8, s2, v5
	v_cmp_ne_u32_e32 vcc, 0, v3
	v_cndmask_b32_e32 v3, 0, v5, vcc
	s_brev_b32 s2, 1
	v_and_or_b32 v1, v1, s2, v3
	v_cvt_i32_f32_e32 v13, v1
.LBB151_1183:
	s_mov_b64 s[2:3], 0
.LBB151_1184:
	s_andn2_b64 vcc, exec, s[2:3]
	s_cbranch_vccnz .LBB151_1186
; %bb.1185:
	global_load_ubyte v1, v[15:16], off
	s_movk_i32 s2, 0x7f00
	s_brev_b32 s3, 16
	s_waitcnt vmcnt(0)
	v_lshlrev_b16_e32 v3, 8, v1
	v_lshlrev_b32_e32 v1, 25, v1
	v_lshrrev_b32_e32 v5, 4, v1
	v_and_or_b32 v8, v3, s2, 0.5
	v_or_b32_e32 v5, 0x70000000, v5
	v_add_f32_e32 v8, -0.5, v8
	v_mul_f32_e32 v5, 0x7800000, v5
	v_cmp_gt_u32_e32 vcc, s3, v1
	v_bfe_i32 v3, v3, 0, 16
	v_cndmask_b32_e32 v1, v5, v8, vcc
	s_brev_b32 s2, 1
	v_and_or_b32 v1, v3, s2, v1
	v_cvt_i32_f32_e32 v13, v1
.LBB151_1186:
	s_mov_b64 s[6:7], -1
	s_mov_b64 s[4:5], 0
	s_cbranch_execnz .LBB151_1197
.LBB151_1187:
	s_cmp_gt_i32 s13, 14
	s_cbranch_scc0 .LBB151_1190
; %bb.1188:
	s_cmp_eq_u32 s13, 15
	s_cbranch_scc0 .LBB151_1193
; %bb.1189:
	global_load_ushort v1, v[15:16], off
	s_mov_b64 s[0:1], 0
	s_mov_b64 s[6:7], -1
	s_waitcnt vmcnt(0)
	v_lshlrev_b32_e32 v1, 16, v1
	v_cvt_i32_f32_e32 v13, v1
	s_branch .LBB151_1194
.LBB151_1190:
	s_mov_b64 s[2:3], -1
                                        ; implicit-def: $vgpr13
	s_branch .LBB151_1195
.LBB151_1191:
	s_andn2_saveexec_b64 s[2:3], s[2:3]
	s_cbranch_execz .LBB151_1173
.LBB151_1192:
	v_cmp_ne_u16_e32 vcc, 0, v1
	s_andn2_b64 s[4:5], s[4:5], exec
	s_and_b64 s[6:7], vcc, exec
	s_or_b64 s[4:5], s[4:5], s[6:7]
	s_or_b64 exec, exec, s[2:3]
	v_mov_b32_e32 v13, 0
	s_and_saveexec_b64 s[2:3], s[4:5]
	s_cbranch_execnz .LBB151_1174
	s_branch .LBB151_1175
.LBB151_1193:
	s_mov_b64 s[0:1], -1
                                        ; implicit-def: $vgpr13
.LBB151_1194:
	s_mov_b64 s[2:3], 0
.LBB151_1195:
	s_and_b64 vcc, exec, s[2:3]
	s_cbranch_vccz .LBB151_1197
; %bb.1196:
	s_cmp_lg_u32 s13, 11
	s_mov_b64 s[4:5], -1
	s_cselect_b64 s[0:1], -1, 0
.LBB151_1197:
	s_and_b64 vcc, exec, s[0:1]
	s_mov_b64 s[2:3], s[28:29]
	s_cbranch_vccnz .LBB151_1258
; %bb.1198:
	s_andn2_b64 vcc, exec, s[4:5]
	s_cbranch_vccnz .LBB151_1200
.LBB151_1199:
	global_load_ubyte v1, v[15:16], off
	s_mov_b64 s[6:7], -1
	s_waitcnt vmcnt(0)
	v_cmp_ne_u16_e32 vcc, 0, v1
	v_cndmask_b32_e64 v13, 0, 1, vcc
.LBB151_1200:
	s_branch .LBB151_1135
.LBB151_1201:
	s_and_b32 s4, 0xffff, s12
	s_cmp_lt_i32 s4, 5
	s_cbranch_scc1 .LBB151_1206
; %bb.1202:
	s_cmp_lt_i32 s4, 8
	s_cbranch_scc1 .LBB151_1207
; %bb.1203:
	;; [unrolled: 3-line block ×3, first 2 shown]
	s_cmp_gt_i32 s4, 9
	s_cbranch_scc0 .LBB151_1209
; %bb.1205:
	global_load_dwordx2 v[12:13], v[15:16], off
	s_mov_b64 s[0:1], 0
	s_waitcnt vmcnt(0)
	v_cvt_i32_f64_e32 v13, v[12:13]
	s_branch .LBB151_1210
.LBB151_1206:
                                        ; implicit-def: $vgpr13
	s_branch .LBB151_1227
.LBB151_1207:
                                        ; implicit-def: $vgpr13
	s_branch .LBB151_1216
.LBB151_1208:
	s_mov_b64 s[0:1], -1
                                        ; implicit-def: $vgpr13
	s_branch .LBB151_1213
.LBB151_1209:
	s_mov_b64 s[0:1], -1
                                        ; implicit-def: $vgpr13
.LBB151_1210:
	s_andn2_b64 vcc, exec, s[0:1]
	s_cbranch_vccnz .LBB151_1212
; %bb.1211:
	global_load_dword v1, v[15:16], off
	s_waitcnt vmcnt(0)
	v_cvt_i32_f32_e32 v13, v1
.LBB151_1212:
	s_mov_b64 s[0:1], 0
.LBB151_1213:
	s_andn2_b64 vcc, exec, s[0:1]
	s_cbranch_vccnz .LBB151_1215
; %bb.1214:
	global_load_dword v1, v[15:16], off
	s_waitcnt vmcnt(0)
	v_cvt_i16_f16_e32 v13, v1
.LBB151_1215:
	s_cbranch_execnz .LBB151_1226
.LBB151_1216:
	s_cmp_lt_i32 s4, 6
	s_cbranch_scc1 .LBB151_1219
; %bb.1217:
	s_cmp_gt_i32 s4, 6
	s_cbranch_scc0 .LBB151_1220
; %bb.1218:
	global_load_dwordx2 v[12:13], v[15:16], off
	s_mov_b64 s[0:1], 0
	s_waitcnt vmcnt(0)
	v_cvt_i32_f64_e32 v13, v[12:13]
	s_branch .LBB151_1221
.LBB151_1219:
	s_mov_b64 s[0:1], -1
                                        ; implicit-def: $vgpr13
	s_branch .LBB151_1224
.LBB151_1220:
	s_mov_b64 s[0:1], -1
                                        ; implicit-def: $vgpr13
.LBB151_1221:
	s_andn2_b64 vcc, exec, s[0:1]
	s_cbranch_vccnz .LBB151_1223
; %bb.1222:
	global_load_dword v1, v[15:16], off
	s_waitcnt vmcnt(0)
	v_cvt_i32_f32_e32 v13, v1
.LBB151_1223:
	s_mov_b64 s[0:1], 0
.LBB151_1224:
	s_andn2_b64 vcc, exec, s[0:1]
	s_cbranch_vccnz .LBB151_1226
; %bb.1225:
	global_load_ushort v1, v[15:16], off
	s_waitcnt vmcnt(0)
	v_cvt_i16_f16_e32 v13, v1
.LBB151_1226:
	s_cbranch_execnz .LBB151_1245
.LBB151_1227:
	s_cmp_lt_i32 s4, 2
	s_cbranch_scc1 .LBB151_1231
; %bb.1228:
	s_cmp_lt_i32 s4, 3
	s_cbranch_scc1 .LBB151_1232
; %bb.1229:
	s_cmp_gt_i32 s4, 3
	s_cbranch_scc0 .LBB151_1233
; %bb.1230:
	global_load_dwordx2 v[13:14], v[15:16], off
	s_mov_b64 s[0:1], 0
	s_branch .LBB151_1234
.LBB151_1231:
                                        ; implicit-def: $vgpr13
	s_branch .LBB151_1240
.LBB151_1232:
	s_mov_b64 s[0:1], -1
                                        ; implicit-def: $vgpr13
	s_branch .LBB151_1237
.LBB151_1233:
	s_mov_b64 s[0:1], -1
                                        ; implicit-def: $vgpr13
.LBB151_1234:
	s_andn2_b64 vcc, exec, s[0:1]
	s_cbranch_vccnz .LBB151_1236
; %bb.1235:
	global_load_dword v13, v[15:16], off
.LBB151_1236:
	s_mov_b64 s[0:1], 0
.LBB151_1237:
	s_andn2_b64 vcc, exec, s[0:1]
	s_cbranch_vccnz .LBB151_1239
; %bb.1238:
	global_load_ushort v13, v[15:16], off
.LBB151_1239:
	s_cbranch_execnz .LBB151_1245
.LBB151_1240:
	s_cmp_gt_i32 s4, 0
	s_cbranch_scc0 .LBB151_1242
; %bb.1241:
	global_load_ubyte v13, v[15:16], off
	s_mov_b64 s[0:1], 0
	s_branch .LBB151_1243
.LBB151_1242:
	s_mov_b64 s[0:1], -1
                                        ; implicit-def: $vgpr13
.LBB151_1243:
	s_andn2_b64 vcc, exec, s[0:1]
	s_cbranch_vccnz .LBB151_1245
; %bb.1244:
	global_load_ubyte v13, v[15:16], off
.LBB151_1245:
.LBB151_1246:
	v_mov_b32_e32 v1, s11
	s_and_b32 s15, 0xffff, s12
	s_waitcnt vmcnt(0)
	v_add_co_u32_e32 v14, vcc, s10, v11
	s_cmp_lt_i32 s15, 11
	v_addc_co_u32_e32 v15, vcc, 0, v1, vcc
	s_cbranch_scc1 .LBB151_1253
; %bb.1247:
	s_cmp_gt_i32 s15, 25
	s_mov_b64 s[4:5], 0
	s_cbranch_scc0 .LBB151_1255
; %bb.1248:
	s_cmp_gt_i32 s15, 28
	s_cbranch_scc0 .LBB151_1256
; %bb.1249:
	s_cmp_gt_i32 s15, 43
	;; [unrolled: 3-line block ×3, first 2 shown]
	s_cbranch_scc0 .LBB151_1259
; %bb.1251:
	s_cmp_eq_u32 s15, 46
	s_mov_b64 s[12:13], 0
	s_cbranch_scc0 .LBB151_1262
; %bb.1252:
	global_load_dword v1, v[14:15], off
	s_mov_b64 s[0:1], 0
	s_mov_b64 s[6:7], -1
	s_waitcnt vmcnt(0)
	v_lshlrev_b32_e32 v1, 16, v1
	v_cvt_i32_f32_e32 v11, v1
	s_branch .LBB151_1263
.LBB151_1253:
	s_mov_b64 s[6:7], 0
                                        ; implicit-def: $vgpr11
	s_cbranch_execnz .LBB151_1324
.LBB151_1254:
	s_andn2_b64 vcc, exec, s[6:7]
	s_cbranch_vccnz .LBB151_2055
	s_branch .LBB151_1371
.LBB151_1255:
	s_mov_b64 s[6:7], 0
	s_mov_b64 s[0:1], 0
                                        ; implicit-def: $vgpr11
	s_cbranch_execnz .LBB151_1290
	s_branch .LBB151_1320
.LBB151_1256:
	s_mov_b64 s[12:13], -1
	s_mov_b64 s[6:7], 0
	s_mov_b64 s[0:1], 0
                                        ; implicit-def: $vgpr11
	s_branch .LBB151_1273
.LBB151_1257:
	s_mov_b64 s[12:13], -1
	s_mov_b64 s[6:7], 0
	s_mov_b64 s[0:1], 0
                                        ; implicit-def: $vgpr11
	s_branch .LBB151_1268
.LBB151_1258:
	s_or_b64 s[2:3], s[28:29], exec
	s_trap 2
	s_cbranch_execz .LBB151_1199
	s_branch .LBB151_1200
.LBB151_1259:
	s_mov_b64 s[12:13], -1
	s_mov_b64 s[6:7], 0
	s_mov_b64 s[0:1], 0
                                        ; implicit-def: $vgpr11
	s_branch .LBB151_1263
.LBB151_1260:
	s_andn2_saveexec_b64 s[16:17], s[16:17]
	s_cbranch_execz .LBB151_995
.LBB151_1261:
	s_mov_b32 s20, 0x42800000
	v_add_f32_e64 v3, |v0|, s20
	v_and_b32_e32 v3, 0xff, v3
	v_cmp_ne_u32_e32 vcc, 0, v3
	s_andn2_b64 s[14:15], s[14:15], exec
	s_and_b64 s[20:21], vcc, exec
	s_or_b64 s[14:15], s[14:15], s[20:21]
	s_or_b64 exec, exec, s[16:17]
	v_mov_b32_e32 v5, 0
	s_and_saveexec_b64 s[16:17], s[14:15]
	s_cbranch_execnz .LBB151_996
	s_branch .LBB151_997
.LBB151_1262:
	s_mov_b64 s[0:1], -1
                                        ; implicit-def: $vgpr11
	s_mov_b64 s[6:7], 0
.LBB151_1263:
	s_and_b64 vcc, exec, s[12:13]
	s_cbranch_vccz .LBB151_1267
; %bb.1264:
	s_cmp_eq_u32 s15, 44
	s_cbranch_scc0 .LBB151_1266
; %bb.1265:
	global_load_ubyte v1, v[14:15], off
	s_mov_b64 s[0:1], 0
	s_mov_b64 s[6:7], -1
	s_waitcnt vmcnt(0)
	v_lshlrev_b32_e32 v3, 23, v1
	v_cvt_i32_f32_e32 v3, v3
	v_cmp_ne_u32_e32 vcc, 0, v1
	v_cndmask_b32_e32 v11, 0, v3, vcc
	s_branch .LBB151_1267
.LBB151_1266:
	s_mov_b64 s[0:1], -1
                                        ; implicit-def: $vgpr11
.LBB151_1267:
	s_mov_b64 s[12:13], 0
.LBB151_1268:
	s_and_b64 vcc, exec, s[12:13]
	s_cbranch_vccz .LBB151_1272
; %bb.1269:
	s_cmp_eq_u32 s15, 29
	s_cbranch_scc0 .LBB151_1271
; %bb.1270:
	global_load_dwordx2 v[11:12], v[14:15], off
	s_mov_b64 s[0:1], 0
	s_mov_b64 s[6:7], -1
	s_branch .LBB151_1272
.LBB151_1271:
	s_mov_b64 s[0:1], -1
                                        ; implicit-def: $vgpr11
.LBB151_1272:
	s_mov_b64 s[12:13], 0
.LBB151_1273:
	s_and_b64 vcc, exec, s[12:13]
	s_cbranch_vccz .LBB151_1289
; %bb.1274:
	s_cmp_lt_i32 s15, 27
	s_cbranch_scc1 .LBB151_1277
; %bb.1275:
	s_cmp_gt_i32 s15, 27
	s_cbranch_scc0 .LBB151_1278
; %bb.1276:
	global_load_dword v11, v[14:15], off
	s_mov_b64 s[6:7], 0
	s_branch .LBB151_1279
.LBB151_1277:
	s_mov_b64 s[6:7], -1
                                        ; implicit-def: $vgpr11
	s_branch .LBB151_1282
.LBB151_1278:
	s_mov_b64 s[6:7], -1
                                        ; implicit-def: $vgpr11
.LBB151_1279:
	s_andn2_b64 vcc, exec, s[6:7]
	s_cbranch_vccnz .LBB151_1281
; %bb.1280:
	global_load_ushort v11, v[14:15], off
.LBB151_1281:
	s_mov_b64 s[6:7], 0
.LBB151_1282:
	s_andn2_b64 vcc, exec, s[6:7]
	s_cbranch_vccnz .LBB151_1288
; %bb.1283:
	global_load_ubyte v1, v[14:15], off
	s_movk_i32 s6, 0x7f
	s_mov_b64 s[12:13], 0
	s_waitcnt vmcnt(0)
	v_cmp_lt_i16_e32 vcc, s6, v1
	s_and_saveexec_b64 s[6:7], vcc
	s_xor_b64 s[6:7], exec, s[6:7]
	s_cbranch_execz .LBB151_1299
; %bb.1284:
	s_movk_i32 s12, 0x80
	v_cmp_ne_u16_e32 vcc, s12, v1
	s_and_b64 s[12:13], vcc, exec
	s_andn2_saveexec_b64 s[6:7], s[6:7]
	s_cbranch_execnz .LBB151_1300
.LBB151_1285:
	s_or_b64 exec, exec, s[6:7]
	v_mov_b32_e32 v11, 0
	s_and_saveexec_b64 s[6:7], s[12:13]
	s_cbranch_execz .LBB151_1287
.LBB151_1286:
	v_lshlrev_b32_e32 v3, 24, v1
	v_and_b32_e32 v1, 0xffff, v1
	v_and_b32_e32 v5, 7, v1
	v_ffbh_u32_e32 v10, v5
	v_min_u32_e32 v10, 32, v10
	v_subrev_u32_e32 v11, 28, v10
	v_bfe_u32 v8, v1, 3, 4
	v_lshlrev_b32_e32 v1, v11, v1
	v_sub_u32_e32 v10, 29, v10
	v_and_b32_e32 v1, 7, v1
	v_cmp_eq_u32_e32 vcc, 0, v8
	v_cndmask_b32_e32 v8, v8, v10, vcc
	v_cndmask_b32_e32 v1, v5, v1, vcc
	v_mov_b32_e32 v5, 0x3b800000
	v_lshlrev_b32_e32 v1, 20, v1
	v_and_b32_e32 v3, 0x80000000, v3
	v_lshl_add_u32 v5, v8, 23, v5
	v_or3_b32 v1, v3, v5, v1
	v_cvt_i32_f32_e32 v11, v1
.LBB151_1287:
	s_or_b64 exec, exec, s[6:7]
.LBB151_1288:
	s_mov_b64 s[6:7], -1
.LBB151_1289:
	s_branch .LBB151_1320
.LBB151_1290:
	s_cmp_gt_i32 s15, 22
	s_cbranch_scc0 .LBB151_1298
; %bb.1291:
	s_cmp_lt_i32 s15, 24
	s_cbranch_scc1 .LBB151_1301
; %bb.1292:
	s_cmp_gt_i32 s15, 24
	s_cbranch_scc0 .LBB151_1302
; %bb.1293:
	global_load_ubyte v1, v[14:15], off
	s_movk_i32 s4, 0x7f
	s_mov_b64 s[6:7], 0
	s_waitcnt vmcnt(0)
	v_cmp_lt_i16_e32 vcc, s4, v1
	s_and_saveexec_b64 s[4:5], vcc
	s_xor_b64 s[4:5], exec, s[4:5]
	s_cbranch_execz .LBB151_1314
; %bb.1294:
	s_movk_i32 s6, 0x80
	v_cmp_ne_u16_e32 vcc, s6, v1
	s_and_b64 s[6:7], vcc, exec
	s_andn2_saveexec_b64 s[4:5], s[4:5]
	s_cbranch_execnz .LBB151_1315
.LBB151_1295:
	s_or_b64 exec, exec, s[4:5]
	v_mov_b32_e32 v11, 0
	s_and_saveexec_b64 s[4:5], s[6:7]
	s_cbranch_execz .LBB151_1297
.LBB151_1296:
	v_lshlrev_b32_e32 v3, 24, v1
	v_and_b32_e32 v1, 0xffff, v1
	v_and_b32_e32 v5, 3, v1
	v_ffbh_u32_e32 v10, v5
	v_min_u32_e32 v10, 32, v10
	v_subrev_u32_e32 v11, 29, v10
	v_bfe_u32 v8, v1, 2, 5
	v_lshlrev_b32_e32 v1, v11, v1
	v_sub_u32_e32 v10, 30, v10
	v_and_b32_e32 v1, 3, v1
	v_cmp_eq_u32_e32 vcc, 0, v8
	v_cndmask_b32_e32 v8, v8, v10, vcc
	v_cndmask_b32_e32 v1, v5, v1, vcc
	v_mov_b32_e32 v5, 0x37800000
	v_lshlrev_b32_e32 v1, 21, v1
	v_and_b32_e32 v3, 0x80000000, v3
	v_lshl_add_u32 v5, v8, 23, v5
	v_or3_b32 v1, v3, v5, v1
	v_cvt_i32_f32_e32 v11, v1
.LBB151_1297:
	s_or_b64 exec, exec, s[4:5]
	s_mov_b64 s[4:5], 0
	s_branch .LBB151_1303
.LBB151_1298:
	s_mov_b64 s[4:5], -1
                                        ; implicit-def: $vgpr11
	s_branch .LBB151_1309
.LBB151_1299:
	s_andn2_saveexec_b64 s[6:7], s[6:7]
	s_cbranch_execz .LBB151_1285
.LBB151_1300:
	v_cmp_ne_u16_e32 vcc, 0, v1
	s_andn2_b64 s[12:13], s[12:13], exec
	s_and_b64 s[16:17], vcc, exec
	s_or_b64 s[12:13], s[12:13], s[16:17]
	s_or_b64 exec, exec, s[6:7]
	v_mov_b32_e32 v11, 0
	s_and_saveexec_b64 s[6:7], s[12:13]
	s_cbranch_execnz .LBB151_1286
	s_branch .LBB151_1287
.LBB151_1301:
	s_mov_b64 s[4:5], -1
                                        ; implicit-def: $vgpr11
	s_branch .LBB151_1306
.LBB151_1302:
	s_mov_b64 s[4:5], -1
                                        ; implicit-def: $vgpr11
.LBB151_1303:
	s_and_b64 vcc, exec, s[4:5]
	s_cbranch_vccz .LBB151_1305
; %bb.1304:
	global_load_ubyte v1, v[14:15], off
	s_mov_b32 s4, 0x7f800000
	s_waitcnt vmcnt(0)
	v_lshlrev_b32_e32 v1, 24, v1
	v_and_b32_e32 v3, 0x7f000000, v1
	v_ffbh_u32_e32 v5, v3
	v_min_u32_e32 v5, 32, v5
	v_sub_u32_e64 v5, v5, 4 clamp
	v_lshlrev_b32_e32 v10, v5, v3
	v_lshlrev_b32_e32 v5, 23, v5
	v_lshrrev_b32_e32 v10, 4, v10
	v_add_u32_e32 v8, 0x1000000, v3
	v_sub_u32_e32 v5, v10, v5
	v_ashrrev_i32_e32 v8, 8, v8
	v_add_u32_e32 v5, 0x3c000000, v5
	v_and_or_b32 v5, v8, s4, v5
	v_cmp_ne_u32_e32 vcc, 0, v3
	v_cndmask_b32_e32 v3, 0, v5, vcc
	s_brev_b32 s4, 1
	v_and_or_b32 v1, v1, s4, v3
	v_cvt_i32_f32_e32 v11, v1
.LBB151_1305:
	s_mov_b64 s[4:5], 0
.LBB151_1306:
	s_andn2_b64 vcc, exec, s[4:5]
	s_cbranch_vccnz .LBB151_1308
; %bb.1307:
	global_load_ubyte v1, v[14:15], off
	s_movk_i32 s4, 0x7f00
	s_brev_b32 s5, 16
	s_waitcnt vmcnt(0)
	v_lshlrev_b16_e32 v3, 8, v1
	v_lshlrev_b32_e32 v1, 25, v1
	v_lshrrev_b32_e32 v5, 4, v1
	v_and_or_b32 v8, v3, s4, 0.5
	v_or_b32_e32 v5, 0x70000000, v5
	v_add_f32_e32 v8, -0.5, v8
	v_mul_f32_e32 v5, 0x7800000, v5
	v_cmp_gt_u32_e32 vcc, s5, v1
	v_bfe_i32 v3, v3, 0, 16
	v_cndmask_b32_e32 v1, v5, v8, vcc
	s_brev_b32 s4, 1
	v_and_or_b32 v1, v3, s4, v1
	v_cvt_i32_f32_e32 v11, v1
.LBB151_1308:
	s_mov_b64 s[4:5], 0
	s_mov_b64 s[6:7], -1
.LBB151_1309:
	s_andn2_b64 vcc, exec, s[4:5]
	s_mov_b64 s[4:5], 0
	s_cbranch_vccnz .LBB151_1320
; %bb.1310:
	s_cmp_gt_i32 s15, 14
	s_cbranch_scc0 .LBB151_1313
; %bb.1311:
	s_cmp_eq_u32 s15, 15
	s_cbranch_scc0 .LBB151_1316
; %bb.1312:
	global_load_ushort v1, v[14:15], off
	s_mov_b64 s[0:1], 0
	s_mov_b64 s[6:7], -1
	s_waitcnt vmcnt(0)
	v_lshlrev_b32_e32 v1, 16, v1
	v_cvt_i32_f32_e32 v11, v1
	s_branch .LBB151_1317
.LBB151_1313:
	s_mov_b64 s[12:13], -1
                                        ; implicit-def: $vgpr11
	s_branch .LBB151_1318
.LBB151_1314:
	s_andn2_saveexec_b64 s[4:5], s[4:5]
	s_cbranch_execz .LBB151_1295
.LBB151_1315:
	v_cmp_ne_u16_e32 vcc, 0, v1
	s_andn2_b64 s[6:7], s[6:7], exec
	s_and_b64 s[12:13], vcc, exec
	s_or_b64 s[6:7], s[6:7], s[12:13]
	s_or_b64 exec, exec, s[4:5]
	v_mov_b32_e32 v11, 0
	s_and_saveexec_b64 s[4:5], s[6:7]
	s_cbranch_execnz .LBB151_1296
	s_branch .LBB151_1297
.LBB151_1316:
	s_mov_b64 s[0:1], -1
                                        ; implicit-def: $vgpr11
.LBB151_1317:
	s_mov_b64 s[12:13], 0
.LBB151_1318:
	s_and_b64 vcc, exec, s[12:13]
	s_cbranch_vccz .LBB151_1320
; %bb.1319:
	s_cmp_lg_u32 s15, 11
	s_mov_b64 s[4:5], -1
	s_cselect_b64 s[0:1], -1, 0
.LBB151_1320:
	s_and_b64 vcc, exec, s[0:1]
	s_cbranch_vccnz .LBB151_1383
; %bb.1321:
	s_andn2_b64 vcc, exec, s[4:5]
	s_cbranch_vccnz .LBB151_1323
.LBB151_1322:
	global_load_ubyte v1, v[14:15], off
	s_mov_b64 s[6:7], -1
	s_waitcnt vmcnt(0)
	v_cmp_ne_u16_e32 vcc, 0, v1
	v_cndmask_b32_e64 v11, 0, 1, vcc
.LBB151_1323:
	s_branch .LBB151_1254
.LBB151_1324:
	s_cmp_lt_i32 s15, 5
	s_cbranch_scc1 .LBB151_1329
; %bb.1325:
	s_cmp_lt_i32 s15, 8
	s_cbranch_scc1 .LBB151_1330
; %bb.1326:
	;; [unrolled: 3-line block ×3, first 2 shown]
	s_cmp_gt_i32 s15, 9
	s_cbranch_scc0 .LBB151_1332
; %bb.1328:
	global_load_dwordx2 v[10:11], v[14:15], off
	s_mov_b64 s[0:1], 0
	s_waitcnt vmcnt(0)
	v_cvt_i32_f64_e32 v11, v[10:11]
	s_branch .LBB151_1333
.LBB151_1329:
                                        ; implicit-def: $vgpr11
	s_branch .LBB151_1351
.LBB151_1330:
	s_mov_b64 s[0:1], -1
                                        ; implicit-def: $vgpr11
	s_branch .LBB151_1339
.LBB151_1331:
	s_mov_b64 s[0:1], -1
                                        ; implicit-def: $vgpr11
	s_branch .LBB151_1336
.LBB151_1332:
	s_mov_b64 s[0:1], -1
                                        ; implicit-def: $vgpr11
.LBB151_1333:
	s_andn2_b64 vcc, exec, s[0:1]
	s_cbranch_vccnz .LBB151_1335
; %bb.1334:
	global_load_dword v1, v[14:15], off
	s_waitcnt vmcnt(0)
	v_cvt_i32_f32_e32 v11, v1
.LBB151_1335:
	s_mov_b64 s[0:1], 0
.LBB151_1336:
	s_andn2_b64 vcc, exec, s[0:1]
	s_cbranch_vccnz .LBB151_1338
; %bb.1337:
	global_load_dword v1, v[14:15], off
	s_waitcnt vmcnt(0)
	v_cvt_i16_f16_e32 v11, v1
.LBB151_1338:
	s_mov_b64 s[0:1], 0
.LBB151_1339:
	s_andn2_b64 vcc, exec, s[0:1]
	s_cbranch_vccnz .LBB151_1350
; %bb.1340:
	s_cmp_lt_i32 s15, 6
	s_cbranch_scc1 .LBB151_1343
; %bb.1341:
	s_cmp_gt_i32 s15, 6
	s_cbranch_scc0 .LBB151_1344
; %bb.1342:
	global_load_dwordx2 v[10:11], v[14:15], off
	s_mov_b64 s[0:1], 0
	s_waitcnt vmcnt(0)
	v_cvt_i32_f64_e32 v11, v[10:11]
	s_branch .LBB151_1345
.LBB151_1343:
	s_mov_b64 s[0:1], -1
                                        ; implicit-def: $vgpr11
	s_branch .LBB151_1348
.LBB151_1344:
	s_mov_b64 s[0:1], -1
                                        ; implicit-def: $vgpr11
.LBB151_1345:
	s_andn2_b64 vcc, exec, s[0:1]
	s_cbranch_vccnz .LBB151_1347
; %bb.1346:
	global_load_dword v1, v[14:15], off
	s_waitcnt vmcnt(0)
	v_cvt_i32_f32_e32 v11, v1
.LBB151_1347:
	s_mov_b64 s[0:1], 0
.LBB151_1348:
	s_andn2_b64 vcc, exec, s[0:1]
	s_cbranch_vccnz .LBB151_1350
; %bb.1349:
	global_load_ushort v1, v[14:15], off
	s_waitcnt vmcnt(0)
	v_cvt_i16_f16_e32 v11, v1
.LBB151_1350:
	s_cbranch_execnz .LBB151_1370
.LBB151_1351:
	s_cmp_lt_i32 s15, 2
	s_cbranch_scc1 .LBB151_1355
; %bb.1352:
	s_cmp_lt_i32 s15, 3
	s_cbranch_scc1 .LBB151_1356
; %bb.1353:
	s_cmp_gt_i32 s15, 3
	s_cbranch_scc0 .LBB151_1357
; %bb.1354:
	global_load_dwordx2 v[11:12], v[14:15], off
	s_mov_b64 s[0:1], 0
	s_branch .LBB151_1358
.LBB151_1355:
	s_mov_b64 s[0:1], -1
                                        ; implicit-def: $vgpr11
	s_branch .LBB151_1364
.LBB151_1356:
	s_mov_b64 s[0:1], -1
                                        ; implicit-def: $vgpr11
	s_branch .LBB151_1361
.LBB151_1357:
	s_mov_b64 s[0:1], -1
                                        ; implicit-def: $vgpr11
.LBB151_1358:
	s_andn2_b64 vcc, exec, s[0:1]
	s_cbranch_vccnz .LBB151_1360
; %bb.1359:
	global_load_dword v11, v[14:15], off
.LBB151_1360:
	s_mov_b64 s[0:1], 0
.LBB151_1361:
	s_andn2_b64 vcc, exec, s[0:1]
	s_cbranch_vccnz .LBB151_1363
; %bb.1362:
	global_load_ushort v11, v[14:15], off
.LBB151_1363:
	s_mov_b64 s[0:1], 0
.LBB151_1364:
	s_andn2_b64 vcc, exec, s[0:1]
	s_cbranch_vccnz .LBB151_1370
; %bb.1365:
	s_cmp_gt_i32 s15, 0
	s_cbranch_scc0 .LBB151_1367
; %bb.1366:
	global_load_ubyte v11, v[14:15], off
	s_mov_b64 s[0:1], 0
	s_branch .LBB151_1368
.LBB151_1367:
	s_mov_b64 s[0:1], -1
                                        ; implicit-def: $vgpr11
.LBB151_1368:
	s_andn2_b64 vcc, exec, s[0:1]
	s_cbranch_vccnz .LBB151_1370
; %bb.1369:
	global_load_ubyte v11, v[14:15], off
.LBB151_1370:
.LBB151_1371:
	v_mov_b32_e32 v1, s11
	v_add_co_u32_e32 v14, vcc, s10, v9
	s_cmp_lt_i32 s15, 11
	v_addc_co_u32_e32 v15, vcc, 0, v1, vcc
	s_cbranch_scc1 .LBB151_1378
; %bb.1372:
	s_cmp_gt_i32 s15, 25
	s_mov_b64 s[4:5], 0
	s_cbranch_scc0 .LBB151_1380
; %bb.1373:
	s_cmp_gt_i32 s15, 28
	s_cbranch_scc0 .LBB151_1381
; %bb.1374:
	s_cmp_gt_i32 s15, 43
	;; [unrolled: 3-line block ×3, first 2 shown]
	s_cbranch_scc0 .LBB151_1384
; %bb.1376:
	s_cmp_eq_u32 s15, 46
	s_mov_b64 s[12:13], 0
	s_cbranch_scc0 .LBB151_1385
; %bb.1377:
	global_load_dword v1, v[14:15], off
	s_mov_b64 s[0:1], 0
	s_mov_b64 s[6:7], -1
	s_waitcnt vmcnt(0)
	v_lshlrev_b32_e32 v1, 16, v1
	v_cvt_i32_f32_e32 v9, v1
	s_branch .LBB151_1386
.LBB151_1378:
	s_mov_b64 s[6:7], 0
                                        ; implicit-def: $vgpr9
	s_cbranch_execnz .LBB151_1448
.LBB151_1379:
	s_andn2_b64 vcc, exec, s[6:7]
	s_cbranch_vccnz .LBB151_2055
	s_branch .LBB151_1496
.LBB151_1380:
	s_mov_b64 s[12:13], -1
	s_mov_b64 s[6:7], 0
	s_mov_b64 s[0:1], 0
                                        ; implicit-def: $vgpr9
	s_branch .LBB151_1413
.LBB151_1381:
	s_mov_b64 s[12:13], -1
	s_mov_b64 s[6:7], 0
	s_mov_b64 s[0:1], 0
                                        ; implicit-def: $vgpr9
	s_branch .LBB151_1396
.LBB151_1382:
	s_mov_b64 s[12:13], -1
	s_mov_b64 s[6:7], 0
	s_mov_b64 s[0:1], 0
                                        ; implicit-def: $vgpr9
	s_branch .LBB151_1391
.LBB151_1383:
	s_trap 2
	s_or_b64 s[2:3], s[2:3], exec
	s_cbranch_execz .LBB151_1322
	s_branch .LBB151_1323
.LBB151_1384:
	s_mov_b64 s[12:13], -1
	s_mov_b64 s[6:7], 0
	s_mov_b64 s[0:1], 0
                                        ; implicit-def: $vgpr9
	s_branch .LBB151_1386
.LBB151_1385:
	s_mov_b64 s[0:1], -1
                                        ; implicit-def: $vgpr9
	s_mov_b64 s[6:7], 0
.LBB151_1386:
	s_and_b64 vcc, exec, s[12:13]
	s_cbranch_vccz .LBB151_1390
; %bb.1387:
	s_cmp_eq_u32 s15, 44
	s_cbranch_scc0 .LBB151_1389
; %bb.1388:
	global_load_ubyte v1, v[14:15], off
	s_mov_b64 s[0:1], 0
	s_mov_b64 s[6:7], -1
	s_waitcnt vmcnt(0)
	v_lshlrev_b32_e32 v3, 23, v1
	v_cvt_i32_f32_e32 v3, v3
	v_cmp_ne_u32_e32 vcc, 0, v1
	v_cndmask_b32_e32 v9, 0, v3, vcc
	s_branch .LBB151_1390
.LBB151_1389:
	s_mov_b64 s[0:1], -1
                                        ; implicit-def: $vgpr9
.LBB151_1390:
	s_mov_b64 s[12:13], 0
.LBB151_1391:
	s_and_b64 vcc, exec, s[12:13]
	s_cbranch_vccz .LBB151_1395
; %bb.1392:
	s_cmp_eq_u32 s15, 29
	s_cbranch_scc0 .LBB151_1394
; %bb.1393:
	global_load_dwordx2 v[9:10], v[14:15], off
	s_mov_b64 s[0:1], 0
	s_mov_b64 s[6:7], -1
	s_branch .LBB151_1395
.LBB151_1394:
	s_mov_b64 s[0:1], -1
                                        ; implicit-def: $vgpr9
.LBB151_1395:
	s_mov_b64 s[12:13], 0
.LBB151_1396:
	s_and_b64 vcc, exec, s[12:13]
	s_cbranch_vccz .LBB151_1412
; %bb.1397:
	s_cmp_lt_i32 s15, 27
	s_cbranch_scc1 .LBB151_1400
; %bb.1398:
	s_cmp_gt_i32 s15, 27
	s_cbranch_scc0 .LBB151_1401
; %bb.1399:
	global_load_dword v9, v[14:15], off
	s_mov_b64 s[6:7], 0
	s_branch .LBB151_1402
.LBB151_1400:
	s_mov_b64 s[6:7], -1
                                        ; implicit-def: $vgpr9
	s_branch .LBB151_1405
.LBB151_1401:
	s_mov_b64 s[6:7], -1
                                        ; implicit-def: $vgpr9
.LBB151_1402:
	s_andn2_b64 vcc, exec, s[6:7]
	s_cbranch_vccnz .LBB151_1404
; %bb.1403:
	global_load_ushort v9, v[14:15], off
.LBB151_1404:
	s_mov_b64 s[6:7], 0
.LBB151_1405:
	s_andn2_b64 vcc, exec, s[6:7]
	s_cbranch_vccnz .LBB151_1411
; %bb.1406:
	global_load_ubyte v1, v[14:15], off
	s_movk_i32 s6, 0x7f
	s_mov_b64 s[12:13], 0
	s_waitcnt vmcnt(0)
	v_cmp_lt_i16_e32 vcc, s6, v1
	s_and_saveexec_b64 s[6:7], vcc
	s_xor_b64 s[6:7], exec, s[6:7]
	s_cbranch_execz .LBB151_1423
; %bb.1407:
	s_movk_i32 s12, 0x80
	v_cmp_ne_u16_e32 vcc, s12, v1
	s_and_b64 s[12:13], vcc, exec
	s_andn2_saveexec_b64 s[6:7], s[6:7]
	s_cbranch_execnz .LBB151_1424
.LBB151_1408:
	s_or_b64 exec, exec, s[6:7]
	v_mov_b32_e32 v9, 0
	s_and_saveexec_b64 s[6:7], s[12:13]
	s_cbranch_execz .LBB151_1410
.LBB151_1409:
	v_lshlrev_b32_e32 v3, 24, v1
	v_and_b32_e32 v1, 0xffff, v1
	v_and_b32_e32 v5, 7, v1
	v_ffbh_u32_e32 v9, v5
	v_min_u32_e32 v9, 32, v9
	v_subrev_u32_e32 v10, 28, v9
	v_bfe_u32 v8, v1, 3, 4
	v_lshlrev_b32_e32 v1, v10, v1
	v_sub_u32_e32 v9, 29, v9
	v_and_b32_e32 v1, 7, v1
	v_cmp_eq_u32_e32 vcc, 0, v8
	v_cndmask_b32_e32 v8, v8, v9, vcc
	v_cndmask_b32_e32 v1, v5, v1, vcc
	v_mov_b32_e32 v5, 0x3b800000
	v_lshlrev_b32_e32 v1, 20, v1
	v_and_b32_e32 v3, 0x80000000, v3
	v_lshl_add_u32 v5, v8, 23, v5
	v_or3_b32 v1, v3, v5, v1
	v_cvt_i32_f32_e32 v9, v1
.LBB151_1410:
	s_or_b64 exec, exec, s[6:7]
.LBB151_1411:
	s_mov_b64 s[6:7], -1
.LBB151_1412:
	s_mov_b64 s[12:13], 0
.LBB151_1413:
	s_and_b64 vcc, exec, s[12:13]
	s_cbranch_vccz .LBB151_1444
; %bb.1414:
	s_cmp_gt_i32 s15, 22
	s_cbranch_scc0 .LBB151_1422
; %bb.1415:
	s_cmp_lt_i32 s15, 24
	s_cbranch_scc1 .LBB151_1425
; %bb.1416:
	s_cmp_gt_i32 s15, 24
	s_cbranch_scc0 .LBB151_1426
; %bb.1417:
	global_load_ubyte v1, v[14:15], off
	s_movk_i32 s4, 0x7f
	s_mov_b64 s[6:7], 0
	s_waitcnt vmcnt(0)
	v_cmp_lt_i16_e32 vcc, s4, v1
	s_and_saveexec_b64 s[4:5], vcc
	s_xor_b64 s[4:5], exec, s[4:5]
	s_cbranch_execz .LBB151_1438
; %bb.1418:
	s_movk_i32 s6, 0x80
	v_cmp_ne_u16_e32 vcc, s6, v1
	s_and_b64 s[6:7], vcc, exec
	s_andn2_saveexec_b64 s[4:5], s[4:5]
	s_cbranch_execnz .LBB151_1439
.LBB151_1419:
	s_or_b64 exec, exec, s[4:5]
	v_mov_b32_e32 v9, 0
	s_and_saveexec_b64 s[4:5], s[6:7]
	s_cbranch_execz .LBB151_1421
.LBB151_1420:
	v_lshlrev_b32_e32 v3, 24, v1
	v_and_b32_e32 v1, 0xffff, v1
	v_and_b32_e32 v5, 3, v1
	v_ffbh_u32_e32 v9, v5
	v_min_u32_e32 v9, 32, v9
	v_subrev_u32_e32 v10, 29, v9
	v_bfe_u32 v8, v1, 2, 5
	v_lshlrev_b32_e32 v1, v10, v1
	v_sub_u32_e32 v9, 30, v9
	v_and_b32_e32 v1, 3, v1
	v_cmp_eq_u32_e32 vcc, 0, v8
	v_cndmask_b32_e32 v8, v8, v9, vcc
	v_cndmask_b32_e32 v1, v5, v1, vcc
	v_mov_b32_e32 v5, 0x37800000
	v_lshlrev_b32_e32 v1, 21, v1
	v_and_b32_e32 v3, 0x80000000, v3
	v_lshl_add_u32 v5, v8, 23, v5
	v_or3_b32 v1, v3, v5, v1
	v_cvt_i32_f32_e32 v9, v1
.LBB151_1421:
	s_or_b64 exec, exec, s[4:5]
	s_mov_b64 s[4:5], 0
	s_branch .LBB151_1427
.LBB151_1422:
	s_mov_b64 s[4:5], -1
                                        ; implicit-def: $vgpr9
	s_branch .LBB151_1433
.LBB151_1423:
	s_andn2_saveexec_b64 s[6:7], s[6:7]
	s_cbranch_execz .LBB151_1408
.LBB151_1424:
	v_cmp_ne_u16_e32 vcc, 0, v1
	s_andn2_b64 s[12:13], s[12:13], exec
	s_and_b64 s[16:17], vcc, exec
	s_or_b64 s[12:13], s[12:13], s[16:17]
	s_or_b64 exec, exec, s[6:7]
	v_mov_b32_e32 v9, 0
	s_and_saveexec_b64 s[6:7], s[12:13]
	s_cbranch_execnz .LBB151_1409
	s_branch .LBB151_1410
.LBB151_1425:
	s_mov_b64 s[4:5], -1
                                        ; implicit-def: $vgpr9
	s_branch .LBB151_1430
.LBB151_1426:
	s_mov_b64 s[4:5], -1
                                        ; implicit-def: $vgpr9
.LBB151_1427:
	s_and_b64 vcc, exec, s[4:5]
	s_cbranch_vccz .LBB151_1429
; %bb.1428:
	global_load_ubyte v1, v[14:15], off
	s_mov_b32 s4, 0x7f800000
	s_waitcnt vmcnt(0)
	v_lshlrev_b32_e32 v1, 24, v1
	v_and_b32_e32 v3, 0x7f000000, v1
	v_ffbh_u32_e32 v5, v3
	v_min_u32_e32 v5, 32, v5
	v_sub_u32_e64 v5, v5, 4 clamp
	v_lshlrev_b32_e32 v9, v5, v3
	v_lshlrev_b32_e32 v5, 23, v5
	v_lshrrev_b32_e32 v9, 4, v9
	v_add_u32_e32 v8, 0x1000000, v3
	v_sub_u32_e32 v5, v9, v5
	v_ashrrev_i32_e32 v8, 8, v8
	v_add_u32_e32 v5, 0x3c000000, v5
	v_and_or_b32 v5, v8, s4, v5
	v_cmp_ne_u32_e32 vcc, 0, v3
	v_cndmask_b32_e32 v3, 0, v5, vcc
	s_brev_b32 s4, 1
	v_and_or_b32 v1, v1, s4, v3
	v_cvt_i32_f32_e32 v9, v1
.LBB151_1429:
	s_mov_b64 s[4:5], 0
.LBB151_1430:
	s_andn2_b64 vcc, exec, s[4:5]
	s_cbranch_vccnz .LBB151_1432
; %bb.1431:
	global_load_ubyte v1, v[14:15], off
	s_movk_i32 s4, 0x7f00
	s_brev_b32 s5, 16
	s_waitcnt vmcnt(0)
	v_lshlrev_b16_e32 v3, 8, v1
	v_lshlrev_b32_e32 v1, 25, v1
	v_lshrrev_b32_e32 v5, 4, v1
	v_and_or_b32 v8, v3, s4, 0.5
	v_or_b32_e32 v5, 0x70000000, v5
	v_add_f32_e32 v8, -0.5, v8
	v_mul_f32_e32 v5, 0x7800000, v5
	v_cmp_gt_u32_e32 vcc, s5, v1
	v_bfe_i32 v3, v3, 0, 16
	v_cndmask_b32_e32 v1, v5, v8, vcc
	s_brev_b32 s4, 1
	v_and_or_b32 v1, v3, s4, v1
	v_cvt_i32_f32_e32 v9, v1
.LBB151_1432:
	s_mov_b64 s[4:5], 0
	s_mov_b64 s[6:7], -1
.LBB151_1433:
	s_andn2_b64 vcc, exec, s[4:5]
	s_mov_b64 s[4:5], 0
	s_cbranch_vccnz .LBB151_1444
; %bb.1434:
	s_cmp_gt_i32 s15, 14
	s_cbranch_scc0 .LBB151_1437
; %bb.1435:
	s_cmp_eq_u32 s15, 15
	s_cbranch_scc0 .LBB151_1440
; %bb.1436:
	global_load_ushort v1, v[14:15], off
	s_mov_b64 s[0:1], 0
	s_mov_b64 s[6:7], -1
	s_waitcnt vmcnt(0)
	v_lshlrev_b32_e32 v1, 16, v1
	v_cvt_i32_f32_e32 v9, v1
	s_branch .LBB151_1441
.LBB151_1437:
	s_mov_b64 s[12:13], -1
                                        ; implicit-def: $vgpr9
	s_branch .LBB151_1442
.LBB151_1438:
	s_andn2_saveexec_b64 s[4:5], s[4:5]
	s_cbranch_execz .LBB151_1419
.LBB151_1439:
	v_cmp_ne_u16_e32 vcc, 0, v1
	s_andn2_b64 s[6:7], s[6:7], exec
	s_and_b64 s[12:13], vcc, exec
	s_or_b64 s[6:7], s[6:7], s[12:13]
	s_or_b64 exec, exec, s[4:5]
	v_mov_b32_e32 v9, 0
	s_and_saveexec_b64 s[4:5], s[6:7]
	s_cbranch_execnz .LBB151_1420
	s_branch .LBB151_1421
.LBB151_1440:
	s_mov_b64 s[0:1], -1
                                        ; implicit-def: $vgpr9
.LBB151_1441:
	s_mov_b64 s[12:13], 0
.LBB151_1442:
	s_and_b64 vcc, exec, s[12:13]
	s_cbranch_vccz .LBB151_1444
; %bb.1443:
	s_cmp_lg_u32 s15, 11
	s_mov_b64 s[4:5], -1
	s_cselect_b64 s[0:1], -1, 0
.LBB151_1444:
	s_and_b64 vcc, exec, s[0:1]
	s_cbranch_vccnz .LBB151_1507
; %bb.1445:
	s_andn2_b64 vcc, exec, s[4:5]
	s_cbranch_vccnz .LBB151_1447
.LBB151_1446:
	global_load_ubyte v1, v[14:15], off
	s_mov_b64 s[6:7], -1
	s_waitcnt vmcnt(0)
	v_cmp_ne_u16_e32 vcc, 0, v1
	v_cndmask_b32_e64 v9, 0, 1, vcc
.LBB151_1447:
	s_branch .LBB151_1379
.LBB151_1448:
	s_cmp_lt_i32 s15, 5
	s_cbranch_scc1 .LBB151_1453
; %bb.1449:
	s_cmp_lt_i32 s15, 8
	s_cbranch_scc1 .LBB151_1454
; %bb.1450:
	;; [unrolled: 3-line block ×3, first 2 shown]
	s_cmp_gt_i32 s15, 9
	s_cbranch_scc0 .LBB151_1456
; %bb.1452:
	global_load_dwordx2 v[8:9], v[14:15], off
	s_mov_b64 s[0:1], 0
	s_waitcnt vmcnt(0)
	v_cvt_i32_f64_e32 v9, v[8:9]
	s_branch .LBB151_1457
.LBB151_1453:
	s_mov_b64 s[0:1], -1
                                        ; implicit-def: $vgpr9
	s_branch .LBB151_1475
.LBB151_1454:
	s_mov_b64 s[0:1], -1
                                        ; implicit-def: $vgpr9
	s_branch .LBB151_1463
.LBB151_1455:
	s_mov_b64 s[0:1], -1
                                        ; implicit-def: $vgpr9
	s_branch .LBB151_1460
.LBB151_1456:
	s_mov_b64 s[0:1], -1
                                        ; implicit-def: $vgpr9
.LBB151_1457:
	s_andn2_b64 vcc, exec, s[0:1]
	s_cbranch_vccnz .LBB151_1459
; %bb.1458:
	global_load_dword v1, v[14:15], off
	s_waitcnt vmcnt(0)
	v_cvt_i32_f32_e32 v9, v1
.LBB151_1459:
	s_mov_b64 s[0:1], 0
.LBB151_1460:
	s_andn2_b64 vcc, exec, s[0:1]
	s_cbranch_vccnz .LBB151_1462
; %bb.1461:
	global_load_dword v1, v[14:15], off
	s_waitcnt vmcnt(0)
	v_cvt_i16_f16_e32 v9, v1
.LBB151_1462:
	s_mov_b64 s[0:1], 0
.LBB151_1463:
	s_andn2_b64 vcc, exec, s[0:1]
	s_cbranch_vccnz .LBB151_1474
; %bb.1464:
	s_cmp_lt_i32 s15, 6
	s_cbranch_scc1 .LBB151_1467
; %bb.1465:
	s_cmp_gt_i32 s15, 6
	s_cbranch_scc0 .LBB151_1468
; %bb.1466:
	global_load_dwordx2 v[8:9], v[14:15], off
	s_mov_b64 s[0:1], 0
	s_waitcnt vmcnt(0)
	v_cvt_i32_f64_e32 v9, v[8:9]
	s_branch .LBB151_1469
.LBB151_1467:
	s_mov_b64 s[0:1], -1
                                        ; implicit-def: $vgpr9
	s_branch .LBB151_1472
.LBB151_1468:
	s_mov_b64 s[0:1], -1
                                        ; implicit-def: $vgpr9
.LBB151_1469:
	s_andn2_b64 vcc, exec, s[0:1]
	s_cbranch_vccnz .LBB151_1471
; %bb.1470:
	global_load_dword v1, v[14:15], off
	s_waitcnt vmcnt(0)
	v_cvt_i32_f32_e32 v9, v1
.LBB151_1471:
	s_mov_b64 s[0:1], 0
.LBB151_1472:
	s_andn2_b64 vcc, exec, s[0:1]
	s_cbranch_vccnz .LBB151_1474
; %bb.1473:
	global_load_ushort v1, v[14:15], off
	s_waitcnt vmcnt(0)
	v_cvt_i16_f16_e32 v9, v1
.LBB151_1474:
	s_mov_b64 s[0:1], 0
.LBB151_1475:
	s_andn2_b64 vcc, exec, s[0:1]
	s_cbranch_vccnz .LBB151_1495
; %bb.1476:
	s_cmp_lt_i32 s15, 2
	s_cbranch_scc1 .LBB151_1480
; %bb.1477:
	s_cmp_lt_i32 s15, 3
	s_cbranch_scc1 .LBB151_1481
; %bb.1478:
	s_cmp_gt_i32 s15, 3
	s_cbranch_scc0 .LBB151_1482
; %bb.1479:
	global_load_dwordx2 v[9:10], v[14:15], off
	s_mov_b64 s[0:1], 0
	s_branch .LBB151_1483
.LBB151_1480:
	s_mov_b64 s[0:1], -1
                                        ; implicit-def: $vgpr9
	s_branch .LBB151_1489
.LBB151_1481:
	s_mov_b64 s[0:1], -1
                                        ; implicit-def: $vgpr9
	s_branch .LBB151_1486
.LBB151_1482:
	s_mov_b64 s[0:1], -1
                                        ; implicit-def: $vgpr9
.LBB151_1483:
	s_andn2_b64 vcc, exec, s[0:1]
	s_cbranch_vccnz .LBB151_1485
; %bb.1484:
	global_load_dword v9, v[14:15], off
.LBB151_1485:
	s_mov_b64 s[0:1], 0
.LBB151_1486:
	s_andn2_b64 vcc, exec, s[0:1]
	s_cbranch_vccnz .LBB151_1488
; %bb.1487:
	global_load_ushort v9, v[14:15], off
.LBB151_1488:
	s_mov_b64 s[0:1], 0
.LBB151_1489:
	s_andn2_b64 vcc, exec, s[0:1]
	s_cbranch_vccnz .LBB151_1495
; %bb.1490:
	s_cmp_gt_i32 s15, 0
	s_cbranch_scc0 .LBB151_1492
; %bb.1491:
	global_load_ubyte v9, v[14:15], off
	s_mov_b64 s[0:1], 0
	s_branch .LBB151_1493
.LBB151_1492:
	s_mov_b64 s[0:1], -1
                                        ; implicit-def: $vgpr9
.LBB151_1493:
	s_andn2_b64 vcc, exec, s[0:1]
	s_cbranch_vccnz .LBB151_1495
; %bb.1494:
	global_load_ubyte v9, v[14:15], off
.LBB151_1495:
.LBB151_1496:
	v_mov_b32_e32 v1, s11
	v_add_co_u32_e32 v14, vcc, s10, v7
	s_cmp_lt_i32 s15, 11
	v_addc_co_u32_e32 v15, vcc, 0, v1, vcc
	s_cbranch_scc1 .LBB151_1503
; %bb.1497:
	s_cmp_gt_i32 s15, 25
	s_mov_b64 s[4:5], 0
	s_cbranch_scc0 .LBB151_1504
; %bb.1498:
	s_cmp_gt_i32 s15, 28
	s_cbranch_scc0 .LBB151_1505
; %bb.1499:
	s_cmp_gt_i32 s15, 43
	;; [unrolled: 3-line block ×3, first 2 shown]
	s_cbranch_scc0 .LBB151_1508
; %bb.1501:
	s_cmp_eq_u32 s15, 46
	s_mov_b64 s[10:11], 0
	s_cbranch_scc0 .LBB151_1509
; %bb.1502:
	global_load_dword v1, v[14:15], off
	s_mov_b64 s[0:1], 0
	s_mov_b64 s[6:7], -1
	s_waitcnt vmcnt(0)
	v_lshlrev_b32_e32 v1, 16, v1
	v_cvt_i32_f32_e32 v7, v1
	s_branch .LBB151_1510
.LBB151_1503:
	s_mov_b64 s[0:1], -1
	s_mov_b64 s[6:7], 0
                                        ; implicit-def: $vgpr7
	s_branch .LBB151_1572
.LBB151_1504:
	s_mov_b64 s[10:11], -1
	s_mov_b64 s[6:7], 0
	s_mov_b64 s[0:1], 0
                                        ; implicit-def: $vgpr7
	s_branch .LBB151_1537
.LBB151_1505:
	s_mov_b64 s[10:11], -1
	s_mov_b64 s[6:7], 0
	s_mov_b64 s[0:1], 0
                                        ; implicit-def: $vgpr7
	s_branch .LBB151_1520
.LBB151_1506:
	s_mov_b64 s[10:11], -1
	s_mov_b64 s[6:7], 0
	s_mov_b64 s[0:1], 0
                                        ; implicit-def: $vgpr7
	s_branch .LBB151_1515
.LBB151_1507:
	s_trap 2
	s_or_b64 s[2:3], s[2:3], exec
	s_cbranch_execz .LBB151_1446
	s_branch .LBB151_1447
.LBB151_1508:
	s_mov_b64 s[10:11], -1
	s_mov_b64 s[6:7], 0
	s_mov_b64 s[0:1], 0
                                        ; implicit-def: $vgpr7
	s_branch .LBB151_1510
.LBB151_1509:
	s_mov_b64 s[0:1], -1
                                        ; implicit-def: $vgpr7
	s_mov_b64 s[6:7], 0
.LBB151_1510:
	s_and_b64 vcc, exec, s[10:11]
	s_cbranch_vccz .LBB151_1514
; %bb.1511:
	s_cmp_eq_u32 s15, 44
	s_cbranch_scc0 .LBB151_1513
; %bb.1512:
	global_load_ubyte v1, v[14:15], off
	s_mov_b64 s[0:1], 0
	s_mov_b64 s[6:7], -1
	s_waitcnt vmcnt(0)
	v_lshlrev_b32_e32 v3, 23, v1
	v_cvt_i32_f32_e32 v3, v3
	v_cmp_ne_u32_e32 vcc, 0, v1
	v_cndmask_b32_e32 v7, 0, v3, vcc
	s_branch .LBB151_1514
.LBB151_1513:
	s_mov_b64 s[0:1], -1
                                        ; implicit-def: $vgpr7
.LBB151_1514:
	s_mov_b64 s[10:11], 0
.LBB151_1515:
	s_and_b64 vcc, exec, s[10:11]
	s_cbranch_vccz .LBB151_1519
; %bb.1516:
	s_cmp_eq_u32 s15, 29
	s_cbranch_scc0 .LBB151_1518
; %bb.1517:
	global_load_dwordx2 v[7:8], v[14:15], off
	s_mov_b64 s[0:1], 0
	s_mov_b64 s[6:7], -1
	s_branch .LBB151_1519
.LBB151_1518:
	s_mov_b64 s[0:1], -1
                                        ; implicit-def: $vgpr7
.LBB151_1519:
	s_mov_b64 s[10:11], 0
.LBB151_1520:
	s_and_b64 vcc, exec, s[10:11]
	s_cbranch_vccz .LBB151_1536
; %bb.1521:
	s_cmp_lt_i32 s15, 27
	s_cbranch_scc1 .LBB151_1524
; %bb.1522:
	s_cmp_gt_i32 s15, 27
	s_cbranch_scc0 .LBB151_1525
; %bb.1523:
	global_load_dword v7, v[14:15], off
	s_mov_b64 s[6:7], 0
	s_branch .LBB151_1526
.LBB151_1524:
	s_mov_b64 s[6:7], -1
                                        ; implicit-def: $vgpr7
	s_branch .LBB151_1529
.LBB151_1525:
	s_mov_b64 s[6:7], -1
                                        ; implicit-def: $vgpr7
.LBB151_1526:
	s_andn2_b64 vcc, exec, s[6:7]
	s_cbranch_vccnz .LBB151_1528
; %bb.1527:
	global_load_ushort v7, v[14:15], off
.LBB151_1528:
	s_mov_b64 s[6:7], 0
.LBB151_1529:
	s_andn2_b64 vcc, exec, s[6:7]
	s_cbranch_vccnz .LBB151_1535
; %bb.1530:
	global_load_ubyte v1, v[14:15], off
	s_movk_i32 s6, 0x7f
	s_mov_b64 s[10:11], 0
	s_waitcnt vmcnt(0)
	v_cmp_lt_i16_e32 vcc, s6, v1
	s_and_saveexec_b64 s[6:7], vcc
	s_xor_b64 s[6:7], exec, s[6:7]
	s_cbranch_execz .LBB151_1547
; %bb.1531:
	s_movk_i32 s10, 0x80
	v_cmp_ne_u16_e32 vcc, s10, v1
	s_and_b64 s[10:11], vcc, exec
	s_andn2_saveexec_b64 s[6:7], s[6:7]
	s_cbranch_execnz .LBB151_1548
.LBB151_1532:
	s_or_b64 exec, exec, s[6:7]
	v_mov_b32_e32 v7, 0
	s_and_saveexec_b64 s[6:7], s[10:11]
	s_cbranch_execz .LBB151_1534
.LBB151_1533:
	v_lshlrev_b32_e32 v3, 24, v1
	v_and_b32_e32 v1, 0xffff, v1
	v_and_b32_e32 v5, 7, v1
	v_ffbh_u32_e32 v8, v5
	v_min_u32_e32 v8, 32, v8
	v_subrev_u32_e32 v10, 28, v8
	v_bfe_u32 v7, v1, 3, 4
	v_lshlrev_b32_e32 v1, v10, v1
	v_sub_u32_e32 v8, 29, v8
	v_and_b32_e32 v1, 7, v1
	v_cmp_eq_u32_e32 vcc, 0, v7
	v_cndmask_b32_e32 v7, v7, v8, vcc
	v_cndmask_b32_e32 v1, v5, v1, vcc
	v_mov_b32_e32 v5, 0x3b800000
	v_lshlrev_b32_e32 v1, 20, v1
	v_and_b32_e32 v3, 0x80000000, v3
	v_lshl_add_u32 v5, v7, 23, v5
	v_or3_b32 v1, v3, v5, v1
	v_cvt_i32_f32_e32 v7, v1
.LBB151_1534:
	s_or_b64 exec, exec, s[6:7]
.LBB151_1535:
	s_mov_b64 s[6:7], -1
.LBB151_1536:
	s_mov_b64 s[10:11], 0
.LBB151_1537:
	s_and_b64 vcc, exec, s[10:11]
	s_cbranch_vccz .LBB151_1568
; %bb.1538:
	s_cmp_gt_i32 s15, 22
	s_cbranch_scc0 .LBB151_1546
; %bb.1539:
	s_cmp_lt_i32 s15, 24
	s_cbranch_scc1 .LBB151_1549
; %bb.1540:
	s_cmp_gt_i32 s15, 24
	s_cbranch_scc0 .LBB151_1550
; %bb.1541:
	global_load_ubyte v1, v[14:15], off
	s_movk_i32 s4, 0x7f
	s_mov_b64 s[6:7], 0
	s_waitcnt vmcnt(0)
	v_cmp_lt_i16_e32 vcc, s4, v1
	s_and_saveexec_b64 s[4:5], vcc
	s_xor_b64 s[4:5], exec, s[4:5]
	s_cbranch_execz .LBB151_1562
; %bb.1542:
	s_movk_i32 s6, 0x80
	v_cmp_ne_u16_e32 vcc, s6, v1
	s_and_b64 s[6:7], vcc, exec
	s_andn2_saveexec_b64 s[4:5], s[4:5]
	s_cbranch_execnz .LBB151_1563
.LBB151_1543:
	s_or_b64 exec, exec, s[4:5]
	v_mov_b32_e32 v7, 0
	s_and_saveexec_b64 s[4:5], s[6:7]
	s_cbranch_execz .LBB151_1545
.LBB151_1544:
	v_lshlrev_b32_e32 v3, 24, v1
	v_and_b32_e32 v1, 0xffff, v1
	v_and_b32_e32 v5, 3, v1
	v_ffbh_u32_e32 v8, v5
	v_min_u32_e32 v8, 32, v8
	v_subrev_u32_e32 v10, 29, v8
	v_bfe_u32 v7, v1, 2, 5
	v_lshlrev_b32_e32 v1, v10, v1
	v_sub_u32_e32 v8, 30, v8
	v_and_b32_e32 v1, 3, v1
	v_cmp_eq_u32_e32 vcc, 0, v7
	v_cndmask_b32_e32 v7, v7, v8, vcc
	v_cndmask_b32_e32 v1, v5, v1, vcc
	v_mov_b32_e32 v5, 0x37800000
	v_lshlrev_b32_e32 v1, 21, v1
	v_and_b32_e32 v3, 0x80000000, v3
	v_lshl_add_u32 v5, v7, 23, v5
	v_or3_b32 v1, v3, v5, v1
	v_cvt_i32_f32_e32 v7, v1
.LBB151_1545:
	s_or_b64 exec, exec, s[4:5]
	s_mov_b64 s[4:5], 0
	s_branch .LBB151_1551
.LBB151_1546:
	s_mov_b64 s[4:5], -1
                                        ; implicit-def: $vgpr7
	s_branch .LBB151_1557
.LBB151_1547:
	s_andn2_saveexec_b64 s[6:7], s[6:7]
	s_cbranch_execz .LBB151_1532
.LBB151_1548:
	v_cmp_ne_u16_e32 vcc, 0, v1
	s_andn2_b64 s[10:11], s[10:11], exec
	s_and_b64 s[12:13], vcc, exec
	s_or_b64 s[10:11], s[10:11], s[12:13]
	s_or_b64 exec, exec, s[6:7]
	v_mov_b32_e32 v7, 0
	s_and_saveexec_b64 s[6:7], s[10:11]
	s_cbranch_execnz .LBB151_1533
	s_branch .LBB151_1534
.LBB151_1549:
	s_mov_b64 s[4:5], -1
                                        ; implicit-def: $vgpr7
	s_branch .LBB151_1554
.LBB151_1550:
	s_mov_b64 s[4:5], -1
                                        ; implicit-def: $vgpr7
.LBB151_1551:
	s_and_b64 vcc, exec, s[4:5]
	s_cbranch_vccz .LBB151_1553
; %bb.1552:
	global_load_ubyte v1, v[14:15], off
	s_mov_b32 s4, 0x7f800000
	s_waitcnt vmcnt(0)
	v_lshlrev_b32_e32 v1, 24, v1
	v_and_b32_e32 v3, 0x7f000000, v1
	v_ffbh_u32_e32 v5, v3
	v_min_u32_e32 v5, 32, v5
	v_sub_u32_e64 v5, v5, 4 clamp
	v_lshlrev_b32_e32 v8, v5, v3
	v_lshlrev_b32_e32 v5, 23, v5
	v_lshrrev_b32_e32 v8, 4, v8
	v_add_u32_e32 v7, 0x1000000, v3
	v_sub_u32_e32 v5, v8, v5
	v_ashrrev_i32_e32 v7, 8, v7
	v_add_u32_e32 v5, 0x3c000000, v5
	v_and_or_b32 v5, v7, s4, v5
	v_cmp_ne_u32_e32 vcc, 0, v3
	v_cndmask_b32_e32 v3, 0, v5, vcc
	s_brev_b32 s4, 1
	v_and_or_b32 v1, v1, s4, v3
	v_cvt_i32_f32_e32 v7, v1
.LBB151_1553:
	s_mov_b64 s[4:5], 0
.LBB151_1554:
	s_andn2_b64 vcc, exec, s[4:5]
	s_cbranch_vccnz .LBB151_1556
; %bb.1555:
	global_load_ubyte v1, v[14:15], off
	s_movk_i32 s4, 0x7f00
	s_brev_b32 s5, 16
	s_waitcnt vmcnt(0)
	v_lshlrev_b16_e32 v3, 8, v1
	v_lshlrev_b32_e32 v1, 25, v1
	v_lshrrev_b32_e32 v5, 4, v1
	v_and_or_b32 v7, v3, s4, 0.5
	v_or_b32_e32 v5, 0x70000000, v5
	v_add_f32_e32 v7, -0.5, v7
	v_mul_f32_e32 v5, 0x7800000, v5
	v_cmp_gt_u32_e32 vcc, s5, v1
	v_bfe_i32 v3, v3, 0, 16
	v_cndmask_b32_e32 v1, v5, v7, vcc
	s_brev_b32 s4, 1
	v_and_or_b32 v1, v3, s4, v1
	v_cvt_i32_f32_e32 v7, v1
.LBB151_1556:
	s_mov_b64 s[4:5], 0
	s_mov_b64 s[6:7], -1
.LBB151_1557:
	s_andn2_b64 vcc, exec, s[4:5]
	s_mov_b64 s[4:5], 0
	s_cbranch_vccnz .LBB151_1568
; %bb.1558:
	s_cmp_gt_i32 s15, 14
	s_cbranch_scc0 .LBB151_1561
; %bb.1559:
	s_cmp_eq_u32 s15, 15
	s_cbranch_scc0 .LBB151_1564
; %bb.1560:
	global_load_ushort v1, v[14:15], off
	s_mov_b64 s[0:1], 0
	s_mov_b64 s[6:7], -1
	s_waitcnt vmcnt(0)
	v_lshlrev_b32_e32 v1, 16, v1
	v_cvt_i32_f32_e32 v7, v1
	s_branch .LBB151_1565
.LBB151_1561:
	s_mov_b64 s[10:11], -1
                                        ; implicit-def: $vgpr7
	s_branch .LBB151_1566
.LBB151_1562:
	s_andn2_saveexec_b64 s[4:5], s[4:5]
	s_cbranch_execz .LBB151_1543
.LBB151_1563:
	v_cmp_ne_u16_e32 vcc, 0, v1
	s_andn2_b64 s[6:7], s[6:7], exec
	s_and_b64 s[10:11], vcc, exec
	s_or_b64 s[6:7], s[6:7], s[10:11]
	s_or_b64 exec, exec, s[4:5]
	v_mov_b32_e32 v7, 0
	s_and_saveexec_b64 s[4:5], s[6:7]
	s_cbranch_execnz .LBB151_1544
	s_branch .LBB151_1545
.LBB151_1564:
	s_mov_b64 s[0:1], -1
                                        ; implicit-def: $vgpr7
.LBB151_1565:
	s_mov_b64 s[10:11], 0
.LBB151_1566:
	s_and_b64 vcc, exec, s[10:11]
	s_cbranch_vccz .LBB151_1568
; %bb.1567:
	s_cmp_lg_u32 s15, 11
	s_mov_b64 s[4:5], -1
	s_cselect_b64 s[0:1], -1, 0
.LBB151_1568:
	s_and_b64 vcc, exec, s[0:1]
	s_cbranch_vccnz .LBB151_2101
; %bb.1569:
	s_andn2_b64 vcc, exec, s[4:5]
	s_cbranch_vccnz .LBB151_1571
.LBB151_1570:
	global_load_ubyte v1, v[14:15], off
	s_mov_b64 s[6:7], -1
	s_waitcnt vmcnt(0)
	v_cmp_ne_u16_e32 vcc, 0, v1
	v_cndmask_b32_e64 v7, 0, 1, vcc
.LBB151_1571:
	s_mov_b64 s[0:1], 0
.LBB151_1572:
	s_and_b64 vcc, exec, s[0:1]
	s_cbranch_vccz .LBB151_1621
; %bb.1573:
	s_cmp_lt_i32 s15, 5
	s_cbranch_scc1 .LBB151_1578
; %bb.1574:
	s_cmp_lt_i32 s15, 8
	s_cbranch_scc1 .LBB151_1579
	;; [unrolled: 3-line block ×3, first 2 shown]
; %bb.1576:
	s_cmp_gt_i32 s15, 9
	s_cbranch_scc0 .LBB151_1581
; %bb.1577:
	global_load_dwordx2 v[7:8], v[14:15], off
	s_mov_b64 s[0:1], 0
	s_waitcnt vmcnt(0)
	v_cvt_i32_f64_e32 v7, v[7:8]
	s_branch .LBB151_1582
.LBB151_1578:
	s_mov_b64 s[0:1], -1
                                        ; implicit-def: $vgpr7
	s_branch .LBB151_1600
.LBB151_1579:
	s_mov_b64 s[0:1], -1
                                        ; implicit-def: $vgpr7
	s_branch .LBB151_1588
.LBB151_1580:
	s_mov_b64 s[0:1], -1
                                        ; implicit-def: $vgpr7
	s_branch .LBB151_1585
.LBB151_1581:
	s_mov_b64 s[0:1], -1
                                        ; implicit-def: $vgpr7
.LBB151_1582:
	s_andn2_b64 vcc, exec, s[0:1]
	s_cbranch_vccnz .LBB151_1584
; %bb.1583:
	global_load_dword v1, v[14:15], off
	s_waitcnt vmcnt(0)
	v_cvt_i32_f32_e32 v7, v1
.LBB151_1584:
	s_mov_b64 s[0:1], 0
.LBB151_1585:
	s_andn2_b64 vcc, exec, s[0:1]
	s_cbranch_vccnz .LBB151_1587
; %bb.1586:
	global_load_dword v1, v[14:15], off
	s_waitcnt vmcnt(0)
	v_cvt_i16_f16_e32 v7, v1
.LBB151_1587:
	s_mov_b64 s[0:1], 0
.LBB151_1588:
	s_andn2_b64 vcc, exec, s[0:1]
	s_cbranch_vccnz .LBB151_1599
; %bb.1589:
	s_cmp_lt_i32 s15, 6
	s_cbranch_scc1 .LBB151_1592
; %bb.1590:
	s_cmp_gt_i32 s15, 6
	s_cbranch_scc0 .LBB151_1593
; %bb.1591:
	global_load_dwordx2 v[7:8], v[14:15], off
	s_mov_b64 s[0:1], 0
	s_waitcnt vmcnt(0)
	v_cvt_i32_f64_e32 v7, v[7:8]
	s_branch .LBB151_1594
.LBB151_1592:
	s_mov_b64 s[0:1], -1
                                        ; implicit-def: $vgpr7
	s_branch .LBB151_1597
.LBB151_1593:
	s_mov_b64 s[0:1], -1
                                        ; implicit-def: $vgpr7
.LBB151_1594:
	s_andn2_b64 vcc, exec, s[0:1]
	s_cbranch_vccnz .LBB151_1596
; %bb.1595:
	global_load_dword v1, v[14:15], off
	s_waitcnt vmcnt(0)
	v_cvt_i32_f32_e32 v7, v1
.LBB151_1596:
	s_mov_b64 s[0:1], 0
.LBB151_1597:
	s_andn2_b64 vcc, exec, s[0:1]
	s_cbranch_vccnz .LBB151_1599
; %bb.1598:
	global_load_ushort v1, v[14:15], off
	s_waitcnt vmcnt(0)
	v_cvt_i16_f16_e32 v7, v1
.LBB151_1599:
	s_mov_b64 s[0:1], 0
.LBB151_1600:
	s_andn2_b64 vcc, exec, s[0:1]
	s_cbranch_vccnz .LBB151_1620
; %bb.1601:
	s_cmp_lt_i32 s15, 2
	s_cbranch_scc1 .LBB151_1605
; %bb.1602:
	s_cmp_lt_i32 s15, 3
	s_cbranch_scc1 .LBB151_1606
; %bb.1603:
	s_cmp_gt_i32 s15, 3
	s_cbranch_scc0 .LBB151_1607
; %bb.1604:
	global_load_dwordx2 v[7:8], v[14:15], off
	s_mov_b64 s[0:1], 0
	s_branch .LBB151_1608
.LBB151_1605:
	s_mov_b64 s[0:1], -1
                                        ; implicit-def: $vgpr7
	s_branch .LBB151_1614
.LBB151_1606:
	s_mov_b64 s[0:1], -1
                                        ; implicit-def: $vgpr7
	s_branch .LBB151_1611
.LBB151_1607:
	s_mov_b64 s[0:1], -1
                                        ; implicit-def: $vgpr7
.LBB151_1608:
	s_andn2_b64 vcc, exec, s[0:1]
	s_cbranch_vccnz .LBB151_1610
; %bb.1609:
	global_load_dword v7, v[14:15], off
.LBB151_1610:
	s_mov_b64 s[0:1], 0
.LBB151_1611:
	s_andn2_b64 vcc, exec, s[0:1]
	s_cbranch_vccnz .LBB151_1613
; %bb.1612:
	global_load_ushort v7, v[14:15], off
.LBB151_1613:
	s_mov_b64 s[0:1], 0
.LBB151_1614:
	s_andn2_b64 vcc, exec, s[0:1]
	s_cbranch_vccnz .LBB151_1620
; %bb.1615:
	s_cmp_gt_i32 s15, 0
	s_cbranch_scc0 .LBB151_1617
; %bb.1616:
	global_load_ubyte v7, v[14:15], off
	s_mov_b64 s[0:1], 0
	s_branch .LBB151_1618
.LBB151_1617:
	s_mov_b64 s[0:1], -1
                                        ; implicit-def: $vgpr7
.LBB151_1618:
	s_andn2_b64 vcc, exec, s[0:1]
	s_cbranch_vccnz .LBB151_1620
; %bb.1619:
	global_load_ubyte v7, v[14:15], off
.LBB151_1620:
	s_mov_b64 s[6:7], -1
.LBB151_1621:
	s_andn2_b64 vcc, exec, s[6:7]
	s_cbranch_vccnz .LBB151_2055
; %bb.1622:
	s_lshr_b32 s0, s14, 8
	s_sext_i32_i8 s15, s0
	s_bfe_i32 s0, s0, 0x80000
	s_sext_i32_i16 s0, s0
	s_lshr_b32 s16, s0, 7
	v_mov_b32_e32 v1, 6
	v_ashrrev_i32_e64 v3, v13, s15
	v_mov_b32_e32 v5, s16
	v_cmp_gt_u16_sdwa vcc, v13, v1 src0_sel:BYTE_0 src1_sel:DWORD
	s_bfe_u32 s17, s14, 0x80010
	v_cndmask_b32_e32 v1, v3, v5, vcc
	v_mov_b32_e32 v3, s9
	v_add_co_u32_e32 v5, vcc, s8, v6
	s_cmp_lt_i32 s17, 11
	v_addc_co_u32_e32 v6, vcc, 0, v3, vcc
	s_cbranch_scc1 .LBB151_1700
; %bb.1623:
	s_and_b32 s18, 0xffff, s17
	s_mov_b64 s[10:11], -1
	s_mov_b64 s[4:5], 0
	s_cmp_gt_i32 s18, 25
	s_mov_b64 s[6:7], 0
	s_mov_b64 s[0:1], 0
	s_cbranch_scc0 .LBB151_1656
; %bb.1624:
	s_cmp_gt_i32 s18, 28
	s_cbranch_scc0 .LBB151_1639
; %bb.1625:
	s_cmp_gt_i32 s18, 43
	;; [unrolled: 3-line block ×3, first 2 shown]
	s_cbranch_scc0 .LBB151_1629
; %bb.1627:
	s_mov_b64 s[0:1], -1
	s_mov_b64 s[10:11], 0
	s_cmp_eq_u32 s18, 46
	s_cbranch_scc0 .LBB151_1629
; %bb.1628:
	v_bfe_i32 v3, v1, 0, 8
	v_cvt_f32_i32_sdwa v3, sext(v3) dst_sel:DWORD dst_unused:UNUSED_PAD src0_sel:WORD_0
	s_movk_i32 s6, 0x7fff
	s_mov_b64 s[0:1], 0
	s_waitcnt vmcnt(0)
	v_bfe_u32 v8, v3, 16, 1
	v_add3_u32 v3, v3, v8, s6
	v_lshrrev_b32_e32 v3, 16, v3
	global_store_dword v[5:6], v3, off
	s_mov_b64 s[6:7], -1
.LBB151_1629:
	s_and_b64 vcc, exec, s[10:11]
	s_cbranch_vccz .LBB151_1634
; %bb.1630:
	s_cmp_eq_u32 s18, 44
	s_mov_b64 s[0:1], -1
	s_cbranch_scc0 .LBB151_1634
; %bb.1631:
	v_bfe_i32 v3, v1, 0, 8
	v_cvt_f32_i32_sdwa v3, sext(v3) dst_sel:DWORD dst_unused:UNUSED_PAD src0_sel:WORD_0
	s_movk_i32 s0, 0xff
	s_waitcnt vmcnt(0)
	v_mov_b32_e32 v10, 0xff
	v_bfe_u32 v8, v3, 23, 8
	v_cmp_ne_u32_e32 vcc, s0, v8
	s_and_saveexec_b64 s[6:7], vcc
; %bb.1632:
	s_mov_b32 s0, 0x3fffff
	v_lshrrev_b32_e32 v10, 23, v3
	v_and_b32_e32 v12, 0x400000, v3
	v_and_or_b32 v3, v3, s0, v8
	v_cmp_ne_u32_e32 vcc, 0, v12
	v_cmp_ne_u32_e64 s[0:1], 0, v3
	s_and_b64 s[0:1], vcc, s[0:1]
	v_cndmask_b32_e64 v3, 0, 1, s[0:1]
	v_add_u32_e32 v10, v10, v3
; %bb.1633:
	s_or_b64 exec, exec, s[6:7]
	s_mov_b64 s[0:1], 0
	s_mov_b64 s[6:7], -1
	global_store_byte v[5:6], v10, off
.LBB151_1634:
	s_mov_b64 s[10:11], 0
.LBB151_1635:
	s_and_b64 vcc, exec, s[10:11]
	s_cbranch_vccz .LBB151_1638
; %bb.1636:
	s_cmp_eq_u32 s18, 29
	s_mov_b64 s[0:1], -1
	s_cbranch_scc0 .LBB151_1638
; %bb.1637:
	s_waitcnt vmcnt(0)
	v_bfe_i32 v12, v1, 0, 8
	v_ashrrev_i32_e32 v13, 31, v12
	global_store_dwordx2 v[5:6], v[12:13], off
	s_mov_b64 s[0:1], 0
	s_mov_b64 s[6:7], -1
.LBB151_1638:
	s_mov_b64 s[10:11], 0
.LBB151_1639:
	s_and_b64 vcc, exec, s[10:11]
	s_cbranch_vccz .LBB151_1655
; %bb.1640:
	s_cmp_lt_i32 s18, 27
	s_mov_b64 s[6:7], -1
	s_cbranch_scc1 .LBB151_1646
; %bb.1641:
	s_cmp_gt_i32 s18, 27
	s_cbranch_scc0 .LBB151_1643
; %bb.1642:
	v_bfe_i32 v3, v1, 0, 8
	s_mov_b64 s[6:7], 0
	global_store_dword v[5:6], v3, off
.LBB151_1643:
	s_andn2_b64 vcc, exec, s[6:7]
	s_cbranch_vccnz .LBB151_1645
; %bb.1644:
	v_bfe_i32 v3, v1, 0, 8
	global_store_short v[5:6], v3, off
.LBB151_1645:
	s_mov_b64 s[6:7], 0
.LBB151_1646:
	s_andn2_b64 vcc, exec, s[6:7]
	s_cbranch_vccnz .LBB151_1654
; %bb.1647:
	v_bfe_i32 v3, v1, 0, 8
	v_cvt_f32_i32_sdwa v3, sext(v3) dst_sel:DWORD dst_unused:UNUSED_PAD src0_sel:WORD_0
	s_mov_b32 s6, 0x43800000
	s_waitcnt vmcnt(0)
	v_mov_b32_e32 v10, 0x80
	v_and_b32_e32 v8, 0x7fffffff, v3
	v_cmp_gt_u32_e32 vcc, s6, v8
	s_and_saveexec_b64 s[6:7], vcc
	s_cbranch_execz .LBB151_1653
; %bb.1648:
	s_mov_b32 s10, 0x3bffffff
	v_cmp_lt_u32_e32 vcc, s10, v8
	s_mov_b64 s[10:11], 0
                                        ; implicit-def: $vgpr8
	s_and_saveexec_b64 s[12:13], vcc
	s_xor_b64 s[12:13], exec, s[12:13]
	s_cbranch_execz .LBB151_2102
; %bb.1649:
	v_bfe_u32 v8, v3, 20, 1
	s_mov_b32 s19, 0x487ffff
	v_add3_u32 v8, v3, v8, s19
	s_mov_b64 s[10:11], exec
	v_lshrrev_b32_e32 v8, 20, v8
	s_andn2_saveexec_b64 s[12:13], s[12:13]
	s_cbranch_execnz .LBB151_2103
.LBB151_1650:
	s_or_b64 exec, exec, s[12:13]
	v_mov_b32_e32 v10, 0
	s_and_saveexec_b64 s[12:13], s[10:11]
.LBB151_1651:
	v_lshrrev_b32_e32 v3, 24, v3
	s_movk_i32 s10, 0x80
	v_and_or_b32 v10, v3, s10, v8
.LBB151_1652:
	s_or_b64 exec, exec, s[12:13]
.LBB151_1653:
	s_or_b64 exec, exec, s[6:7]
	global_store_byte v[5:6], v10, off
.LBB151_1654:
	s_mov_b64 s[6:7], -1
.LBB151_1655:
	s_mov_b64 s[10:11], 0
.LBB151_1656:
	s_and_b64 vcc, exec, s[10:11]
	s_cbranch_vccz .LBB151_1696
; %bb.1657:
	s_cmp_gt_i32 s18, 22
	s_mov_b64 s[4:5], -1
	s_cbranch_scc0 .LBB151_1689
; %bb.1658:
	s_cmp_lt_i32 s18, 24
	s_cbranch_scc1 .LBB151_1678
; %bb.1659:
	s_cmp_gt_i32 s18, 24
	s_cbranch_scc0 .LBB151_1667
; %bb.1660:
	v_bfe_i32 v3, v1, 0, 8
	v_cvt_f32_i32_sdwa v3, sext(v3) dst_sel:DWORD dst_unused:UNUSED_PAD src0_sel:WORD_0
	s_mov_b32 s4, 0x47800000
	s_waitcnt vmcnt(0)
	v_mov_b32_e32 v10, 0x80
	v_and_b32_e32 v8, 0x7fffffff, v3
	v_cmp_gt_u32_e32 vcc, s4, v8
	s_and_saveexec_b64 s[4:5], vcc
	s_cbranch_execz .LBB151_1666
; %bb.1661:
	s_mov_b32 s6, 0x37ffffff
	v_cmp_lt_u32_e32 vcc, s6, v8
	s_mov_b64 s[6:7], 0
                                        ; implicit-def: $vgpr8
	s_and_saveexec_b64 s[10:11], vcc
	s_xor_b64 s[10:11], exec, s[10:11]
	s_cbranch_execz .LBB151_2105
; %bb.1662:
	v_bfe_u32 v8, v3, 21, 1
	s_mov_b32 s12, 0x88fffff
	v_add3_u32 v8, v3, v8, s12
	s_mov_b64 s[6:7], exec
	v_lshrrev_b32_e32 v8, 21, v8
	s_andn2_saveexec_b64 s[10:11], s[10:11]
	s_cbranch_execnz .LBB151_2106
.LBB151_1663:
	s_or_b64 exec, exec, s[10:11]
	v_mov_b32_e32 v10, 0
	s_and_saveexec_b64 s[10:11], s[6:7]
.LBB151_1664:
	v_lshrrev_b32_e32 v3, 24, v3
	s_movk_i32 s6, 0x80
	v_and_or_b32 v10, v3, s6, v8
.LBB151_1665:
	s_or_b64 exec, exec, s[10:11]
.LBB151_1666:
	s_or_b64 exec, exec, s[4:5]
	s_mov_b64 s[4:5], 0
	global_store_byte v[5:6], v10, off
.LBB151_1667:
	s_and_b64 vcc, exec, s[4:5]
	s_cbranch_vccz .LBB151_1677
; %bb.1668:
	v_bfe_i32 v3, v1, 0, 8
	v_cvt_f32_i32_sdwa v3, sext(v3) dst_sel:DWORD dst_unused:UNUSED_PAD src0_sel:WORD_0
	s_mov_b32 s4, 0x43f00000
                                        ; implicit-def: $vgpr8
	s_waitcnt vmcnt(0)
	v_and_b32_e32 v10, 0x7fffffff, v3
	v_cmp_gt_u32_e32 vcc, s4, v10
	s_and_saveexec_b64 s[4:5], vcc
	s_xor_b64 s[4:5], exec, s[4:5]
	s_cbranch_execz .LBB151_1674
; %bb.1669:
	s_mov_b32 s6, 0x3c7fffff
	v_cmp_lt_u32_e32 vcc, s6, v10
                                        ; implicit-def: $vgpr8
	s_and_saveexec_b64 s[6:7], vcc
	s_xor_b64 s[6:7], exec, s[6:7]
; %bb.1670:
	v_bfe_u32 v8, v3, 20, 1
	s_mov_b32 s10, 0x407ffff
	v_add3_u32 v8, v3, v8, s10
	v_lshrrev_b32_e32 v10, 20, v8
	v_and_b32_e32 v8, 0xff00000, v8
	s_mov_b32 s10, 0x7f00000
	v_mov_b32_e32 v12, 0x7e
	v_cmp_ne_u32_e32 vcc, s10, v8
	v_cndmask_b32_e32 v8, v12, v10, vcc
; %bb.1671:
	s_andn2_saveexec_b64 s[6:7], s[6:7]
; %bb.1672:
	s_mov_b32 s10, 0x46800000
	v_add_f32_e64 v8, |v3|, s10
; %bb.1673:
	s_or_b64 exec, exec, s[6:7]
                                        ; implicit-def: $vgpr10
.LBB151_1674:
	s_andn2_saveexec_b64 s[4:5], s[4:5]
; %bb.1675:
	s_mov_b32 s6, 0x7f800000
	v_mov_b32_e32 v8, 0x7e
	v_mov_b32_e32 v12, 0x7f
	v_cmp_lt_u32_e32 vcc, s6, v10
	v_cndmask_b32_e32 v8, v8, v12, vcc
; %bb.1676:
	s_or_b64 exec, exec, s[4:5]
	v_lshrrev_b32_e32 v3, 24, v3
	s_movk_i32 s4, 0x80
	v_and_or_b32 v3, v3, s4, v8
	global_store_byte v[5:6], v3, off
.LBB151_1677:
	s_mov_b64 s[4:5], 0
.LBB151_1678:
	s_andn2_b64 vcc, exec, s[4:5]
	s_cbranch_vccnz .LBB151_1688
; %bb.1679:
	v_bfe_i32 v3, v1, 0, 8
	v_cvt_f32_i32_sdwa v3, sext(v3) dst_sel:DWORD dst_unused:UNUSED_PAD src0_sel:WORD_0
	s_mov_b32 s4, 0x47800000
                                        ; implicit-def: $vgpr8
	s_waitcnt vmcnt(0)
	v_and_b32_e32 v10, 0x7fffffff, v3
	v_cmp_gt_u32_e32 vcc, s4, v10
	s_and_saveexec_b64 s[4:5], vcc
	s_xor_b64 s[4:5], exec, s[4:5]
	s_cbranch_execz .LBB151_1685
; %bb.1680:
	s_mov_b32 s6, 0x387fffff
	v_cmp_lt_u32_e32 vcc, s6, v10
                                        ; implicit-def: $vgpr8
	s_and_saveexec_b64 s[6:7], vcc
	s_xor_b64 s[6:7], exec, s[6:7]
; %bb.1681:
	v_bfe_u32 v8, v3, 21, 1
	s_mov_b32 s10, 0x80fffff
	v_add3_u32 v8, v3, v8, s10
	v_lshrrev_b32_e32 v8, 21, v8
; %bb.1682:
	s_andn2_saveexec_b64 s[6:7], s[6:7]
; %bb.1683:
	s_mov_b32 s10, 0x43000000
	v_add_f32_e64 v8, |v3|, s10
; %bb.1684:
	s_or_b64 exec, exec, s[6:7]
                                        ; implicit-def: $vgpr10
.LBB151_1685:
	s_andn2_saveexec_b64 s[4:5], s[4:5]
; %bb.1686:
	s_mov_b32 s6, 0x7f800000
	v_mov_b32_e32 v8, 0x7c
	v_mov_b32_e32 v12, 0x7f
	v_cmp_lt_u32_e32 vcc, s6, v10
	v_cndmask_b32_e32 v8, v8, v12, vcc
; %bb.1687:
	s_or_b64 exec, exec, s[4:5]
	v_lshrrev_b32_e32 v3, 24, v3
	s_movk_i32 s4, 0x80
	v_and_or_b32 v3, v3, s4, v8
	global_store_byte v[5:6], v3, off
.LBB151_1688:
	s_mov_b64 s[4:5], 0
	s_mov_b64 s[6:7], -1
.LBB151_1689:
	s_andn2_b64 vcc, exec, s[4:5]
	s_mov_b64 s[4:5], 0
	s_cbranch_vccnz .LBB151_1696
; %bb.1690:
	s_cmp_gt_i32 s18, 14
	s_mov_b64 s[10:11], -1
	s_cbranch_scc0 .LBB151_1694
; %bb.1691:
	s_cmp_eq_u32 s18, 15
	s_mov_b64 s[0:1], -1
	s_cbranch_scc0 .LBB151_1693
; %bb.1692:
	v_bfe_i32 v3, v1, 0, 8
	v_cvt_f32_i32_sdwa v3, sext(v3) dst_sel:DWORD dst_unused:UNUSED_PAD src0_sel:WORD_0
	s_movk_i32 s4, 0x7fff
	s_mov_b64 s[0:1], 0
	s_mov_b64 s[6:7], -1
	s_waitcnt vmcnt(0)
	v_bfe_u32 v8, v3, 16, 1
	v_add3_u32 v3, v3, v8, s4
	global_store_short_d16_hi v[5:6], v3, off
.LBB151_1693:
	s_mov_b64 s[10:11], 0
.LBB151_1694:
	s_mov_b64 s[4:5], 0
	s_and_b64 vcc, exec, s[10:11]
	s_cbranch_vccz .LBB151_1696
; %bb.1695:
	s_cmp_lg_u32 s18, 11
	s_mov_b64 s[4:5], -1
	s_cselect_b64 s[0:1], -1, 0
.LBB151_1696:
	s_and_b64 vcc, exec, s[0:1]
	s_cbranch_vccnz .LBB151_2104
; %bb.1697:
	s_andn2_b64 vcc, exec, s[4:5]
	s_cbranch_vccnz .LBB151_1699
.LBB151_1698:
	v_mov_b32_e32 v3, 0
	v_cmp_ne_u16_sdwa s[0:1], v1, v3 src0_sel:BYTE_0 src1_sel:DWORD
	v_cndmask_b32_e64 v3, 0, 1, s[0:1]
	s_mov_b64 s[6:7], -1
	global_store_byte v[5:6], v3, off
.LBB151_1699:
	s_mov_b64 s[0:1], 0
	s_branch .LBB151_1701
.LBB151_1700:
	s_mov_b64 s[0:1], -1
	s_mov_b64 s[6:7], 0
.LBB151_1701:
	s_and_b64 vcc, exec, s[0:1]
	s_cbranch_vccz .LBB151_1740
; %bb.1702:
	s_and_b32 s4, 0xffff, s17
	s_cmp_lt_i32 s4, 5
	s_mov_b64 s[0:1], -1
	s_cbranch_scc1 .LBB151_1723
; %bb.1703:
	s_cmp_lt_i32 s4, 8
	s_cbranch_scc1 .LBB151_1713
; %bb.1704:
	s_cmp_lt_i32 s4, 9
	s_cbranch_scc1 .LBB151_1710
; %bb.1705:
	s_cmp_gt_i32 s4, 9
	s_cbranch_scc0 .LBB151_1707
; %bb.1706:
	v_bfe_i32 v3, v1, 0, 8
	v_bfe_i32 v3, v3, 0, 16
	s_waitcnt vmcnt(0)
	v_cvt_f64_i32_e32 v[12:13], v3
	v_mov_b32_e32 v14, 0
	v_mov_b32_e32 v15, v14
	s_mov_b64 s[0:1], 0
	global_store_dwordx4 v[5:6], v[12:15], off
.LBB151_1707:
	s_andn2_b64 vcc, exec, s[0:1]
	s_cbranch_vccnz .LBB151_1709
; %bb.1708:
	v_bfe_i32 v3, v1, 0, 8
	s_waitcnt vmcnt(0)
	v_cvt_f32_i32_sdwa v12, sext(v3) dst_sel:DWORD dst_unused:UNUSED_PAD src0_sel:WORD_0
	v_mov_b32_e32 v13, 0
	global_store_dwordx2 v[5:6], v[12:13], off
.LBB151_1709:
	s_mov_b64 s[0:1], 0
.LBB151_1710:
	s_andn2_b64 vcc, exec, s[0:1]
	s_cbranch_vccnz .LBB151_1712
; %bb.1711:
	v_cvt_f16_i16_sdwa v3, sext(v1) dst_sel:DWORD dst_unused:UNUSED_PAD src0_sel:BYTE_0
	global_store_dword v[5:6], v3, off
.LBB151_1712:
	s_mov_b64 s[0:1], 0
.LBB151_1713:
	s_andn2_b64 vcc, exec, s[0:1]
	s_cbranch_vccnz .LBB151_1722
; %bb.1714:
	s_cmp_lt_i32 s4, 6
	s_mov_b64 s[0:1], -1
	s_cbranch_scc1 .LBB151_1720
; %bb.1715:
	s_cmp_gt_i32 s4, 6
	s_cbranch_scc0 .LBB151_1717
; %bb.1716:
	v_bfe_i32 v3, v1, 0, 8
	v_bfe_i32 v3, v3, 0, 16
	s_waitcnt vmcnt(0)
	v_cvt_f64_i32_e32 v[12:13], v3
	s_mov_b64 s[0:1], 0
	global_store_dwordx2 v[5:6], v[12:13], off
.LBB151_1717:
	s_andn2_b64 vcc, exec, s[0:1]
	s_cbranch_vccnz .LBB151_1719
; %bb.1718:
	v_bfe_i32 v3, v1, 0, 8
	v_cvt_f32_i32_sdwa v3, sext(v3) dst_sel:DWORD dst_unused:UNUSED_PAD src0_sel:WORD_0
	global_store_dword v[5:6], v3, off
.LBB151_1719:
	s_mov_b64 s[0:1], 0
.LBB151_1720:
	s_andn2_b64 vcc, exec, s[0:1]
	s_cbranch_vccnz .LBB151_1722
; %bb.1721:
	v_cvt_f16_i16_sdwa v3, sext(v1) dst_sel:DWORD dst_unused:UNUSED_PAD src0_sel:BYTE_0
	global_store_short v[5:6], v3, off
.LBB151_1722:
	s_mov_b64 s[0:1], 0
.LBB151_1723:
	s_andn2_b64 vcc, exec, s[0:1]
	s_cbranch_vccnz .LBB151_1739
; %bb.1724:
	s_cmp_lt_i32 s4, 2
	s_mov_b64 s[0:1], -1
	s_cbranch_scc1 .LBB151_1734
; %bb.1725:
	s_cmp_lt_i32 s4, 3
	s_cbranch_scc1 .LBB151_1731
; %bb.1726:
	s_cmp_gt_i32 s4, 3
	s_cbranch_scc0 .LBB151_1728
; %bb.1727:
	s_waitcnt vmcnt(0)
	v_bfe_i32 v12, v1, 0, 8
	v_ashrrev_i32_e32 v13, 31, v12
	global_store_dwordx2 v[5:6], v[12:13], off
	s_mov_b64 s[0:1], 0
.LBB151_1728:
	s_andn2_b64 vcc, exec, s[0:1]
	s_cbranch_vccnz .LBB151_1730
; %bb.1729:
	v_bfe_i32 v3, v1, 0, 8
	global_store_dword v[5:6], v3, off
.LBB151_1730:
	s_mov_b64 s[0:1], 0
.LBB151_1731:
	s_andn2_b64 vcc, exec, s[0:1]
	s_cbranch_vccnz .LBB151_1733
; %bb.1732:
	v_bfe_i32 v3, v1, 0, 8
	global_store_short v[5:6], v3, off
.LBB151_1733:
	s_mov_b64 s[0:1], 0
.LBB151_1734:
	s_andn2_b64 vcc, exec, s[0:1]
	s_cbranch_vccnz .LBB151_1739
; %bb.1735:
	s_cmp_gt_i32 s4, 0
	s_mov_b64 s[0:1], -1
	s_cbranch_scc0 .LBB151_1737
; %bb.1736:
	global_store_byte v[5:6], v1, off
	s_mov_b64 s[0:1], 0
.LBB151_1737:
	s_andn2_b64 vcc, exec, s[0:1]
	s_cbranch_vccnz .LBB151_1739
; %bb.1738:
	global_store_byte v[5:6], v1, off
.LBB151_1739:
	s_mov_b64 s[6:7], -1
.LBB151_1740:
	s_andn2_b64 vcc, exec, s[6:7]
	s_cbranch_vccnz .LBB151_2055
; %bb.1741:
	v_mov_b32_e32 v1, 6
	s_lshr_b32 s0, s14, 16
	s_waitcnt vmcnt(0)
	v_ashrrev_i32_e64 v3, v11, s15
	v_mov_b32_e32 v5, s16
	v_cmp_gt_u16_sdwa vcc, v11, v1 src0_sel:BYTE_0 src1_sel:DWORD
	s_and_b32 s14, s0, 0xff
	v_cndmask_b32_e32 v1, v3, v5, vcc
	v_mov_b32_e32 v5, s9
	v_add_co_u32_e32 v3, vcc, s8, v4
	s_cmp_lt_i32 s14, 11
	v_addc_co_u32_e32 v4, vcc, 0, v5, vcc
	s_cbranch_scc1 .LBB151_1819
; %bb.1742:
	s_and_b32 s17, 0xffff, s14
	s_mov_b64 s[10:11], -1
	s_mov_b64 s[4:5], 0
	s_cmp_gt_i32 s17, 25
	s_mov_b64 s[6:7], 0
	s_mov_b64 s[0:1], 0
	s_cbranch_scc0 .LBB151_1775
; %bb.1743:
	s_cmp_gt_i32 s17, 28
	s_cbranch_scc0 .LBB151_1758
; %bb.1744:
	s_cmp_gt_i32 s17, 43
	;; [unrolled: 3-line block ×3, first 2 shown]
	s_cbranch_scc0 .LBB151_1748
; %bb.1746:
	s_mov_b64 s[0:1], -1
	s_mov_b64 s[10:11], 0
	s_cmp_eq_u32 s17, 46
	s_cbranch_scc0 .LBB151_1748
; %bb.1747:
	v_bfe_i32 v5, v1, 0, 8
	v_cvt_f32_i32_sdwa v5, sext(v5) dst_sel:DWORD dst_unused:UNUSED_PAD src0_sel:WORD_0
	s_movk_i32 s6, 0x7fff
	s_mov_b64 s[0:1], 0
	v_bfe_u32 v6, v5, 16, 1
	v_add3_u32 v5, v5, v6, s6
	v_lshrrev_b32_e32 v5, 16, v5
	global_store_dword v[3:4], v5, off
	s_mov_b64 s[6:7], -1
.LBB151_1748:
	s_and_b64 vcc, exec, s[10:11]
	s_cbranch_vccz .LBB151_1753
; %bb.1749:
	s_cmp_eq_u32 s17, 44
	s_mov_b64 s[0:1], -1
	s_cbranch_scc0 .LBB151_1753
; %bb.1750:
	v_bfe_i32 v5, v1, 0, 8
	v_cvt_f32_i32_sdwa v5, sext(v5) dst_sel:DWORD dst_unused:UNUSED_PAD src0_sel:WORD_0
	s_movk_i32 s0, 0xff
	v_mov_b32_e32 v8, 0xff
	v_bfe_u32 v6, v5, 23, 8
	v_cmp_ne_u32_e32 vcc, s0, v6
	s_and_saveexec_b64 s[6:7], vcc
; %bb.1751:
	s_mov_b32 s0, 0x3fffff
	v_lshrrev_b32_e32 v8, 23, v5
	v_and_b32_e32 v10, 0x400000, v5
	v_and_or_b32 v5, v5, s0, v6
	v_cmp_ne_u32_e32 vcc, 0, v10
	v_cmp_ne_u32_e64 s[0:1], 0, v5
	s_and_b64 s[0:1], vcc, s[0:1]
	v_cndmask_b32_e64 v5, 0, 1, s[0:1]
	v_add_u32_e32 v8, v8, v5
; %bb.1752:
	s_or_b64 exec, exec, s[6:7]
	s_mov_b64 s[0:1], 0
	s_mov_b64 s[6:7], -1
	global_store_byte v[3:4], v8, off
.LBB151_1753:
	s_mov_b64 s[10:11], 0
.LBB151_1754:
	s_and_b64 vcc, exec, s[10:11]
	s_cbranch_vccz .LBB151_1757
; %bb.1755:
	s_cmp_eq_u32 s17, 29
	s_mov_b64 s[0:1], -1
	s_cbranch_scc0 .LBB151_1757
; %bb.1756:
	v_bfe_i32 v5, v1, 0, 8
	v_ashrrev_i32_e32 v6, 31, v5
	global_store_dwordx2 v[3:4], v[5:6], off
	s_mov_b64 s[0:1], 0
	s_mov_b64 s[6:7], -1
.LBB151_1757:
	s_mov_b64 s[10:11], 0
.LBB151_1758:
	s_and_b64 vcc, exec, s[10:11]
	s_cbranch_vccz .LBB151_1774
; %bb.1759:
	s_cmp_lt_i32 s17, 27
	s_mov_b64 s[6:7], -1
	s_cbranch_scc1 .LBB151_1765
; %bb.1760:
	s_cmp_gt_i32 s17, 27
	s_cbranch_scc0 .LBB151_1762
; %bb.1761:
	v_bfe_i32 v5, v1, 0, 8
	s_mov_b64 s[6:7], 0
	global_store_dword v[3:4], v5, off
.LBB151_1762:
	s_andn2_b64 vcc, exec, s[6:7]
	s_cbranch_vccnz .LBB151_1764
; %bb.1763:
	v_bfe_i32 v5, v1, 0, 8
	global_store_short v[3:4], v5, off
.LBB151_1764:
	s_mov_b64 s[6:7], 0
.LBB151_1765:
	s_andn2_b64 vcc, exec, s[6:7]
	s_cbranch_vccnz .LBB151_1773
; %bb.1766:
	v_bfe_i32 v5, v1, 0, 8
	v_cvt_f32_i32_sdwa v5, sext(v5) dst_sel:DWORD dst_unused:UNUSED_PAD src0_sel:WORD_0
	s_mov_b32 s6, 0x43800000
	v_mov_b32_e32 v8, 0x80
	v_and_b32_e32 v6, 0x7fffffff, v5
	v_cmp_gt_u32_e32 vcc, s6, v6
	s_and_saveexec_b64 s[6:7], vcc
	s_cbranch_execz .LBB151_1772
; %bb.1767:
	s_mov_b32 s10, 0x3bffffff
	v_cmp_lt_u32_e32 vcc, s10, v6
	s_mov_b64 s[10:11], 0
                                        ; implicit-def: $vgpr6
	s_and_saveexec_b64 s[12:13], vcc
	s_xor_b64 s[12:13], exec, s[12:13]
	s_cbranch_execz .LBB151_2107
; %bb.1768:
	v_bfe_u32 v6, v5, 20, 1
	s_mov_b32 s18, 0x487ffff
	v_add3_u32 v6, v5, v6, s18
	s_mov_b64 s[10:11], exec
	v_lshrrev_b32_e32 v6, 20, v6
	s_andn2_saveexec_b64 s[12:13], s[12:13]
	s_cbranch_execnz .LBB151_2108
.LBB151_1769:
	s_or_b64 exec, exec, s[12:13]
	v_mov_b32_e32 v8, 0
	s_and_saveexec_b64 s[12:13], s[10:11]
.LBB151_1770:
	v_lshrrev_b32_e32 v5, 24, v5
	s_movk_i32 s10, 0x80
	v_and_or_b32 v8, v5, s10, v6
.LBB151_1771:
	s_or_b64 exec, exec, s[12:13]
.LBB151_1772:
	s_or_b64 exec, exec, s[6:7]
	global_store_byte v[3:4], v8, off
.LBB151_1773:
	s_mov_b64 s[6:7], -1
.LBB151_1774:
	s_mov_b64 s[10:11], 0
.LBB151_1775:
	s_and_b64 vcc, exec, s[10:11]
	s_cbranch_vccz .LBB151_1815
; %bb.1776:
	s_cmp_gt_i32 s17, 22
	s_mov_b64 s[4:5], -1
	s_cbranch_scc0 .LBB151_1808
; %bb.1777:
	s_cmp_lt_i32 s17, 24
	s_cbranch_scc1 .LBB151_1797
; %bb.1778:
	s_cmp_gt_i32 s17, 24
	s_cbranch_scc0 .LBB151_1786
; %bb.1779:
	v_bfe_i32 v5, v1, 0, 8
	v_cvt_f32_i32_sdwa v5, sext(v5) dst_sel:DWORD dst_unused:UNUSED_PAD src0_sel:WORD_0
	s_mov_b32 s4, 0x47800000
	v_mov_b32_e32 v8, 0x80
	v_and_b32_e32 v6, 0x7fffffff, v5
	v_cmp_gt_u32_e32 vcc, s4, v6
	s_and_saveexec_b64 s[4:5], vcc
	s_cbranch_execz .LBB151_1785
; %bb.1780:
	s_mov_b32 s6, 0x37ffffff
	v_cmp_lt_u32_e32 vcc, s6, v6
	s_mov_b64 s[6:7], 0
                                        ; implicit-def: $vgpr6
	s_and_saveexec_b64 s[10:11], vcc
	s_xor_b64 s[10:11], exec, s[10:11]
	s_cbranch_execz .LBB151_2110
; %bb.1781:
	v_bfe_u32 v6, v5, 21, 1
	s_mov_b32 s12, 0x88fffff
	v_add3_u32 v6, v5, v6, s12
	s_mov_b64 s[6:7], exec
	v_lshrrev_b32_e32 v6, 21, v6
	s_andn2_saveexec_b64 s[10:11], s[10:11]
	s_cbranch_execnz .LBB151_2111
.LBB151_1782:
	s_or_b64 exec, exec, s[10:11]
	v_mov_b32_e32 v8, 0
	s_and_saveexec_b64 s[10:11], s[6:7]
.LBB151_1783:
	v_lshrrev_b32_e32 v5, 24, v5
	s_movk_i32 s6, 0x80
	v_and_or_b32 v8, v5, s6, v6
.LBB151_1784:
	s_or_b64 exec, exec, s[10:11]
.LBB151_1785:
	s_or_b64 exec, exec, s[4:5]
	s_mov_b64 s[4:5], 0
	global_store_byte v[3:4], v8, off
.LBB151_1786:
	s_and_b64 vcc, exec, s[4:5]
	s_cbranch_vccz .LBB151_1796
; %bb.1787:
	v_bfe_i32 v5, v1, 0, 8
	v_cvt_f32_i32_sdwa v5, sext(v5) dst_sel:DWORD dst_unused:UNUSED_PAD src0_sel:WORD_0
	s_mov_b32 s4, 0x43f00000
                                        ; implicit-def: $vgpr6
	v_and_b32_e32 v8, 0x7fffffff, v5
	v_cmp_gt_u32_e32 vcc, s4, v8
	s_and_saveexec_b64 s[4:5], vcc
	s_xor_b64 s[4:5], exec, s[4:5]
	s_cbranch_execz .LBB151_1793
; %bb.1788:
	s_mov_b32 s6, 0x3c7fffff
	v_cmp_lt_u32_e32 vcc, s6, v8
                                        ; implicit-def: $vgpr6
	s_and_saveexec_b64 s[6:7], vcc
	s_xor_b64 s[6:7], exec, s[6:7]
; %bb.1789:
	v_bfe_u32 v6, v5, 20, 1
	s_mov_b32 s10, 0x407ffff
	v_add3_u32 v6, v5, v6, s10
	v_lshrrev_b32_e32 v8, 20, v6
	v_and_b32_e32 v6, 0xff00000, v6
	s_mov_b32 s10, 0x7f00000
	v_mov_b32_e32 v10, 0x7e
	v_cmp_ne_u32_e32 vcc, s10, v6
	v_cndmask_b32_e32 v6, v10, v8, vcc
; %bb.1790:
	s_andn2_saveexec_b64 s[6:7], s[6:7]
; %bb.1791:
	s_mov_b32 s10, 0x46800000
	v_add_f32_e64 v6, |v5|, s10
; %bb.1792:
	s_or_b64 exec, exec, s[6:7]
                                        ; implicit-def: $vgpr8
.LBB151_1793:
	s_andn2_saveexec_b64 s[4:5], s[4:5]
; %bb.1794:
	s_mov_b32 s6, 0x7f800000
	v_mov_b32_e32 v6, 0x7e
	v_mov_b32_e32 v10, 0x7f
	v_cmp_lt_u32_e32 vcc, s6, v8
	v_cndmask_b32_e32 v6, v6, v10, vcc
; %bb.1795:
	s_or_b64 exec, exec, s[4:5]
	v_lshrrev_b32_e32 v5, 24, v5
	s_movk_i32 s4, 0x80
	v_and_or_b32 v5, v5, s4, v6
	global_store_byte v[3:4], v5, off
.LBB151_1796:
	s_mov_b64 s[4:5], 0
.LBB151_1797:
	s_andn2_b64 vcc, exec, s[4:5]
	s_cbranch_vccnz .LBB151_1807
; %bb.1798:
	v_bfe_i32 v5, v1, 0, 8
	v_cvt_f32_i32_sdwa v5, sext(v5) dst_sel:DWORD dst_unused:UNUSED_PAD src0_sel:WORD_0
	s_mov_b32 s4, 0x47800000
                                        ; implicit-def: $vgpr6
	v_and_b32_e32 v8, 0x7fffffff, v5
	v_cmp_gt_u32_e32 vcc, s4, v8
	s_and_saveexec_b64 s[4:5], vcc
	s_xor_b64 s[4:5], exec, s[4:5]
	s_cbranch_execz .LBB151_1804
; %bb.1799:
	s_mov_b32 s6, 0x387fffff
	v_cmp_lt_u32_e32 vcc, s6, v8
                                        ; implicit-def: $vgpr6
	s_and_saveexec_b64 s[6:7], vcc
	s_xor_b64 s[6:7], exec, s[6:7]
; %bb.1800:
	v_bfe_u32 v6, v5, 21, 1
	s_mov_b32 s10, 0x80fffff
	v_add3_u32 v6, v5, v6, s10
	v_lshrrev_b32_e32 v6, 21, v6
; %bb.1801:
	s_andn2_saveexec_b64 s[6:7], s[6:7]
; %bb.1802:
	s_mov_b32 s10, 0x43000000
	v_add_f32_e64 v6, |v5|, s10
; %bb.1803:
	s_or_b64 exec, exec, s[6:7]
                                        ; implicit-def: $vgpr8
.LBB151_1804:
	s_andn2_saveexec_b64 s[4:5], s[4:5]
; %bb.1805:
	s_mov_b32 s6, 0x7f800000
	v_mov_b32_e32 v6, 0x7c
	v_mov_b32_e32 v10, 0x7f
	v_cmp_lt_u32_e32 vcc, s6, v8
	v_cndmask_b32_e32 v6, v6, v10, vcc
; %bb.1806:
	s_or_b64 exec, exec, s[4:5]
	v_lshrrev_b32_e32 v5, 24, v5
	s_movk_i32 s4, 0x80
	v_and_or_b32 v5, v5, s4, v6
	global_store_byte v[3:4], v5, off
.LBB151_1807:
	s_mov_b64 s[4:5], 0
	s_mov_b64 s[6:7], -1
.LBB151_1808:
	s_andn2_b64 vcc, exec, s[4:5]
	s_mov_b64 s[4:5], 0
	s_cbranch_vccnz .LBB151_1815
; %bb.1809:
	s_cmp_gt_i32 s17, 14
	s_mov_b64 s[10:11], -1
	s_cbranch_scc0 .LBB151_1813
; %bb.1810:
	s_cmp_eq_u32 s17, 15
	s_mov_b64 s[0:1], -1
	s_cbranch_scc0 .LBB151_1812
; %bb.1811:
	v_bfe_i32 v5, v1, 0, 8
	v_cvt_f32_i32_sdwa v5, sext(v5) dst_sel:DWORD dst_unused:UNUSED_PAD src0_sel:WORD_0
	s_movk_i32 s4, 0x7fff
	s_mov_b64 s[0:1], 0
	s_mov_b64 s[6:7], -1
	v_bfe_u32 v6, v5, 16, 1
	v_add3_u32 v5, v5, v6, s4
	global_store_short_d16_hi v[3:4], v5, off
.LBB151_1812:
	s_mov_b64 s[10:11], 0
.LBB151_1813:
	s_mov_b64 s[4:5], 0
	s_and_b64 vcc, exec, s[10:11]
	s_cbranch_vccz .LBB151_1815
; %bb.1814:
	s_cmp_lg_u32 s17, 11
	s_mov_b64 s[4:5], -1
	s_cselect_b64 s[0:1], -1, 0
.LBB151_1815:
	s_and_b64 vcc, exec, s[0:1]
	s_cbranch_vccnz .LBB151_2109
; %bb.1816:
	s_andn2_b64 vcc, exec, s[4:5]
	s_cbranch_vccnz .LBB151_1818
.LBB151_1817:
	v_mov_b32_e32 v5, 0
	v_cmp_ne_u16_sdwa s[0:1], v1, v5 src0_sel:BYTE_0 src1_sel:DWORD
	v_cndmask_b32_e64 v5, 0, 1, s[0:1]
	s_mov_b64 s[6:7], -1
	global_store_byte v[3:4], v5, off
.LBB151_1818:
	s_mov_b64 s[0:1], 0
	s_branch .LBB151_1820
.LBB151_1819:
	s_mov_b64 s[0:1], -1
	s_mov_b64 s[6:7], 0
.LBB151_1820:
	s_and_b64 vcc, exec, s[0:1]
	s_cbranch_vccz .LBB151_1859
; %bb.1821:
	s_and_b32 s4, 0xffff, s14
	s_cmp_lt_i32 s4, 5
	s_mov_b64 s[0:1], -1
	s_cbranch_scc1 .LBB151_1842
; %bb.1822:
	s_cmp_lt_i32 s4, 8
	s_cbranch_scc1 .LBB151_1832
; %bb.1823:
	s_cmp_lt_i32 s4, 9
	s_cbranch_scc1 .LBB151_1829
; %bb.1824:
	s_cmp_gt_i32 s4, 9
	s_cbranch_scc0 .LBB151_1826
; %bb.1825:
	v_bfe_i32 v5, v1, 0, 8
	v_bfe_i32 v5, v5, 0, 16
	v_cvt_f64_i32_e32 v[10:11], v5
	v_mov_b32_e32 v12, 0
	v_mov_b32_e32 v13, v12
	s_mov_b64 s[0:1], 0
	global_store_dwordx4 v[3:4], v[10:13], off
.LBB151_1826:
	s_andn2_b64 vcc, exec, s[0:1]
	s_cbranch_vccnz .LBB151_1828
; %bb.1827:
	v_bfe_i32 v5, v1, 0, 8
	v_cvt_f32_i32_sdwa v5, sext(v5) dst_sel:DWORD dst_unused:UNUSED_PAD src0_sel:WORD_0
	v_mov_b32_e32 v6, 0
	global_store_dwordx2 v[3:4], v[5:6], off
.LBB151_1828:
	s_mov_b64 s[0:1], 0
.LBB151_1829:
	s_andn2_b64 vcc, exec, s[0:1]
	s_cbranch_vccnz .LBB151_1831
; %bb.1830:
	v_cvt_f16_i16_sdwa v5, sext(v1) dst_sel:DWORD dst_unused:UNUSED_PAD src0_sel:BYTE_0
	global_store_dword v[3:4], v5, off
.LBB151_1831:
	s_mov_b64 s[0:1], 0
.LBB151_1832:
	s_andn2_b64 vcc, exec, s[0:1]
	s_cbranch_vccnz .LBB151_1841
; %bb.1833:
	s_cmp_lt_i32 s4, 6
	s_mov_b64 s[0:1], -1
	s_cbranch_scc1 .LBB151_1839
; %bb.1834:
	s_cmp_gt_i32 s4, 6
	s_cbranch_scc0 .LBB151_1836
; %bb.1835:
	v_bfe_i32 v5, v1, 0, 8
	v_bfe_i32 v5, v5, 0, 16
	v_cvt_f64_i32_e32 v[5:6], v5
	s_mov_b64 s[0:1], 0
	global_store_dwordx2 v[3:4], v[5:6], off
.LBB151_1836:
	s_andn2_b64 vcc, exec, s[0:1]
	s_cbranch_vccnz .LBB151_1838
; %bb.1837:
	v_bfe_i32 v5, v1, 0, 8
	v_cvt_f32_i32_sdwa v5, sext(v5) dst_sel:DWORD dst_unused:UNUSED_PAD src0_sel:WORD_0
	global_store_dword v[3:4], v5, off
.LBB151_1838:
	s_mov_b64 s[0:1], 0
.LBB151_1839:
	s_andn2_b64 vcc, exec, s[0:1]
	s_cbranch_vccnz .LBB151_1841
; %bb.1840:
	v_cvt_f16_i16_sdwa v5, sext(v1) dst_sel:DWORD dst_unused:UNUSED_PAD src0_sel:BYTE_0
	global_store_short v[3:4], v5, off
.LBB151_1841:
	s_mov_b64 s[0:1], 0
.LBB151_1842:
	s_andn2_b64 vcc, exec, s[0:1]
	s_cbranch_vccnz .LBB151_1858
; %bb.1843:
	s_cmp_lt_i32 s4, 2
	s_mov_b64 s[0:1], -1
	s_cbranch_scc1 .LBB151_1853
; %bb.1844:
	s_cmp_lt_i32 s4, 3
	s_cbranch_scc1 .LBB151_1850
; %bb.1845:
	s_cmp_gt_i32 s4, 3
	s_cbranch_scc0 .LBB151_1847
; %bb.1846:
	v_bfe_i32 v5, v1, 0, 8
	v_ashrrev_i32_e32 v6, 31, v5
	global_store_dwordx2 v[3:4], v[5:6], off
	s_mov_b64 s[0:1], 0
.LBB151_1847:
	s_andn2_b64 vcc, exec, s[0:1]
	s_cbranch_vccnz .LBB151_1849
; %bb.1848:
	v_bfe_i32 v5, v1, 0, 8
	global_store_dword v[3:4], v5, off
.LBB151_1849:
	s_mov_b64 s[0:1], 0
.LBB151_1850:
	s_andn2_b64 vcc, exec, s[0:1]
	s_cbranch_vccnz .LBB151_1852
; %bb.1851:
	v_bfe_i32 v5, v1, 0, 8
	global_store_short v[3:4], v5, off
.LBB151_1852:
	s_mov_b64 s[0:1], 0
.LBB151_1853:
	s_andn2_b64 vcc, exec, s[0:1]
	s_cbranch_vccnz .LBB151_1858
; %bb.1854:
	s_cmp_gt_i32 s4, 0
	s_mov_b64 s[0:1], -1
	s_cbranch_scc0 .LBB151_1856
; %bb.1855:
	global_store_byte v[3:4], v1, off
	s_mov_b64 s[0:1], 0
.LBB151_1856:
	s_andn2_b64 vcc, exec, s[0:1]
	s_cbranch_vccnz .LBB151_1858
; %bb.1857:
	global_store_byte v[3:4], v1, off
.LBB151_1858:
	s_mov_b64 s[6:7], -1
.LBB151_1859:
	s_andn2_b64 vcc, exec, s[6:7]
	s_cbranch_vccnz .LBB151_2055
; %bb.1860:
	v_mov_b32_e32 v1, 6
	v_ashrrev_i32_e64 v3, v9, s15
	v_mov_b32_e32 v4, s16
	v_cmp_gt_u16_sdwa vcc, v9, v1 src0_sel:BYTE_0 src1_sel:DWORD
	v_cndmask_b32_e32 v3, v3, v4, vcc
	v_mov_b32_e32 v4, s9
	v_add_co_u32_e32 v1, vcc, s8, v2
	s_cmp_lt_i32 s14, 11
	v_addc_co_u32_e32 v2, vcc, 0, v4, vcc
	s_cbranch_scc1 .LBB151_1938
; %bb.1861:
	s_and_b32 s17, 0xffff, s14
	s_mov_b64 s[10:11], -1
	s_mov_b64 s[4:5], 0
	s_cmp_gt_i32 s17, 25
	s_mov_b64 s[6:7], 0
	s_mov_b64 s[0:1], 0
	s_cbranch_scc0 .LBB151_1894
; %bb.1862:
	s_cmp_gt_i32 s17, 28
	s_cbranch_scc0 .LBB151_1877
; %bb.1863:
	s_cmp_gt_i32 s17, 43
	;; [unrolled: 3-line block ×3, first 2 shown]
	s_cbranch_scc0 .LBB151_1867
; %bb.1865:
	s_mov_b64 s[0:1], -1
	s_mov_b64 s[10:11], 0
	s_cmp_eq_u32 s17, 46
	s_cbranch_scc0 .LBB151_1867
; %bb.1866:
	v_bfe_i32 v4, v3, 0, 8
	v_cvt_f32_i32_sdwa v4, sext(v4) dst_sel:DWORD dst_unused:UNUSED_PAD src0_sel:WORD_0
	s_movk_i32 s6, 0x7fff
	s_mov_b64 s[0:1], 0
	v_bfe_u32 v5, v4, 16, 1
	v_add3_u32 v4, v4, v5, s6
	v_lshrrev_b32_e32 v4, 16, v4
	global_store_dword v[1:2], v4, off
	s_mov_b64 s[6:7], -1
.LBB151_1867:
	s_and_b64 vcc, exec, s[10:11]
	s_cbranch_vccz .LBB151_1872
; %bb.1868:
	s_cmp_eq_u32 s17, 44
	s_mov_b64 s[0:1], -1
	s_cbranch_scc0 .LBB151_1872
; %bb.1869:
	v_bfe_i32 v4, v3, 0, 8
	v_cvt_f32_i32_sdwa v4, sext(v4) dst_sel:DWORD dst_unused:UNUSED_PAD src0_sel:WORD_0
	s_movk_i32 s0, 0xff
	v_mov_b32_e32 v6, 0xff
	v_bfe_u32 v5, v4, 23, 8
	v_cmp_ne_u32_e32 vcc, s0, v5
	s_and_saveexec_b64 s[6:7], vcc
; %bb.1870:
	s_mov_b32 s0, 0x3fffff
	v_lshrrev_b32_e32 v6, 23, v4
	v_and_b32_e32 v8, 0x400000, v4
	v_and_or_b32 v4, v4, s0, v5
	v_cmp_ne_u32_e32 vcc, 0, v8
	v_cmp_ne_u32_e64 s[0:1], 0, v4
	s_and_b64 s[0:1], vcc, s[0:1]
	v_cndmask_b32_e64 v4, 0, 1, s[0:1]
	v_add_u32_e32 v6, v6, v4
; %bb.1871:
	s_or_b64 exec, exec, s[6:7]
	s_mov_b64 s[0:1], 0
	s_mov_b64 s[6:7], -1
	global_store_byte v[1:2], v6, off
.LBB151_1872:
	s_mov_b64 s[10:11], 0
.LBB151_1873:
	s_and_b64 vcc, exec, s[10:11]
	s_cbranch_vccz .LBB151_1876
; %bb.1874:
	s_cmp_eq_u32 s17, 29
	s_mov_b64 s[0:1], -1
	s_cbranch_scc0 .LBB151_1876
; %bb.1875:
	v_bfe_i32 v4, v3, 0, 8
	v_ashrrev_i32_e32 v5, 31, v4
	global_store_dwordx2 v[1:2], v[4:5], off
	s_mov_b64 s[0:1], 0
	s_mov_b64 s[6:7], -1
.LBB151_1876:
	s_mov_b64 s[10:11], 0
.LBB151_1877:
	s_and_b64 vcc, exec, s[10:11]
	s_cbranch_vccz .LBB151_1893
; %bb.1878:
	s_cmp_lt_i32 s17, 27
	s_mov_b64 s[6:7], -1
	s_cbranch_scc1 .LBB151_1884
; %bb.1879:
	s_cmp_gt_i32 s17, 27
	s_cbranch_scc0 .LBB151_1881
; %bb.1880:
	v_bfe_i32 v4, v3, 0, 8
	s_mov_b64 s[6:7], 0
	global_store_dword v[1:2], v4, off
.LBB151_1881:
	s_andn2_b64 vcc, exec, s[6:7]
	s_cbranch_vccnz .LBB151_1883
; %bb.1882:
	v_bfe_i32 v4, v3, 0, 8
	global_store_short v[1:2], v4, off
.LBB151_1883:
	s_mov_b64 s[6:7], 0
.LBB151_1884:
	s_andn2_b64 vcc, exec, s[6:7]
	s_cbranch_vccnz .LBB151_1892
; %bb.1885:
	v_bfe_i32 v4, v3, 0, 8
	v_cvt_f32_i32_sdwa v4, sext(v4) dst_sel:DWORD dst_unused:UNUSED_PAD src0_sel:WORD_0
	s_mov_b32 s6, 0x43800000
	v_mov_b32_e32 v6, 0x80
	v_and_b32_e32 v5, 0x7fffffff, v4
	v_cmp_gt_u32_e32 vcc, s6, v5
	s_and_saveexec_b64 s[6:7], vcc
	s_cbranch_execz .LBB151_1891
; %bb.1886:
	s_mov_b32 s10, 0x3bffffff
	v_cmp_lt_u32_e32 vcc, s10, v5
	s_mov_b64 s[10:11], 0
                                        ; implicit-def: $vgpr5
	s_and_saveexec_b64 s[12:13], vcc
	s_xor_b64 s[12:13], exec, s[12:13]
	s_cbranch_execz .LBB151_2112
; %bb.1887:
	v_bfe_u32 v5, v4, 20, 1
	s_mov_b32 s18, 0x487ffff
	v_add3_u32 v5, v4, v5, s18
	s_mov_b64 s[10:11], exec
	v_lshrrev_b32_e32 v5, 20, v5
	s_andn2_saveexec_b64 s[12:13], s[12:13]
	s_cbranch_execnz .LBB151_2113
.LBB151_1888:
	s_or_b64 exec, exec, s[12:13]
	v_mov_b32_e32 v6, 0
	s_and_saveexec_b64 s[12:13], s[10:11]
.LBB151_1889:
	v_lshrrev_b32_e32 v4, 24, v4
	s_movk_i32 s10, 0x80
	v_and_or_b32 v6, v4, s10, v5
.LBB151_1890:
	s_or_b64 exec, exec, s[12:13]
.LBB151_1891:
	s_or_b64 exec, exec, s[6:7]
	global_store_byte v[1:2], v6, off
.LBB151_1892:
	s_mov_b64 s[6:7], -1
.LBB151_1893:
	s_mov_b64 s[10:11], 0
.LBB151_1894:
	s_and_b64 vcc, exec, s[10:11]
	s_cbranch_vccz .LBB151_1934
; %bb.1895:
	s_cmp_gt_i32 s17, 22
	s_mov_b64 s[4:5], -1
	s_cbranch_scc0 .LBB151_1927
; %bb.1896:
	s_cmp_lt_i32 s17, 24
	s_cbranch_scc1 .LBB151_1916
; %bb.1897:
	s_cmp_gt_i32 s17, 24
	s_cbranch_scc0 .LBB151_1905
; %bb.1898:
	v_bfe_i32 v4, v3, 0, 8
	v_cvt_f32_i32_sdwa v4, sext(v4) dst_sel:DWORD dst_unused:UNUSED_PAD src0_sel:WORD_0
	s_mov_b32 s4, 0x47800000
	v_mov_b32_e32 v6, 0x80
	v_and_b32_e32 v5, 0x7fffffff, v4
	v_cmp_gt_u32_e32 vcc, s4, v5
	s_and_saveexec_b64 s[4:5], vcc
	s_cbranch_execz .LBB151_1904
; %bb.1899:
	s_mov_b32 s6, 0x37ffffff
	v_cmp_lt_u32_e32 vcc, s6, v5
	s_mov_b64 s[6:7], 0
                                        ; implicit-def: $vgpr5
	s_and_saveexec_b64 s[10:11], vcc
	s_xor_b64 s[10:11], exec, s[10:11]
	s_cbranch_execz .LBB151_2115
; %bb.1900:
	v_bfe_u32 v5, v4, 21, 1
	s_mov_b32 s12, 0x88fffff
	v_add3_u32 v5, v4, v5, s12
	s_mov_b64 s[6:7], exec
	v_lshrrev_b32_e32 v5, 21, v5
	s_andn2_saveexec_b64 s[10:11], s[10:11]
	s_cbranch_execnz .LBB151_2116
.LBB151_1901:
	s_or_b64 exec, exec, s[10:11]
	v_mov_b32_e32 v6, 0
	s_and_saveexec_b64 s[10:11], s[6:7]
.LBB151_1902:
	v_lshrrev_b32_e32 v4, 24, v4
	s_movk_i32 s6, 0x80
	v_and_or_b32 v6, v4, s6, v5
.LBB151_1903:
	s_or_b64 exec, exec, s[10:11]
.LBB151_1904:
	s_or_b64 exec, exec, s[4:5]
	s_mov_b64 s[4:5], 0
	global_store_byte v[1:2], v6, off
.LBB151_1905:
	s_and_b64 vcc, exec, s[4:5]
	s_cbranch_vccz .LBB151_1915
; %bb.1906:
	v_bfe_i32 v4, v3, 0, 8
	v_cvt_f32_i32_sdwa v4, sext(v4) dst_sel:DWORD dst_unused:UNUSED_PAD src0_sel:WORD_0
	s_mov_b32 s4, 0x43f00000
                                        ; implicit-def: $vgpr5
	v_and_b32_e32 v6, 0x7fffffff, v4
	v_cmp_gt_u32_e32 vcc, s4, v6
	s_and_saveexec_b64 s[4:5], vcc
	s_xor_b64 s[4:5], exec, s[4:5]
	s_cbranch_execz .LBB151_1912
; %bb.1907:
	s_mov_b32 s6, 0x3c7fffff
	v_cmp_lt_u32_e32 vcc, s6, v6
                                        ; implicit-def: $vgpr5
	s_and_saveexec_b64 s[6:7], vcc
	s_xor_b64 s[6:7], exec, s[6:7]
; %bb.1908:
	v_bfe_u32 v5, v4, 20, 1
	s_mov_b32 s10, 0x407ffff
	v_add3_u32 v5, v4, v5, s10
	v_lshrrev_b32_e32 v6, 20, v5
	v_and_b32_e32 v5, 0xff00000, v5
	s_mov_b32 s10, 0x7f00000
	v_mov_b32_e32 v8, 0x7e
	v_cmp_ne_u32_e32 vcc, s10, v5
	v_cndmask_b32_e32 v5, v8, v6, vcc
; %bb.1909:
	s_andn2_saveexec_b64 s[6:7], s[6:7]
; %bb.1910:
	s_mov_b32 s10, 0x46800000
	v_add_f32_e64 v5, |v4|, s10
; %bb.1911:
	s_or_b64 exec, exec, s[6:7]
                                        ; implicit-def: $vgpr6
.LBB151_1912:
	s_andn2_saveexec_b64 s[4:5], s[4:5]
; %bb.1913:
	s_mov_b32 s6, 0x7f800000
	v_mov_b32_e32 v5, 0x7e
	v_mov_b32_e32 v8, 0x7f
	v_cmp_lt_u32_e32 vcc, s6, v6
	v_cndmask_b32_e32 v5, v5, v8, vcc
; %bb.1914:
	s_or_b64 exec, exec, s[4:5]
	v_lshrrev_b32_e32 v4, 24, v4
	s_movk_i32 s4, 0x80
	v_and_or_b32 v4, v4, s4, v5
	global_store_byte v[1:2], v4, off
.LBB151_1915:
	s_mov_b64 s[4:5], 0
.LBB151_1916:
	s_andn2_b64 vcc, exec, s[4:5]
	s_cbranch_vccnz .LBB151_1926
; %bb.1917:
	v_bfe_i32 v4, v3, 0, 8
	v_cvt_f32_i32_sdwa v4, sext(v4) dst_sel:DWORD dst_unused:UNUSED_PAD src0_sel:WORD_0
	s_mov_b32 s4, 0x47800000
                                        ; implicit-def: $vgpr5
	v_and_b32_e32 v6, 0x7fffffff, v4
	v_cmp_gt_u32_e32 vcc, s4, v6
	s_and_saveexec_b64 s[4:5], vcc
	s_xor_b64 s[4:5], exec, s[4:5]
	s_cbranch_execz .LBB151_1923
; %bb.1918:
	s_mov_b32 s6, 0x387fffff
	v_cmp_lt_u32_e32 vcc, s6, v6
                                        ; implicit-def: $vgpr5
	s_and_saveexec_b64 s[6:7], vcc
	s_xor_b64 s[6:7], exec, s[6:7]
; %bb.1919:
	v_bfe_u32 v5, v4, 21, 1
	s_mov_b32 s10, 0x80fffff
	v_add3_u32 v5, v4, v5, s10
	v_lshrrev_b32_e32 v5, 21, v5
; %bb.1920:
	s_andn2_saveexec_b64 s[6:7], s[6:7]
; %bb.1921:
	s_mov_b32 s10, 0x43000000
	v_add_f32_e64 v5, |v4|, s10
; %bb.1922:
	s_or_b64 exec, exec, s[6:7]
                                        ; implicit-def: $vgpr6
.LBB151_1923:
	s_andn2_saveexec_b64 s[4:5], s[4:5]
; %bb.1924:
	s_mov_b32 s6, 0x7f800000
	v_mov_b32_e32 v5, 0x7c
	v_mov_b32_e32 v8, 0x7f
	v_cmp_lt_u32_e32 vcc, s6, v6
	v_cndmask_b32_e32 v5, v5, v8, vcc
; %bb.1925:
	s_or_b64 exec, exec, s[4:5]
	v_lshrrev_b32_e32 v4, 24, v4
	s_movk_i32 s4, 0x80
	v_and_or_b32 v4, v4, s4, v5
	global_store_byte v[1:2], v4, off
.LBB151_1926:
	s_mov_b64 s[4:5], 0
	s_mov_b64 s[6:7], -1
.LBB151_1927:
	s_andn2_b64 vcc, exec, s[4:5]
	s_mov_b64 s[4:5], 0
	s_cbranch_vccnz .LBB151_1934
; %bb.1928:
	s_cmp_gt_i32 s17, 14
	s_mov_b64 s[10:11], -1
	s_cbranch_scc0 .LBB151_1932
; %bb.1929:
	s_cmp_eq_u32 s17, 15
	s_mov_b64 s[0:1], -1
	s_cbranch_scc0 .LBB151_1931
; %bb.1930:
	v_bfe_i32 v4, v3, 0, 8
	v_cvt_f32_i32_sdwa v4, sext(v4) dst_sel:DWORD dst_unused:UNUSED_PAD src0_sel:WORD_0
	s_movk_i32 s4, 0x7fff
	s_mov_b64 s[0:1], 0
	s_mov_b64 s[6:7], -1
	v_bfe_u32 v5, v4, 16, 1
	v_add3_u32 v4, v4, v5, s4
	global_store_short_d16_hi v[1:2], v4, off
.LBB151_1931:
	s_mov_b64 s[10:11], 0
.LBB151_1932:
	s_mov_b64 s[4:5], 0
	s_and_b64 vcc, exec, s[10:11]
	s_cbranch_vccz .LBB151_1934
; %bb.1933:
	s_cmp_lg_u32 s17, 11
	s_mov_b64 s[4:5], -1
	s_cselect_b64 s[0:1], -1, 0
.LBB151_1934:
	s_and_b64 vcc, exec, s[0:1]
	s_cbranch_vccnz .LBB151_2114
; %bb.1935:
	s_andn2_b64 vcc, exec, s[4:5]
	s_cbranch_vccnz .LBB151_1937
.LBB151_1936:
	v_mov_b32_e32 v4, 0
	v_cmp_ne_u16_sdwa s[0:1], v3, v4 src0_sel:BYTE_0 src1_sel:DWORD
	v_cndmask_b32_e64 v4, 0, 1, s[0:1]
	s_mov_b64 s[6:7], -1
	global_store_byte v[1:2], v4, off
.LBB151_1937:
	s_mov_b64 s[0:1], 0
	s_branch .LBB151_1939
.LBB151_1938:
	s_mov_b64 s[0:1], -1
	s_mov_b64 s[6:7], 0
.LBB151_1939:
	s_and_b64 vcc, exec, s[0:1]
	s_cbranch_vccz .LBB151_1978
; %bb.1940:
	s_and_b32 s4, 0xffff, s14
	s_cmp_lt_i32 s4, 5
	s_mov_b64 s[0:1], -1
	s_cbranch_scc1 .LBB151_1961
; %bb.1941:
	s_cmp_lt_i32 s4, 8
	s_cbranch_scc1 .LBB151_1951
; %bb.1942:
	s_cmp_lt_i32 s4, 9
	s_cbranch_scc1 .LBB151_1948
; %bb.1943:
	s_cmp_gt_i32 s4, 9
	s_cbranch_scc0 .LBB151_1945
; %bb.1944:
	v_bfe_i32 v4, v3, 0, 8
	v_bfe_i32 v4, v4, 0, 16
	v_cvt_f64_i32_e32 v[8:9], v4
	v_mov_b32_e32 v10, 0
	v_mov_b32_e32 v11, v10
	s_mov_b64 s[0:1], 0
	global_store_dwordx4 v[1:2], v[8:11], off
.LBB151_1945:
	s_andn2_b64 vcc, exec, s[0:1]
	s_cbranch_vccnz .LBB151_1947
; %bb.1946:
	v_bfe_i32 v4, v3, 0, 8
	v_cvt_f32_i32_sdwa v4, sext(v4) dst_sel:DWORD dst_unused:UNUSED_PAD src0_sel:WORD_0
	v_mov_b32_e32 v5, 0
	global_store_dwordx2 v[1:2], v[4:5], off
.LBB151_1947:
	s_mov_b64 s[0:1], 0
.LBB151_1948:
	s_andn2_b64 vcc, exec, s[0:1]
	s_cbranch_vccnz .LBB151_1950
; %bb.1949:
	v_cvt_f16_i16_sdwa v4, sext(v3) dst_sel:DWORD dst_unused:UNUSED_PAD src0_sel:BYTE_0
	global_store_dword v[1:2], v4, off
.LBB151_1950:
	s_mov_b64 s[0:1], 0
.LBB151_1951:
	s_andn2_b64 vcc, exec, s[0:1]
	s_cbranch_vccnz .LBB151_1960
; %bb.1952:
	s_cmp_lt_i32 s4, 6
	s_mov_b64 s[0:1], -1
	s_cbranch_scc1 .LBB151_1958
; %bb.1953:
	s_cmp_gt_i32 s4, 6
	s_cbranch_scc0 .LBB151_1955
; %bb.1954:
	v_bfe_i32 v4, v3, 0, 8
	v_bfe_i32 v4, v4, 0, 16
	v_cvt_f64_i32_e32 v[4:5], v4
	s_mov_b64 s[0:1], 0
	global_store_dwordx2 v[1:2], v[4:5], off
.LBB151_1955:
	s_andn2_b64 vcc, exec, s[0:1]
	s_cbranch_vccnz .LBB151_1957
; %bb.1956:
	v_bfe_i32 v4, v3, 0, 8
	v_cvt_f32_i32_sdwa v4, sext(v4) dst_sel:DWORD dst_unused:UNUSED_PAD src0_sel:WORD_0
	global_store_dword v[1:2], v4, off
.LBB151_1957:
	s_mov_b64 s[0:1], 0
.LBB151_1958:
	s_andn2_b64 vcc, exec, s[0:1]
	s_cbranch_vccnz .LBB151_1960
; %bb.1959:
	v_cvt_f16_i16_sdwa v4, sext(v3) dst_sel:DWORD dst_unused:UNUSED_PAD src0_sel:BYTE_0
	global_store_short v[1:2], v4, off
.LBB151_1960:
	s_mov_b64 s[0:1], 0
.LBB151_1961:
	s_andn2_b64 vcc, exec, s[0:1]
	s_cbranch_vccnz .LBB151_1977
; %bb.1962:
	s_cmp_lt_i32 s4, 2
	s_mov_b64 s[0:1], -1
	s_cbranch_scc1 .LBB151_1972
; %bb.1963:
	s_cmp_lt_i32 s4, 3
	s_cbranch_scc1 .LBB151_1969
; %bb.1964:
	s_cmp_gt_i32 s4, 3
	s_cbranch_scc0 .LBB151_1966
; %bb.1965:
	v_bfe_i32 v4, v3, 0, 8
	v_ashrrev_i32_e32 v5, 31, v4
	global_store_dwordx2 v[1:2], v[4:5], off
	s_mov_b64 s[0:1], 0
.LBB151_1966:
	s_andn2_b64 vcc, exec, s[0:1]
	s_cbranch_vccnz .LBB151_1968
; %bb.1967:
	v_bfe_i32 v4, v3, 0, 8
	global_store_dword v[1:2], v4, off
.LBB151_1968:
	s_mov_b64 s[0:1], 0
.LBB151_1969:
	s_andn2_b64 vcc, exec, s[0:1]
	s_cbranch_vccnz .LBB151_1971
; %bb.1970:
	v_bfe_i32 v4, v3, 0, 8
	global_store_short v[1:2], v4, off
.LBB151_1971:
	s_mov_b64 s[0:1], 0
.LBB151_1972:
	s_andn2_b64 vcc, exec, s[0:1]
	s_cbranch_vccnz .LBB151_1977
; %bb.1973:
	s_cmp_gt_i32 s4, 0
	s_mov_b64 s[0:1], -1
	s_cbranch_scc0 .LBB151_1975
; %bb.1974:
	global_store_byte v[1:2], v3, off
	s_mov_b64 s[0:1], 0
.LBB151_1975:
	s_andn2_b64 vcc, exec, s[0:1]
	s_cbranch_vccnz .LBB151_1977
; %bb.1976:
	global_store_byte v[1:2], v3, off
.LBB151_1977:
	s_mov_b64 s[6:7], -1
.LBB151_1978:
	s_andn2_b64 vcc, exec, s[6:7]
	s_cbranch_vccnz .LBB151_2055
; %bb.1979:
	v_mov_b32_e32 v1, 6
	v_ashrrev_i32_e64 v2, v7, s15
	v_mov_b32_e32 v3, s16
	v_cmp_gt_u16_sdwa vcc, v7, v1 src0_sel:BYTE_0 src1_sel:DWORD
	v_cndmask_b32_e32 v2, v2, v3, vcc
	v_mov_b32_e32 v1, s9
	v_add_co_u32_e32 v0, vcc, s8, v0
	s_cmp_lt_i32 s14, 11
	v_addc_co_u32_e32 v1, vcc, 0, v1, vcc
	s_cbranch_scc1 .LBB151_2100
; %bb.1980:
	s_and_b32 s12, 0xffff, s14
	s_mov_b64 s[6:7], -1
	s_mov_b64 s[4:5], 0
	s_cmp_gt_i32 s12, 25
	s_mov_b64 s[0:1], 0
	s_cbranch_scc0 .LBB151_2013
; %bb.1981:
	s_cmp_gt_i32 s12, 28
	s_cbranch_scc0 .LBB151_1997
; %bb.1982:
	s_cmp_gt_i32 s12, 43
	s_cbranch_scc0 .LBB151_1993
; %bb.1983:
	s_cmp_gt_i32 s12, 45
	s_cbranch_scc0 .LBB151_1987
; %bb.1984:
	s_cmp_eq_u32 s12, 46
	s_mov_b64 s[0:1], -1
	s_cbranch_scc0 .LBB151_1986
; %bb.1985:
	v_bfe_i32 v3, v2, 0, 8
	v_cvt_f32_i32_sdwa v3, sext(v3) dst_sel:DWORD dst_unused:UNUSED_PAD src0_sel:WORD_0
	s_movk_i32 s0, 0x7fff
	v_bfe_u32 v4, v3, 16, 1
	v_add3_u32 v3, v3, v4, s0
	v_lshrrev_b32_e32 v3, 16, v3
	global_store_dword v[0:1], v3, off
	s_mov_b64 s[0:1], 0
.LBB151_1986:
	s_mov_b64 s[6:7], 0
.LBB151_1987:
	s_and_b64 vcc, exec, s[6:7]
	s_cbranch_vccz .LBB151_1992
; %bb.1988:
	s_cmp_eq_u32 s12, 44
	s_mov_b64 s[0:1], -1
	s_cbranch_scc0 .LBB151_1992
; %bb.1989:
	v_bfe_i32 v3, v2, 0, 8
	v_cvt_f32_i32_sdwa v3, sext(v3) dst_sel:DWORD dst_unused:UNUSED_PAD src0_sel:WORD_0
	s_movk_i32 s0, 0xff
	v_mov_b32_e32 v5, 0xff
	v_bfe_u32 v4, v3, 23, 8
	v_cmp_ne_u32_e32 vcc, s0, v4
	s_and_saveexec_b64 s[6:7], vcc
; %bb.1990:
	s_mov_b32 s0, 0x3fffff
	v_lshrrev_b32_e32 v5, 23, v3
	v_and_b32_e32 v6, 0x400000, v3
	v_and_or_b32 v3, v3, s0, v4
	v_cmp_ne_u32_e32 vcc, 0, v6
	v_cmp_ne_u32_e64 s[0:1], 0, v3
	s_and_b64 s[0:1], vcc, s[0:1]
	v_cndmask_b32_e64 v3, 0, 1, s[0:1]
	v_add_u32_e32 v5, v5, v3
; %bb.1991:
	s_or_b64 exec, exec, s[6:7]
	s_mov_b64 s[0:1], 0
	global_store_byte v[0:1], v5, off
.LBB151_1992:
	s_mov_b64 s[6:7], 0
.LBB151_1993:
	s_and_b64 vcc, exec, s[6:7]
	s_cbranch_vccz .LBB151_1996
; %bb.1994:
	s_cmp_eq_u32 s12, 29
	s_mov_b64 s[0:1], -1
	s_cbranch_scc0 .LBB151_1996
; %bb.1995:
	v_bfe_i32 v3, v2, 0, 8
	v_ashrrev_i32_e32 v4, 31, v3
	global_store_dwordx2 v[0:1], v[3:4], off
	s_mov_b64 s[0:1], 0
.LBB151_1996:
	s_mov_b64 s[6:7], 0
.LBB151_1997:
	s_and_b64 vcc, exec, s[6:7]
	s_cbranch_vccz .LBB151_2012
; %bb.1998:
	s_cmp_lt_i32 s12, 27
	s_mov_b64 s[6:7], -1
	s_cbranch_scc1 .LBB151_2004
; %bb.1999:
	s_cmp_gt_i32 s12, 27
	s_cbranch_scc0 .LBB151_2001
; %bb.2000:
	v_bfe_i32 v3, v2, 0, 8
	global_store_dword v[0:1], v3, off
	s_mov_b64 s[6:7], 0
.LBB151_2001:
	s_andn2_b64 vcc, exec, s[6:7]
	s_cbranch_vccnz .LBB151_2003
; %bb.2002:
	v_bfe_i32 v3, v2, 0, 8
	global_store_short v[0:1], v3, off
.LBB151_2003:
	s_mov_b64 s[6:7], 0
.LBB151_2004:
	s_andn2_b64 vcc, exec, s[6:7]
	s_cbranch_vccnz .LBB151_2012
; %bb.2005:
	v_bfe_i32 v3, v2, 0, 8
	v_cvt_f32_i32_sdwa v3, sext(v3) dst_sel:DWORD dst_unused:UNUSED_PAD src0_sel:WORD_0
	s_mov_b32 s6, 0x43800000
	v_mov_b32_e32 v5, 0x80
	v_and_b32_e32 v4, 0x7fffffff, v3
	v_cmp_gt_u32_e32 vcc, s6, v4
	s_and_saveexec_b64 s[6:7], vcc
	s_cbranch_execz .LBB151_2011
; %bb.2006:
	s_mov_b32 s8, 0x3bffffff
	v_cmp_lt_u32_e32 vcc, s8, v4
	s_mov_b64 s[8:9], 0
                                        ; implicit-def: $vgpr4
	s_and_saveexec_b64 s[10:11], vcc
	s_xor_b64 s[10:11], exec, s[10:11]
	s_cbranch_execz .LBB151_2117
; %bb.2007:
	v_bfe_u32 v4, v3, 20, 1
	s_mov_b32 s13, 0x487ffff
	v_add3_u32 v4, v3, v4, s13
	s_mov_b64 s[8:9], exec
	v_lshrrev_b32_e32 v4, 20, v4
	s_andn2_saveexec_b64 s[10:11], s[10:11]
	s_cbranch_execnz .LBB151_2118
.LBB151_2008:
	s_or_b64 exec, exec, s[10:11]
	v_mov_b32_e32 v5, 0
	s_and_saveexec_b64 s[10:11], s[8:9]
.LBB151_2009:
	v_lshrrev_b32_e32 v3, 24, v3
	s_movk_i32 s8, 0x80
	v_and_or_b32 v5, v3, s8, v4
.LBB151_2010:
	s_or_b64 exec, exec, s[10:11]
.LBB151_2011:
	s_or_b64 exec, exec, s[6:7]
	global_store_byte v[0:1], v5, off
.LBB151_2012:
	s_mov_b64 s[6:7], 0
.LBB151_2013:
	s_and_b64 vcc, exec, s[6:7]
	s_cbranch_vccz .LBB151_2053
; %bb.2014:
	s_cmp_gt_i32 s12, 22
	s_mov_b64 s[4:5], -1
	s_cbranch_scc0 .LBB151_2046
; %bb.2015:
	s_cmp_lt_i32 s12, 24
	s_cbranch_scc1 .LBB151_2035
; %bb.2016:
	s_cmp_gt_i32 s12, 24
	s_cbranch_scc0 .LBB151_2024
; %bb.2017:
	v_bfe_i32 v3, v2, 0, 8
	v_cvt_f32_i32_sdwa v3, sext(v3) dst_sel:DWORD dst_unused:UNUSED_PAD src0_sel:WORD_0
	s_mov_b32 s4, 0x47800000
	v_mov_b32_e32 v5, 0x80
	v_and_b32_e32 v4, 0x7fffffff, v3
	v_cmp_gt_u32_e32 vcc, s4, v4
	s_and_saveexec_b64 s[4:5], vcc
	s_cbranch_execz .LBB151_2023
; %bb.2018:
	s_mov_b32 s6, 0x37ffffff
	v_cmp_lt_u32_e32 vcc, s6, v4
	s_mov_b64 s[6:7], 0
                                        ; implicit-def: $vgpr4
	s_and_saveexec_b64 s[8:9], vcc
	s_xor_b64 s[8:9], exec, s[8:9]
	s_cbranch_execz .LBB151_2120
; %bb.2019:
	v_bfe_u32 v4, v3, 21, 1
	s_mov_b32 s10, 0x88fffff
	v_add3_u32 v4, v3, v4, s10
	s_mov_b64 s[6:7], exec
	v_lshrrev_b32_e32 v4, 21, v4
	s_andn2_saveexec_b64 s[8:9], s[8:9]
	s_cbranch_execnz .LBB151_2121
.LBB151_2020:
	s_or_b64 exec, exec, s[8:9]
	v_mov_b32_e32 v5, 0
	s_and_saveexec_b64 s[8:9], s[6:7]
.LBB151_2021:
	v_lshrrev_b32_e32 v3, 24, v3
	s_movk_i32 s6, 0x80
	v_and_or_b32 v5, v3, s6, v4
.LBB151_2022:
	s_or_b64 exec, exec, s[8:9]
.LBB151_2023:
	s_or_b64 exec, exec, s[4:5]
	s_mov_b64 s[4:5], 0
	global_store_byte v[0:1], v5, off
.LBB151_2024:
	s_and_b64 vcc, exec, s[4:5]
	s_cbranch_vccz .LBB151_2034
; %bb.2025:
	v_bfe_i32 v3, v2, 0, 8
	v_cvt_f32_i32_sdwa v3, sext(v3) dst_sel:DWORD dst_unused:UNUSED_PAD src0_sel:WORD_0
	s_mov_b32 s4, 0x43f00000
                                        ; implicit-def: $vgpr4
	v_and_b32_e32 v5, 0x7fffffff, v3
	v_cmp_gt_u32_e32 vcc, s4, v5
	s_and_saveexec_b64 s[4:5], vcc
	s_xor_b64 s[4:5], exec, s[4:5]
	s_cbranch_execz .LBB151_2031
; %bb.2026:
	s_mov_b32 s6, 0x3c7fffff
	v_cmp_lt_u32_e32 vcc, s6, v5
                                        ; implicit-def: $vgpr4
	s_and_saveexec_b64 s[6:7], vcc
	s_xor_b64 s[6:7], exec, s[6:7]
; %bb.2027:
	v_bfe_u32 v4, v3, 20, 1
	s_mov_b32 s8, 0x407ffff
	v_add3_u32 v4, v3, v4, s8
	v_lshrrev_b32_e32 v5, 20, v4
	v_and_b32_e32 v4, 0xff00000, v4
	s_mov_b32 s8, 0x7f00000
	v_mov_b32_e32 v6, 0x7e
	v_cmp_ne_u32_e32 vcc, s8, v4
	v_cndmask_b32_e32 v4, v6, v5, vcc
; %bb.2028:
	s_andn2_saveexec_b64 s[6:7], s[6:7]
; %bb.2029:
	s_mov_b32 s8, 0x46800000
	v_add_f32_e64 v4, |v3|, s8
; %bb.2030:
	s_or_b64 exec, exec, s[6:7]
                                        ; implicit-def: $vgpr5
.LBB151_2031:
	s_andn2_saveexec_b64 s[4:5], s[4:5]
; %bb.2032:
	s_mov_b32 s6, 0x7f800000
	v_mov_b32_e32 v4, 0x7e
	v_mov_b32_e32 v6, 0x7f
	v_cmp_lt_u32_e32 vcc, s6, v5
	v_cndmask_b32_e32 v4, v4, v6, vcc
; %bb.2033:
	s_or_b64 exec, exec, s[4:5]
	v_lshrrev_b32_e32 v3, 24, v3
	s_movk_i32 s4, 0x80
	v_and_or_b32 v3, v3, s4, v4
	global_store_byte v[0:1], v3, off
.LBB151_2034:
	s_mov_b64 s[4:5], 0
.LBB151_2035:
	s_andn2_b64 vcc, exec, s[4:5]
	s_cbranch_vccnz .LBB151_2045
; %bb.2036:
	v_bfe_i32 v3, v2, 0, 8
	v_cvt_f32_i32_sdwa v3, sext(v3) dst_sel:DWORD dst_unused:UNUSED_PAD src0_sel:WORD_0
	s_mov_b32 s4, 0x47800000
                                        ; implicit-def: $vgpr4
	v_and_b32_e32 v5, 0x7fffffff, v3
	v_cmp_gt_u32_e32 vcc, s4, v5
	s_and_saveexec_b64 s[4:5], vcc
	s_xor_b64 s[4:5], exec, s[4:5]
	s_cbranch_execz .LBB151_2042
; %bb.2037:
	s_mov_b32 s6, 0x387fffff
	v_cmp_lt_u32_e32 vcc, s6, v5
                                        ; implicit-def: $vgpr4
	s_and_saveexec_b64 s[6:7], vcc
	s_xor_b64 s[6:7], exec, s[6:7]
; %bb.2038:
	v_bfe_u32 v4, v3, 21, 1
	s_mov_b32 s8, 0x80fffff
	v_add3_u32 v4, v3, v4, s8
	v_lshrrev_b32_e32 v4, 21, v4
; %bb.2039:
	s_andn2_saveexec_b64 s[6:7], s[6:7]
; %bb.2040:
	s_mov_b32 s8, 0x43000000
	v_add_f32_e64 v4, |v3|, s8
; %bb.2041:
	s_or_b64 exec, exec, s[6:7]
                                        ; implicit-def: $vgpr5
.LBB151_2042:
	s_andn2_saveexec_b64 s[4:5], s[4:5]
; %bb.2043:
	s_mov_b32 s6, 0x7f800000
	v_mov_b32_e32 v4, 0x7c
	v_mov_b32_e32 v6, 0x7f
	v_cmp_lt_u32_e32 vcc, s6, v5
	v_cndmask_b32_e32 v4, v4, v6, vcc
; %bb.2044:
	s_or_b64 exec, exec, s[4:5]
	v_lshrrev_b32_e32 v3, 24, v3
	s_movk_i32 s4, 0x80
	v_and_or_b32 v3, v3, s4, v4
	global_store_byte v[0:1], v3, off
.LBB151_2045:
	s_mov_b64 s[4:5], 0
.LBB151_2046:
	s_andn2_b64 vcc, exec, s[4:5]
	s_mov_b64 s[4:5], 0
	s_cbranch_vccnz .LBB151_2053
; %bb.2047:
	s_cmp_gt_i32 s12, 14
	s_mov_b64 s[6:7], -1
	s_cbranch_scc0 .LBB151_2051
; %bb.2048:
	s_cmp_eq_u32 s12, 15
	s_mov_b64 s[0:1], -1
	s_cbranch_scc0 .LBB151_2050
; %bb.2049:
	v_bfe_i32 v3, v2, 0, 8
	v_cvt_f32_i32_sdwa v3, sext(v3) dst_sel:DWORD dst_unused:UNUSED_PAD src0_sel:WORD_0
	s_movk_i32 s0, 0x7fff
	v_bfe_u32 v4, v3, 16, 1
	v_add3_u32 v3, v3, v4, s0
	global_store_short_d16_hi v[0:1], v3, off
	s_mov_b64 s[0:1], 0
.LBB151_2050:
	s_mov_b64 s[6:7], 0
.LBB151_2051:
	s_and_b64 vcc, exec, s[6:7]
	s_cbranch_vccz .LBB151_2053
; %bb.2052:
	s_cmp_lg_u32 s12, 11
	s_mov_b64 s[4:5], -1
	s_cselect_b64 s[0:1], -1, 0
.LBB151_2053:
	s_and_b64 vcc, exec, s[0:1]
	s_cbranch_vccnz .LBB151_2119
.LBB151_2054:
	s_mov_b64 s[0:1], 0
	s_branch .LBB151_2056
.LBB151_2055:
	s_mov_b64 s[0:1], 0
	s_mov_b64 s[4:5], 0
                                        ; implicit-def: $vgpr0_vgpr1
                                        ; implicit-def: $sgpr14
                                        ; implicit-def: $vgpr2
.LBB151_2056:
	s_and_b64 s[6:7], s[4:5], exec
	s_andn2_b64 s[4:5], s[28:29], exec
	s_and_b64 s[2:3], s[2:3], exec
	s_and_b64 s[0:1], s[0:1], exec
	s_or_b64 s[28:29], s[4:5], s[2:3]
.LBB151_2057:
	s_or_b64 exec, exec, s[30:31]
	s_and_saveexec_b64 s[2:3], s[28:29]
	s_cbranch_execz .LBB151_2060
; %bb.2058:
	; divergent unreachable
	s_or_b64 exec, exec, s[2:3]
	s_and_saveexec_b64 s[2:3], s[6:7]
	s_xor_b64 s[2:3], exec, s[2:3]
	s_cbranch_execnz .LBB151_2061
.LBB151_2059:
	s_or_b64 exec, exec, s[2:3]
	s_and_saveexec_b64 s[2:3], s[0:1]
	s_cbranch_execnz .LBB151_2062
	s_branch .LBB151_2099
.LBB151_2060:
	s_or_b64 exec, exec, s[2:3]
	s_and_saveexec_b64 s[2:3], s[6:7]
	s_xor_b64 s[2:3], exec, s[2:3]
	s_cbranch_execz .LBB151_2059
.LBB151_2061:
	s_waitcnt vmcnt(0)
	v_mov_b32_e32 v3, 0
	v_cmp_ne_u16_sdwa s[4:5], v2, v3 src0_sel:BYTE_0 src1_sel:DWORD
	v_cndmask_b32_e64 v3, 0, 1, s[4:5]
	global_store_byte v[0:1], v3, off
	s_or_b64 exec, exec, s[2:3]
	s_and_saveexec_b64 s[2:3], s[0:1]
	s_cbranch_execz .LBB151_2099
.LBB151_2062:
	s_sext_i32_i16 s2, s14
	s_cmp_lt_i32 s2, 5
	s_mov_b64 s[0:1], -1
	s_cbranch_scc1 .LBB151_2083
; %bb.2063:
	s_cmp_lt_i32 s2, 8
	s_cbranch_scc1 .LBB151_2073
; %bb.2064:
	s_cmp_lt_i32 s2, 9
	s_cbranch_scc1 .LBB151_2070
; %bb.2065:
	s_cmp_gt_i32 s2, 9
	s_cbranch_scc0 .LBB151_2067
; %bb.2066:
	s_waitcnt vmcnt(0)
	v_bfe_i32 v3, v2, 0, 8
	v_bfe_i32 v3, v3, 0, 16
	v_cvt_f64_i32_e32 v[3:4], v3
	v_mov_b32_e32 v5, 0
	v_mov_b32_e32 v6, v5
	s_mov_b64 s[0:1], 0
	global_store_dwordx4 v[0:1], v[3:6], off
.LBB151_2067:
	s_andn2_b64 vcc, exec, s[0:1]
	s_cbranch_vccnz .LBB151_2069
; %bb.2068:
	s_waitcnt vmcnt(0)
	v_bfe_i32 v3, v2, 0, 8
	v_cvt_f32_i32_sdwa v3, sext(v3) dst_sel:DWORD dst_unused:UNUSED_PAD src0_sel:WORD_0
	v_mov_b32_e32 v4, 0
	global_store_dwordx2 v[0:1], v[3:4], off
.LBB151_2069:
	s_mov_b64 s[0:1], 0
.LBB151_2070:
	s_andn2_b64 vcc, exec, s[0:1]
	s_cbranch_vccnz .LBB151_2072
; %bb.2071:
	s_waitcnt vmcnt(0)
	v_cvt_f16_i16_sdwa v3, sext(v2) dst_sel:DWORD dst_unused:UNUSED_PAD src0_sel:BYTE_0
	global_store_dword v[0:1], v3, off
.LBB151_2072:
	s_mov_b64 s[0:1], 0
.LBB151_2073:
	s_andn2_b64 vcc, exec, s[0:1]
	s_cbranch_vccnz .LBB151_2082
; %bb.2074:
	s_sext_i32_i16 s2, s14
	s_cmp_lt_i32 s2, 6
	s_mov_b64 s[0:1], -1
	s_cbranch_scc1 .LBB151_2080
; %bb.2075:
	s_cmp_gt_i32 s2, 6
	s_cbranch_scc0 .LBB151_2077
; %bb.2076:
	s_waitcnt vmcnt(0)
	v_bfe_i32 v3, v2, 0, 8
	v_bfe_i32 v3, v3, 0, 16
	v_cvt_f64_i32_e32 v[3:4], v3
	s_mov_b64 s[0:1], 0
	global_store_dwordx2 v[0:1], v[3:4], off
.LBB151_2077:
	s_andn2_b64 vcc, exec, s[0:1]
	s_cbranch_vccnz .LBB151_2079
; %bb.2078:
	s_waitcnt vmcnt(0)
	v_bfe_i32 v3, v2, 0, 8
	v_cvt_f32_i32_sdwa v3, sext(v3) dst_sel:DWORD dst_unused:UNUSED_PAD src0_sel:WORD_0
	global_store_dword v[0:1], v3, off
.LBB151_2079:
	s_mov_b64 s[0:1], 0
.LBB151_2080:
	s_andn2_b64 vcc, exec, s[0:1]
	s_cbranch_vccnz .LBB151_2082
; %bb.2081:
	s_waitcnt vmcnt(0)
	v_cvt_f16_i16_sdwa v3, sext(v2) dst_sel:DWORD dst_unused:UNUSED_PAD src0_sel:BYTE_0
	global_store_short v[0:1], v3, off
.LBB151_2082:
	s_mov_b64 s[0:1], 0
.LBB151_2083:
	s_andn2_b64 vcc, exec, s[0:1]
	s_cbranch_vccnz .LBB151_2099
; %bb.2084:
	s_sext_i32_i16 s2, s14
	s_cmp_lt_i32 s2, 2
	s_mov_b64 s[0:1], -1
	s_cbranch_scc1 .LBB151_2094
; %bb.2085:
	s_cmp_lt_i32 s2, 3
	s_cbranch_scc1 .LBB151_2091
; %bb.2086:
	s_cmp_gt_i32 s2, 3
	s_cbranch_scc0 .LBB151_2088
; %bb.2087:
	s_waitcnt vmcnt(0)
	v_bfe_i32 v3, v2, 0, 8
	v_ashrrev_i32_e32 v4, 31, v3
	global_store_dwordx2 v[0:1], v[3:4], off
	s_mov_b64 s[0:1], 0
.LBB151_2088:
	s_andn2_b64 vcc, exec, s[0:1]
	s_cbranch_vccnz .LBB151_2090
; %bb.2089:
	s_waitcnt vmcnt(0)
	v_bfe_i32 v3, v2, 0, 8
	global_store_dword v[0:1], v3, off
.LBB151_2090:
	s_mov_b64 s[0:1], 0
.LBB151_2091:
	s_andn2_b64 vcc, exec, s[0:1]
	s_cbranch_vccnz .LBB151_2093
; %bb.2092:
	s_waitcnt vmcnt(0)
	v_bfe_i32 v3, v2, 0, 8
	global_store_short v[0:1], v3, off
.LBB151_2093:
	s_mov_b64 s[0:1], 0
.LBB151_2094:
	s_andn2_b64 vcc, exec, s[0:1]
	s_cbranch_vccnz .LBB151_2099
; %bb.2095:
	s_sext_i32_i16 s0, s14
	s_cmp_gt_i32 s0, 0
	s_mov_b64 s[0:1], -1
	s_cbranch_scc0 .LBB151_2097
; %bb.2096:
	global_store_byte v[0:1], v2, off
	s_mov_b64 s[0:1], 0
.LBB151_2097:
	s_andn2_b64 vcc, exec, s[0:1]
	s_cbranch_vccnz .LBB151_2099
; %bb.2098:
	global_store_byte v[0:1], v2, off
	s_endpgm
.LBB151_2099:
	s_endpgm
.LBB151_2100:
	s_mov_b64 s[4:5], 0
	s_mov_b64 s[0:1], -1
	s_branch .LBB151_2056
.LBB151_2101:
	s_trap 2
	s_or_b64 s[2:3], s[2:3], exec
	s_cbranch_execz .LBB151_1570
	s_branch .LBB151_1571
.LBB151_2102:
	s_andn2_saveexec_b64 s[12:13], s[12:13]
	s_cbranch_execz .LBB151_1650
.LBB151_2103:
	s_mov_b32 s19, 0x46000000
	v_add_f32_e64 v8, |v3|, s19
	v_and_b32_e32 v8, 0xff, v8
	v_cmp_ne_u32_e32 vcc, 0, v8
	s_andn2_b64 s[10:11], s[10:11], exec
	s_and_b64 s[20:21], vcc, exec
	s_or_b64 s[10:11], s[10:11], s[20:21]
	s_or_b64 exec, exec, s[12:13]
	v_mov_b32_e32 v10, 0
	s_and_saveexec_b64 s[12:13], s[10:11]
	s_cbranch_execnz .LBB151_1651
	s_branch .LBB151_1652
.LBB151_2104:
	s_trap 2
	s_or_b64 s[2:3], s[2:3], exec
	s_cbranch_execz .LBB151_1698
	s_branch .LBB151_1699
.LBB151_2105:
	s_andn2_saveexec_b64 s[10:11], s[10:11]
	s_cbranch_execz .LBB151_1663
.LBB151_2106:
	s_mov_b32 s12, 0x42800000
	v_add_f32_e64 v8, |v3|, s12
	v_and_b32_e32 v8, 0xff, v8
	v_cmp_ne_u32_e32 vcc, 0, v8
	s_andn2_b64 s[6:7], s[6:7], exec
	s_and_b64 s[12:13], vcc, exec
	s_or_b64 s[6:7], s[6:7], s[12:13]
	s_or_b64 exec, exec, s[10:11]
	v_mov_b32_e32 v10, 0
	s_and_saveexec_b64 s[10:11], s[6:7]
	s_cbranch_execnz .LBB151_1664
	s_branch .LBB151_1665
.LBB151_2107:
	s_andn2_saveexec_b64 s[12:13], s[12:13]
	s_cbranch_execz .LBB151_1769
.LBB151_2108:
	s_mov_b32 s18, 0x46000000
	v_add_f32_e64 v6, |v5|, s18
	v_and_b32_e32 v6, 0xff, v6
	v_cmp_ne_u32_e32 vcc, 0, v6
	s_andn2_b64 s[10:11], s[10:11], exec
	s_and_b64 s[18:19], vcc, exec
	s_or_b64 s[10:11], s[10:11], s[18:19]
	s_or_b64 exec, exec, s[12:13]
	v_mov_b32_e32 v8, 0
	s_and_saveexec_b64 s[12:13], s[10:11]
	s_cbranch_execnz .LBB151_1770
	s_branch .LBB151_1771
.LBB151_2109:
	s_trap 2
	s_or_b64 s[2:3], s[2:3], exec
	s_cbranch_execz .LBB151_1817
	s_branch .LBB151_1818
.LBB151_2110:
	s_andn2_saveexec_b64 s[10:11], s[10:11]
	s_cbranch_execz .LBB151_1782
.LBB151_2111:
	s_mov_b32 s12, 0x42800000
	v_add_f32_e64 v6, |v5|, s12
	v_and_b32_e32 v6, 0xff, v6
	v_cmp_ne_u32_e32 vcc, 0, v6
	s_andn2_b64 s[6:7], s[6:7], exec
	s_and_b64 s[12:13], vcc, exec
	s_or_b64 s[6:7], s[6:7], s[12:13]
	s_or_b64 exec, exec, s[10:11]
	v_mov_b32_e32 v8, 0
	s_and_saveexec_b64 s[10:11], s[6:7]
	s_cbranch_execnz .LBB151_1783
	s_branch .LBB151_1784
.LBB151_2112:
	s_andn2_saveexec_b64 s[12:13], s[12:13]
	s_cbranch_execz .LBB151_1888
.LBB151_2113:
	s_mov_b32 s18, 0x46000000
	v_add_f32_e64 v5, |v4|, s18
	v_and_b32_e32 v5, 0xff, v5
	v_cmp_ne_u32_e32 vcc, 0, v5
	s_andn2_b64 s[10:11], s[10:11], exec
	s_and_b64 s[18:19], vcc, exec
	s_or_b64 s[10:11], s[10:11], s[18:19]
	s_or_b64 exec, exec, s[12:13]
	v_mov_b32_e32 v6, 0
	s_and_saveexec_b64 s[12:13], s[10:11]
	s_cbranch_execnz .LBB151_1889
	s_branch .LBB151_1890
.LBB151_2114:
	s_trap 2
	s_or_b64 s[2:3], s[2:3], exec
	s_cbranch_execz .LBB151_1936
	s_branch .LBB151_1937
.LBB151_2115:
	s_andn2_saveexec_b64 s[10:11], s[10:11]
	s_cbranch_execz .LBB151_1901
.LBB151_2116:
	s_mov_b32 s12, 0x42800000
	v_add_f32_e64 v5, |v4|, s12
	v_and_b32_e32 v5, 0xff, v5
	v_cmp_ne_u32_e32 vcc, 0, v5
	s_andn2_b64 s[6:7], s[6:7], exec
	s_and_b64 s[12:13], vcc, exec
	s_or_b64 s[6:7], s[6:7], s[12:13]
	s_or_b64 exec, exec, s[10:11]
	v_mov_b32_e32 v6, 0
	s_and_saveexec_b64 s[10:11], s[6:7]
	s_cbranch_execnz .LBB151_1902
	s_branch .LBB151_1903
.LBB151_2117:
	s_andn2_saveexec_b64 s[10:11], s[10:11]
	s_cbranch_execz .LBB151_2008
.LBB151_2118:
	s_mov_b32 s13, 0x46000000
	v_add_f32_e64 v4, |v3|, s13
	v_and_b32_e32 v4, 0xff, v4
	v_cmp_ne_u32_e32 vcc, 0, v4
	s_andn2_b64 s[8:9], s[8:9], exec
	s_and_b64 s[16:17], vcc, exec
	s_or_b64 s[8:9], s[8:9], s[16:17]
	s_or_b64 exec, exec, s[10:11]
	v_mov_b32_e32 v5, 0
	s_and_saveexec_b64 s[10:11], s[8:9]
	s_cbranch_execnz .LBB151_2009
	s_branch .LBB151_2010
.LBB151_2119:
	s_mov_b64 s[4:5], 0
	s_or_b64 s[2:3], s[2:3], exec
	s_trap 2
	s_branch .LBB151_2054
.LBB151_2120:
	s_andn2_saveexec_b64 s[8:9], s[8:9]
	s_cbranch_execz .LBB151_2020
.LBB151_2121:
	s_mov_b32 s10, 0x42800000
	v_add_f32_e64 v4, |v3|, s10
	v_and_b32_e32 v4, 0xff, v4
	v_cmp_ne_u32_e32 vcc, 0, v4
	s_andn2_b64 s[6:7], s[6:7], exec
	s_and_b64 s[10:11], vcc, exec
	s_or_b64 s[6:7], s[6:7], s[10:11]
	s_or_b64 exec, exec, s[8:9]
	v_mov_b32_e32 v5, 0
	s_and_saveexec_b64 s[8:9], s[6:7]
	s_cbranch_execnz .LBB151_2021
	s_branch .LBB151_2022
	.section	.rodata,"a",@progbits
	.p2align	6, 0x0
	.amdhsa_kernel _ZN2at6native32elementwise_kernel_manual_unrollILi128ELi4EZNS0_15gpu_kernel_implINS0_13AUnaryFunctorIaaaZZZNS0_18rshift_kernel_cudaERNS_18TensorIteratorBaseEENKUlvE_clEvENKUlvE0_clEvEUlaaE_EEEEvS5_RKT_EUlibE0_EEviT1_
		.amdhsa_group_segment_fixed_size 0
		.amdhsa_private_segment_fixed_size 0
		.amdhsa_kernarg_size 360
		.amdhsa_user_sgpr_count 6
		.amdhsa_user_sgpr_private_segment_buffer 1
		.amdhsa_user_sgpr_dispatch_ptr 0
		.amdhsa_user_sgpr_queue_ptr 0
		.amdhsa_user_sgpr_kernarg_segment_ptr 1
		.amdhsa_user_sgpr_dispatch_id 0
		.amdhsa_user_sgpr_flat_scratch_init 0
		.amdhsa_user_sgpr_private_segment_size 0
		.amdhsa_uses_dynamic_stack 0
		.amdhsa_system_sgpr_private_segment_wavefront_offset 0
		.amdhsa_system_sgpr_workgroup_id_x 1
		.amdhsa_system_sgpr_workgroup_id_y 0
		.amdhsa_system_sgpr_workgroup_id_z 0
		.amdhsa_system_sgpr_workgroup_info 0
		.amdhsa_system_vgpr_workitem_id 0
		.amdhsa_next_free_vgpr 18
		.amdhsa_next_free_sgpr 79
		.amdhsa_reserve_vcc 1
		.amdhsa_reserve_flat_scratch 0
		.amdhsa_float_round_mode_32 0
		.amdhsa_float_round_mode_16_64 0
		.amdhsa_float_denorm_mode_32 3
		.amdhsa_float_denorm_mode_16_64 3
		.amdhsa_dx10_clamp 1
		.amdhsa_ieee_mode 1
		.amdhsa_fp16_overflow 0
		.amdhsa_exception_fp_ieee_invalid_op 0
		.amdhsa_exception_fp_denorm_src 0
		.amdhsa_exception_fp_ieee_div_zero 0
		.amdhsa_exception_fp_ieee_overflow 0
		.amdhsa_exception_fp_ieee_underflow 0
		.amdhsa_exception_fp_ieee_inexact 0
		.amdhsa_exception_int_div_zero 0
	.end_amdhsa_kernel
	.section	.text._ZN2at6native32elementwise_kernel_manual_unrollILi128ELi4EZNS0_15gpu_kernel_implINS0_13AUnaryFunctorIaaaZZZNS0_18rshift_kernel_cudaERNS_18TensorIteratorBaseEENKUlvE_clEvENKUlvE0_clEvEUlaaE_EEEEvS5_RKT_EUlibE0_EEviT1_,"axG",@progbits,_ZN2at6native32elementwise_kernel_manual_unrollILi128ELi4EZNS0_15gpu_kernel_implINS0_13AUnaryFunctorIaaaZZZNS0_18rshift_kernel_cudaERNS_18TensorIteratorBaseEENKUlvE_clEvENKUlvE0_clEvEUlaaE_EEEEvS5_RKT_EUlibE0_EEviT1_,comdat
.Lfunc_end151:
	.size	_ZN2at6native32elementwise_kernel_manual_unrollILi128ELi4EZNS0_15gpu_kernel_implINS0_13AUnaryFunctorIaaaZZZNS0_18rshift_kernel_cudaERNS_18TensorIteratorBaseEENKUlvE_clEvENKUlvE0_clEvEUlaaE_EEEEvS5_RKT_EUlibE0_EEviT1_, .Lfunc_end151-_ZN2at6native32elementwise_kernel_manual_unrollILi128ELi4EZNS0_15gpu_kernel_implINS0_13AUnaryFunctorIaaaZZZNS0_18rshift_kernel_cudaERNS_18TensorIteratorBaseEENKUlvE_clEvENKUlvE0_clEvEUlaaE_EEEEvS5_RKT_EUlibE0_EEviT1_
                                        ; -- End function
	.set _ZN2at6native32elementwise_kernel_manual_unrollILi128ELi4EZNS0_15gpu_kernel_implINS0_13AUnaryFunctorIaaaZZZNS0_18rshift_kernel_cudaERNS_18TensorIteratorBaseEENKUlvE_clEvENKUlvE0_clEvEUlaaE_EEEEvS5_RKT_EUlibE0_EEviT1_.num_vgpr, 18
	.set _ZN2at6native32elementwise_kernel_manual_unrollILi128ELi4EZNS0_15gpu_kernel_implINS0_13AUnaryFunctorIaaaZZZNS0_18rshift_kernel_cudaERNS_18TensorIteratorBaseEENKUlvE_clEvENKUlvE0_clEvEUlaaE_EEEEvS5_RKT_EUlibE0_EEviT1_.num_agpr, 0
	.set _ZN2at6native32elementwise_kernel_manual_unrollILi128ELi4EZNS0_15gpu_kernel_implINS0_13AUnaryFunctorIaaaZZZNS0_18rshift_kernel_cudaERNS_18TensorIteratorBaseEENKUlvE_clEvENKUlvE0_clEvEUlaaE_EEEEvS5_RKT_EUlibE0_EEviT1_.numbered_sgpr, 79
	.set _ZN2at6native32elementwise_kernel_manual_unrollILi128ELi4EZNS0_15gpu_kernel_implINS0_13AUnaryFunctorIaaaZZZNS0_18rshift_kernel_cudaERNS_18TensorIteratorBaseEENKUlvE_clEvENKUlvE0_clEvEUlaaE_EEEEvS5_RKT_EUlibE0_EEviT1_.num_named_barrier, 0
	.set _ZN2at6native32elementwise_kernel_manual_unrollILi128ELi4EZNS0_15gpu_kernel_implINS0_13AUnaryFunctorIaaaZZZNS0_18rshift_kernel_cudaERNS_18TensorIteratorBaseEENKUlvE_clEvENKUlvE0_clEvEUlaaE_EEEEvS5_RKT_EUlibE0_EEviT1_.private_seg_size, 0
	.set _ZN2at6native32elementwise_kernel_manual_unrollILi128ELi4EZNS0_15gpu_kernel_implINS0_13AUnaryFunctorIaaaZZZNS0_18rshift_kernel_cudaERNS_18TensorIteratorBaseEENKUlvE_clEvENKUlvE0_clEvEUlaaE_EEEEvS5_RKT_EUlibE0_EEviT1_.uses_vcc, 1
	.set _ZN2at6native32elementwise_kernel_manual_unrollILi128ELi4EZNS0_15gpu_kernel_implINS0_13AUnaryFunctorIaaaZZZNS0_18rshift_kernel_cudaERNS_18TensorIteratorBaseEENKUlvE_clEvENKUlvE0_clEvEUlaaE_EEEEvS5_RKT_EUlibE0_EEviT1_.uses_flat_scratch, 0
	.set _ZN2at6native32elementwise_kernel_manual_unrollILi128ELi4EZNS0_15gpu_kernel_implINS0_13AUnaryFunctorIaaaZZZNS0_18rshift_kernel_cudaERNS_18TensorIteratorBaseEENKUlvE_clEvENKUlvE0_clEvEUlaaE_EEEEvS5_RKT_EUlibE0_EEviT1_.has_dyn_sized_stack, 0
	.set _ZN2at6native32elementwise_kernel_manual_unrollILi128ELi4EZNS0_15gpu_kernel_implINS0_13AUnaryFunctorIaaaZZZNS0_18rshift_kernel_cudaERNS_18TensorIteratorBaseEENKUlvE_clEvENKUlvE0_clEvEUlaaE_EEEEvS5_RKT_EUlibE0_EEviT1_.has_recursion, 0
	.set _ZN2at6native32elementwise_kernel_manual_unrollILi128ELi4EZNS0_15gpu_kernel_implINS0_13AUnaryFunctorIaaaZZZNS0_18rshift_kernel_cudaERNS_18TensorIteratorBaseEENKUlvE_clEvENKUlvE0_clEvEUlaaE_EEEEvS5_RKT_EUlibE0_EEviT1_.has_indirect_call, 0
	.section	.AMDGPU.csdata,"",@progbits
; Kernel info:
; codeLenInByte = 36436
; TotalNumSgprs: 83
; NumVgprs: 18
; ScratchSize: 0
; MemoryBound: 1
; FloatMode: 240
; IeeeMode: 1
; LDSByteSize: 0 bytes/workgroup (compile time only)
; SGPRBlocks: 10
; VGPRBlocks: 4
; NumSGPRsForWavesPerEU: 83
; NumVGPRsForWavesPerEU: 18
; Occupancy: 9
; WaveLimiterHint : 1
; COMPUTE_PGM_RSRC2:SCRATCH_EN: 0
; COMPUTE_PGM_RSRC2:USER_SGPR: 6
; COMPUTE_PGM_RSRC2:TRAP_HANDLER: 0
; COMPUTE_PGM_RSRC2:TGID_X_EN: 1
; COMPUTE_PGM_RSRC2:TGID_Y_EN: 0
; COMPUTE_PGM_RSRC2:TGID_Z_EN: 0
; COMPUTE_PGM_RSRC2:TIDIG_COMP_CNT: 0
	.section	.text._ZN2at6native29vectorized_elementwise_kernelILi16ENS0_13BUnaryFunctorIaaaZZZNS0_18rshift_kernel_cudaERNS_18TensorIteratorBaseEENKUlvE_clEvENKUlvE0_clEvEUlaaE_EESt5arrayIPcLm2EEEEviT0_T1_,"axG",@progbits,_ZN2at6native29vectorized_elementwise_kernelILi16ENS0_13BUnaryFunctorIaaaZZZNS0_18rshift_kernel_cudaERNS_18TensorIteratorBaseEENKUlvE_clEvENKUlvE0_clEvEUlaaE_EESt5arrayIPcLm2EEEEviT0_T1_,comdat
	.globl	_ZN2at6native29vectorized_elementwise_kernelILi16ENS0_13BUnaryFunctorIaaaZZZNS0_18rshift_kernel_cudaERNS_18TensorIteratorBaseEENKUlvE_clEvENKUlvE0_clEvEUlaaE_EESt5arrayIPcLm2EEEEviT0_T1_ ; -- Begin function _ZN2at6native29vectorized_elementwise_kernelILi16ENS0_13BUnaryFunctorIaaaZZZNS0_18rshift_kernel_cudaERNS_18TensorIteratorBaseEENKUlvE_clEvENKUlvE0_clEvEUlaaE_EESt5arrayIPcLm2EEEEviT0_T1_
	.p2align	8
	.type	_ZN2at6native29vectorized_elementwise_kernelILi16ENS0_13BUnaryFunctorIaaaZZZNS0_18rshift_kernel_cudaERNS_18TensorIteratorBaseEENKUlvE_clEvENKUlvE0_clEvEUlaaE_EESt5arrayIPcLm2EEEEviT0_T1_,@function
_ZN2at6native29vectorized_elementwise_kernelILi16ENS0_13BUnaryFunctorIaaaZZZNS0_18rshift_kernel_cudaERNS_18TensorIteratorBaseEENKUlvE_clEvENKUlvE0_clEvEUlaaE_EESt5arrayIPcLm2EEEEviT0_T1_: ; @_ZN2at6native29vectorized_elementwise_kernelILi16ENS0_13BUnaryFunctorIaaaZZZNS0_18rshift_kernel_cudaERNS_18TensorIteratorBaseEENKUlvE_clEvENKUlvE0_clEvEUlaaE_EESt5arrayIPcLm2EEEEviT0_T1_
; %bb.0:
	v_mov_b32_e32 v1, 0
	global_load_ushort v1, v1, s[4:5] offset:4
	s_load_dword s0, s[4:5], 0x0
	s_load_dwordx4 s[8:11], s[4:5], 0x8
	s_lshl_b32 s33, s6, 12
	s_waitcnt lgkmcnt(0)
	s_sub_i32 s38, s0, s33
	s_waitcnt vmcnt(0)
	v_readfirstlane_b32 s1, v1
	s_and_b32 s0, 0xffff, s1
	s_lshr_b32 s39, s0, 8
	s_cmpk_gt_i32 s38, 0xfff
	s_mov_b64 s[0:1], -1
	s_cbranch_scc0 .LBB152_2
; %bb.1:
	s_ashr_i32 s1, s33, 31
	s_add_u32 s4, s10, s33
	s_addc_u32 s5, s11, s1
	v_lshlrev_b32_e32 v5, 4, v0
	global_load_dwordx4 v[1:4], v5, s[4:5]
	s_cmp_gt_u32 s39, 6
	s_cselect_b64 vcc, -1, 0
	s_and_b32 s2, 0xffff, s39
	v_mov_b32_e32 v14, 7
	s_add_u32 s0, s8, s33
	s_addc_u32 s1, s9, s1
	s_waitcnt vmcnt(0)
	v_lshrrev_b16_e32 v6, 8, v2
	v_lshrrev_b32_e32 v8, 16, v2
	v_lshrrev_b16_sdwa v18, v14, sext(v8) dst_sel:DWORD dst_unused:UNUSED_PAD src0_sel:DWORD src1_sel:BYTE_0
	v_ashrrev_i16_e32 v8, 15, v8
	v_ashrrev_i16_e32 v19, 15, v2
	v_ashrrev_i32_sdwa v6, s2, sext(v6) dst_sel:DWORD dst_unused:UNUSED_PAD src0_sel:DWORD src1_sel:BYTE_0
	v_ashrrev_i32_sdwa v22, s2, sext(v2) dst_sel:DWORD dst_unused:UNUSED_PAD src0_sel:DWORD src1_sel:BYTE_3
	v_lshrrev_b16_e32 v7, 8, v1
	v_lshrrev_b16_sdwa v20, v14, sext(v2) dst_sel:DWORD dst_unused:UNUSED_PAD src0_sel:DWORD src1_sel:BYTE_0
	v_ashrrev_i32_sdwa v21, s2, sext(v2) dst_sel:DWORD dst_unused:UNUSED_PAD src0_sel:DWORD src1_sel:BYTE_0
	v_ashrrev_i32_sdwa v2, s2, sext(v2) dst_sel:DWORD dst_unused:UNUSED_PAD src0_sel:DWORD src1_sel:BYTE_2
	v_cndmask_b32_e32 v6, v6, v19, vcc
	v_cndmask_b32_e32 v8, v22, v8, vcc
	v_ashrrev_i16_e32 v16, 15, v1
	v_ashrrev_i32_sdwa v7, s2, sext(v7) dst_sel:DWORD dst_unused:UNUSED_PAD src0_sel:DWORD src1_sel:BYTE_0
	v_cndmask_b32_e32 v20, v21, v20, vcc
	v_lshlrev_b16_e32 v6, 8, v6
	v_lshlrev_b16_e32 v8, 8, v8
	v_cndmask_b32_e32 v2, v2, v18, vcc
	v_lshrrev_b32_e32 v9, 16, v1
	v_lshrrev_b16_sdwa v17, v14, sext(v1) dst_sel:DWORD dst_unused:UNUSED_PAD src0_sel:DWORD src1_sel:BYTE_0
	v_ashrrev_i32_sdwa v23, s2, sext(v1) dst_sel:DWORD dst_unused:UNUSED_PAD src0_sel:DWORD src1_sel:BYTE_0
	v_or_b32_sdwa v6, v20, v6 dst_sel:DWORD dst_unused:UNUSED_PAD src0_sel:BYTE_0 src1_sel:DWORD
	v_or_b32_sdwa v2, v2, v8 dst_sel:WORD_1 dst_unused:UNUSED_PAD src0_sel:BYTE_0 src1_sel:DWORD
	v_cndmask_b32_e32 v7, v7, v16, vcc
	v_lshrrev_b16_sdwa v15, v14, sext(v9) dst_sel:DWORD dst_unused:UNUSED_PAD src0_sel:DWORD src1_sel:BYTE_0
	v_ashrrev_i16_e32 v9, 15, v9
	v_ashrrev_i32_sdwa v24, s2, sext(v1) dst_sel:DWORD dst_unused:UNUSED_PAD src0_sel:DWORD src1_sel:BYTE_3
	v_or_b32_sdwa v2, v6, v2 dst_sel:DWORD dst_unused:UNUSED_PAD src0_sel:WORD_0 src1_sel:DWORD
	v_cndmask_b32_e32 v6, v23, v17, vcc
	v_lshlrev_b16_e32 v7, 8, v7
	v_ashrrev_i32_sdwa v1, s2, sext(v1) dst_sel:DWORD dst_unused:UNUSED_PAD src0_sel:DWORD src1_sel:BYTE_2
	v_or_b32_sdwa v6, v6, v7 dst_sel:DWORD dst_unused:UNUSED_PAD src0_sel:BYTE_0 src1_sel:DWORD
	v_cndmask_b32_e32 v7, v24, v9, vcc
	v_lshlrev_b16_e32 v7, 8, v7
	v_cndmask_b32_e32 v1, v1, v15, vcc
	v_lshrrev_b16_e32 v10, 8, v4
	v_lshrrev_b16_e32 v11, 8, v3
	v_lshrrev_b32_e32 v12, 16, v4
	v_lshrrev_b32_e32 v13, 16, v3
	v_or_b32_sdwa v1, v1, v7 dst_sel:WORD_1 dst_unused:UNUSED_PAD src0_sel:BYTE_0 src1_sel:DWORD
	v_or_b32_sdwa v1, v6, v1 dst_sel:DWORD dst_unused:UNUSED_PAD src0_sel:WORD_0 src1_sel:DWORD
	v_lshrrev_b16_sdwa v6, v14, sext(v13) dst_sel:DWORD dst_unused:UNUSED_PAD src0_sel:DWORD src1_sel:BYTE_0
	v_ashrrev_i16_e32 v7, 15, v13
	v_ashrrev_i16_e32 v8, 15, v3
	v_lshrrev_b16_sdwa v9, v14, sext(v3) dst_sel:DWORD dst_unused:UNUSED_PAD src0_sel:DWORD src1_sel:BYTE_0
	v_lshrrev_b16_sdwa v13, v14, sext(v12) dst_sel:DWORD dst_unused:UNUSED_PAD src0_sel:DWORD src1_sel:BYTE_0
	v_ashrrev_i16_e32 v12, 15, v12
	v_ashrrev_i16_e32 v15, 15, v4
	v_lshrrev_b16_sdwa v14, v14, sext(v4) dst_sel:DWORD dst_unused:UNUSED_PAD src0_sel:DWORD src1_sel:BYTE_0
	v_ashrrev_i32_sdwa v16, s2, sext(v4) dst_sel:DWORD dst_unused:UNUSED_PAD src0_sel:DWORD src1_sel:BYTE_0
	v_ashrrev_i32_sdwa v10, s2, sext(v10) dst_sel:DWORD dst_unused:UNUSED_PAD src0_sel:DWORD src1_sel:BYTE_0
	v_ashrrev_i32_sdwa v17, s2, sext(v4) dst_sel:DWORD dst_unused:UNUSED_PAD src0_sel:DWORD src1_sel:BYTE_3
	v_ashrrev_i32_sdwa v4, s2, sext(v4) dst_sel:DWORD dst_unused:UNUSED_PAD src0_sel:DWORD src1_sel:BYTE_2
	v_ashrrev_i32_sdwa v18, s2, sext(v3) dst_sel:DWORD dst_unused:UNUSED_PAD src0_sel:DWORD src1_sel:BYTE_0
	v_ashrrev_i32_sdwa v11, s2, sext(v11) dst_sel:DWORD dst_unused:UNUSED_PAD src0_sel:DWORD src1_sel:BYTE_0
	v_ashrrev_i32_sdwa v19, s2, sext(v3) dst_sel:DWORD dst_unused:UNUSED_PAD src0_sel:DWORD src1_sel:BYTE_3
	v_ashrrev_i32_sdwa v3, s2, sext(v3) dst_sel:DWORD dst_unused:UNUSED_PAD src0_sel:DWORD src1_sel:BYTE_2
	v_cndmask_b32_e32 v14, v16, v14, vcc
	v_cndmask_b32_sdwa v10, v10, v15, vcc dst_sel:BYTE_1 dst_unused:UNUSED_PAD src0_sel:DWORD src1_sel:DWORD
	v_cndmask_b32_sdwa v12, v17, v12, vcc dst_sel:BYTE_1 dst_unused:UNUSED_PAD src0_sel:DWORD src1_sel:DWORD
	v_cndmask_b32_e32 v4, v4, v13, vcc
	v_cndmask_b32_e32 v9, v18, v9, vcc
	v_cndmask_b32_sdwa v8, v11, v8, vcc dst_sel:BYTE_1 dst_unused:UNUSED_PAD src0_sel:DWORD src1_sel:DWORD
	v_cndmask_b32_sdwa v7, v19, v7, vcc dst_sel:BYTE_1 dst_unused:UNUSED_PAD src0_sel:DWORD src1_sel:DWORD
	v_cndmask_b32_e32 v3, v3, v6, vcc
	v_or_b32_sdwa v10, v14, v10 dst_sel:DWORD dst_unused:UNUSED_PAD src0_sel:BYTE_0 src1_sel:DWORD
	v_or_b32_sdwa v4, v4, v12 dst_sel:WORD_1 dst_unused:UNUSED_PAD src0_sel:BYTE_0 src1_sel:DWORD
	v_or_b32_sdwa v8, v9, v8 dst_sel:DWORD dst_unused:UNUSED_PAD src0_sel:BYTE_0 src1_sel:DWORD
	v_or_b32_sdwa v3, v3, v7 dst_sel:WORD_1 dst_unused:UNUSED_PAD src0_sel:BYTE_0 src1_sel:DWORD
	v_or_b32_sdwa v4, v10, v4 dst_sel:DWORD dst_unused:UNUSED_PAD src0_sel:WORD_0 src1_sel:DWORD
	v_or_b32_sdwa v3, v8, v3 dst_sel:DWORD dst_unused:UNUSED_PAD src0_sel:WORD_0 src1_sel:DWORD
	global_store_dwordx4 v5, v[1:4], s[0:1]
	s_mov_b64 s[0:1], 0
.LBB152_2:
	s_andn2_b64 vcc, exec, s[0:1]
	s_cbranch_vccnz .LBB152_52
; %bb.3:
	v_cmp_gt_i32_e64 s[0:1], s38, v0
	v_or_b32_e32 v3, 0x100, v0
	v_mov_b32_e32 v20, 0
	v_or_b32_e32 v4, s33, v0
	v_mov_b32_e32 v19, 0
	v_mov_b32_e32 v18, 0
	;; [unrolled: 1-line block ×15, first 2 shown]
	s_and_saveexec_b64 s[2:3], s[0:1]
	s_cbranch_execz .LBB152_35
; %bb.4:
	global_load_ubyte v13, v4, s[10:11]
	v_cmp_gt_u32_e32 vcc, s38, v3
	v_mov_b32_e32 v11, 0
	v_mov_b32_e32 v12, 0
	;; [unrolled: 1-line block ×15, first 2 shown]
	s_and_saveexec_b64 s[4:5], vcc
	s_cbranch_execz .LBB152_34
; %bb.5:
	v_add_u32_e32 v1, s33, v0
	global_load_ubyte v11, v1, s[10:11] offset:256
	v_or_b32_e32 v2, 0x200, v0
	v_mov_b32_e32 v12, 0
	v_cmp_gt_u32_e32 vcc, s38, v2
	v_mov_b32_e32 v7, 0
	v_mov_b32_e32 v8, 0
	;; [unrolled: 1-line block ×13, first 2 shown]
	s_and_saveexec_b64 s[6:7], vcc
	s_cbranch_execz .LBB152_33
; %bb.6:
	v_mov_b32_e32 v2, s11
	v_add_co_u32_e32 v1, vcc, s10, v1
	v_addc_co_u32_e32 v2, vcc, 0, v2, vcc
	global_load_ubyte v12, v[1:2], off offset:512
	v_or_b32_e32 v5, 0x300, v0
	v_cmp_gt_u32_e32 vcc, s38, v5
	v_mov_b32_e32 v7, 0
	v_mov_b32_e32 v8, 0
	v_mov_b32_e32 v9, 0
	v_mov_b32_e32 v5, 0
	v_mov_b32_e32 v6, 0
	v_mov_b32_e32 v10, 0
	v_mov_b32_e32 v14, 0
	v_mov_b32_e32 v15, 0
	v_mov_b32_e32 v16, 0
	v_mov_b32_e32 v17, 0
	v_mov_b32_e32 v18, 0
	v_mov_b32_e32 v19, 0
	v_mov_b32_e32 v20, 0
	s_and_saveexec_b64 s[10:11], vcc
	s_cbranch_execz .LBB152_32
; %bb.7:
	global_load_ubyte v7, v[1:2], off offset:768
	v_or_b32_e32 v5, 0x400, v0
	v_cmp_gt_u32_e32 vcc, s38, v5
	v_mov_b32_e32 v8, 0
	v_mov_b32_e32 v9, 0
	;; [unrolled: 1-line block ×12, first 2 shown]
	s_and_saveexec_b64 s[12:13], vcc
	s_cbranch_execz .LBB152_31
; %bb.8:
	global_load_ubyte v8, v[1:2], off offset:1024
	v_or_b32_e32 v5, 0x500, v0
	v_cmp_gt_u32_e32 vcc, s38, v5
	v_mov_b32_e32 v9, 0
	v_mov_b32_e32 v5, 0
	;; [unrolled: 1-line block ×11, first 2 shown]
	s_and_saveexec_b64 s[14:15], vcc
	s_cbranch_execz .LBB152_30
; %bb.9:
	global_load_ubyte v9, v[1:2], off offset:1280
	v_or_b32_e32 v5, 0x600, v0
	v_cmp_gt_u32_e32 vcc, s38, v5
	v_mov_b32_e32 v5, 0
	v_mov_b32_e32 v6, 0
	;; [unrolled: 1-line block ×10, first 2 shown]
	s_and_saveexec_b64 s[16:17], vcc
	s_cbranch_execz .LBB152_29
; %bb.10:
	global_load_ubyte v5, v[1:2], off offset:1536
	v_or_b32_e32 v6, 0x700, v0
	v_cmp_gt_u32_e32 vcc, s38, v6
	v_mov_b32_e32 v6, 0
	v_mov_b32_e32 v10, 0
	;; [unrolled: 1-line block ×9, first 2 shown]
	s_and_saveexec_b64 s[18:19], vcc
	s_cbranch_execz .LBB152_28
; %bb.11:
	global_load_ubyte v6, v[1:2], off offset:1792
	v_or_b32_e32 v10, 0x800, v0
	v_cmp_gt_u32_e32 vcc, s38, v10
	v_mov_b32_e32 v10, 0
	v_mov_b32_e32 v14, 0
	;; [unrolled: 1-line block ×8, first 2 shown]
	s_and_saveexec_b64 s[20:21], vcc
	s_cbranch_execz .LBB152_27
; %bb.12:
	global_load_ubyte v10, v[1:2], off offset:2048
	v_or_b32_e32 v14, 0x900, v0
	v_cmp_gt_u32_e32 vcc, s38, v14
	v_mov_b32_e32 v14, 0
	v_mov_b32_e32 v15, 0
	v_mov_b32_e32 v16, 0
	v_mov_b32_e32 v17, 0
	v_mov_b32_e32 v18, 0
	v_mov_b32_e32 v19, 0
	v_mov_b32_e32 v20, 0
	s_and_saveexec_b64 s[22:23], vcc
	s_cbranch_execz .LBB152_26
; %bb.13:
	global_load_ubyte v14, v[1:2], off offset:2304
	v_or_b32_e32 v15, 0xa00, v0
	v_cmp_gt_u32_e32 vcc, s38, v15
	v_mov_b32_e32 v15, 0
	v_mov_b32_e32 v16, 0
	;; [unrolled: 1-line block ×6, first 2 shown]
	s_and_saveexec_b64 s[24:25], vcc
	s_cbranch_execz .LBB152_25
; %bb.14:
	global_load_ubyte v15, v[1:2], off offset:2560
	v_or_b32_e32 v16, 0xb00, v0
	v_cmp_gt_u32_e32 vcc, s38, v16
	v_mov_b32_e32 v16, 0
	v_mov_b32_e32 v17, 0
	;; [unrolled: 1-line block ×5, first 2 shown]
	s_and_saveexec_b64 s[26:27], vcc
	s_cbranch_execz .LBB152_24
; %bb.15:
	global_load_ubyte v16, v[1:2], off offset:2816
	v_or_b32_e32 v17, 0xc00, v0
	v_cmp_gt_u32_e32 vcc, s38, v17
	v_mov_b32_e32 v17, 0
	v_mov_b32_e32 v18, 0
	;; [unrolled: 1-line block ×4, first 2 shown]
	s_and_saveexec_b64 s[28:29], vcc
	s_cbranch_execz .LBB152_23
; %bb.16:
	global_load_ubyte v17, v[1:2], off offset:3072
	v_or_b32_e32 v18, 0xd00, v0
	v_cmp_gt_u32_e32 vcc, s38, v18
	v_mov_b32_e32 v18, 0
	v_mov_b32_e32 v19, 0
	;; [unrolled: 1-line block ×3, first 2 shown]
	s_and_saveexec_b64 s[30:31], vcc
	s_cbranch_execz .LBB152_22
; %bb.17:
	global_load_ubyte v18, v[1:2], off offset:3328
	v_or_b32_e32 v19, 0xe00, v0
	v_cmp_gt_u32_e32 vcc, s38, v19
	v_mov_b32_e32 v19, 0
	v_mov_b32_e32 v20, 0
	s_and_saveexec_b64 s[34:35], vcc
	s_cbranch_execz .LBB152_21
; %bb.18:
	global_load_ubyte v19, v[1:2], off offset:3584
	v_or_b32_e32 v20, 0xf00, v0
	v_cmp_gt_u32_e32 vcc, s38, v20
	v_mov_b32_e32 v20, 0
	s_and_saveexec_b64 s[36:37], vcc
	s_cbranch_execz .LBB152_20
; %bb.19:
	global_load_ubyte v20, v[1:2], off offset:3840
.LBB152_20:
	s_or_b64 exec, exec, s[36:37]
.LBB152_21:
	s_or_b64 exec, exec, s[34:35]
.LBB152_22:
	s_or_b64 exec, exec, s[30:31]
.LBB152_23:
	s_or_b64 exec, exec, s[28:29]
.LBB152_24:
	s_or_b64 exec, exec, s[26:27]
.LBB152_25:
	s_or_b64 exec, exec, s[24:25]
.LBB152_26:
	s_or_b64 exec, exec, s[22:23]
.LBB152_27:
	s_or_b64 exec, exec, s[20:21]
.LBB152_28:
	s_or_b64 exec, exec, s[18:19]
.LBB152_29:
	s_or_b64 exec, exec, s[16:17]
.LBB152_30:
	s_or_b64 exec, exec, s[14:15]
.LBB152_31:
	s_or_b64 exec, exec, s[12:13]
.LBB152_32:
	s_or_b64 exec, exec, s[10:11]
.LBB152_33:
	s_or_b64 exec, exec, s[6:7]
.LBB152_34:
	s_or_b64 exec, exec, s[4:5]
.LBB152_35:
	s_or_b64 exec, exec, s[2:3]
	s_cmp_gt_u32 s39, 6
	v_mov_b32_e32 v1, 7
	s_cselect_b64 vcc, -1, 0
	s_and_b32 s5, 0xffff, s39
	s_waitcnt vmcnt(0)
	v_lshrrev_b16_sdwa v2, v1, sext(v13) dst_sel:DWORD dst_unused:UNUSED_PAD src0_sel:DWORD src1_sel:BYTE_0
	v_ashrrev_i32_sdwa v13, s5, sext(v13) dst_sel:DWORD dst_unused:UNUSED_PAD src0_sel:DWORD src1_sel:BYTE_0
	s_mov_b32 s4, 0xffff
	v_cndmask_b32_e32 v2, v13, v2, vcc
	v_lshrrev_b16_sdwa v13, v1, sext(v11) dst_sel:DWORD dst_unused:UNUSED_PAD src0_sel:DWORD src1_sel:BYTE_0
	v_ashrrev_i32_sdwa v11, s5, sext(v11) dst_sel:DWORD dst_unused:UNUSED_PAD src0_sel:DWORD src1_sel:BYTE_0
	v_and_b32_sdwa v2, s4, v2 dst_sel:DWORD dst_unused:UNUSED_PAD src0_sel:DWORD src1_sel:BYTE_0
	v_cndmask_b32_e32 v11, v11, v13, vcc
	v_cndmask_b32_e64 v2, 0, v2, s[0:1]
	v_lshlrev_b16_e32 v11, 8, v11
	v_or_b32_e32 v11, v2, v11
	v_and_b32_e32 v11, 0xffff, v11
	v_cmp_gt_i32_e64 s[2:3], s38, v3
	v_lshrrev_b16_sdwa v13, v1, sext(v12) dst_sel:DWORD dst_unused:UNUSED_PAD src0_sel:DWORD src1_sel:BYTE_0
	v_ashrrev_i32_sdwa v12, s5, sext(v12) dst_sel:DWORD dst_unused:UNUSED_PAD src0_sel:DWORD src1_sel:BYTE_0
	v_cndmask_b32_e64 v2, v2, v11, s[2:3]
	v_cndmask_b32_e32 v12, v12, v13, vcc
	s_mov_b32 s7, 0xc0c0304
	v_or_b32_e32 v11, 0x200, v0
	v_perm_b32 v12, v12, v2, s7
	v_lshl_or_b32 v12, v12, 16, v2
	v_cmp_gt_i32_e64 s[2:3], s38, v11
	v_lshrrev_b16_sdwa v13, v1, sext(v7) dst_sel:DWORD dst_unused:UNUSED_PAD src0_sel:DWORD src1_sel:BYTE_0
	v_ashrrev_i32_sdwa v7, s5, sext(v7) dst_sel:DWORD dst_unused:UNUSED_PAD src0_sel:DWORD src1_sel:BYTE_0
	s_movk_i32 s6, 0xff
	v_cndmask_b32_e64 v2, v2, v12, s[2:3]
	v_cndmask_b32_e32 v7, v7, v13, vcc
	v_and_b32_sdwa v11, v2, s6 dst_sel:DWORD dst_unused:UNUSED_PAD src0_sel:WORD_1 src1_sel:DWORD
	v_lshlrev_b16_e32 v7, 8, v7
	v_or_b32_e32 v12, 0x300, v0
	v_or_b32_sdwa v7, v11, v7 dst_sel:WORD_1 dst_unused:UNUSED_PAD src0_sel:DWORD src1_sel:DWORD
	v_and_or_b32 v7, v2, s4, v7
	v_cmp_gt_i32_e64 s[2:3], s38, v12
	v_cndmask_b32_e64 v7, v2, v7, s[2:3]
	v_lshrrev_b16_sdwa v2, v1, sext(v8) dst_sel:DWORD dst_unused:UNUSED_PAD src0_sel:DWORD src1_sel:BYTE_0
	v_ashrrev_i32_sdwa v8, s5, sext(v8) dst_sel:DWORD dst_unused:UNUSED_PAD src0_sel:DWORD src1_sel:BYTE_0
	v_cndmask_b32_e32 v2, v8, v2, vcc
	v_or_b32_e32 v8, 0x400, v0
	s_mov_b32 s10, 0x3020104
	v_cmp_gt_i32_e64 s[2:3], s38, v8
	v_lshrrev_b16_sdwa v8, v1, sext(v9) dst_sel:DWORD dst_unused:UNUSED_PAD src0_sel:DWORD src1_sel:BYTE_0
	v_ashrrev_i32_sdwa v9, s5, sext(v9) dst_sel:DWORD dst_unused:UNUSED_PAD src0_sel:DWORD src1_sel:BYTE_0
	v_perm_b32 v2, v2, 0, s10
	v_cndmask_b32_e32 v8, v9, v8, vcc
	v_cndmask_b32_e64 v2, 0, v2, s[2:3]
	v_lshlrev_b16_e32 v8, 8, v8
	v_or_b32_sdwa v8, v2, v8 dst_sel:DWORD dst_unused:UNUSED_PAD src0_sel:BYTE_0 src1_sel:DWORD
	v_and_b32_e32 v8, 0xffff, v8
	s_mov_b32 s11, 0xffff0000
	v_or_b32_e32 v9, 0x500, v0
	v_and_or_b32 v8, v2, s11, v8
	v_cmp_gt_i32_e64 s[2:3], s38, v9
	v_lshrrev_b16_sdwa v9, v1, sext(v5) dst_sel:DWORD dst_unused:UNUSED_PAD src0_sel:DWORD src1_sel:BYTE_0
	v_ashrrev_i32_sdwa v5, s5, sext(v5) dst_sel:DWORD dst_unused:UNUSED_PAD src0_sel:DWORD src1_sel:BYTE_0
	v_cndmask_b32_e64 v2, v2, v8, s[2:3]
	v_or_b32_e32 v8, 0x600, v0
	v_cndmask_b32_e32 v5, v5, v9, vcc
	s_mov_b32 s12, 0x7000504
	v_perm_b32 v5, v2, v5, s12
	v_cmp_gt_i32_e64 s[2:3], s38, v8
	v_lshrrev_b16_sdwa v9, v1, sext(v6) dst_sel:DWORD dst_unused:UNUSED_PAD src0_sel:DWORD src1_sel:BYTE_0
	v_ashrrev_i32_sdwa v6, s5, sext(v6) dst_sel:DWORD dst_unused:UNUSED_PAD src0_sel:DWORD src1_sel:BYTE_0
	v_cndmask_b32_e64 v2, v2, v5, s[2:3]
	v_cndmask_b32_e32 v6, v6, v9, vcc
	v_and_b32_sdwa v5, v2, s6 dst_sel:DWORD dst_unused:UNUSED_PAD src0_sel:WORD_1 src1_sel:DWORD
	v_lshlrev_b16_e32 v6, 8, v6
	v_or_b32_e32 v8, 0x700, v0
	v_or_b32_sdwa v5, v5, v6 dst_sel:WORD_1 dst_unused:UNUSED_PAD src0_sel:DWORD src1_sel:DWORD
	v_and_or_b32 v5, v2, s4, v5
	v_cmp_gt_i32_e64 s[2:3], s38, v8
	v_lshrrev_b16_sdwa v6, v1, sext(v10) dst_sel:DWORD dst_unused:UNUSED_PAD src0_sel:DWORD src1_sel:BYTE_0
	v_ashrrev_i32_sdwa v8, s5, sext(v10) dst_sel:DWORD dst_unused:UNUSED_PAD src0_sel:DWORD src1_sel:BYTE_0
	v_cndmask_b32_e64 v5, v2, v5, s[2:3]
	v_or_b32_e32 v2, 0x800, v0
	v_cndmask_b32_e32 v6, v8, v6, vcc
	v_lshrrev_b16_sdwa v8, v1, sext(v14) dst_sel:DWORD dst_unused:UNUSED_PAD src0_sel:DWORD src1_sel:BYTE_0
	v_ashrrev_i32_sdwa v9, s5, sext(v14) dst_sel:DWORD dst_unused:UNUSED_PAD src0_sel:DWORD src1_sel:BYTE_0
	v_and_b32_sdwa v6, s4, v6 dst_sel:DWORD dst_unused:UNUSED_PAD src0_sel:DWORD src1_sel:BYTE_0
	v_cmp_gt_i32_e64 s[2:3], s38, v2
	v_cndmask_b32_e32 v8, v9, v8, vcc
	v_cndmask_b32_e64 v2, 0, v6, s[2:3]
	v_lshlrev_b16_e32 v8, 8, v8
	v_or_b32_e32 v6, 0x900, v0
	v_or_b32_e32 v8, v2, v8
	v_and_b32_e32 v8, 0xffff, v8
	v_cmp_gt_i32_e64 s[2:3], s38, v6
	v_cndmask_b32_e64 v2, v2, v8, s[2:3]
	v_lshrrev_b16_sdwa v8, v1, sext(v15) dst_sel:DWORD dst_unused:UNUSED_PAD src0_sel:DWORD src1_sel:BYTE_0
	v_ashrrev_i32_sdwa v9, s5, sext(v15) dst_sel:DWORD dst_unused:UNUSED_PAD src0_sel:DWORD src1_sel:BYTE_0
	v_cndmask_b32_e32 v8, v9, v8, vcc
	v_or_b32_e32 v6, 0xa00, v0
	v_perm_b32 v8, v8, v2, s7
	v_lshl_or_b32 v8, v8, 16, v2
	v_cmp_gt_i32_e64 s[2:3], s38, v6
	v_lshrrev_b16_sdwa v9, v1, sext(v16) dst_sel:DWORD dst_unused:UNUSED_PAD src0_sel:DWORD src1_sel:BYTE_0
	v_ashrrev_i32_sdwa v10, s5, sext(v16) dst_sel:DWORD dst_unused:UNUSED_PAD src0_sel:DWORD src1_sel:BYTE_0
	v_cndmask_b32_e64 v2, v2, v8, s[2:3]
	v_cndmask_b32_e32 v9, v10, v9, vcc
	v_and_b32_sdwa v6, v2, s6 dst_sel:DWORD dst_unused:UNUSED_PAD src0_sel:WORD_1 src1_sel:DWORD
	v_lshlrev_b16_e32 v9, 8, v9
	v_or_b32_e32 v8, 0xb00, v0
	v_or_b32_sdwa v6, v6, v9 dst_sel:WORD_1 dst_unused:UNUSED_PAD src0_sel:DWORD src1_sel:DWORD
	v_and_or_b32 v6, v2, s4, v6
	v_cmp_gt_i32_e64 s[2:3], s38, v8
	v_cndmask_b32_e64 v2, v2, v6, s[2:3]
	v_lshrrev_b16_sdwa v6, v1, sext(v17) dst_sel:DWORD dst_unused:UNUSED_PAD src0_sel:DWORD src1_sel:BYTE_0
	v_ashrrev_i32_sdwa v8, s5, sext(v17) dst_sel:DWORD dst_unused:UNUSED_PAD src0_sel:DWORD src1_sel:BYTE_0
	v_cndmask_b32_e32 v6, v8, v6, vcc
	v_or_b32_e32 v8, 0xc00, v0
	v_cmp_gt_i32_e64 s[2:3], s38, v8
	v_lshrrev_b16_sdwa v8, v1, sext(v18) dst_sel:DWORD dst_unused:UNUSED_PAD src0_sel:DWORD src1_sel:BYTE_0
	v_ashrrev_i32_sdwa v9, s5, sext(v18) dst_sel:DWORD dst_unused:UNUSED_PAD src0_sel:DWORD src1_sel:BYTE_0
	v_perm_b32 v6, v6, 0, s10
	v_cndmask_b32_e32 v8, v9, v8, vcc
	v_cndmask_b32_e64 v6, 0, v6, s[2:3]
	v_lshlrev_b16_e32 v8, 8, v8
	v_or_b32_sdwa v8, v6, v8 dst_sel:DWORD dst_unused:UNUSED_PAD src0_sel:BYTE_0 src1_sel:DWORD
	v_and_b32_e32 v8, 0xffff, v8
	v_or_b32_e32 v9, 0xd00, v0
	v_and_or_b32 v8, v6, s11, v8
	v_cmp_gt_i32_e64 s[2:3], s38, v9
	v_lshrrev_b16_sdwa v9, v1, sext(v19) dst_sel:DWORD dst_unused:UNUSED_PAD src0_sel:DWORD src1_sel:BYTE_0
	v_ashrrev_i32_sdwa v10, s5, sext(v19) dst_sel:DWORD dst_unused:UNUSED_PAD src0_sel:DWORD src1_sel:BYTE_0
	v_cndmask_b32_e64 v6, v6, v8, s[2:3]
	v_or_b32_e32 v8, 0xe00, v0
	v_cndmask_b32_e32 v9, v10, v9, vcc
	v_perm_b32 v9, v6, v9, s12
	v_cmp_gt_i32_e64 s[2:3], s38, v8
	v_cndmask_b32_e64 v6, v6, v9, s[2:3]
	v_lshrrev_b16_sdwa v1, v1, sext(v20) dst_sel:DWORD dst_unused:UNUSED_PAD src0_sel:DWORD src1_sel:BYTE_0
	v_ashrrev_i32_sdwa v10, s5, sext(v20) dst_sel:DWORD dst_unused:UNUSED_PAD src0_sel:DWORD src1_sel:BYTE_0
	v_and_b32_sdwa v8, v6, s6 dst_sel:DWORD dst_unused:UNUSED_PAD src0_sel:WORD_1 src1_sel:DWORD
	v_cndmask_b32_sdwa v1, v10, v1, vcc dst_sel:BYTE_1 dst_unused:UNUSED_PAD src0_sel:DWORD src1_sel:DWORD
	v_or_b32_e32 v9, 0xf00, v0
	v_or_b32_sdwa v1, v8, v1 dst_sel:WORD_1 dst_unused:UNUSED_PAD src0_sel:DWORD src1_sel:DWORD
	v_and_or_b32 v1, v6, s4, v1
	v_cmp_gt_i32_e32 vcc, s38, v9
	v_cndmask_b32_e32 v1, v6, v1, vcc
	s_and_saveexec_b64 s[2:3], s[0:1]
	s_cbranch_execnz .LBB152_53
; %bb.36:
	s_or_b64 exec, exec, s[2:3]
	v_cmp_gt_i32_e32 vcc, s38, v0
	s_and_saveexec_b64 s[0:1], vcc
	s_cbranch_execnz .LBB152_54
.LBB152_37:
	s_or_b64 exec, exec, s[0:1]
	v_cmp_gt_i32_e32 vcc, s38, v0
	s_and_saveexec_b64 s[0:1], vcc
	s_cbranch_execnz .LBB152_55
.LBB152_38:
	s_or_b64 exec, exec, s[0:1]
	v_cmp_gt_i32_e32 vcc, s38, v0
	s_and_saveexec_b64 s[0:1], vcc
	s_cbranch_execnz .LBB152_56
.LBB152_39:
	s_or_b64 exec, exec, s[0:1]
	v_cmp_gt_i32_e32 vcc, s38, v0
	s_and_saveexec_b64 s[0:1], vcc
	s_cbranch_execnz .LBB152_57
.LBB152_40:
	s_or_b64 exec, exec, s[0:1]
	v_cmp_gt_i32_e32 vcc, s38, v0
	s_and_saveexec_b64 s[0:1], vcc
	s_cbranch_execnz .LBB152_58
.LBB152_41:
	s_or_b64 exec, exec, s[0:1]
	v_cmp_gt_i32_e32 vcc, s38, v0
	s_and_saveexec_b64 s[0:1], vcc
	s_cbranch_execnz .LBB152_59
.LBB152_42:
	s_or_b64 exec, exec, s[0:1]
	v_cmp_gt_i32_e32 vcc, s38, v0
	s_and_saveexec_b64 s[0:1], vcc
	s_cbranch_execnz .LBB152_60
.LBB152_43:
	s_or_b64 exec, exec, s[0:1]
	v_cmp_gt_i32_e32 vcc, s38, v0
	s_and_saveexec_b64 s[0:1], vcc
	s_cbranch_execnz .LBB152_61
.LBB152_44:
	s_or_b64 exec, exec, s[0:1]
	v_cmp_gt_i32_e32 vcc, s38, v0
	s_and_saveexec_b64 s[0:1], vcc
	s_cbranch_execnz .LBB152_62
.LBB152_45:
	s_or_b64 exec, exec, s[0:1]
	v_cmp_gt_i32_e32 vcc, s38, v0
	s_and_saveexec_b64 s[0:1], vcc
	s_cbranch_execnz .LBB152_63
.LBB152_46:
	s_or_b64 exec, exec, s[0:1]
	v_cmp_gt_i32_e32 vcc, s38, v0
	s_and_saveexec_b64 s[0:1], vcc
	s_cbranch_execnz .LBB152_64
.LBB152_47:
	s_or_b64 exec, exec, s[0:1]
	v_cmp_gt_i32_e32 vcc, s38, v0
	s_and_saveexec_b64 s[0:1], vcc
	s_cbranch_execnz .LBB152_65
.LBB152_48:
	s_or_b64 exec, exec, s[0:1]
	v_cmp_gt_i32_e32 vcc, s38, v0
	s_and_saveexec_b64 s[0:1], vcc
	s_cbranch_execnz .LBB152_66
.LBB152_49:
	s_or_b64 exec, exec, s[0:1]
	v_cmp_gt_i32_e32 vcc, s38, v0
	s_and_saveexec_b64 s[0:1], vcc
	s_cbranch_execnz .LBB152_67
.LBB152_50:
	s_or_b64 exec, exec, s[0:1]
	v_cmp_gt_i32_e32 vcc, s38, v0
	s_and_saveexec_b64 s[0:1], vcc
	s_cbranch_execz .LBB152_52
.LBB152_51:
	v_lshrrev_b32_e32 v1, 24, v1
	v_add_u32_e32 v0, s33, v0
	global_store_byte v0, v1, s[8:9]
.LBB152_52:
	s_endpgm
.LBB152_53:
	v_mov_b32_e32 v0, v3
	global_store_byte v4, v7, s[8:9]
	s_or_b64 exec, exec, s[2:3]
	v_cmp_gt_i32_e32 vcc, s38, v0
	s_and_saveexec_b64 s[0:1], vcc
	s_cbranch_execz .LBB152_37
.LBB152_54:
	v_lshrrev_b32_e32 v3, 8, v7
	v_add_u32_e32 v4, s33, v0
	v_add_u32_e32 v0, 0x100, v0
	global_store_byte v4, v3, s[8:9]
	s_or_b64 exec, exec, s[0:1]
	v_cmp_gt_i32_e32 vcc, s38, v0
	s_and_saveexec_b64 s[0:1], vcc
	s_cbranch_execz .LBB152_38
.LBB152_55:
	v_add_u32_e32 v3, s33, v0
	v_add_u32_e32 v0, 0x100, v0
	global_store_byte_d16_hi v3, v7, s[8:9]
	s_or_b64 exec, exec, s[0:1]
	v_cmp_gt_i32_e32 vcc, s38, v0
	s_and_saveexec_b64 s[0:1], vcc
	s_cbranch_execz .LBB152_39
.LBB152_56:
	v_lshrrev_b32_e32 v3, 24, v7
	v_add_u32_e32 v4, s33, v0
	v_add_u32_e32 v0, 0x100, v0
	global_store_byte v4, v3, s[8:9]
	s_or_b64 exec, exec, s[0:1]
	v_cmp_gt_i32_e32 vcc, s38, v0
	s_and_saveexec_b64 s[0:1], vcc
	s_cbranch_execz .LBB152_40
.LBB152_57:
	v_add_u32_e32 v3, s33, v0
	v_add_u32_e32 v0, 0x100, v0
	global_store_byte v3, v5, s[8:9]
	s_or_b64 exec, exec, s[0:1]
	v_cmp_gt_i32_e32 vcc, s38, v0
	s_and_saveexec_b64 s[0:1], vcc
	s_cbranch_execz .LBB152_41
.LBB152_58:
	v_lshrrev_b32_e32 v3, 8, v5
	v_add_u32_e32 v4, s33, v0
	v_add_u32_e32 v0, 0x100, v0
	global_store_byte v4, v3, s[8:9]
	s_or_b64 exec, exec, s[0:1]
	v_cmp_gt_i32_e32 vcc, s38, v0
	s_and_saveexec_b64 s[0:1], vcc
	s_cbranch_execz .LBB152_42
.LBB152_59:
	v_add_u32_e32 v3, s33, v0
	v_add_u32_e32 v0, 0x100, v0
	global_store_byte_d16_hi v3, v5, s[8:9]
	s_or_b64 exec, exec, s[0:1]
	v_cmp_gt_i32_e32 vcc, s38, v0
	s_and_saveexec_b64 s[0:1], vcc
	s_cbranch_execz .LBB152_43
.LBB152_60:
	v_lshrrev_b32_e32 v3, 24, v5
	v_add_u32_e32 v4, s33, v0
	v_add_u32_e32 v0, 0x100, v0
	global_store_byte v4, v3, s[8:9]
	s_or_b64 exec, exec, s[0:1]
	v_cmp_gt_i32_e32 vcc, s38, v0
	s_and_saveexec_b64 s[0:1], vcc
	s_cbranch_execz .LBB152_44
.LBB152_61:
	v_add_u32_e32 v3, s33, v0
	v_add_u32_e32 v0, 0x100, v0
	global_store_byte v3, v2, s[8:9]
	s_or_b64 exec, exec, s[0:1]
	v_cmp_gt_i32_e32 vcc, s38, v0
	s_and_saveexec_b64 s[0:1], vcc
	s_cbranch_execz .LBB152_45
.LBB152_62:
	v_lshrrev_b32_e32 v3, 8, v2
	v_add_u32_e32 v4, s33, v0
	v_add_u32_e32 v0, 0x100, v0
	global_store_byte v4, v3, s[8:9]
	s_or_b64 exec, exec, s[0:1]
	v_cmp_gt_i32_e32 vcc, s38, v0
	s_and_saveexec_b64 s[0:1], vcc
	s_cbranch_execz .LBB152_46
.LBB152_63:
	v_add_u32_e32 v3, s33, v0
	v_add_u32_e32 v0, 0x100, v0
	global_store_byte_d16_hi v3, v2, s[8:9]
	s_or_b64 exec, exec, s[0:1]
	v_cmp_gt_i32_e32 vcc, s38, v0
	s_and_saveexec_b64 s[0:1], vcc
	s_cbranch_execz .LBB152_47
.LBB152_64:
	v_lshrrev_b32_e32 v2, 24, v2
	v_add_u32_e32 v3, s33, v0
	v_add_u32_e32 v0, 0x100, v0
	global_store_byte v3, v2, s[8:9]
	s_or_b64 exec, exec, s[0:1]
	v_cmp_gt_i32_e32 vcc, s38, v0
	s_and_saveexec_b64 s[0:1], vcc
	s_cbranch_execz .LBB152_48
.LBB152_65:
	v_add_u32_e32 v2, s33, v0
	v_add_u32_e32 v0, 0x100, v0
	global_store_byte v2, v1, s[8:9]
	s_or_b64 exec, exec, s[0:1]
	v_cmp_gt_i32_e32 vcc, s38, v0
	s_and_saveexec_b64 s[0:1], vcc
	s_cbranch_execz .LBB152_49
.LBB152_66:
	v_lshrrev_b32_e32 v2, 8, v1
	v_add_u32_e32 v3, s33, v0
	v_add_u32_e32 v0, 0x100, v0
	global_store_byte v3, v2, s[8:9]
	s_or_b64 exec, exec, s[0:1]
	v_cmp_gt_i32_e32 vcc, s38, v0
	s_and_saveexec_b64 s[0:1], vcc
	s_cbranch_execz .LBB152_50
.LBB152_67:
	v_add_u32_e32 v2, s33, v0
	v_add_u32_e32 v0, 0x100, v0
	global_store_byte_d16_hi v2, v1, s[8:9]
	s_or_b64 exec, exec, s[0:1]
	v_cmp_gt_i32_e32 vcc, s38, v0
	s_and_saveexec_b64 s[0:1], vcc
	s_cbranch_execnz .LBB152_51
	s_branch .LBB152_52
	.section	.rodata,"a",@progbits
	.p2align	6, 0x0
	.amdhsa_kernel _ZN2at6native29vectorized_elementwise_kernelILi16ENS0_13BUnaryFunctorIaaaZZZNS0_18rshift_kernel_cudaERNS_18TensorIteratorBaseEENKUlvE_clEvENKUlvE0_clEvEUlaaE_EESt5arrayIPcLm2EEEEviT0_T1_
		.amdhsa_group_segment_fixed_size 0
		.amdhsa_private_segment_fixed_size 0
		.amdhsa_kernarg_size 24
		.amdhsa_user_sgpr_count 6
		.amdhsa_user_sgpr_private_segment_buffer 1
		.amdhsa_user_sgpr_dispatch_ptr 0
		.amdhsa_user_sgpr_queue_ptr 0
		.amdhsa_user_sgpr_kernarg_segment_ptr 1
		.amdhsa_user_sgpr_dispatch_id 0
		.amdhsa_user_sgpr_flat_scratch_init 0
		.amdhsa_user_sgpr_private_segment_size 0
		.amdhsa_uses_dynamic_stack 0
		.amdhsa_system_sgpr_private_segment_wavefront_offset 0
		.amdhsa_system_sgpr_workgroup_id_x 1
		.amdhsa_system_sgpr_workgroup_id_y 0
		.amdhsa_system_sgpr_workgroup_id_z 0
		.amdhsa_system_sgpr_workgroup_info 0
		.amdhsa_system_vgpr_workitem_id 0
		.amdhsa_next_free_vgpr 25
		.amdhsa_next_free_sgpr 40
		.amdhsa_reserve_vcc 1
		.amdhsa_reserve_flat_scratch 0
		.amdhsa_float_round_mode_32 0
		.amdhsa_float_round_mode_16_64 0
		.amdhsa_float_denorm_mode_32 3
		.amdhsa_float_denorm_mode_16_64 3
		.amdhsa_dx10_clamp 1
		.amdhsa_ieee_mode 1
		.amdhsa_fp16_overflow 0
		.amdhsa_exception_fp_ieee_invalid_op 0
		.amdhsa_exception_fp_denorm_src 0
		.amdhsa_exception_fp_ieee_div_zero 0
		.amdhsa_exception_fp_ieee_overflow 0
		.amdhsa_exception_fp_ieee_underflow 0
		.amdhsa_exception_fp_ieee_inexact 0
		.amdhsa_exception_int_div_zero 0
	.end_amdhsa_kernel
	.section	.text._ZN2at6native29vectorized_elementwise_kernelILi16ENS0_13BUnaryFunctorIaaaZZZNS0_18rshift_kernel_cudaERNS_18TensorIteratorBaseEENKUlvE_clEvENKUlvE0_clEvEUlaaE_EESt5arrayIPcLm2EEEEviT0_T1_,"axG",@progbits,_ZN2at6native29vectorized_elementwise_kernelILi16ENS0_13BUnaryFunctorIaaaZZZNS0_18rshift_kernel_cudaERNS_18TensorIteratorBaseEENKUlvE_clEvENKUlvE0_clEvEUlaaE_EESt5arrayIPcLm2EEEEviT0_T1_,comdat
.Lfunc_end152:
	.size	_ZN2at6native29vectorized_elementwise_kernelILi16ENS0_13BUnaryFunctorIaaaZZZNS0_18rshift_kernel_cudaERNS_18TensorIteratorBaseEENKUlvE_clEvENKUlvE0_clEvEUlaaE_EESt5arrayIPcLm2EEEEviT0_T1_, .Lfunc_end152-_ZN2at6native29vectorized_elementwise_kernelILi16ENS0_13BUnaryFunctorIaaaZZZNS0_18rshift_kernel_cudaERNS_18TensorIteratorBaseEENKUlvE_clEvENKUlvE0_clEvEUlaaE_EESt5arrayIPcLm2EEEEviT0_T1_
                                        ; -- End function
	.set _ZN2at6native29vectorized_elementwise_kernelILi16ENS0_13BUnaryFunctorIaaaZZZNS0_18rshift_kernel_cudaERNS_18TensorIteratorBaseEENKUlvE_clEvENKUlvE0_clEvEUlaaE_EESt5arrayIPcLm2EEEEviT0_T1_.num_vgpr, 25
	.set _ZN2at6native29vectorized_elementwise_kernelILi16ENS0_13BUnaryFunctorIaaaZZZNS0_18rshift_kernel_cudaERNS_18TensorIteratorBaseEENKUlvE_clEvENKUlvE0_clEvEUlaaE_EESt5arrayIPcLm2EEEEviT0_T1_.num_agpr, 0
	.set _ZN2at6native29vectorized_elementwise_kernelILi16ENS0_13BUnaryFunctorIaaaZZZNS0_18rshift_kernel_cudaERNS_18TensorIteratorBaseEENKUlvE_clEvENKUlvE0_clEvEUlaaE_EESt5arrayIPcLm2EEEEviT0_T1_.numbered_sgpr, 40
	.set _ZN2at6native29vectorized_elementwise_kernelILi16ENS0_13BUnaryFunctorIaaaZZZNS0_18rshift_kernel_cudaERNS_18TensorIteratorBaseEENKUlvE_clEvENKUlvE0_clEvEUlaaE_EESt5arrayIPcLm2EEEEviT0_T1_.num_named_barrier, 0
	.set _ZN2at6native29vectorized_elementwise_kernelILi16ENS0_13BUnaryFunctorIaaaZZZNS0_18rshift_kernel_cudaERNS_18TensorIteratorBaseEENKUlvE_clEvENKUlvE0_clEvEUlaaE_EESt5arrayIPcLm2EEEEviT0_T1_.private_seg_size, 0
	.set _ZN2at6native29vectorized_elementwise_kernelILi16ENS0_13BUnaryFunctorIaaaZZZNS0_18rshift_kernel_cudaERNS_18TensorIteratorBaseEENKUlvE_clEvENKUlvE0_clEvEUlaaE_EESt5arrayIPcLm2EEEEviT0_T1_.uses_vcc, 1
	.set _ZN2at6native29vectorized_elementwise_kernelILi16ENS0_13BUnaryFunctorIaaaZZZNS0_18rshift_kernel_cudaERNS_18TensorIteratorBaseEENKUlvE_clEvENKUlvE0_clEvEUlaaE_EESt5arrayIPcLm2EEEEviT0_T1_.uses_flat_scratch, 0
	.set _ZN2at6native29vectorized_elementwise_kernelILi16ENS0_13BUnaryFunctorIaaaZZZNS0_18rshift_kernel_cudaERNS_18TensorIteratorBaseEENKUlvE_clEvENKUlvE0_clEvEUlaaE_EESt5arrayIPcLm2EEEEviT0_T1_.has_dyn_sized_stack, 0
	.set _ZN2at6native29vectorized_elementwise_kernelILi16ENS0_13BUnaryFunctorIaaaZZZNS0_18rshift_kernel_cudaERNS_18TensorIteratorBaseEENKUlvE_clEvENKUlvE0_clEvEUlaaE_EESt5arrayIPcLm2EEEEviT0_T1_.has_recursion, 0
	.set _ZN2at6native29vectorized_elementwise_kernelILi16ENS0_13BUnaryFunctorIaaaZZZNS0_18rshift_kernel_cudaERNS_18TensorIteratorBaseEENKUlvE_clEvENKUlvE0_clEvEUlaaE_EESt5arrayIPcLm2EEEEviT0_T1_.has_indirect_call, 0
	.section	.AMDGPU.csdata,"",@progbits
; Kernel info:
; codeLenInByte = 3520
; TotalNumSgprs: 44
; NumVgprs: 25
; ScratchSize: 0
; MemoryBound: 0
; FloatMode: 240
; IeeeMode: 1
; LDSByteSize: 0 bytes/workgroup (compile time only)
; SGPRBlocks: 5
; VGPRBlocks: 6
; NumSGPRsForWavesPerEU: 44
; NumVGPRsForWavesPerEU: 25
; Occupancy: 9
; WaveLimiterHint : 0
; COMPUTE_PGM_RSRC2:SCRATCH_EN: 0
; COMPUTE_PGM_RSRC2:USER_SGPR: 6
; COMPUTE_PGM_RSRC2:TRAP_HANDLER: 0
; COMPUTE_PGM_RSRC2:TGID_X_EN: 1
; COMPUTE_PGM_RSRC2:TGID_Y_EN: 0
; COMPUTE_PGM_RSRC2:TGID_Z_EN: 0
; COMPUTE_PGM_RSRC2:TIDIG_COMP_CNT: 0
	.section	.text._ZN2at6native29vectorized_elementwise_kernelILi8ENS0_13BUnaryFunctorIaaaZZZNS0_18rshift_kernel_cudaERNS_18TensorIteratorBaseEENKUlvE_clEvENKUlvE0_clEvEUlaaE_EESt5arrayIPcLm2EEEEviT0_T1_,"axG",@progbits,_ZN2at6native29vectorized_elementwise_kernelILi8ENS0_13BUnaryFunctorIaaaZZZNS0_18rshift_kernel_cudaERNS_18TensorIteratorBaseEENKUlvE_clEvENKUlvE0_clEvEUlaaE_EESt5arrayIPcLm2EEEEviT0_T1_,comdat
	.globl	_ZN2at6native29vectorized_elementwise_kernelILi8ENS0_13BUnaryFunctorIaaaZZZNS0_18rshift_kernel_cudaERNS_18TensorIteratorBaseEENKUlvE_clEvENKUlvE0_clEvEUlaaE_EESt5arrayIPcLm2EEEEviT0_T1_ ; -- Begin function _ZN2at6native29vectorized_elementwise_kernelILi8ENS0_13BUnaryFunctorIaaaZZZNS0_18rshift_kernel_cudaERNS_18TensorIteratorBaseEENKUlvE_clEvENKUlvE0_clEvEUlaaE_EESt5arrayIPcLm2EEEEviT0_T1_
	.p2align	8
	.type	_ZN2at6native29vectorized_elementwise_kernelILi8ENS0_13BUnaryFunctorIaaaZZZNS0_18rshift_kernel_cudaERNS_18TensorIteratorBaseEENKUlvE_clEvENKUlvE0_clEvEUlaaE_EESt5arrayIPcLm2EEEEviT0_T1_,@function
_ZN2at6native29vectorized_elementwise_kernelILi8ENS0_13BUnaryFunctorIaaaZZZNS0_18rshift_kernel_cudaERNS_18TensorIteratorBaseEENKUlvE_clEvENKUlvE0_clEvEUlaaE_EESt5arrayIPcLm2EEEEviT0_T1_: ; @_ZN2at6native29vectorized_elementwise_kernelILi8ENS0_13BUnaryFunctorIaaaZZZNS0_18rshift_kernel_cudaERNS_18TensorIteratorBaseEENKUlvE_clEvENKUlvE0_clEvEUlaaE_EESt5arrayIPcLm2EEEEviT0_T1_
; %bb.0:
	v_mov_b32_e32 v1, 0
	global_load_ushort v1, v1, s[4:5] offset:4
	s_load_dword s0, s[4:5], 0x0
	s_load_dwordx4 s[8:11], s[4:5], 0x8
	s_lshl_b32 s33, s6, 12
	s_waitcnt lgkmcnt(0)
	s_sub_i32 s38, s0, s33
	s_waitcnt vmcnt(0)
	v_readfirstlane_b32 s1, v1
	s_and_b32 s0, 0xffff, s1
	s_lshr_b32 s39, s0, 8
	s_cmpk_gt_i32 s38, 0xfff
	s_mov_b64 s[0:1], -1
	s_cbranch_scc0 .LBB153_2
; %bb.1:
	s_ashr_i32 s0, s33, 31
	s_add_u32 s2, s10, s33
	s_addc_u32 s3, s11, s0
	v_lshlrev_b32_e32 v5, 3, v0
	global_load_dwordx2 v[1:2], v5, s[2:3]
	global_load_dwordx2 v[3:4], v5, s[2:3] offset:2048
	s_cmp_gt_u32 s39, 6
	v_mov_b32_e32 v6, 7
	s_cselect_b64 vcc, -1, 0
	s_and_b32 s1, 0xffff, s39
	s_add_u32 s2, s8, s33
	s_addc_u32 s3, s9, s0
	s_waitcnt vmcnt(1)
	v_lshrrev_b32_e32 v8, 8, v1
	v_lshrrev_b32_e32 v9, 16, v1
	;; [unrolled: 1-line block ×6, first 2 shown]
	s_waitcnt vmcnt(0)
	v_lshrrev_b32_e32 v15, 8, v3
	v_lshrrev_b32_e32 v16, 16, v3
	;; [unrolled: 1-line block ×6, first 2 shown]
	v_lshrrev_b16_sdwa v7, v6, sext(v1) dst_sel:DWORD dst_unused:UNUSED_PAD src0_sel:DWORD src1_sel:BYTE_0
	v_lshrrev_b16_sdwa v11, v6, sext(v2) dst_sel:DWORD dst_unused:UNUSED_PAD src0_sel:DWORD src1_sel:BYTE_0
	;; [unrolled: 1-line block ×4, first 2 shown]
	v_ashrrev_i32_sdwa v23, s1, sext(v1) dst_sel:DWORD dst_unused:UNUSED_PAD src0_sel:DWORD src1_sel:BYTE_0
	v_ashrrev_i32_sdwa v24, s1, sext(v1) dst_sel:DWORD dst_unused:UNUSED_PAD src0_sel:DWORD src1_sel:BYTE_1
	v_ashrrev_i32_sdwa v25, s1, sext(v1) dst_sel:DWORD dst_unused:UNUSED_PAD src0_sel:DWORD src1_sel:BYTE_2
	v_ashrrev_i32_sdwa v1, s1, sext(v1) dst_sel:DWORD dst_unused:UNUSED_PAD src0_sel:DWORD src1_sel:BYTE_3
	v_ashrrev_i32_sdwa v26, s1, sext(v2) dst_sel:DWORD dst_unused:UNUSED_PAD src0_sel:DWORD src1_sel:BYTE_0
	v_ashrrev_i32_sdwa v27, s1, sext(v2) dst_sel:DWORD dst_unused:UNUSED_PAD src0_sel:DWORD src1_sel:BYTE_1
	v_ashrrev_i32_sdwa v28, s1, sext(v2) dst_sel:DWORD dst_unused:UNUSED_PAD src0_sel:DWORD src1_sel:BYTE_2
	v_ashrrev_i32_sdwa v2, s1, sext(v2) dst_sel:DWORD dst_unused:UNUSED_PAD src0_sel:DWORD src1_sel:BYTE_3
	v_lshrrev_b16_sdwa v8, v6, sext(v8) dst_sel:DWORD dst_unused:UNUSED_PAD src0_sel:DWORD src1_sel:BYTE_0
	v_lshrrev_b16_sdwa v9, v6, sext(v9) dst_sel:DWORD dst_unused:UNUSED_PAD src0_sel:DWORD src1_sel:BYTE_0
	;; [unrolled: 1-line block ×12, first 2 shown]
	v_ashrrev_i32_sdwa v20, s1, sext(v3) dst_sel:DWORD dst_unused:UNUSED_PAD src0_sel:DWORD src1_sel:BYTE_0
	v_ashrrev_i32_sdwa v29, s1, sext(v3) dst_sel:DWORD dst_unused:UNUSED_PAD src0_sel:DWORD src1_sel:BYTE_1
	v_ashrrev_i32_sdwa v30, s1, sext(v3) dst_sel:DWORD dst_unused:UNUSED_PAD src0_sel:DWORD src1_sel:BYTE_2
	v_ashrrev_i32_sdwa v3, s1, sext(v3) dst_sel:DWORD dst_unused:UNUSED_PAD src0_sel:DWORD src1_sel:BYTE_3
	v_ashrrev_i32_sdwa v31, s1, sext(v4) dst_sel:DWORD dst_unused:UNUSED_PAD src0_sel:DWORD src1_sel:BYTE_0
	v_ashrrev_i32_sdwa v32, s1, sext(v4) dst_sel:DWORD dst_unused:UNUSED_PAD src0_sel:DWORD src1_sel:BYTE_1
	v_ashrrev_i32_sdwa v33, s1, sext(v4) dst_sel:DWORD dst_unused:UNUSED_PAD src0_sel:DWORD src1_sel:BYTE_2
	v_ashrrev_i32_sdwa v4, s1, sext(v4) dst_sel:DWORD dst_unused:UNUSED_PAD src0_sel:DWORD src1_sel:BYTE_3
	v_cndmask_b32_e32 v8, v24, v8, vcc
	v_cndmask_b32_e32 v1, v1, v10, vcc
	;; [unrolled: 1-line block ×16, first 2 shown]
	v_lshlrev_b16_e32 v6, 8, v17
	v_lshlrev_b16_e32 v4, 8, v4
	;; [unrolled: 1-line block ×8, first 2 shown]
	v_or_b32_sdwa v6, v16, v6 dst_sel:DWORD dst_unused:UNUSED_PAD src0_sel:BYTE_0 src1_sel:DWORD
	v_or_b32_sdwa v4, v18, v4 dst_sel:WORD_1 dst_unused:UNUSED_PAD src0_sel:BYTE_0 src1_sel:DWORD
	v_or_b32_sdwa v13, v13, v14 dst_sel:DWORD dst_unused:UNUSED_PAD src0_sel:BYTE_0 src1_sel:DWORD
	v_or_b32_sdwa v3, v15, v3 dst_sel:WORD_1 dst_unused:UNUSED_PAD src0_sel:BYTE_0 src1_sel:DWORD
	;; [unrolled: 2-line block ×4, first 2 shown]
	v_or_b32_sdwa v2, v6, v4 dst_sel:DWORD dst_unused:UNUSED_PAD src0_sel:WORD_0 src1_sel:DWORD
	v_or_b32_sdwa v1, v13, v3 dst_sel:DWORD dst_unused:UNUSED_PAD src0_sel:WORD_0 src1_sel:DWORD
	v_or_b32_sdwa v4, v10, v11 dst_sel:DWORD dst_unused:UNUSED_PAD src0_sel:WORD_0 src1_sel:DWORD
	v_or_b32_sdwa v3, v7, v8 dst_sel:DWORD dst_unused:UNUSED_PAD src0_sel:WORD_0 src1_sel:DWORD
	global_store_dwordx2 v5, v[3:4], s[2:3]
	global_store_dwordx2 v5, v[1:2], s[2:3] offset:2048
	s_mov_b64 s[0:1], 0
.LBB153_2:
	s_andn2_b64 vcc, exec, s[0:1]
	s_cbranch_vccnz .LBB153_52
; %bb.3:
	v_cmp_gt_i32_e64 s[0:1], s38, v0
	v_or_b32_e32 v3, 0x100, v0
	v_mov_b32_e32 v20, 0
	v_or_b32_e32 v4, s33, v0
	v_mov_b32_e32 v19, 0
	v_mov_b32_e32 v18, 0
	;; [unrolled: 1-line block ×15, first 2 shown]
	s_and_saveexec_b64 s[2:3], s[0:1]
	s_cbranch_execz .LBB153_35
; %bb.4:
	global_load_ubyte v13, v4, s[10:11]
	v_cmp_gt_u32_e32 vcc, s38, v3
	v_mov_b32_e32 v11, 0
	v_mov_b32_e32 v12, 0
	;; [unrolled: 1-line block ×15, first 2 shown]
	s_and_saveexec_b64 s[4:5], vcc
	s_cbranch_execz .LBB153_34
; %bb.5:
	v_add_u32_e32 v1, s33, v0
	global_load_ubyte v11, v1, s[10:11] offset:256
	v_or_b32_e32 v2, 0x200, v0
	v_mov_b32_e32 v12, 0
	v_cmp_gt_u32_e32 vcc, s38, v2
	v_mov_b32_e32 v7, 0
	v_mov_b32_e32 v8, 0
	;; [unrolled: 1-line block ×13, first 2 shown]
	s_and_saveexec_b64 s[6:7], vcc
	s_cbranch_execz .LBB153_33
; %bb.6:
	v_mov_b32_e32 v2, s11
	v_add_co_u32_e32 v1, vcc, s10, v1
	v_addc_co_u32_e32 v2, vcc, 0, v2, vcc
	global_load_ubyte v12, v[1:2], off offset:512
	v_or_b32_e32 v5, 0x300, v0
	v_cmp_gt_u32_e32 vcc, s38, v5
	v_mov_b32_e32 v7, 0
	v_mov_b32_e32 v8, 0
	;; [unrolled: 1-line block ×13, first 2 shown]
	s_and_saveexec_b64 s[10:11], vcc
	s_cbranch_execz .LBB153_32
; %bb.7:
	global_load_ubyte v7, v[1:2], off offset:768
	v_or_b32_e32 v5, 0x400, v0
	v_cmp_gt_u32_e32 vcc, s38, v5
	v_mov_b32_e32 v8, 0
	v_mov_b32_e32 v9, 0
	;; [unrolled: 1-line block ×12, first 2 shown]
	s_and_saveexec_b64 s[12:13], vcc
	s_cbranch_execz .LBB153_31
; %bb.8:
	global_load_ubyte v8, v[1:2], off offset:1024
	v_or_b32_e32 v5, 0x500, v0
	v_cmp_gt_u32_e32 vcc, s38, v5
	v_mov_b32_e32 v9, 0
	v_mov_b32_e32 v5, 0
	;; [unrolled: 1-line block ×11, first 2 shown]
	s_and_saveexec_b64 s[14:15], vcc
	s_cbranch_execz .LBB153_30
; %bb.9:
	global_load_ubyte v9, v[1:2], off offset:1280
	v_or_b32_e32 v5, 0x600, v0
	v_cmp_gt_u32_e32 vcc, s38, v5
	v_mov_b32_e32 v5, 0
	v_mov_b32_e32 v6, 0
	;; [unrolled: 1-line block ×10, first 2 shown]
	s_and_saveexec_b64 s[16:17], vcc
	s_cbranch_execz .LBB153_29
; %bb.10:
	global_load_ubyte v5, v[1:2], off offset:1536
	v_or_b32_e32 v6, 0x700, v0
	v_cmp_gt_u32_e32 vcc, s38, v6
	v_mov_b32_e32 v6, 0
	v_mov_b32_e32 v10, 0
	;; [unrolled: 1-line block ×9, first 2 shown]
	s_and_saveexec_b64 s[18:19], vcc
	s_cbranch_execz .LBB153_28
; %bb.11:
	global_load_ubyte v6, v[1:2], off offset:1792
	v_or_b32_e32 v10, 0x800, v0
	v_cmp_gt_u32_e32 vcc, s38, v10
	v_mov_b32_e32 v10, 0
	v_mov_b32_e32 v14, 0
	;; [unrolled: 1-line block ×8, first 2 shown]
	s_and_saveexec_b64 s[20:21], vcc
	s_cbranch_execz .LBB153_27
; %bb.12:
	global_load_ubyte v10, v[1:2], off offset:2048
	v_or_b32_e32 v14, 0x900, v0
	v_cmp_gt_u32_e32 vcc, s38, v14
	v_mov_b32_e32 v14, 0
	v_mov_b32_e32 v15, 0
	;; [unrolled: 1-line block ×7, first 2 shown]
	s_and_saveexec_b64 s[22:23], vcc
	s_cbranch_execz .LBB153_26
; %bb.13:
	global_load_ubyte v14, v[1:2], off offset:2304
	v_or_b32_e32 v15, 0xa00, v0
	v_cmp_gt_u32_e32 vcc, s38, v15
	v_mov_b32_e32 v15, 0
	v_mov_b32_e32 v16, 0
	;; [unrolled: 1-line block ×6, first 2 shown]
	s_and_saveexec_b64 s[24:25], vcc
	s_cbranch_execz .LBB153_25
; %bb.14:
	global_load_ubyte v15, v[1:2], off offset:2560
	v_or_b32_e32 v16, 0xb00, v0
	v_cmp_gt_u32_e32 vcc, s38, v16
	v_mov_b32_e32 v16, 0
	v_mov_b32_e32 v17, 0
	;; [unrolled: 1-line block ×5, first 2 shown]
	s_and_saveexec_b64 s[26:27], vcc
	s_cbranch_execz .LBB153_24
; %bb.15:
	global_load_ubyte v16, v[1:2], off offset:2816
	v_or_b32_e32 v17, 0xc00, v0
	v_cmp_gt_u32_e32 vcc, s38, v17
	v_mov_b32_e32 v17, 0
	v_mov_b32_e32 v18, 0
	;; [unrolled: 1-line block ×4, first 2 shown]
	s_and_saveexec_b64 s[28:29], vcc
	s_cbranch_execz .LBB153_23
; %bb.16:
	global_load_ubyte v17, v[1:2], off offset:3072
	v_or_b32_e32 v18, 0xd00, v0
	v_cmp_gt_u32_e32 vcc, s38, v18
	v_mov_b32_e32 v18, 0
	v_mov_b32_e32 v19, 0
	;; [unrolled: 1-line block ×3, first 2 shown]
	s_and_saveexec_b64 s[30:31], vcc
	s_cbranch_execz .LBB153_22
; %bb.17:
	global_load_ubyte v18, v[1:2], off offset:3328
	v_or_b32_e32 v19, 0xe00, v0
	v_cmp_gt_u32_e32 vcc, s38, v19
	v_mov_b32_e32 v19, 0
	v_mov_b32_e32 v20, 0
	s_and_saveexec_b64 s[34:35], vcc
	s_cbranch_execz .LBB153_21
; %bb.18:
	global_load_ubyte v19, v[1:2], off offset:3584
	v_or_b32_e32 v20, 0xf00, v0
	v_cmp_gt_u32_e32 vcc, s38, v20
	v_mov_b32_e32 v20, 0
	s_and_saveexec_b64 s[36:37], vcc
	s_cbranch_execz .LBB153_20
; %bb.19:
	global_load_ubyte v20, v[1:2], off offset:3840
.LBB153_20:
	s_or_b64 exec, exec, s[36:37]
.LBB153_21:
	s_or_b64 exec, exec, s[34:35]
.LBB153_22:
	s_or_b64 exec, exec, s[30:31]
.LBB153_23:
	s_or_b64 exec, exec, s[28:29]
.LBB153_24:
	s_or_b64 exec, exec, s[26:27]
.LBB153_25:
	s_or_b64 exec, exec, s[24:25]
.LBB153_26:
	s_or_b64 exec, exec, s[22:23]
.LBB153_27:
	s_or_b64 exec, exec, s[20:21]
.LBB153_28:
	s_or_b64 exec, exec, s[18:19]
.LBB153_29:
	s_or_b64 exec, exec, s[16:17]
.LBB153_30:
	s_or_b64 exec, exec, s[14:15]
.LBB153_31:
	s_or_b64 exec, exec, s[12:13]
.LBB153_32:
	s_or_b64 exec, exec, s[10:11]
.LBB153_33:
	s_or_b64 exec, exec, s[6:7]
.LBB153_34:
	s_or_b64 exec, exec, s[4:5]
.LBB153_35:
	s_or_b64 exec, exec, s[2:3]
	s_cmp_gt_u32 s39, 6
	v_mov_b32_e32 v1, 7
	s_cselect_b64 vcc, -1, 0
	s_and_b32 s5, 0xffff, s39
	s_waitcnt vmcnt(0)
	v_lshrrev_b16_sdwa v2, v1, sext(v13) dst_sel:DWORD dst_unused:UNUSED_PAD src0_sel:DWORD src1_sel:BYTE_0
	v_ashrrev_i32_sdwa v13, s5, sext(v13) dst_sel:DWORD dst_unused:UNUSED_PAD src0_sel:DWORD src1_sel:BYTE_0
	s_mov_b32 s4, 0xffff
	v_cndmask_b32_e32 v2, v13, v2, vcc
	v_lshrrev_b16_sdwa v13, v1, sext(v11) dst_sel:DWORD dst_unused:UNUSED_PAD src0_sel:DWORD src1_sel:BYTE_0
	v_ashrrev_i32_sdwa v11, s5, sext(v11) dst_sel:DWORD dst_unused:UNUSED_PAD src0_sel:DWORD src1_sel:BYTE_0
	v_and_b32_sdwa v2, s4, v2 dst_sel:DWORD dst_unused:UNUSED_PAD src0_sel:DWORD src1_sel:BYTE_0
	v_cndmask_b32_e32 v11, v11, v13, vcc
	v_cndmask_b32_e64 v2, 0, v2, s[0:1]
	v_lshlrev_b16_e32 v11, 8, v11
	v_or_b32_e32 v11, v2, v11
	v_and_b32_e32 v11, 0xffff, v11
	v_cmp_gt_i32_e64 s[2:3], s38, v3
	v_lshrrev_b16_sdwa v13, v1, sext(v12) dst_sel:DWORD dst_unused:UNUSED_PAD src0_sel:DWORD src1_sel:BYTE_0
	v_ashrrev_i32_sdwa v12, s5, sext(v12) dst_sel:DWORD dst_unused:UNUSED_PAD src0_sel:DWORD src1_sel:BYTE_0
	v_cndmask_b32_e64 v2, v2, v11, s[2:3]
	v_cndmask_b32_e32 v12, v12, v13, vcc
	s_mov_b32 s7, 0xc0c0304
	v_or_b32_e32 v11, 0x200, v0
	v_perm_b32 v12, v12, v2, s7
	v_lshl_or_b32 v12, v12, 16, v2
	v_cmp_gt_i32_e64 s[2:3], s38, v11
	v_lshrrev_b16_sdwa v13, v1, sext(v7) dst_sel:DWORD dst_unused:UNUSED_PAD src0_sel:DWORD src1_sel:BYTE_0
	v_ashrrev_i32_sdwa v7, s5, sext(v7) dst_sel:DWORD dst_unused:UNUSED_PAD src0_sel:DWORD src1_sel:BYTE_0
	s_movk_i32 s6, 0xff
	v_cndmask_b32_e64 v2, v2, v12, s[2:3]
	v_cndmask_b32_e32 v7, v7, v13, vcc
	v_and_b32_sdwa v11, v2, s6 dst_sel:DWORD dst_unused:UNUSED_PAD src0_sel:WORD_1 src1_sel:DWORD
	v_lshlrev_b16_e32 v7, 8, v7
	v_or_b32_e32 v12, 0x300, v0
	v_or_b32_sdwa v7, v11, v7 dst_sel:WORD_1 dst_unused:UNUSED_PAD src0_sel:DWORD src1_sel:DWORD
	v_and_or_b32 v7, v2, s4, v7
	v_cmp_gt_i32_e64 s[2:3], s38, v12
	v_cndmask_b32_e64 v7, v2, v7, s[2:3]
	v_lshrrev_b16_sdwa v2, v1, sext(v8) dst_sel:DWORD dst_unused:UNUSED_PAD src0_sel:DWORD src1_sel:BYTE_0
	v_ashrrev_i32_sdwa v8, s5, sext(v8) dst_sel:DWORD dst_unused:UNUSED_PAD src0_sel:DWORD src1_sel:BYTE_0
	v_cndmask_b32_e32 v2, v8, v2, vcc
	v_or_b32_e32 v8, 0x400, v0
	s_mov_b32 s10, 0x3020104
	v_cmp_gt_i32_e64 s[2:3], s38, v8
	v_lshrrev_b16_sdwa v8, v1, sext(v9) dst_sel:DWORD dst_unused:UNUSED_PAD src0_sel:DWORD src1_sel:BYTE_0
	v_ashrrev_i32_sdwa v9, s5, sext(v9) dst_sel:DWORD dst_unused:UNUSED_PAD src0_sel:DWORD src1_sel:BYTE_0
	v_perm_b32 v2, v2, 0, s10
	v_cndmask_b32_e32 v8, v9, v8, vcc
	v_cndmask_b32_e64 v2, 0, v2, s[2:3]
	v_lshlrev_b16_e32 v8, 8, v8
	v_or_b32_sdwa v8, v2, v8 dst_sel:DWORD dst_unused:UNUSED_PAD src0_sel:BYTE_0 src1_sel:DWORD
	v_and_b32_e32 v8, 0xffff, v8
	s_mov_b32 s11, 0xffff0000
	v_or_b32_e32 v9, 0x500, v0
	v_and_or_b32 v8, v2, s11, v8
	v_cmp_gt_i32_e64 s[2:3], s38, v9
	v_lshrrev_b16_sdwa v9, v1, sext(v5) dst_sel:DWORD dst_unused:UNUSED_PAD src0_sel:DWORD src1_sel:BYTE_0
	v_ashrrev_i32_sdwa v5, s5, sext(v5) dst_sel:DWORD dst_unused:UNUSED_PAD src0_sel:DWORD src1_sel:BYTE_0
	v_cndmask_b32_e64 v2, v2, v8, s[2:3]
	v_or_b32_e32 v8, 0x600, v0
	v_cndmask_b32_e32 v5, v5, v9, vcc
	s_mov_b32 s12, 0x7000504
	v_perm_b32 v5, v2, v5, s12
	v_cmp_gt_i32_e64 s[2:3], s38, v8
	v_lshrrev_b16_sdwa v9, v1, sext(v6) dst_sel:DWORD dst_unused:UNUSED_PAD src0_sel:DWORD src1_sel:BYTE_0
	v_ashrrev_i32_sdwa v6, s5, sext(v6) dst_sel:DWORD dst_unused:UNUSED_PAD src0_sel:DWORD src1_sel:BYTE_0
	v_cndmask_b32_e64 v2, v2, v5, s[2:3]
	v_cndmask_b32_e32 v6, v6, v9, vcc
	v_and_b32_sdwa v5, v2, s6 dst_sel:DWORD dst_unused:UNUSED_PAD src0_sel:WORD_1 src1_sel:DWORD
	v_lshlrev_b16_e32 v6, 8, v6
	v_or_b32_e32 v8, 0x700, v0
	v_or_b32_sdwa v5, v5, v6 dst_sel:WORD_1 dst_unused:UNUSED_PAD src0_sel:DWORD src1_sel:DWORD
	v_and_or_b32 v5, v2, s4, v5
	v_cmp_gt_i32_e64 s[2:3], s38, v8
	v_lshrrev_b16_sdwa v6, v1, sext(v10) dst_sel:DWORD dst_unused:UNUSED_PAD src0_sel:DWORD src1_sel:BYTE_0
	v_ashrrev_i32_sdwa v8, s5, sext(v10) dst_sel:DWORD dst_unused:UNUSED_PAD src0_sel:DWORD src1_sel:BYTE_0
	v_cndmask_b32_e64 v5, v2, v5, s[2:3]
	v_or_b32_e32 v2, 0x800, v0
	v_cndmask_b32_e32 v6, v8, v6, vcc
	v_lshrrev_b16_sdwa v8, v1, sext(v14) dst_sel:DWORD dst_unused:UNUSED_PAD src0_sel:DWORD src1_sel:BYTE_0
	v_ashrrev_i32_sdwa v9, s5, sext(v14) dst_sel:DWORD dst_unused:UNUSED_PAD src0_sel:DWORD src1_sel:BYTE_0
	v_and_b32_sdwa v6, s4, v6 dst_sel:DWORD dst_unused:UNUSED_PAD src0_sel:DWORD src1_sel:BYTE_0
	v_cmp_gt_i32_e64 s[2:3], s38, v2
	v_cndmask_b32_e32 v8, v9, v8, vcc
	v_cndmask_b32_e64 v2, 0, v6, s[2:3]
	v_lshlrev_b16_e32 v8, 8, v8
	v_or_b32_e32 v6, 0x900, v0
	v_or_b32_e32 v8, v2, v8
	v_and_b32_e32 v8, 0xffff, v8
	v_cmp_gt_i32_e64 s[2:3], s38, v6
	v_cndmask_b32_e64 v2, v2, v8, s[2:3]
	v_lshrrev_b16_sdwa v8, v1, sext(v15) dst_sel:DWORD dst_unused:UNUSED_PAD src0_sel:DWORD src1_sel:BYTE_0
	v_ashrrev_i32_sdwa v9, s5, sext(v15) dst_sel:DWORD dst_unused:UNUSED_PAD src0_sel:DWORD src1_sel:BYTE_0
	v_cndmask_b32_e32 v8, v9, v8, vcc
	v_or_b32_e32 v6, 0xa00, v0
	v_perm_b32 v8, v8, v2, s7
	v_lshl_or_b32 v8, v8, 16, v2
	v_cmp_gt_i32_e64 s[2:3], s38, v6
	v_lshrrev_b16_sdwa v9, v1, sext(v16) dst_sel:DWORD dst_unused:UNUSED_PAD src0_sel:DWORD src1_sel:BYTE_0
	v_ashrrev_i32_sdwa v10, s5, sext(v16) dst_sel:DWORD dst_unused:UNUSED_PAD src0_sel:DWORD src1_sel:BYTE_0
	v_cndmask_b32_e64 v2, v2, v8, s[2:3]
	v_cndmask_b32_e32 v9, v10, v9, vcc
	v_and_b32_sdwa v6, v2, s6 dst_sel:DWORD dst_unused:UNUSED_PAD src0_sel:WORD_1 src1_sel:DWORD
	v_lshlrev_b16_e32 v9, 8, v9
	v_or_b32_e32 v8, 0xb00, v0
	v_or_b32_sdwa v6, v6, v9 dst_sel:WORD_1 dst_unused:UNUSED_PAD src0_sel:DWORD src1_sel:DWORD
	v_and_or_b32 v6, v2, s4, v6
	v_cmp_gt_i32_e64 s[2:3], s38, v8
	v_cndmask_b32_e64 v2, v2, v6, s[2:3]
	v_lshrrev_b16_sdwa v6, v1, sext(v17) dst_sel:DWORD dst_unused:UNUSED_PAD src0_sel:DWORD src1_sel:BYTE_0
	v_ashrrev_i32_sdwa v8, s5, sext(v17) dst_sel:DWORD dst_unused:UNUSED_PAD src0_sel:DWORD src1_sel:BYTE_0
	v_cndmask_b32_e32 v6, v8, v6, vcc
	v_or_b32_e32 v8, 0xc00, v0
	v_cmp_gt_i32_e64 s[2:3], s38, v8
	v_lshrrev_b16_sdwa v8, v1, sext(v18) dst_sel:DWORD dst_unused:UNUSED_PAD src0_sel:DWORD src1_sel:BYTE_0
	v_ashrrev_i32_sdwa v9, s5, sext(v18) dst_sel:DWORD dst_unused:UNUSED_PAD src0_sel:DWORD src1_sel:BYTE_0
	v_perm_b32 v6, v6, 0, s10
	v_cndmask_b32_e32 v8, v9, v8, vcc
	v_cndmask_b32_e64 v6, 0, v6, s[2:3]
	v_lshlrev_b16_e32 v8, 8, v8
	v_or_b32_sdwa v8, v6, v8 dst_sel:DWORD dst_unused:UNUSED_PAD src0_sel:BYTE_0 src1_sel:DWORD
	v_and_b32_e32 v8, 0xffff, v8
	v_or_b32_e32 v9, 0xd00, v0
	v_and_or_b32 v8, v6, s11, v8
	v_cmp_gt_i32_e64 s[2:3], s38, v9
	v_lshrrev_b16_sdwa v9, v1, sext(v19) dst_sel:DWORD dst_unused:UNUSED_PAD src0_sel:DWORD src1_sel:BYTE_0
	v_ashrrev_i32_sdwa v10, s5, sext(v19) dst_sel:DWORD dst_unused:UNUSED_PAD src0_sel:DWORD src1_sel:BYTE_0
	v_cndmask_b32_e64 v6, v6, v8, s[2:3]
	v_or_b32_e32 v8, 0xe00, v0
	v_cndmask_b32_e32 v9, v10, v9, vcc
	v_perm_b32 v9, v6, v9, s12
	v_cmp_gt_i32_e64 s[2:3], s38, v8
	v_cndmask_b32_e64 v6, v6, v9, s[2:3]
	v_lshrrev_b16_sdwa v1, v1, sext(v20) dst_sel:DWORD dst_unused:UNUSED_PAD src0_sel:DWORD src1_sel:BYTE_0
	v_ashrrev_i32_sdwa v10, s5, sext(v20) dst_sel:DWORD dst_unused:UNUSED_PAD src0_sel:DWORD src1_sel:BYTE_0
	v_and_b32_sdwa v8, v6, s6 dst_sel:DWORD dst_unused:UNUSED_PAD src0_sel:WORD_1 src1_sel:DWORD
	v_cndmask_b32_sdwa v1, v10, v1, vcc dst_sel:BYTE_1 dst_unused:UNUSED_PAD src0_sel:DWORD src1_sel:DWORD
	v_or_b32_e32 v9, 0xf00, v0
	v_or_b32_sdwa v1, v8, v1 dst_sel:WORD_1 dst_unused:UNUSED_PAD src0_sel:DWORD src1_sel:DWORD
	v_and_or_b32 v1, v6, s4, v1
	v_cmp_gt_i32_e32 vcc, s38, v9
	v_cndmask_b32_e32 v1, v6, v1, vcc
	s_and_saveexec_b64 s[2:3], s[0:1]
	s_cbranch_execnz .LBB153_53
; %bb.36:
	s_or_b64 exec, exec, s[2:3]
	v_cmp_gt_i32_e32 vcc, s38, v0
	s_and_saveexec_b64 s[0:1], vcc
	s_cbranch_execnz .LBB153_54
.LBB153_37:
	s_or_b64 exec, exec, s[0:1]
	v_cmp_gt_i32_e32 vcc, s38, v0
	s_and_saveexec_b64 s[0:1], vcc
	s_cbranch_execnz .LBB153_55
.LBB153_38:
	s_or_b64 exec, exec, s[0:1]
	v_cmp_gt_i32_e32 vcc, s38, v0
	s_and_saveexec_b64 s[0:1], vcc
	s_cbranch_execnz .LBB153_56
.LBB153_39:
	s_or_b64 exec, exec, s[0:1]
	v_cmp_gt_i32_e32 vcc, s38, v0
	s_and_saveexec_b64 s[0:1], vcc
	s_cbranch_execnz .LBB153_57
.LBB153_40:
	s_or_b64 exec, exec, s[0:1]
	v_cmp_gt_i32_e32 vcc, s38, v0
	s_and_saveexec_b64 s[0:1], vcc
	s_cbranch_execnz .LBB153_58
.LBB153_41:
	s_or_b64 exec, exec, s[0:1]
	v_cmp_gt_i32_e32 vcc, s38, v0
	s_and_saveexec_b64 s[0:1], vcc
	s_cbranch_execnz .LBB153_59
.LBB153_42:
	s_or_b64 exec, exec, s[0:1]
	v_cmp_gt_i32_e32 vcc, s38, v0
	s_and_saveexec_b64 s[0:1], vcc
	s_cbranch_execnz .LBB153_60
.LBB153_43:
	s_or_b64 exec, exec, s[0:1]
	v_cmp_gt_i32_e32 vcc, s38, v0
	s_and_saveexec_b64 s[0:1], vcc
	s_cbranch_execnz .LBB153_61
.LBB153_44:
	s_or_b64 exec, exec, s[0:1]
	v_cmp_gt_i32_e32 vcc, s38, v0
	s_and_saveexec_b64 s[0:1], vcc
	s_cbranch_execnz .LBB153_62
.LBB153_45:
	s_or_b64 exec, exec, s[0:1]
	v_cmp_gt_i32_e32 vcc, s38, v0
	s_and_saveexec_b64 s[0:1], vcc
	s_cbranch_execnz .LBB153_63
.LBB153_46:
	s_or_b64 exec, exec, s[0:1]
	v_cmp_gt_i32_e32 vcc, s38, v0
	s_and_saveexec_b64 s[0:1], vcc
	s_cbranch_execnz .LBB153_64
.LBB153_47:
	s_or_b64 exec, exec, s[0:1]
	v_cmp_gt_i32_e32 vcc, s38, v0
	s_and_saveexec_b64 s[0:1], vcc
	s_cbranch_execnz .LBB153_65
.LBB153_48:
	s_or_b64 exec, exec, s[0:1]
	v_cmp_gt_i32_e32 vcc, s38, v0
	s_and_saveexec_b64 s[0:1], vcc
	s_cbranch_execnz .LBB153_66
.LBB153_49:
	s_or_b64 exec, exec, s[0:1]
	v_cmp_gt_i32_e32 vcc, s38, v0
	s_and_saveexec_b64 s[0:1], vcc
	s_cbranch_execnz .LBB153_67
.LBB153_50:
	s_or_b64 exec, exec, s[0:1]
	v_cmp_gt_i32_e32 vcc, s38, v0
	s_and_saveexec_b64 s[0:1], vcc
	s_cbranch_execz .LBB153_52
.LBB153_51:
	v_lshrrev_b32_e32 v1, 24, v1
	v_add_u32_e32 v0, s33, v0
	global_store_byte v0, v1, s[8:9]
.LBB153_52:
	s_endpgm
.LBB153_53:
	v_mov_b32_e32 v0, v3
	global_store_byte v4, v7, s[8:9]
	s_or_b64 exec, exec, s[2:3]
	v_cmp_gt_i32_e32 vcc, s38, v0
	s_and_saveexec_b64 s[0:1], vcc
	s_cbranch_execz .LBB153_37
.LBB153_54:
	v_lshrrev_b32_e32 v3, 8, v7
	v_add_u32_e32 v4, s33, v0
	v_add_u32_e32 v0, 0x100, v0
	global_store_byte v4, v3, s[8:9]
	s_or_b64 exec, exec, s[0:1]
	v_cmp_gt_i32_e32 vcc, s38, v0
	s_and_saveexec_b64 s[0:1], vcc
	s_cbranch_execz .LBB153_38
.LBB153_55:
	v_add_u32_e32 v3, s33, v0
	v_add_u32_e32 v0, 0x100, v0
	global_store_byte_d16_hi v3, v7, s[8:9]
	s_or_b64 exec, exec, s[0:1]
	v_cmp_gt_i32_e32 vcc, s38, v0
	s_and_saveexec_b64 s[0:1], vcc
	s_cbranch_execz .LBB153_39
.LBB153_56:
	v_lshrrev_b32_e32 v3, 24, v7
	v_add_u32_e32 v4, s33, v0
	v_add_u32_e32 v0, 0x100, v0
	global_store_byte v4, v3, s[8:9]
	s_or_b64 exec, exec, s[0:1]
	v_cmp_gt_i32_e32 vcc, s38, v0
	s_and_saveexec_b64 s[0:1], vcc
	s_cbranch_execz .LBB153_40
.LBB153_57:
	v_add_u32_e32 v3, s33, v0
	v_add_u32_e32 v0, 0x100, v0
	global_store_byte v3, v5, s[8:9]
	s_or_b64 exec, exec, s[0:1]
	v_cmp_gt_i32_e32 vcc, s38, v0
	s_and_saveexec_b64 s[0:1], vcc
	s_cbranch_execz .LBB153_41
.LBB153_58:
	v_lshrrev_b32_e32 v3, 8, v5
	v_add_u32_e32 v4, s33, v0
	v_add_u32_e32 v0, 0x100, v0
	global_store_byte v4, v3, s[8:9]
	s_or_b64 exec, exec, s[0:1]
	v_cmp_gt_i32_e32 vcc, s38, v0
	s_and_saveexec_b64 s[0:1], vcc
	s_cbranch_execz .LBB153_42
.LBB153_59:
	v_add_u32_e32 v3, s33, v0
	v_add_u32_e32 v0, 0x100, v0
	global_store_byte_d16_hi v3, v5, s[8:9]
	s_or_b64 exec, exec, s[0:1]
	v_cmp_gt_i32_e32 vcc, s38, v0
	s_and_saveexec_b64 s[0:1], vcc
	s_cbranch_execz .LBB153_43
.LBB153_60:
	v_lshrrev_b32_e32 v3, 24, v5
	v_add_u32_e32 v4, s33, v0
	v_add_u32_e32 v0, 0x100, v0
	global_store_byte v4, v3, s[8:9]
	s_or_b64 exec, exec, s[0:1]
	v_cmp_gt_i32_e32 vcc, s38, v0
	s_and_saveexec_b64 s[0:1], vcc
	s_cbranch_execz .LBB153_44
.LBB153_61:
	v_add_u32_e32 v3, s33, v0
	v_add_u32_e32 v0, 0x100, v0
	global_store_byte v3, v2, s[8:9]
	s_or_b64 exec, exec, s[0:1]
	v_cmp_gt_i32_e32 vcc, s38, v0
	s_and_saveexec_b64 s[0:1], vcc
	s_cbranch_execz .LBB153_45
.LBB153_62:
	v_lshrrev_b32_e32 v3, 8, v2
	v_add_u32_e32 v4, s33, v0
	v_add_u32_e32 v0, 0x100, v0
	global_store_byte v4, v3, s[8:9]
	s_or_b64 exec, exec, s[0:1]
	v_cmp_gt_i32_e32 vcc, s38, v0
	s_and_saveexec_b64 s[0:1], vcc
	s_cbranch_execz .LBB153_46
.LBB153_63:
	v_add_u32_e32 v3, s33, v0
	v_add_u32_e32 v0, 0x100, v0
	global_store_byte_d16_hi v3, v2, s[8:9]
	s_or_b64 exec, exec, s[0:1]
	v_cmp_gt_i32_e32 vcc, s38, v0
	s_and_saveexec_b64 s[0:1], vcc
	s_cbranch_execz .LBB153_47
.LBB153_64:
	v_lshrrev_b32_e32 v2, 24, v2
	v_add_u32_e32 v3, s33, v0
	v_add_u32_e32 v0, 0x100, v0
	global_store_byte v3, v2, s[8:9]
	s_or_b64 exec, exec, s[0:1]
	v_cmp_gt_i32_e32 vcc, s38, v0
	s_and_saveexec_b64 s[0:1], vcc
	s_cbranch_execz .LBB153_48
.LBB153_65:
	v_add_u32_e32 v2, s33, v0
	v_add_u32_e32 v0, 0x100, v0
	global_store_byte v2, v1, s[8:9]
	s_or_b64 exec, exec, s[0:1]
	v_cmp_gt_i32_e32 vcc, s38, v0
	s_and_saveexec_b64 s[0:1], vcc
	s_cbranch_execz .LBB153_49
.LBB153_66:
	v_lshrrev_b32_e32 v2, 8, v1
	v_add_u32_e32 v3, s33, v0
	v_add_u32_e32 v0, 0x100, v0
	global_store_byte v3, v2, s[8:9]
	s_or_b64 exec, exec, s[0:1]
	v_cmp_gt_i32_e32 vcc, s38, v0
	s_and_saveexec_b64 s[0:1], vcc
	s_cbranch_execz .LBB153_50
.LBB153_67:
	v_add_u32_e32 v2, s33, v0
	v_add_u32_e32 v0, 0x100, v0
	global_store_byte_d16_hi v2, v1, s[8:9]
	s_or_b64 exec, exec, s[0:1]
	v_cmp_gt_i32_e32 vcc, s38, v0
	s_and_saveexec_b64 s[0:1], vcc
	s_cbranch_execnz .LBB153_51
	s_branch .LBB153_52
	.section	.rodata,"a",@progbits
	.p2align	6, 0x0
	.amdhsa_kernel _ZN2at6native29vectorized_elementwise_kernelILi8ENS0_13BUnaryFunctorIaaaZZZNS0_18rshift_kernel_cudaERNS_18TensorIteratorBaseEENKUlvE_clEvENKUlvE0_clEvEUlaaE_EESt5arrayIPcLm2EEEEviT0_T1_
		.amdhsa_group_segment_fixed_size 0
		.amdhsa_private_segment_fixed_size 0
		.amdhsa_kernarg_size 24
		.amdhsa_user_sgpr_count 6
		.amdhsa_user_sgpr_private_segment_buffer 1
		.amdhsa_user_sgpr_dispatch_ptr 0
		.amdhsa_user_sgpr_queue_ptr 0
		.amdhsa_user_sgpr_kernarg_segment_ptr 1
		.amdhsa_user_sgpr_dispatch_id 0
		.amdhsa_user_sgpr_flat_scratch_init 0
		.amdhsa_user_sgpr_private_segment_size 0
		.amdhsa_uses_dynamic_stack 0
		.amdhsa_system_sgpr_private_segment_wavefront_offset 0
		.amdhsa_system_sgpr_workgroup_id_x 1
		.amdhsa_system_sgpr_workgroup_id_y 0
		.amdhsa_system_sgpr_workgroup_id_z 0
		.amdhsa_system_sgpr_workgroup_info 0
		.amdhsa_system_vgpr_workitem_id 0
		.amdhsa_next_free_vgpr 34
		.amdhsa_next_free_sgpr 40
		.amdhsa_reserve_vcc 1
		.amdhsa_reserve_flat_scratch 0
		.amdhsa_float_round_mode_32 0
		.amdhsa_float_round_mode_16_64 0
		.amdhsa_float_denorm_mode_32 3
		.amdhsa_float_denorm_mode_16_64 3
		.amdhsa_dx10_clamp 1
		.amdhsa_ieee_mode 1
		.amdhsa_fp16_overflow 0
		.amdhsa_exception_fp_ieee_invalid_op 0
		.amdhsa_exception_fp_denorm_src 0
		.amdhsa_exception_fp_ieee_div_zero 0
		.amdhsa_exception_fp_ieee_overflow 0
		.amdhsa_exception_fp_ieee_underflow 0
		.amdhsa_exception_fp_ieee_inexact 0
		.amdhsa_exception_int_div_zero 0
	.end_amdhsa_kernel
	.section	.text._ZN2at6native29vectorized_elementwise_kernelILi8ENS0_13BUnaryFunctorIaaaZZZNS0_18rshift_kernel_cudaERNS_18TensorIteratorBaseEENKUlvE_clEvENKUlvE0_clEvEUlaaE_EESt5arrayIPcLm2EEEEviT0_T1_,"axG",@progbits,_ZN2at6native29vectorized_elementwise_kernelILi8ENS0_13BUnaryFunctorIaaaZZZNS0_18rshift_kernel_cudaERNS_18TensorIteratorBaseEENKUlvE_clEvENKUlvE0_clEvEUlaaE_EESt5arrayIPcLm2EEEEviT0_T1_,comdat
.Lfunc_end153:
	.size	_ZN2at6native29vectorized_elementwise_kernelILi8ENS0_13BUnaryFunctorIaaaZZZNS0_18rshift_kernel_cudaERNS_18TensorIteratorBaseEENKUlvE_clEvENKUlvE0_clEvEUlaaE_EESt5arrayIPcLm2EEEEviT0_T1_, .Lfunc_end153-_ZN2at6native29vectorized_elementwise_kernelILi8ENS0_13BUnaryFunctorIaaaZZZNS0_18rshift_kernel_cudaERNS_18TensorIteratorBaseEENKUlvE_clEvENKUlvE0_clEvEUlaaE_EESt5arrayIPcLm2EEEEviT0_T1_
                                        ; -- End function
	.set _ZN2at6native29vectorized_elementwise_kernelILi8ENS0_13BUnaryFunctorIaaaZZZNS0_18rshift_kernel_cudaERNS_18TensorIteratorBaseEENKUlvE_clEvENKUlvE0_clEvEUlaaE_EESt5arrayIPcLm2EEEEviT0_T1_.num_vgpr, 34
	.set _ZN2at6native29vectorized_elementwise_kernelILi8ENS0_13BUnaryFunctorIaaaZZZNS0_18rshift_kernel_cudaERNS_18TensorIteratorBaseEENKUlvE_clEvENKUlvE0_clEvEUlaaE_EESt5arrayIPcLm2EEEEviT0_T1_.num_agpr, 0
	.set _ZN2at6native29vectorized_elementwise_kernelILi8ENS0_13BUnaryFunctorIaaaZZZNS0_18rshift_kernel_cudaERNS_18TensorIteratorBaseEENKUlvE_clEvENKUlvE0_clEvEUlaaE_EESt5arrayIPcLm2EEEEviT0_T1_.numbered_sgpr, 40
	.set _ZN2at6native29vectorized_elementwise_kernelILi8ENS0_13BUnaryFunctorIaaaZZZNS0_18rshift_kernel_cudaERNS_18TensorIteratorBaseEENKUlvE_clEvENKUlvE0_clEvEUlaaE_EESt5arrayIPcLm2EEEEviT0_T1_.num_named_barrier, 0
	.set _ZN2at6native29vectorized_elementwise_kernelILi8ENS0_13BUnaryFunctorIaaaZZZNS0_18rshift_kernel_cudaERNS_18TensorIteratorBaseEENKUlvE_clEvENKUlvE0_clEvEUlaaE_EESt5arrayIPcLm2EEEEviT0_T1_.private_seg_size, 0
	.set _ZN2at6native29vectorized_elementwise_kernelILi8ENS0_13BUnaryFunctorIaaaZZZNS0_18rshift_kernel_cudaERNS_18TensorIteratorBaseEENKUlvE_clEvENKUlvE0_clEvEUlaaE_EESt5arrayIPcLm2EEEEviT0_T1_.uses_vcc, 1
	.set _ZN2at6native29vectorized_elementwise_kernelILi8ENS0_13BUnaryFunctorIaaaZZZNS0_18rshift_kernel_cudaERNS_18TensorIteratorBaseEENKUlvE_clEvENKUlvE0_clEvEUlaaE_EESt5arrayIPcLm2EEEEviT0_T1_.uses_flat_scratch, 0
	.set _ZN2at6native29vectorized_elementwise_kernelILi8ENS0_13BUnaryFunctorIaaaZZZNS0_18rshift_kernel_cudaERNS_18TensorIteratorBaseEENKUlvE_clEvENKUlvE0_clEvEUlaaE_EESt5arrayIPcLm2EEEEviT0_T1_.has_dyn_sized_stack, 0
	.set _ZN2at6native29vectorized_elementwise_kernelILi8ENS0_13BUnaryFunctorIaaaZZZNS0_18rshift_kernel_cudaERNS_18TensorIteratorBaseEENKUlvE_clEvENKUlvE0_clEvEUlaaE_EESt5arrayIPcLm2EEEEviT0_T1_.has_recursion, 0
	.set _ZN2at6native29vectorized_elementwise_kernelILi8ENS0_13BUnaryFunctorIaaaZZZNS0_18rshift_kernel_cudaERNS_18TensorIteratorBaseEENKUlvE_clEvENKUlvE0_clEvEUlaaE_EESt5arrayIPcLm2EEEEviT0_T1_.has_indirect_call, 0
	.section	.AMDGPU.csdata,"",@progbits
; Kernel info:
; codeLenInByte = 3588
; TotalNumSgprs: 44
; NumVgprs: 34
; ScratchSize: 0
; MemoryBound: 0
; FloatMode: 240
; IeeeMode: 1
; LDSByteSize: 0 bytes/workgroup (compile time only)
; SGPRBlocks: 5
; VGPRBlocks: 8
; NumSGPRsForWavesPerEU: 44
; NumVGPRsForWavesPerEU: 34
; Occupancy: 7
; WaveLimiterHint : 1
; COMPUTE_PGM_RSRC2:SCRATCH_EN: 0
; COMPUTE_PGM_RSRC2:USER_SGPR: 6
; COMPUTE_PGM_RSRC2:TRAP_HANDLER: 0
; COMPUTE_PGM_RSRC2:TGID_X_EN: 1
; COMPUTE_PGM_RSRC2:TGID_Y_EN: 0
; COMPUTE_PGM_RSRC2:TGID_Z_EN: 0
; COMPUTE_PGM_RSRC2:TIDIG_COMP_CNT: 0
	.section	.text._ZN2at6native29vectorized_elementwise_kernelILi4ENS0_13BUnaryFunctorIaaaZZZNS0_18rshift_kernel_cudaERNS_18TensorIteratorBaseEENKUlvE_clEvENKUlvE0_clEvEUlaaE_EESt5arrayIPcLm2EEEEviT0_T1_,"axG",@progbits,_ZN2at6native29vectorized_elementwise_kernelILi4ENS0_13BUnaryFunctorIaaaZZZNS0_18rshift_kernel_cudaERNS_18TensorIteratorBaseEENKUlvE_clEvENKUlvE0_clEvEUlaaE_EESt5arrayIPcLm2EEEEviT0_T1_,comdat
	.globl	_ZN2at6native29vectorized_elementwise_kernelILi4ENS0_13BUnaryFunctorIaaaZZZNS0_18rshift_kernel_cudaERNS_18TensorIteratorBaseEENKUlvE_clEvENKUlvE0_clEvEUlaaE_EESt5arrayIPcLm2EEEEviT0_T1_ ; -- Begin function _ZN2at6native29vectorized_elementwise_kernelILi4ENS0_13BUnaryFunctorIaaaZZZNS0_18rshift_kernel_cudaERNS_18TensorIteratorBaseEENKUlvE_clEvENKUlvE0_clEvEUlaaE_EESt5arrayIPcLm2EEEEviT0_T1_
	.p2align	8
	.type	_ZN2at6native29vectorized_elementwise_kernelILi4ENS0_13BUnaryFunctorIaaaZZZNS0_18rshift_kernel_cudaERNS_18TensorIteratorBaseEENKUlvE_clEvENKUlvE0_clEvEUlaaE_EESt5arrayIPcLm2EEEEviT0_T1_,@function
_ZN2at6native29vectorized_elementwise_kernelILi4ENS0_13BUnaryFunctorIaaaZZZNS0_18rshift_kernel_cudaERNS_18TensorIteratorBaseEENKUlvE_clEvENKUlvE0_clEvEUlaaE_EESt5arrayIPcLm2EEEEviT0_T1_: ; @_ZN2at6native29vectorized_elementwise_kernelILi4ENS0_13BUnaryFunctorIaaaZZZNS0_18rshift_kernel_cudaERNS_18TensorIteratorBaseEENKUlvE_clEvENKUlvE0_clEvEUlaaE_EESt5arrayIPcLm2EEEEviT0_T1_
; %bb.0:
	v_mov_b32_e32 v1, 0
	global_load_ushort v1, v1, s[4:5] offset:4
	s_load_dword s0, s[4:5], 0x0
	s_load_dwordx4 s[8:11], s[4:5], 0x8
	s_lshl_b32 s33, s6, 12
	s_waitcnt lgkmcnt(0)
	s_sub_i32 s38, s0, s33
	s_waitcnt vmcnt(0)
	v_readfirstlane_b32 s1, v1
	s_and_b32 s0, 0xffff, s1
	s_lshr_b32 s39, s0, 8
	s_cmpk_gt_i32 s38, 0xfff
	s_mov_b64 s[0:1], -1
	s_cbranch_scc0 .LBB154_2
; %bb.1:
	s_ashr_i32 s2, s33, 31
	s_add_u32 s0, s10, s33
	s_addc_u32 s1, s11, s2
	v_lshlrev_b32_e32 v1, 2, v0
	global_load_dword v2, v1, s[0:1]
	global_load_dword v3, v1, s[0:1] offset:1024
	global_load_dword v4, v1, s[0:1] offset:2048
	;; [unrolled: 1-line block ×3, first 2 shown]
	s_cmp_gt_u32 s39, 6
	v_mov_b32_e32 v6, 7
	s_cselect_b64 vcc, -1, 0
	s_and_b32 s0, 0xffff, s39
	s_waitcnt vmcnt(3)
	v_lshrrev_b16_sdwa v7, v6, sext(v2) dst_sel:DWORD dst_unused:UNUSED_PAD src0_sel:DWORD src1_sel:BYTE_0
	v_lshrrev_b32_e32 v8, 8, v2
	v_ashrrev_i32_sdwa v19, s0, sext(v2) dst_sel:DWORD dst_unused:UNUSED_PAD src0_sel:DWORD src1_sel:BYTE_0
	v_lshrrev_b32_e32 v10, 24, v2
	v_lshrrev_b16_sdwa v8, v6, sext(v8) dst_sel:DWORD dst_unused:UNUSED_PAD src0_sel:DWORD src1_sel:BYTE_0
	v_cndmask_b32_e32 v7, v19, v7, vcc
	v_ashrrev_i32_sdwa v19, s0, sext(v2) dst_sel:DWORD dst_unused:UNUSED_PAD src0_sel:DWORD src1_sel:BYTE_1
	v_lshrrev_b32_e32 v9, 16, v2
	v_cndmask_b32_e32 v8, v19, v8, vcc
	v_ashrrev_i32_sdwa v19, s0, sext(v2) dst_sel:DWORD dst_unused:UNUSED_PAD src0_sel:DWORD src1_sel:BYTE_2
	v_lshrrev_b16_sdwa v10, v6, sext(v10) dst_sel:DWORD dst_unused:UNUSED_PAD src0_sel:DWORD src1_sel:BYTE_0
	v_ashrrev_i32_sdwa v2, s0, sext(v2) dst_sel:DWORD dst_unused:UNUSED_PAD src0_sel:DWORD src1_sel:BYTE_3
	s_waitcnt vmcnt(2)
	v_lshrrev_b16_sdwa v11, v6, sext(v3) dst_sel:DWORD dst_unused:UNUSED_PAD src0_sel:DWORD src1_sel:BYTE_0
	v_lshrrev_b32_e32 v12, 8, v3
	v_cndmask_b32_e32 v2, v2, v10, vcc
	v_ashrrev_i32_sdwa v10, s0, sext(v3) dst_sel:DWORD dst_unused:UNUSED_PAD src0_sel:DWORD src1_sel:BYTE_0
	v_lshrrev_b32_e32 v14, 24, v3
	v_lshrrev_b16_sdwa v12, v6, sext(v12) dst_sel:DWORD dst_unused:UNUSED_PAD src0_sel:DWORD src1_sel:BYTE_0
	v_cndmask_b32_e32 v10, v10, v11, vcc
	v_ashrrev_i32_sdwa v11, s0, sext(v3) dst_sel:DWORD dst_unused:UNUSED_PAD src0_sel:DWORD src1_sel:BYTE_1
	v_lshrrev_b32_e32 v13, 16, v3
	v_cndmask_b32_e32 v11, v11, v12, vcc
	v_ashrrev_i32_sdwa v12, s0, sext(v3) dst_sel:DWORD dst_unused:UNUSED_PAD src0_sel:DWORD src1_sel:BYTE_2
	v_lshrrev_b16_sdwa v14, v6, sext(v14) dst_sel:DWORD dst_unused:UNUSED_PAD src0_sel:DWORD src1_sel:BYTE_0
	v_ashrrev_i32_sdwa v3, s0, sext(v3) dst_sel:DWORD dst_unused:UNUSED_PAD src0_sel:DWORD src1_sel:BYTE_3
	s_waitcnt vmcnt(1)
	v_lshrrev_b16_sdwa v15, v6, sext(v4) dst_sel:DWORD dst_unused:UNUSED_PAD src0_sel:DWORD src1_sel:BYTE_0
	v_lshrrev_b32_e32 v16, 8, v4
	v_cndmask_b32_e32 v3, v3, v14, vcc
	v_ashrrev_i32_sdwa v14, s0, sext(v4) dst_sel:DWORD dst_unused:UNUSED_PAD src0_sel:DWORD src1_sel:BYTE_0
	v_lshrrev_b32_e32 v17, 16, v4
	v_lshrrev_b16_sdwa v16, v6, sext(v16) dst_sel:DWORD dst_unused:UNUSED_PAD src0_sel:DWORD src1_sel:BYTE_0
	v_cndmask_b32_e32 v14, v14, v15, vcc
	v_ashrrev_i32_sdwa v15, s0, sext(v4) dst_sel:DWORD dst_unused:UNUSED_PAD src0_sel:DWORD src1_sel:BYTE_1
	v_lshrrev_b32_e32 v18, 24, v4
	v_lshrrev_b16_sdwa v9, v6, sext(v9) dst_sel:DWORD dst_unused:UNUSED_PAD src0_sel:DWORD src1_sel:BYTE_0
	v_lshrrev_b16_sdwa v13, v6, sext(v13) dst_sel:DWORD dst_unused:UNUSED_PAD src0_sel:DWORD src1_sel:BYTE_0
	;; [unrolled: 1-line block ×3, first 2 shown]
	v_cndmask_b32_e32 v15, v15, v16, vcc
	v_ashrrev_i32_sdwa v16, s0, sext(v4) dst_sel:DWORD dst_unused:UNUSED_PAD src0_sel:DWORD src1_sel:BYTE_2
	v_cndmask_b32_e32 v9, v19, v9, vcc
	s_waitcnt vmcnt(0)
	v_lshrrev_b32_e32 v19, 8, v5
	v_cndmask_b32_e32 v12, v12, v13, vcc
	v_lshrrev_b32_e32 v13, 16, v5
	v_cndmask_b32_e32 v16, v16, v17, vcc
	v_lshrrev_b32_e32 v17, 24, v5
	v_lshrrev_b16_sdwa v18, v6, sext(v18) dst_sel:DWORD dst_unused:UNUSED_PAD src0_sel:DWORD src1_sel:BYTE_0
	v_ashrrev_i32_sdwa v4, s0, sext(v4) dst_sel:DWORD dst_unused:UNUSED_PAD src0_sel:DWORD src1_sel:BYTE_3
	v_lshrrev_b16_sdwa v19, v6, sext(v19) dst_sel:DWORD dst_unused:UNUSED_PAD src0_sel:DWORD src1_sel:BYTE_0
	v_lshrrev_b16_sdwa v13, v6, sext(v13) dst_sel:DWORD dst_unused:UNUSED_PAD src0_sel:DWORD src1_sel:BYTE_0
	;; [unrolled: 1-line block ×4, first 2 shown]
	v_cndmask_b32_e32 v4, v4, v18, vcc
	v_ashrrev_i32_sdwa v18, s0, sext(v5) dst_sel:DWORD dst_unused:UNUSED_PAD src0_sel:DWORD src1_sel:BYTE_0
	v_cndmask_b32_e32 v6, v18, v6, vcc
	v_ashrrev_i32_sdwa v18, s0, sext(v5) dst_sel:DWORD dst_unused:UNUSED_PAD src0_sel:DWORD src1_sel:BYTE_1
	v_cndmask_b32_e32 v18, v18, v19, vcc
	v_ashrrev_i32_sdwa v19, s0, sext(v5) dst_sel:DWORD dst_unused:UNUSED_PAD src0_sel:DWORD src1_sel:BYTE_2
	v_ashrrev_i32_sdwa v5, s0, sext(v5) dst_sel:DWORD dst_unused:UNUSED_PAD src0_sel:DWORD src1_sel:BYTE_3
	v_cndmask_b32_e32 v5, v5, v17, vcc
	v_lshlrev_b16_e32 v8, 8, v8
	v_lshlrev_b16_e32 v2, 8, v2
	v_cndmask_b32_e32 v13, v19, v13, vcc
	v_lshlrev_b16_e32 v17, 8, v18
	v_lshlrev_b16_e32 v5, 8, v5
	;; [unrolled: 1-line block ×6, first 2 shown]
	v_or_b32_sdwa v7, v7, v8 dst_sel:DWORD dst_unused:UNUSED_PAD src0_sel:BYTE_0 src1_sel:DWORD
	v_or_b32_sdwa v2, v9, v2 dst_sel:WORD_1 dst_unused:UNUSED_PAD src0_sel:BYTE_0 src1_sel:DWORD
	s_add_u32 s0, s8, s33
	v_or_b32_sdwa v6, v6, v17 dst_sel:DWORD dst_unused:UNUSED_PAD src0_sel:BYTE_0 src1_sel:DWORD
	v_or_b32_sdwa v5, v13, v5 dst_sel:WORD_1 dst_unused:UNUSED_PAD src0_sel:BYTE_0 src1_sel:DWORD
	v_or_b32_sdwa v13, v14, v15 dst_sel:DWORD dst_unused:UNUSED_PAD src0_sel:BYTE_0 src1_sel:DWORD
	v_or_b32_sdwa v4, v16, v4 dst_sel:WORD_1 dst_unused:UNUSED_PAD src0_sel:BYTE_0 src1_sel:DWORD
	;; [unrolled: 2-line block ×3, first 2 shown]
	v_or_b32_sdwa v2, v7, v2 dst_sel:DWORD dst_unused:UNUSED_PAD src0_sel:WORD_0 src1_sel:DWORD
	s_addc_u32 s1, s9, s2
	v_or_b32_sdwa v5, v6, v5 dst_sel:DWORD dst_unused:UNUSED_PAD src0_sel:WORD_0 src1_sel:DWORD
	v_or_b32_sdwa v4, v13, v4 dst_sel:DWORD dst_unused:UNUSED_PAD src0_sel:WORD_0 src1_sel:DWORD
	;; [unrolled: 1-line block ×3, first 2 shown]
	global_store_dword v1, v2, s[0:1]
	global_store_dword v1, v3, s[0:1] offset:1024
	global_store_dword v1, v4, s[0:1] offset:2048
	;; [unrolled: 1-line block ×3, first 2 shown]
	s_mov_b64 s[0:1], 0
.LBB154_2:
	s_andn2_b64 vcc, exec, s[0:1]
	s_cbranch_vccnz .LBB154_52
; %bb.3:
	v_cmp_gt_i32_e64 s[0:1], s38, v0
	v_or_b32_e32 v3, 0x100, v0
	v_mov_b32_e32 v20, 0
	v_or_b32_e32 v4, s33, v0
	v_mov_b32_e32 v19, 0
	v_mov_b32_e32 v18, 0
	;; [unrolled: 1-line block ×15, first 2 shown]
	s_and_saveexec_b64 s[2:3], s[0:1]
	s_cbranch_execz .LBB154_35
; %bb.4:
	global_load_ubyte v13, v4, s[10:11]
	v_cmp_gt_u32_e32 vcc, s38, v3
	v_mov_b32_e32 v11, 0
	v_mov_b32_e32 v12, 0
	;; [unrolled: 1-line block ×15, first 2 shown]
	s_and_saveexec_b64 s[4:5], vcc
	s_cbranch_execz .LBB154_34
; %bb.5:
	v_add_u32_e32 v1, s33, v0
	global_load_ubyte v11, v1, s[10:11] offset:256
	v_or_b32_e32 v2, 0x200, v0
	v_mov_b32_e32 v12, 0
	v_cmp_gt_u32_e32 vcc, s38, v2
	v_mov_b32_e32 v7, 0
	v_mov_b32_e32 v8, 0
	;; [unrolled: 1-line block ×13, first 2 shown]
	s_and_saveexec_b64 s[6:7], vcc
	s_cbranch_execz .LBB154_33
; %bb.6:
	v_mov_b32_e32 v2, s11
	v_add_co_u32_e32 v1, vcc, s10, v1
	v_addc_co_u32_e32 v2, vcc, 0, v2, vcc
	global_load_ubyte v12, v[1:2], off offset:512
	v_or_b32_e32 v5, 0x300, v0
	v_cmp_gt_u32_e32 vcc, s38, v5
	v_mov_b32_e32 v7, 0
	v_mov_b32_e32 v8, 0
	;; [unrolled: 1-line block ×13, first 2 shown]
	s_and_saveexec_b64 s[10:11], vcc
	s_cbranch_execz .LBB154_32
; %bb.7:
	global_load_ubyte v7, v[1:2], off offset:768
	v_or_b32_e32 v5, 0x400, v0
	v_cmp_gt_u32_e32 vcc, s38, v5
	v_mov_b32_e32 v8, 0
	v_mov_b32_e32 v9, 0
	;; [unrolled: 1-line block ×12, first 2 shown]
	s_and_saveexec_b64 s[12:13], vcc
	s_cbranch_execz .LBB154_31
; %bb.8:
	global_load_ubyte v8, v[1:2], off offset:1024
	v_or_b32_e32 v5, 0x500, v0
	v_cmp_gt_u32_e32 vcc, s38, v5
	v_mov_b32_e32 v9, 0
	v_mov_b32_e32 v5, 0
	;; [unrolled: 1-line block ×11, first 2 shown]
	s_and_saveexec_b64 s[14:15], vcc
	s_cbranch_execz .LBB154_30
; %bb.9:
	global_load_ubyte v9, v[1:2], off offset:1280
	v_or_b32_e32 v5, 0x600, v0
	v_cmp_gt_u32_e32 vcc, s38, v5
	v_mov_b32_e32 v5, 0
	v_mov_b32_e32 v6, 0
	;; [unrolled: 1-line block ×10, first 2 shown]
	s_and_saveexec_b64 s[16:17], vcc
	s_cbranch_execz .LBB154_29
; %bb.10:
	global_load_ubyte v5, v[1:2], off offset:1536
	v_or_b32_e32 v6, 0x700, v0
	v_cmp_gt_u32_e32 vcc, s38, v6
	v_mov_b32_e32 v6, 0
	v_mov_b32_e32 v10, 0
	;; [unrolled: 1-line block ×9, first 2 shown]
	s_and_saveexec_b64 s[18:19], vcc
	s_cbranch_execz .LBB154_28
; %bb.11:
	global_load_ubyte v6, v[1:2], off offset:1792
	v_or_b32_e32 v10, 0x800, v0
	v_cmp_gt_u32_e32 vcc, s38, v10
	v_mov_b32_e32 v10, 0
	v_mov_b32_e32 v14, 0
	;; [unrolled: 1-line block ×8, first 2 shown]
	s_and_saveexec_b64 s[20:21], vcc
	s_cbranch_execz .LBB154_27
; %bb.12:
	global_load_ubyte v10, v[1:2], off offset:2048
	v_or_b32_e32 v14, 0x900, v0
	v_cmp_gt_u32_e32 vcc, s38, v14
	v_mov_b32_e32 v14, 0
	v_mov_b32_e32 v15, 0
	;; [unrolled: 1-line block ×7, first 2 shown]
	s_and_saveexec_b64 s[22:23], vcc
	s_cbranch_execz .LBB154_26
; %bb.13:
	global_load_ubyte v14, v[1:2], off offset:2304
	v_or_b32_e32 v15, 0xa00, v0
	v_cmp_gt_u32_e32 vcc, s38, v15
	v_mov_b32_e32 v15, 0
	v_mov_b32_e32 v16, 0
	;; [unrolled: 1-line block ×6, first 2 shown]
	s_and_saveexec_b64 s[24:25], vcc
	s_cbranch_execz .LBB154_25
; %bb.14:
	global_load_ubyte v15, v[1:2], off offset:2560
	v_or_b32_e32 v16, 0xb00, v0
	v_cmp_gt_u32_e32 vcc, s38, v16
	v_mov_b32_e32 v16, 0
	v_mov_b32_e32 v17, 0
	;; [unrolled: 1-line block ×5, first 2 shown]
	s_and_saveexec_b64 s[26:27], vcc
	s_cbranch_execz .LBB154_24
; %bb.15:
	global_load_ubyte v16, v[1:2], off offset:2816
	v_or_b32_e32 v17, 0xc00, v0
	v_cmp_gt_u32_e32 vcc, s38, v17
	v_mov_b32_e32 v17, 0
	v_mov_b32_e32 v18, 0
	;; [unrolled: 1-line block ×4, first 2 shown]
	s_and_saveexec_b64 s[28:29], vcc
	s_cbranch_execz .LBB154_23
; %bb.16:
	global_load_ubyte v17, v[1:2], off offset:3072
	v_or_b32_e32 v18, 0xd00, v0
	v_cmp_gt_u32_e32 vcc, s38, v18
	v_mov_b32_e32 v18, 0
	v_mov_b32_e32 v19, 0
	;; [unrolled: 1-line block ×3, first 2 shown]
	s_and_saveexec_b64 s[30:31], vcc
	s_cbranch_execz .LBB154_22
; %bb.17:
	global_load_ubyte v18, v[1:2], off offset:3328
	v_or_b32_e32 v19, 0xe00, v0
	v_cmp_gt_u32_e32 vcc, s38, v19
	v_mov_b32_e32 v19, 0
	v_mov_b32_e32 v20, 0
	s_and_saveexec_b64 s[34:35], vcc
	s_cbranch_execz .LBB154_21
; %bb.18:
	global_load_ubyte v19, v[1:2], off offset:3584
	v_or_b32_e32 v20, 0xf00, v0
	v_cmp_gt_u32_e32 vcc, s38, v20
	v_mov_b32_e32 v20, 0
	s_and_saveexec_b64 s[36:37], vcc
	s_cbranch_execz .LBB154_20
; %bb.19:
	global_load_ubyte v20, v[1:2], off offset:3840
.LBB154_20:
	s_or_b64 exec, exec, s[36:37]
.LBB154_21:
	s_or_b64 exec, exec, s[34:35]
.LBB154_22:
	s_or_b64 exec, exec, s[30:31]
.LBB154_23:
	s_or_b64 exec, exec, s[28:29]
.LBB154_24:
	s_or_b64 exec, exec, s[26:27]
.LBB154_25:
	s_or_b64 exec, exec, s[24:25]
.LBB154_26:
	s_or_b64 exec, exec, s[22:23]
.LBB154_27:
	s_or_b64 exec, exec, s[20:21]
.LBB154_28:
	s_or_b64 exec, exec, s[18:19]
.LBB154_29:
	s_or_b64 exec, exec, s[16:17]
.LBB154_30:
	s_or_b64 exec, exec, s[14:15]
.LBB154_31:
	s_or_b64 exec, exec, s[12:13]
.LBB154_32:
	s_or_b64 exec, exec, s[10:11]
.LBB154_33:
	s_or_b64 exec, exec, s[6:7]
.LBB154_34:
	s_or_b64 exec, exec, s[4:5]
.LBB154_35:
	s_or_b64 exec, exec, s[2:3]
	s_cmp_gt_u32 s39, 6
	v_mov_b32_e32 v1, 7
	s_cselect_b64 vcc, -1, 0
	s_and_b32 s5, 0xffff, s39
	s_waitcnt vmcnt(0)
	v_lshrrev_b16_sdwa v2, v1, sext(v13) dst_sel:DWORD dst_unused:UNUSED_PAD src0_sel:DWORD src1_sel:BYTE_0
	v_ashrrev_i32_sdwa v13, s5, sext(v13) dst_sel:DWORD dst_unused:UNUSED_PAD src0_sel:DWORD src1_sel:BYTE_0
	s_mov_b32 s4, 0xffff
	v_cndmask_b32_e32 v2, v13, v2, vcc
	v_lshrrev_b16_sdwa v13, v1, sext(v11) dst_sel:DWORD dst_unused:UNUSED_PAD src0_sel:DWORD src1_sel:BYTE_0
	v_ashrrev_i32_sdwa v11, s5, sext(v11) dst_sel:DWORD dst_unused:UNUSED_PAD src0_sel:DWORD src1_sel:BYTE_0
	v_and_b32_sdwa v2, s4, v2 dst_sel:DWORD dst_unused:UNUSED_PAD src0_sel:DWORD src1_sel:BYTE_0
	v_cndmask_b32_e32 v11, v11, v13, vcc
	v_cndmask_b32_e64 v2, 0, v2, s[0:1]
	v_lshlrev_b16_e32 v11, 8, v11
	v_or_b32_e32 v11, v2, v11
	v_and_b32_e32 v11, 0xffff, v11
	v_cmp_gt_i32_e64 s[2:3], s38, v3
	v_lshrrev_b16_sdwa v13, v1, sext(v12) dst_sel:DWORD dst_unused:UNUSED_PAD src0_sel:DWORD src1_sel:BYTE_0
	v_ashrrev_i32_sdwa v12, s5, sext(v12) dst_sel:DWORD dst_unused:UNUSED_PAD src0_sel:DWORD src1_sel:BYTE_0
	v_cndmask_b32_e64 v2, v2, v11, s[2:3]
	v_cndmask_b32_e32 v12, v12, v13, vcc
	s_mov_b32 s7, 0xc0c0304
	v_or_b32_e32 v11, 0x200, v0
	v_perm_b32 v12, v12, v2, s7
	v_lshl_or_b32 v12, v12, 16, v2
	v_cmp_gt_i32_e64 s[2:3], s38, v11
	v_lshrrev_b16_sdwa v13, v1, sext(v7) dst_sel:DWORD dst_unused:UNUSED_PAD src0_sel:DWORD src1_sel:BYTE_0
	v_ashrrev_i32_sdwa v7, s5, sext(v7) dst_sel:DWORD dst_unused:UNUSED_PAD src0_sel:DWORD src1_sel:BYTE_0
	s_movk_i32 s6, 0xff
	v_cndmask_b32_e64 v2, v2, v12, s[2:3]
	v_cndmask_b32_e32 v7, v7, v13, vcc
	v_and_b32_sdwa v11, v2, s6 dst_sel:DWORD dst_unused:UNUSED_PAD src0_sel:WORD_1 src1_sel:DWORD
	v_lshlrev_b16_e32 v7, 8, v7
	v_or_b32_e32 v12, 0x300, v0
	v_or_b32_sdwa v7, v11, v7 dst_sel:WORD_1 dst_unused:UNUSED_PAD src0_sel:DWORD src1_sel:DWORD
	v_and_or_b32 v7, v2, s4, v7
	v_cmp_gt_i32_e64 s[2:3], s38, v12
	v_cndmask_b32_e64 v7, v2, v7, s[2:3]
	v_lshrrev_b16_sdwa v2, v1, sext(v8) dst_sel:DWORD dst_unused:UNUSED_PAD src0_sel:DWORD src1_sel:BYTE_0
	v_ashrrev_i32_sdwa v8, s5, sext(v8) dst_sel:DWORD dst_unused:UNUSED_PAD src0_sel:DWORD src1_sel:BYTE_0
	v_cndmask_b32_e32 v2, v8, v2, vcc
	v_or_b32_e32 v8, 0x400, v0
	s_mov_b32 s10, 0x3020104
	v_cmp_gt_i32_e64 s[2:3], s38, v8
	v_lshrrev_b16_sdwa v8, v1, sext(v9) dst_sel:DWORD dst_unused:UNUSED_PAD src0_sel:DWORD src1_sel:BYTE_0
	v_ashrrev_i32_sdwa v9, s5, sext(v9) dst_sel:DWORD dst_unused:UNUSED_PAD src0_sel:DWORD src1_sel:BYTE_0
	v_perm_b32 v2, v2, 0, s10
	v_cndmask_b32_e32 v8, v9, v8, vcc
	v_cndmask_b32_e64 v2, 0, v2, s[2:3]
	v_lshlrev_b16_e32 v8, 8, v8
	v_or_b32_sdwa v8, v2, v8 dst_sel:DWORD dst_unused:UNUSED_PAD src0_sel:BYTE_0 src1_sel:DWORD
	v_and_b32_e32 v8, 0xffff, v8
	s_mov_b32 s11, 0xffff0000
	v_or_b32_e32 v9, 0x500, v0
	v_and_or_b32 v8, v2, s11, v8
	v_cmp_gt_i32_e64 s[2:3], s38, v9
	v_lshrrev_b16_sdwa v9, v1, sext(v5) dst_sel:DWORD dst_unused:UNUSED_PAD src0_sel:DWORD src1_sel:BYTE_0
	v_ashrrev_i32_sdwa v5, s5, sext(v5) dst_sel:DWORD dst_unused:UNUSED_PAD src0_sel:DWORD src1_sel:BYTE_0
	v_cndmask_b32_e64 v2, v2, v8, s[2:3]
	v_or_b32_e32 v8, 0x600, v0
	v_cndmask_b32_e32 v5, v5, v9, vcc
	s_mov_b32 s12, 0x7000504
	v_perm_b32 v5, v2, v5, s12
	v_cmp_gt_i32_e64 s[2:3], s38, v8
	v_lshrrev_b16_sdwa v9, v1, sext(v6) dst_sel:DWORD dst_unused:UNUSED_PAD src0_sel:DWORD src1_sel:BYTE_0
	v_ashrrev_i32_sdwa v6, s5, sext(v6) dst_sel:DWORD dst_unused:UNUSED_PAD src0_sel:DWORD src1_sel:BYTE_0
	v_cndmask_b32_e64 v2, v2, v5, s[2:3]
	v_cndmask_b32_e32 v6, v6, v9, vcc
	v_and_b32_sdwa v5, v2, s6 dst_sel:DWORD dst_unused:UNUSED_PAD src0_sel:WORD_1 src1_sel:DWORD
	v_lshlrev_b16_e32 v6, 8, v6
	v_or_b32_e32 v8, 0x700, v0
	v_or_b32_sdwa v5, v5, v6 dst_sel:WORD_1 dst_unused:UNUSED_PAD src0_sel:DWORD src1_sel:DWORD
	v_and_or_b32 v5, v2, s4, v5
	v_cmp_gt_i32_e64 s[2:3], s38, v8
	v_lshrrev_b16_sdwa v6, v1, sext(v10) dst_sel:DWORD dst_unused:UNUSED_PAD src0_sel:DWORD src1_sel:BYTE_0
	v_ashrrev_i32_sdwa v8, s5, sext(v10) dst_sel:DWORD dst_unused:UNUSED_PAD src0_sel:DWORD src1_sel:BYTE_0
	v_cndmask_b32_e64 v5, v2, v5, s[2:3]
	v_or_b32_e32 v2, 0x800, v0
	v_cndmask_b32_e32 v6, v8, v6, vcc
	v_lshrrev_b16_sdwa v8, v1, sext(v14) dst_sel:DWORD dst_unused:UNUSED_PAD src0_sel:DWORD src1_sel:BYTE_0
	v_ashrrev_i32_sdwa v9, s5, sext(v14) dst_sel:DWORD dst_unused:UNUSED_PAD src0_sel:DWORD src1_sel:BYTE_0
	v_and_b32_sdwa v6, s4, v6 dst_sel:DWORD dst_unused:UNUSED_PAD src0_sel:DWORD src1_sel:BYTE_0
	v_cmp_gt_i32_e64 s[2:3], s38, v2
	v_cndmask_b32_e32 v8, v9, v8, vcc
	v_cndmask_b32_e64 v2, 0, v6, s[2:3]
	v_lshlrev_b16_e32 v8, 8, v8
	v_or_b32_e32 v6, 0x900, v0
	v_or_b32_e32 v8, v2, v8
	v_and_b32_e32 v8, 0xffff, v8
	v_cmp_gt_i32_e64 s[2:3], s38, v6
	v_cndmask_b32_e64 v2, v2, v8, s[2:3]
	v_lshrrev_b16_sdwa v8, v1, sext(v15) dst_sel:DWORD dst_unused:UNUSED_PAD src0_sel:DWORD src1_sel:BYTE_0
	v_ashrrev_i32_sdwa v9, s5, sext(v15) dst_sel:DWORD dst_unused:UNUSED_PAD src0_sel:DWORD src1_sel:BYTE_0
	v_cndmask_b32_e32 v8, v9, v8, vcc
	v_or_b32_e32 v6, 0xa00, v0
	v_perm_b32 v8, v8, v2, s7
	v_lshl_or_b32 v8, v8, 16, v2
	v_cmp_gt_i32_e64 s[2:3], s38, v6
	v_lshrrev_b16_sdwa v9, v1, sext(v16) dst_sel:DWORD dst_unused:UNUSED_PAD src0_sel:DWORD src1_sel:BYTE_0
	v_ashrrev_i32_sdwa v10, s5, sext(v16) dst_sel:DWORD dst_unused:UNUSED_PAD src0_sel:DWORD src1_sel:BYTE_0
	v_cndmask_b32_e64 v2, v2, v8, s[2:3]
	v_cndmask_b32_e32 v9, v10, v9, vcc
	v_and_b32_sdwa v6, v2, s6 dst_sel:DWORD dst_unused:UNUSED_PAD src0_sel:WORD_1 src1_sel:DWORD
	v_lshlrev_b16_e32 v9, 8, v9
	v_or_b32_e32 v8, 0xb00, v0
	v_or_b32_sdwa v6, v6, v9 dst_sel:WORD_1 dst_unused:UNUSED_PAD src0_sel:DWORD src1_sel:DWORD
	v_and_or_b32 v6, v2, s4, v6
	v_cmp_gt_i32_e64 s[2:3], s38, v8
	v_cndmask_b32_e64 v2, v2, v6, s[2:3]
	v_lshrrev_b16_sdwa v6, v1, sext(v17) dst_sel:DWORD dst_unused:UNUSED_PAD src0_sel:DWORD src1_sel:BYTE_0
	v_ashrrev_i32_sdwa v8, s5, sext(v17) dst_sel:DWORD dst_unused:UNUSED_PAD src0_sel:DWORD src1_sel:BYTE_0
	v_cndmask_b32_e32 v6, v8, v6, vcc
	v_or_b32_e32 v8, 0xc00, v0
	v_cmp_gt_i32_e64 s[2:3], s38, v8
	v_lshrrev_b16_sdwa v8, v1, sext(v18) dst_sel:DWORD dst_unused:UNUSED_PAD src0_sel:DWORD src1_sel:BYTE_0
	v_ashrrev_i32_sdwa v9, s5, sext(v18) dst_sel:DWORD dst_unused:UNUSED_PAD src0_sel:DWORD src1_sel:BYTE_0
	v_perm_b32 v6, v6, 0, s10
	v_cndmask_b32_e32 v8, v9, v8, vcc
	v_cndmask_b32_e64 v6, 0, v6, s[2:3]
	v_lshlrev_b16_e32 v8, 8, v8
	v_or_b32_sdwa v8, v6, v8 dst_sel:DWORD dst_unused:UNUSED_PAD src0_sel:BYTE_0 src1_sel:DWORD
	v_and_b32_e32 v8, 0xffff, v8
	v_or_b32_e32 v9, 0xd00, v0
	v_and_or_b32 v8, v6, s11, v8
	v_cmp_gt_i32_e64 s[2:3], s38, v9
	v_lshrrev_b16_sdwa v9, v1, sext(v19) dst_sel:DWORD dst_unused:UNUSED_PAD src0_sel:DWORD src1_sel:BYTE_0
	v_ashrrev_i32_sdwa v10, s5, sext(v19) dst_sel:DWORD dst_unused:UNUSED_PAD src0_sel:DWORD src1_sel:BYTE_0
	v_cndmask_b32_e64 v6, v6, v8, s[2:3]
	v_or_b32_e32 v8, 0xe00, v0
	v_cndmask_b32_e32 v9, v10, v9, vcc
	v_perm_b32 v9, v6, v9, s12
	v_cmp_gt_i32_e64 s[2:3], s38, v8
	v_cndmask_b32_e64 v6, v6, v9, s[2:3]
	v_lshrrev_b16_sdwa v1, v1, sext(v20) dst_sel:DWORD dst_unused:UNUSED_PAD src0_sel:DWORD src1_sel:BYTE_0
	v_ashrrev_i32_sdwa v10, s5, sext(v20) dst_sel:DWORD dst_unused:UNUSED_PAD src0_sel:DWORD src1_sel:BYTE_0
	v_and_b32_sdwa v8, v6, s6 dst_sel:DWORD dst_unused:UNUSED_PAD src0_sel:WORD_1 src1_sel:DWORD
	v_cndmask_b32_sdwa v1, v10, v1, vcc dst_sel:BYTE_1 dst_unused:UNUSED_PAD src0_sel:DWORD src1_sel:DWORD
	v_or_b32_e32 v9, 0xf00, v0
	v_or_b32_sdwa v1, v8, v1 dst_sel:WORD_1 dst_unused:UNUSED_PAD src0_sel:DWORD src1_sel:DWORD
	v_and_or_b32 v1, v6, s4, v1
	v_cmp_gt_i32_e32 vcc, s38, v9
	v_cndmask_b32_e32 v1, v6, v1, vcc
	s_and_saveexec_b64 s[2:3], s[0:1]
	s_cbranch_execnz .LBB154_53
; %bb.36:
	s_or_b64 exec, exec, s[2:3]
	v_cmp_gt_i32_e32 vcc, s38, v0
	s_and_saveexec_b64 s[0:1], vcc
	s_cbranch_execnz .LBB154_54
.LBB154_37:
	s_or_b64 exec, exec, s[0:1]
	v_cmp_gt_i32_e32 vcc, s38, v0
	s_and_saveexec_b64 s[0:1], vcc
	s_cbranch_execnz .LBB154_55
.LBB154_38:
	s_or_b64 exec, exec, s[0:1]
	v_cmp_gt_i32_e32 vcc, s38, v0
	s_and_saveexec_b64 s[0:1], vcc
	s_cbranch_execnz .LBB154_56
.LBB154_39:
	s_or_b64 exec, exec, s[0:1]
	v_cmp_gt_i32_e32 vcc, s38, v0
	s_and_saveexec_b64 s[0:1], vcc
	s_cbranch_execnz .LBB154_57
.LBB154_40:
	s_or_b64 exec, exec, s[0:1]
	v_cmp_gt_i32_e32 vcc, s38, v0
	s_and_saveexec_b64 s[0:1], vcc
	s_cbranch_execnz .LBB154_58
.LBB154_41:
	s_or_b64 exec, exec, s[0:1]
	v_cmp_gt_i32_e32 vcc, s38, v0
	s_and_saveexec_b64 s[0:1], vcc
	s_cbranch_execnz .LBB154_59
.LBB154_42:
	s_or_b64 exec, exec, s[0:1]
	v_cmp_gt_i32_e32 vcc, s38, v0
	s_and_saveexec_b64 s[0:1], vcc
	s_cbranch_execnz .LBB154_60
.LBB154_43:
	s_or_b64 exec, exec, s[0:1]
	v_cmp_gt_i32_e32 vcc, s38, v0
	s_and_saveexec_b64 s[0:1], vcc
	s_cbranch_execnz .LBB154_61
.LBB154_44:
	s_or_b64 exec, exec, s[0:1]
	v_cmp_gt_i32_e32 vcc, s38, v0
	s_and_saveexec_b64 s[0:1], vcc
	s_cbranch_execnz .LBB154_62
.LBB154_45:
	s_or_b64 exec, exec, s[0:1]
	v_cmp_gt_i32_e32 vcc, s38, v0
	s_and_saveexec_b64 s[0:1], vcc
	s_cbranch_execnz .LBB154_63
.LBB154_46:
	s_or_b64 exec, exec, s[0:1]
	v_cmp_gt_i32_e32 vcc, s38, v0
	s_and_saveexec_b64 s[0:1], vcc
	s_cbranch_execnz .LBB154_64
.LBB154_47:
	s_or_b64 exec, exec, s[0:1]
	v_cmp_gt_i32_e32 vcc, s38, v0
	s_and_saveexec_b64 s[0:1], vcc
	s_cbranch_execnz .LBB154_65
.LBB154_48:
	s_or_b64 exec, exec, s[0:1]
	v_cmp_gt_i32_e32 vcc, s38, v0
	s_and_saveexec_b64 s[0:1], vcc
	s_cbranch_execnz .LBB154_66
.LBB154_49:
	s_or_b64 exec, exec, s[0:1]
	v_cmp_gt_i32_e32 vcc, s38, v0
	s_and_saveexec_b64 s[0:1], vcc
	s_cbranch_execnz .LBB154_67
.LBB154_50:
	s_or_b64 exec, exec, s[0:1]
	v_cmp_gt_i32_e32 vcc, s38, v0
	s_and_saveexec_b64 s[0:1], vcc
	s_cbranch_execz .LBB154_52
.LBB154_51:
	v_lshrrev_b32_e32 v1, 24, v1
	v_add_u32_e32 v0, s33, v0
	global_store_byte v0, v1, s[8:9]
.LBB154_52:
	s_endpgm
.LBB154_53:
	v_mov_b32_e32 v0, v3
	global_store_byte v4, v7, s[8:9]
	s_or_b64 exec, exec, s[2:3]
	v_cmp_gt_i32_e32 vcc, s38, v0
	s_and_saveexec_b64 s[0:1], vcc
	s_cbranch_execz .LBB154_37
.LBB154_54:
	v_lshrrev_b32_e32 v3, 8, v7
	v_add_u32_e32 v4, s33, v0
	v_add_u32_e32 v0, 0x100, v0
	global_store_byte v4, v3, s[8:9]
	s_or_b64 exec, exec, s[0:1]
	v_cmp_gt_i32_e32 vcc, s38, v0
	s_and_saveexec_b64 s[0:1], vcc
	s_cbranch_execz .LBB154_38
.LBB154_55:
	v_add_u32_e32 v3, s33, v0
	v_add_u32_e32 v0, 0x100, v0
	global_store_byte_d16_hi v3, v7, s[8:9]
	s_or_b64 exec, exec, s[0:1]
	v_cmp_gt_i32_e32 vcc, s38, v0
	s_and_saveexec_b64 s[0:1], vcc
	s_cbranch_execz .LBB154_39
.LBB154_56:
	v_lshrrev_b32_e32 v3, 24, v7
	v_add_u32_e32 v4, s33, v0
	v_add_u32_e32 v0, 0x100, v0
	global_store_byte v4, v3, s[8:9]
	s_or_b64 exec, exec, s[0:1]
	v_cmp_gt_i32_e32 vcc, s38, v0
	s_and_saveexec_b64 s[0:1], vcc
	s_cbranch_execz .LBB154_40
.LBB154_57:
	v_add_u32_e32 v3, s33, v0
	v_add_u32_e32 v0, 0x100, v0
	global_store_byte v3, v5, s[8:9]
	s_or_b64 exec, exec, s[0:1]
	v_cmp_gt_i32_e32 vcc, s38, v0
	s_and_saveexec_b64 s[0:1], vcc
	s_cbranch_execz .LBB154_41
.LBB154_58:
	v_lshrrev_b32_e32 v3, 8, v5
	v_add_u32_e32 v4, s33, v0
	v_add_u32_e32 v0, 0x100, v0
	global_store_byte v4, v3, s[8:9]
	s_or_b64 exec, exec, s[0:1]
	v_cmp_gt_i32_e32 vcc, s38, v0
	s_and_saveexec_b64 s[0:1], vcc
	s_cbranch_execz .LBB154_42
.LBB154_59:
	v_add_u32_e32 v3, s33, v0
	v_add_u32_e32 v0, 0x100, v0
	global_store_byte_d16_hi v3, v5, s[8:9]
	s_or_b64 exec, exec, s[0:1]
	v_cmp_gt_i32_e32 vcc, s38, v0
	s_and_saveexec_b64 s[0:1], vcc
	s_cbranch_execz .LBB154_43
.LBB154_60:
	v_lshrrev_b32_e32 v3, 24, v5
	v_add_u32_e32 v4, s33, v0
	v_add_u32_e32 v0, 0x100, v0
	global_store_byte v4, v3, s[8:9]
	s_or_b64 exec, exec, s[0:1]
	v_cmp_gt_i32_e32 vcc, s38, v0
	s_and_saveexec_b64 s[0:1], vcc
	s_cbranch_execz .LBB154_44
.LBB154_61:
	v_add_u32_e32 v3, s33, v0
	v_add_u32_e32 v0, 0x100, v0
	global_store_byte v3, v2, s[8:9]
	s_or_b64 exec, exec, s[0:1]
	v_cmp_gt_i32_e32 vcc, s38, v0
	s_and_saveexec_b64 s[0:1], vcc
	s_cbranch_execz .LBB154_45
.LBB154_62:
	v_lshrrev_b32_e32 v3, 8, v2
	v_add_u32_e32 v4, s33, v0
	v_add_u32_e32 v0, 0x100, v0
	global_store_byte v4, v3, s[8:9]
	s_or_b64 exec, exec, s[0:1]
	v_cmp_gt_i32_e32 vcc, s38, v0
	s_and_saveexec_b64 s[0:1], vcc
	s_cbranch_execz .LBB154_46
.LBB154_63:
	v_add_u32_e32 v3, s33, v0
	v_add_u32_e32 v0, 0x100, v0
	global_store_byte_d16_hi v3, v2, s[8:9]
	s_or_b64 exec, exec, s[0:1]
	v_cmp_gt_i32_e32 vcc, s38, v0
	s_and_saveexec_b64 s[0:1], vcc
	s_cbranch_execz .LBB154_47
.LBB154_64:
	v_lshrrev_b32_e32 v2, 24, v2
	v_add_u32_e32 v3, s33, v0
	v_add_u32_e32 v0, 0x100, v0
	global_store_byte v3, v2, s[8:9]
	s_or_b64 exec, exec, s[0:1]
	v_cmp_gt_i32_e32 vcc, s38, v0
	s_and_saveexec_b64 s[0:1], vcc
	s_cbranch_execz .LBB154_48
.LBB154_65:
	v_add_u32_e32 v2, s33, v0
	v_add_u32_e32 v0, 0x100, v0
	global_store_byte v2, v1, s[8:9]
	s_or_b64 exec, exec, s[0:1]
	v_cmp_gt_i32_e32 vcc, s38, v0
	s_and_saveexec_b64 s[0:1], vcc
	s_cbranch_execz .LBB154_49
.LBB154_66:
	v_lshrrev_b32_e32 v2, 8, v1
	v_add_u32_e32 v3, s33, v0
	v_add_u32_e32 v0, 0x100, v0
	global_store_byte v3, v2, s[8:9]
	s_or_b64 exec, exec, s[0:1]
	v_cmp_gt_i32_e32 vcc, s38, v0
	s_and_saveexec_b64 s[0:1], vcc
	s_cbranch_execz .LBB154_50
.LBB154_67:
	v_add_u32_e32 v2, s33, v0
	v_add_u32_e32 v0, 0x100, v0
	global_store_byte_d16_hi v2, v1, s[8:9]
	s_or_b64 exec, exec, s[0:1]
	v_cmp_gt_i32_e32 vcc, s38, v0
	s_and_saveexec_b64 s[0:1], vcc
	s_cbranch_execnz .LBB154_51
	s_branch .LBB154_52
	.section	.rodata,"a",@progbits
	.p2align	6, 0x0
	.amdhsa_kernel _ZN2at6native29vectorized_elementwise_kernelILi4ENS0_13BUnaryFunctorIaaaZZZNS0_18rshift_kernel_cudaERNS_18TensorIteratorBaseEENKUlvE_clEvENKUlvE0_clEvEUlaaE_EESt5arrayIPcLm2EEEEviT0_T1_
		.amdhsa_group_segment_fixed_size 0
		.amdhsa_private_segment_fixed_size 0
		.amdhsa_kernarg_size 24
		.amdhsa_user_sgpr_count 6
		.amdhsa_user_sgpr_private_segment_buffer 1
		.amdhsa_user_sgpr_dispatch_ptr 0
		.amdhsa_user_sgpr_queue_ptr 0
		.amdhsa_user_sgpr_kernarg_segment_ptr 1
		.amdhsa_user_sgpr_dispatch_id 0
		.amdhsa_user_sgpr_flat_scratch_init 0
		.amdhsa_user_sgpr_private_segment_size 0
		.amdhsa_uses_dynamic_stack 0
		.amdhsa_system_sgpr_private_segment_wavefront_offset 0
		.amdhsa_system_sgpr_workgroup_id_x 1
		.amdhsa_system_sgpr_workgroup_id_y 0
		.amdhsa_system_sgpr_workgroup_id_z 0
		.amdhsa_system_sgpr_workgroup_info 0
		.amdhsa_system_vgpr_workitem_id 0
		.amdhsa_next_free_vgpr 21
		.amdhsa_next_free_sgpr 40
		.amdhsa_reserve_vcc 1
		.amdhsa_reserve_flat_scratch 0
		.amdhsa_float_round_mode_32 0
		.amdhsa_float_round_mode_16_64 0
		.amdhsa_float_denorm_mode_32 3
		.amdhsa_float_denorm_mode_16_64 3
		.amdhsa_dx10_clamp 1
		.amdhsa_ieee_mode 1
		.amdhsa_fp16_overflow 0
		.amdhsa_exception_fp_ieee_invalid_op 0
		.amdhsa_exception_fp_denorm_src 0
		.amdhsa_exception_fp_ieee_div_zero 0
		.amdhsa_exception_fp_ieee_overflow 0
		.amdhsa_exception_fp_ieee_underflow 0
		.amdhsa_exception_fp_ieee_inexact 0
		.amdhsa_exception_int_div_zero 0
	.end_amdhsa_kernel
	.section	.text._ZN2at6native29vectorized_elementwise_kernelILi4ENS0_13BUnaryFunctorIaaaZZZNS0_18rshift_kernel_cudaERNS_18TensorIteratorBaseEENKUlvE_clEvENKUlvE0_clEvEUlaaE_EESt5arrayIPcLm2EEEEviT0_T1_,"axG",@progbits,_ZN2at6native29vectorized_elementwise_kernelILi4ENS0_13BUnaryFunctorIaaaZZZNS0_18rshift_kernel_cudaERNS_18TensorIteratorBaseEENKUlvE_clEvENKUlvE0_clEvEUlaaE_EESt5arrayIPcLm2EEEEviT0_T1_,comdat
.Lfunc_end154:
	.size	_ZN2at6native29vectorized_elementwise_kernelILi4ENS0_13BUnaryFunctorIaaaZZZNS0_18rshift_kernel_cudaERNS_18TensorIteratorBaseEENKUlvE_clEvENKUlvE0_clEvEUlaaE_EESt5arrayIPcLm2EEEEviT0_T1_, .Lfunc_end154-_ZN2at6native29vectorized_elementwise_kernelILi4ENS0_13BUnaryFunctorIaaaZZZNS0_18rshift_kernel_cudaERNS_18TensorIteratorBaseEENKUlvE_clEvENKUlvE0_clEvEUlaaE_EESt5arrayIPcLm2EEEEviT0_T1_
                                        ; -- End function
	.set _ZN2at6native29vectorized_elementwise_kernelILi4ENS0_13BUnaryFunctorIaaaZZZNS0_18rshift_kernel_cudaERNS_18TensorIteratorBaseEENKUlvE_clEvENKUlvE0_clEvEUlaaE_EESt5arrayIPcLm2EEEEviT0_T1_.num_vgpr, 21
	.set _ZN2at6native29vectorized_elementwise_kernelILi4ENS0_13BUnaryFunctorIaaaZZZNS0_18rshift_kernel_cudaERNS_18TensorIteratorBaseEENKUlvE_clEvENKUlvE0_clEvEUlaaE_EESt5arrayIPcLm2EEEEviT0_T1_.num_agpr, 0
	.set _ZN2at6native29vectorized_elementwise_kernelILi4ENS0_13BUnaryFunctorIaaaZZZNS0_18rshift_kernel_cudaERNS_18TensorIteratorBaseEENKUlvE_clEvENKUlvE0_clEvEUlaaE_EESt5arrayIPcLm2EEEEviT0_T1_.numbered_sgpr, 40
	.set _ZN2at6native29vectorized_elementwise_kernelILi4ENS0_13BUnaryFunctorIaaaZZZNS0_18rshift_kernel_cudaERNS_18TensorIteratorBaseEENKUlvE_clEvENKUlvE0_clEvEUlaaE_EESt5arrayIPcLm2EEEEviT0_T1_.num_named_barrier, 0
	.set _ZN2at6native29vectorized_elementwise_kernelILi4ENS0_13BUnaryFunctorIaaaZZZNS0_18rshift_kernel_cudaERNS_18TensorIteratorBaseEENKUlvE_clEvENKUlvE0_clEvEUlaaE_EESt5arrayIPcLm2EEEEviT0_T1_.private_seg_size, 0
	.set _ZN2at6native29vectorized_elementwise_kernelILi4ENS0_13BUnaryFunctorIaaaZZZNS0_18rshift_kernel_cudaERNS_18TensorIteratorBaseEENKUlvE_clEvENKUlvE0_clEvEUlaaE_EESt5arrayIPcLm2EEEEviT0_T1_.uses_vcc, 1
	.set _ZN2at6native29vectorized_elementwise_kernelILi4ENS0_13BUnaryFunctorIaaaZZZNS0_18rshift_kernel_cudaERNS_18TensorIteratorBaseEENKUlvE_clEvENKUlvE0_clEvEUlaaE_EESt5arrayIPcLm2EEEEviT0_T1_.uses_flat_scratch, 0
	.set _ZN2at6native29vectorized_elementwise_kernelILi4ENS0_13BUnaryFunctorIaaaZZZNS0_18rshift_kernel_cudaERNS_18TensorIteratorBaseEENKUlvE_clEvENKUlvE0_clEvEUlaaE_EESt5arrayIPcLm2EEEEviT0_T1_.has_dyn_sized_stack, 0
	.set _ZN2at6native29vectorized_elementwise_kernelILi4ENS0_13BUnaryFunctorIaaaZZZNS0_18rshift_kernel_cudaERNS_18TensorIteratorBaseEENKUlvE_clEvENKUlvE0_clEvEUlaaE_EESt5arrayIPcLm2EEEEviT0_T1_.has_recursion, 0
	.set _ZN2at6native29vectorized_elementwise_kernelILi4ENS0_13BUnaryFunctorIaaaZZZNS0_18rshift_kernel_cudaERNS_18TensorIteratorBaseEENKUlvE_clEvENKUlvE0_clEvEUlaaE_EESt5arrayIPcLm2EEEEviT0_T1_.has_indirect_call, 0
	.section	.AMDGPU.csdata,"",@progbits
; Kernel info:
; codeLenInByte = 3628
; TotalNumSgprs: 44
; NumVgprs: 21
; ScratchSize: 0
; MemoryBound: 0
; FloatMode: 240
; IeeeMode: 1
; LDSByteSize: 0 bytes/workgroup (compile time only)
; SGPRBlocks: 5
; VGPRBlocks: 5
; NumSGPRsForWavesPerEU: 44
; NumVGPRsForWavesPerEU: 21
; Occupancy: 10
; WaveLimiterHint : 1
; COMPUTE_PGM_RSRC2:SCRATCH_EN: 0
; COMPUTE_PGM_RSRC2:USER_SGPR: 6
; COMPUTE_PGM_RSRC2:TRAP_HANDLER: 0
; COMPUTE_PGM_RSRC2:TGID_X_EN: 1
; COMPUTE_PGM_RSRC2:TGID_Y_EN: 0
; COMPUTE_PGM_RSRC2:TGID_Z_EN: 0
; COMPUTE_PGM_RSRC2:TIDIG_COMP_CNT: 0
	.section	.text._ZN2at6native29vectorized_elementwise_kernelILi2ENS0_13BUnaryFunctorIaaaZZZNS0_18rshift_kernel_cudaERNS_18TensorIteratorBaseEENKUlvE_clEvENKUlvE0_clEvEUlaaE_EESt5arrayIPcLm2EEEEviT0_T1_,"axG",@progbits,_ZN2at6native29vectorized_elementwise_kernelILi2ENS0_13BUnaryFunctorIaaaZZZNS0_18rshift_kernel_cudaERNS_18TensorIteratorBaseEENKUlvE_clEvENKUlvE0_clEvEUlaaE_EESt5arrayIPcLm2EEEEviT0_T1_,comdat
	.globl	_ZN2at6native29vectorized_elementwise_kernelILi2ENS0_13BUnaryFunctorIaaaZZZNS0_18rshift_kernel_cudaERNS_18TensorIteratorBaseEENKUlvE_clEvENKUlvE0_clEvEUlaaE_EESt5arrayIPcLm2EEEEviT0_T1_ ; -- Begin function _ZN2at6native29vectorized_elementwise_kernelILi2ENS0_13BUnaryFunctorIaaaZZZNS0_18rshift_kernel_cudaERNS_18TensorIteratorBaseEENKUlvE_clEvENKUlvE0_clEvEUlaaE_EESt5arrayIPcLm2EEEEviT0_T1_
	.p2align	8
	.type	_ZN2at6native29vectorized_elementwise_kernelILi2ENS0_13BUnaryFunctorIaaaZZZNS0_18rshift_kernel_cudaERNS_18TensorIteratorBaseEENKUlvE_clEvENKUlvE0_clEvEUlaaE_EESt5arrayIPcLm2EEEEviT0_T1_,@function
_ZN2at6native29vectorized_elementwise_kernelILi2ENS0_13BUnaryFunctorIaaaZZZNS0_18rshift_kernel_cudaERNS_18TensorIteratorBaseEENKUlvE_clEvENKUlvE0_clEvEUlaaE_EESt5arrayIPcLm2EEEEviT0_T1_: ; @_ZN2at6native29vectorized_elementwise_kernelILi2ENS0_13BUnaryFunctorIaaaZZZNS0_18rshift_kernel_cudaERNS_18TensorIteratorBaseEENKUlvE_clEvENKUlvE0_clEvEUlaaE_EESt5arrayIPcLm2EEEEviT0_T1_
; %bb.0:
	v_mov_b32_e32 v1, 0
	global_load_ushort v1, v1, s[4:5] offset:4
	s_load_dword s0, s[4:5], 0x0
	s_load_dwordx4 s[8:11], s[4:5], 0x8
	s_lshl_b32 s33, s6, 12
	s_waitcnt lgkmcnt(0)
	s_sub_i32 s38, s0, s33
	s_waitcnt vmcnt(0)
	v_readfirstlane_b32 s1, v1
	s_and_b32 s0, 0xffff, s1
	s_lshr_b32 s39, s0, 8
	s_cmpk_gt_i32 s38, 0xfff
	s_mov_b64 s[0:1], -1
	s_cbranch_scc0 .LBB155_2
; %bb.1:
	s_ashr_i32 s2, s33, 31
	s_add_u32 s0, s10, s33
	s_addc_u32 s1, s11, s2
	v_lshlrev_b32_e32 v1, 1, v0
	global_load_ushort v2, v1, s[0:1]
	global_load_ushort v3, v1, s[0:1] offset:512
	global_load_ushort v4, v1, s[0:1] offset:1024
	;; [unrolled: 1-line block ×7, first 2 shown]
	s_cmp_gt_u32 s39, 6
	s_cselect_b64 vcc, -1, 0
	s_and_b32 s0, 0xffff, s39
	v_mov_b32_e32 v10, 7
	s_waitcnt vmcnt(7)
	v_lshrrev_b16_e32 v12, 8, v2
	v_ashrrev_i16_e32 v13, 15, v2
	v_ashrrev_i32_sdwa v12, s0, sext(v12) dst_sel:DWORD dst_unused:UNUSED_PAD src0_sel:DWORD src1_sel:BYTE_0
	s_waitcnt vmcnt(6)
	v_lshrrev_b16_sdwa v14, v10, sext(v3) dst_sel:DWORD dst_unused:UNUSED_PAD src0_sel:DWORD src1_sel:BYTE_0
	v_lshrrev_b16_e32 v15, 8, v3
	v_ashrrev_i16_e32 v16, 15, v3
	s_waitcnt vmcnt(5)
	v_lshrrev_b16_e32 v18, 8, v4
	v_cndmask_b32_e32 v12, v12, v13, vcc
	s_waitcnt vmcnt(4)
	v_lshrrev_b16_e32 v13, 8, v5
	v_ashrrev_i32_sdwa v3, s0, sext(v3) dst_sel:DWORD dst_unused:UNUSED_PAD src0_sel:DWORD src1_sel:BYTE_0
	v_lshrrev_b16_sdwa v11, v10, sext(v2) dst_sel:DWORD dst_unused:UNUSED_PAD src0_sel:DWORD src1_sel:BYTE_0
	v_lshrrev_b16_sdwa v17, v10, sext(v4) dst_sel:DWORD dst_unused:UNUSED_PAD src0_sel:DWORD src1_sel:BYTE_0
	v_ashrrev_i16_e32 v19, 15, v4
	v_ashrrev_i32_sdwa v2, s0, sext(v2) dst_sel:DWORD dst_unused:UNUSED_PAD src0_sel:DWORD src1_sel:BYTE_0
	v_cndmask_b32_e32 v3, v3, v14, vcc
	v_ashrrev_i16_e32 v14, 15, v5
	v_ashrrev_i32_sdwa v15, s0, sext(v15) dst_sel:DWORD dst_unused:UNUSED_PAD src0_sel:DWORD src1_sel:BYTE_0
	v_ashrrev_i32_sdwa v4, s0, sext(v4) dst_sel:DWORD dst_unused:UNUSED_PAD src0_sel:DWORD src1_sel:BYTE_0
	;; [unrolled: 1-line block ×4, first 2 shown]
	v_cndmask_b32_e32 v2, v2, v11, vcc
	v_lshrrev_b16_sdwa v11, v10, sext(v5) dst_sel:DWORD dst_unused:UNUSED_PAD src0_sel:DWORD src1_sel:BYTE_0
	v_cndmask_b32_e32 v15, v15, v16, vcc
	s_waitcnt vmcnt(3)
	v_lshrrev_b16_sdwa v16, v10, sext(v6) dst_sel:DWORD dst_unused:UNUSED_PAD src0_sel:DWORD src1_sel:BYTE_0
	v_cndmask_b32_e32 v4, v4, v17, vcc
	v_lshrrev_b16_e32 v17, 8, v6
	v_cndmask_b32_e32 v18, v18, v19, vcc
	v_ashrrev_i16_e32 v19, 15, v6
	v_ashrrev_i32_sdwa v5, s0, sext(v5) dst_sel:DWORD dst_unused:UNUSED_PAD src0_sel:DWORD src1_sel:BYTE_0
	v_cndmask_b32_e32 v13, v13, v14, vcc
	s_waitcnt vmcnt(2)
	v_lshrrev_b16_e32 v14, 8, v7
	v_ashrrev_i32_sdwa v6, s0, sext(v6) dst_sel:DWORD dst_unused:UNUSED_PAD src0_sel:DWORD src1_sel:BYTE_0
	v_cndmask_b32_e32 v5, v5, v11, vcc
	v_lshrrev_b16_sdwa v11, v10, sext(v7) dst_sel:DWORD dst_unused:UNUSED_PAD src0_sel:DWORD src1_sel:BYTE_0
	v_cndmask_b32_e32 v6, v6, v16, vcc
	v_ashrrev_i16_e32 v16, 15, v7
	v_ashrrev_i32_sdwa v17, s0, sext(v17) dst_sel:DWORD dst_unused:UNUSED_PAD src0_sel:DWORD src1_sel:BYTE_0
	v_ashrrev_i32_sdwa v7, s0, sext(v7) dst_sel:DWORD dst_unused:UNUSED_PAD src0_sel:DWORD src1_sel:BYTE_0
	;; [unrolled: 1-line block ×3, first 2 shown]
	v_cndmask_b32_e32 v17, v17, v19, vcc
	s_waitcnt vmcnt(1)
	v_lshrrev_b16_sdwa v19, v10, sext(v8) dst_sel:DWORD dst_unused:UNUSED_PAD src0_sel:DWORD src1_sel:BYTE_0
	v_cndmask_b32_e32 v7, v7, v11, vcc
	v_lshrrev_b16_e32 v11, 8, v8
	v_cndmask_b32_e32 v14, v14, v16, vcc
	v_ashrrev_i16_e32 v16, 15, v8
	v_ashrrev_i32_sdwa v8, s0, sext(v8) dst_sel:DWORD dst_unused:UNUSED_PAD src0_sel:DWORD src1_sel:BYTE_0
	v_cndmask_b32_e32 v8, v8, v19, vcc
	s_waitcnt vmcnt(0)
	v_lshrrev_b16_e32 v19, 8, v9
	v_ashrrev_i32_sdwa v11, s0, sext(v11) dst_sel:DWORD dst_unused:UNUSED_PAD src0_sel:DWORD src1_sel:BYTE_0
	v_lshrrev_b16_sdwa v10, v10, sext(v9) dst_sel:DWORD dst_unused:UNUSED_PAD src0_sel:DWORD src1_sel:BYTE_0
	v_cndmask_b32_e32 v11, v11, v16, vcc
	v_ashrrev_i16_e32 v16, 15, v9
	v_ashrrev_i32_sdwa v9, s0, sext(v9) dst_sel:DWORD dst_unused:UNUSED_PAD src0_sel:DWORD src1_sel:BYTE_0
	v_ashrrev_i32_sdwa v19, s0, sext(v19) dst_sel:DWORD dst_unused:UNUSED_PAD src0_sel:DWORD src1_sel:BYTE_0
	v_cndmask_b32_e32 v9, v9, v10, vcc
	v_cndmask_b32_e32 v10, v19, v16, vcc
	v_lshlrev_b16_e32 v12, 8, v12
	s_add_u32 s0, s8, s33
	v_lshlrev_b16_e32 v10, 8, v10
	v_lshlrev_b16_e32 v11, 8, v11
	;; [unrolled: 1-line block ×7, first 2 shown]
	v_or_b32_sdwa v2, v2, v12 dst_sel:DWORD dst_unused:UNUSED_PAD src0_sel:BYTE_0 src1_sel:DWORD
	s_addc_u32 s1, s9, s2
	v_or_b32_sdwa v9, v9, v10 dst_sel:DWORD dst_unused:UNUSED_PAD src0_sel:BYTE_0 src1_sel:DWORD
	v_or_b32_sdwa v8, v8, v11 dst_sel:DWORD dst_unused:UNUSED_PAD src0_sel:BYTE_0 src1_sel:DWORD
	;; [unrolled: 1-line block ×7, first 2 shown]
	global_store_short v1, v2, s[0:1]
	global_store_short v1, v3, s[0:1] offset:512
	global_store_short v1, v4, s[0:1] offset:1024
	;; [unrolled: 1-line block ×7, first 2 shown]
	s_mov_b64 s[0:1], 0
.LBB155_2:
	s_andn2_b64 vcc, exec, s[0:1]
	s_cbranch_vccnz .LBB155_52
; %bb.3:
	v_cmp_gt_i32_e64 s[0:1], s38, v0
	v_or_b32_e32 v3, 0x100, v0
	v_mov_b32_e32 v20, 0
	v_or_b32_e32 v4, s33, v0
	v_mov_b32_e32 v19, 0
	v_mov_b32_e32 v18, 0
	;; [unrolled: 1-line block ×15, first 2 shown]
	s_and_saveexec_b64 s[2:3], s[0:1]
	s_cbranch_execz .LBB155_35
; %bb.4:
	global_load_ubyte v13, v4, s[10:11]
	v_cmp_gt_u32_e32 vcc, s38, v3
	v_mov_b32_e32 v11, 0
	v_mov_b32_e32 v12, 0
	;; [unrolled: 1-line block ×15, first 2 shown]
	s_and_saveexec_b64 s[4:5], vcc
	s_cbranch_execz .LBB155_34
; %bb.5:
	v_add_u32_e32 v1, s33, v0
	global_load_ubyte v11, v1, s[10:11] offset:256
	v_or_b32_e32 v2, 0x200, v0
	v_mov_b32_e32 v12, 0
	v_cmp_gt_u32_e32 vcc, s38, v2
	v_mov_b32_e32 v7, 0
	v_mov_b32_e32 v8, 0
	;; [unrolled: 1-line block ×13, first 2 shown]
	s_and_saveexec_b64 s[6:7], vcc
	s_cbranch_execz .LBB155_33
; %bb.6:
	v_mov_b32_e32 v2, s11
	v_add_co_u32_e32 v1, vcc, s10, v1
	v_addc_co_u32_e32 v2, vcc, 0, v2, vcc
	global_load_ubyte v12, v[1:2], off offset:512
	v_or_b32_e32 v5, 0x300, v0
	v_cmp_gt_u32_e32 vcc, s38, v5
	v_mov_b32_e32 v7, 0
	v_mov_b32_e32 v8, 0
	;; [unrolled: 1-line block ×13, first 2 shown]
	s_and_saveexec_b64 s[10:11], vcc
	s_cbranch_execz .LBB155_32
; %bb.7:
	global_load_ubyte v7, v[1:2], off offset:768
	v_or_b32_e32 v5, 0x400, v0
	v_cmp_gt_u32_e32 vcc, s38, v5
	v_mov_b32_e32 v8, 0
	v_mov_b32_e32 v9, 0
	;; [unrolled: 1-line block ×12, first 2 shown]
	s_and_saveexec_b64 s[12:13], vcc
	s_cbranch_execz .LBB155_31
; %bb.8:
	global_load_ubyte v8, v[1:2], off offset:1024
	v_or_b32_e32 v5, 0x500, v0
	v_cmp_gt_u32_e32 vcc, s38, v5
	v_mov_b32_e32 v9, 0
	v_mov_b32_e32 v5, 0
	;; [unrolled: 1-line block ×11, first 2 shown]
	s_and_saveexec_b64 s[14:15], vcc
	s_cbranch_execz .LBB155_30
; %bb.9:
	global_load_ubyte v9, v[1:2], off offset:1280
	v_or_b32_e32 v5, 0x600, v0
	v_cmp_gt_u32_e32 vcc, s38, v5
	v_mov_b32_e32 v5, 0
	v_mov_b32_e32 v6, 0
	;; [unrolled: 1-line block ×10, first 2 shown]
	s_and_saveexec_b64 s[16:17], vcc
	s_cbranch_execz .LBB155_29
; %bb.10:
	global_load_ubyte v5, v[1:2], off offset:1536
	v_or_b32_e32 v6, 0x700, v0
	v_cmp_gt_u32_e32 vcc, s38, v6
	v_mov_b32_e32 v6, 0
	v_mov_b32_e32 v10, 0
	;; [unrolled: 1-line block ×9, first 2 shown]
	s_and_saveexec_b64 s[18:19], vcc
	s_cbranch_execz .LBB155_28
; %bb.11:
	global_load_ubyte v6, v[1:2], off offset:1792
	v_or_b32_e32 v10, 0x800, v0
	v_cmp_gt_u32_e32 vcc, s38, v10
	v_mov_b32_e32 v10, 0
	v_mov_b32_e32 v14, 0
	;; [unrolled: 1-line block ×8, first 2 shown]
	s_and_saveexec_b64 s[20:21], vcc
	s_cbranch_execz .LBB155_27
; %bb.12:
	global_load_ubyte v10, v[1:2], off offset:2048
	v_or_b32_e32 v14, 0x900, v0
	v_cmp_gt_u32_e32 vcc, s38, v14
	v_mov_b32_e32 v14, 0
	v_mov_b32_e32 v15, 0
	;; [unrolled: 1-line block ×7, first 2 shown]
	s_and_saveexec_b64 s[22:23], vcc
	s_cbranch_execz .LBB155_26
; %bb.13:
	global_load_ubyte v14, v[1:2], off offset:2304
	v_or_b32_e32 v15, 0xa00, v0
	v_cmp_gt_u32_e32 vcc, s38, v15
	v_mov_b32_e32 v15, 0
	v_mov_b32_e32 v16, 0
	;; [unrolled: 1-line block ×6, first 2 shown]
	s_and_saveexec_b64 s[24:25], vcc
	s_cbranch_execz .LBB155_25
; %bb.14:
	global_load_ubyte v15, v[1:2], off offset:2560
	v_or_b32_e32 v16, 0xb00, v0
	v_cmp_gt_u32_e32 vcc, s38, v16
	v_mov_b32_e32 v16, 0
	v_mov_b32_e32 v17, 0
	;; [unrolled: 1-line block ×5, first 2 shown]
	s_and_saveexec_b64 s[26:27], vcc
	s_cbranch_execz .LBB155_24
; %bb.15:
	global_load_ubyte v16, v[1:2], off offset:2816
	v_or_b32_e32 v17, 0xc00, v0
	v_cmp_gt_u32_e32 vcc, s38, v17
	v_mov_b32_e32 v17, 0
	v_mov_b32_e32 v18, 0
	;; [unrolled: 1-line block ×4, first 2 shown]
	s_and_saveexec_b64 s[28:29], vcc
	s_cbranch_execz .LBB155_23
; %bb.16:
	global_load_ubyte v17, v[1:2], off offset:3072
	v_or_b32_e32 v18, 0xd00, v0
	v_cmp_gt_u32_e32 vcc, s38, v18
	v_mov_b32_e32 v18, 0
	v_mov_b32_e32 v19, 0
	;; [unrolled: 1-line block ×3, first 2 shown]
	s_and_saveexec_b64 s[30:31], vcc
	s_cbranch_execz .LBB155_22
; %bb.17:
	global_load_ubyte v18, v[1:2], off offset:3328
	v_or_b32_e32 v19, 0xe00, v0
	v_cmp_gt_u32_e32 vcc, s38, v19
	v_mov_b32_e32 v19, 0
	v_mov_b32_e32 v20, 0
	s_and_saveexec_b64 s[34:35], vcc
	s_cbranch_execz .LBB155_21
; %bb.18:
	global_load_ubyte v19, v[1:2], off offset:3584
	v_or_b32_e32 v20, 0xf00, v0
	v_cmp_gt_u32_e32 vcc, s38, v20
	v_mov_b32_e32 v20, 0
	s_and_saveexec_b64 s[36:37], vcc
	s_cbranch_execz .LBB155_20
; %bb.19:
	global_load_ubyte v20, v[1:2], off offset:3840
.LBB155_20:
	s_or_b64 exec, exec, s[36:37]
.LBB155_21:
	s_or_b64 exec, exec, s[34:35]
.LBB155_22:
	s_or_b64 exec, exec, s[30:31]
.LBB155_23:
	s_or_b64 exec, exec, s[28:29]
.LBB155_24:
	s_or_b64 exec, exec, s[26:27]
.LBB155_25:
	s_or_b64 exec, exec, s[24:25]
.LBB155_26:
	s_or_b64 exec, exec, s[22:23]
.LBB155_27:
	s_or_b64 exec, exec, s[20:21]
.LBB155_28:
	s_or_b64 exec, exec, s[18:19]
.LBB155_29:
	s_or_b64 exec, exec, s[16:17]
.LBB155_30:
	s_or_b64 exec, exec, s[14:15]
.LBB155_31:
	s_or_b64 exec, exec, s[12:13]
.LBB155_32:
	s_or_b64 exec, exec, s[10:11]
.LBB155_33:
	s_or_b64 exec, exec, s[6:7]
.LBB155_34:
	s_or_b64 exec, exec, s[4:5]
.LBB155_35:
	s_or_b64 exec, exec, s[2:3]
	s_cmp_gt_u32 s39, 6
	v_mov_b32_e32 v1, 7
	s_cselect_b64 vcc, -1, 0
	s_and_b32 s5, 0xffff, s39
	s_waitcnt vmcnt(0)
	v_lshrrev_b16_sdwa v2, v1, sext(v13) dst_sel:DWORD dst_unused:UNUSED_PAD src0_sel:DWORD src1_sel:BYTE_0
	v_ashrrev_i32_sdwa v13, s5, sext(v13) dst_sel:DWORD dst_unused:UNUSED_PAD src0_sel:DWORD src1_sel:BYTE_0
	s_mov_b32 s4, 0xffff
	v_cndmask_b32_e32 v2, v13, v2, vcc
	v_lshrrev_b16_sdwa v13, v1, sext(v11) dst_sel:DWORD dst_unused:UNUSED_PAD src0_sel:DWORD src1_sel:BYTE_0
	v_ashrrev_i32_sdwa v11, s5, sext(v11) dst_sel:DWORD dst_unused:UNUSED_PAD src0_sel:DWORD src1_sel:BYTE_0
	v_and_b32_sdwa v2, s4, v2 dst_sel:DWORD dst_unused:UNUSED_PAD src0_sel:DWORD src1_sel:BYTE_0
	v_cndmask_b32_e32 v11, v11, v13, vcc
	v_cndmask_b32_e64 v2, 0, v2, s[0:1]
	v_lshlrev_b16_e32 v11, 8, v11
	v_or_b32_e32 v11, v2, v11
	v_and_b32_e32 v11, 0xffff, v11
	v_cmp_gt_i32_e64 s[2:3], s38, v3
	v_lshrrev_b16_sdwa v13, v1, sext(v12) dst_sel:DWORD dst_unused:UNUSED_PAD src0_sel:DWORD src1_sel:BYTE_0
	v_ashrrev_i32_sdwa v12, s5, sext(v12) dst_sel:DWORD dst_unused:UNUSED_PAD src0_sel:DWORD src1_sel:BYTE_0
	v_cndmask_b32_e64 v2, v2, v11, s[2:3]
	v_cndmask_b32_e32 v12, v12, v13, vcc
	s_mov_b32 s7, 0xc0c0304
	v_or_b32_e32 v11, 0x200, v0
	v_perm_b32 v12, v12, v2, s7
	v_lshl_or_b32 v12, v12, 16, v2
	v_cmp_gt_i32_e64 s[2:3], s38, v11
	v_lshrrev_b16_sdwa v13, v1, sext(v7) dst_sel:DWORD dst_unused:UNUSED_PAD src0_sel:DWORD src1_sel:BYTE_0
	v_ashrrev_i32_sdwa v7, s5, sext(v7) dst_sel:DWORD dst_unused:UNUSED_PAD src0_sel:DWORD src1_sel:BYTE_0
	s_movk_i32 s6, 0xff
	v_cndmask_b32_e64 v2, v2, v12, s[2:3]
	v_cndmask_b32_e32 v7, v7, v13, vcc
	v_and_b32_sdwa v11, v2, s6 dst_sel:DWORD dst_unused:UNUSED_PAD src0_sel:WORD_1 src1_sel:DWORD
	v_lshlrev_b16_e32 v7, 8, v7
	v_or_b32_e32 v12, 0x300, v0
	v_or_b32_sdwa v7, v11, v7 dst_sel:WORD_1 dst_unused:UNUSED_PAD src0_sel:DWORD src1_sel:DWORD
	v_and_or_b32 v7, v2, s4, v7
	v_cmp_gt_i32_e64 s[2:3], s38, v12
	v_cndmask_b32_e64 v7, v2, v7, s[2:3]
	v_lshrrev_b16_sdwa v2, v1, sext(v8) dst_sel:DWORD dst_unused:UNUSED_PAD src0_sel:DWORD src1_sel:BYTE_0
	v_ashrrev_i32_sdwa v8, s5, sext(v8) dst_sel:DWORD dst_unused:UNUSED_PAD src0_sel:DWORD src1_sel:BYTE_0
	v_cndmask_b32_e32 v2, v8, v2, vcc
	v_or_b32_e32 v8, 0x400, v0
	s_mov_b32 s10, 0x3020104
	v_cmp_gt_i32_e64 s[2:3], s38, v8
	v_lshrrev_b16_sdwa v8, v1, sext(v9) dst_sel:DWORD dst_unused:UNUSED_PAD src0_sel:DWORD src1_sel:BYTE_0
	v_ashrrev_i32_sdwa v9, s5, sext(v9) dst_sel:DWORD dst_unused:UNUSED_PAD src0_sel:DWORD src1_sel:BYTE_0
	v_perm_b32 v2, v2, 0, s10
	v_cndmask_b32_e32 v8, v9, v8, vcc
	v_cndmask_b32_e64 v2, 0, v2, s[2:3]
	v_lshlrev_b16_e32 v8, 8, v8
	v_or_b32_sdwa v8, v2, v8 dst_sel:DWORD dst_unused:UNUSED_PAD src0_sel:BYTE_0 src1_sel:DWORD
	v_and_b32_e32 v8, 0xffff, v8
	s_mov_b32 s11, 0xffff0000
	v_or_b32_e32 v9, 0x500, v0
	v_and_or_b32 v8, v2, s11, v8
	v_cmp_gt_i32_e64 s[2:3], s38, v9
	v_lshrrev_b16_sdwa v9, v1, sext(v5) dst_sel:DWORD dst_unused:UNUSED_PAD src0_sel:DWORD src1_sel:BYTE_0
	v_ashrrev_i32_sdwa v5, s5, sext(v5) dst_sel:DWORD dst_unused:UNUSED_PAD src0_sel:DWORD src1_sel:BYTE_0
	v_cndmask_b32_e64 v2, v2, v8, s[2:3]
	v_or_b32_e32 v8, 0x600, v0
	v_cndmask_b32_e32 v5, v5, v9, vcc
	s_mov_b32 s12, 0x7000504
	v_perm_b32 v5, v2, v5, s12
	v_cmp_gt_i32_e64 s[2:3], s38, v8
	v_lshrrev_b16_sdwa v9, v1, sext(v6) dst_sel:DWORD dst_unused:UNUSED_PAD src0_sel:DWORD src1_sel:BYTE_0
	v_ashrrev_i32_sdwa v6, s5, sext(v6) dst_sel:DWORD dst_unused:UNUSED_PAD src0_sel:DWORD src1_sel:BYTE_0
	v_cndmask_b32_e64 v2, v2, v5, s[2:3]
	v_cndmask_b32_e32 v6, v6, v9, vcc
	v_and_b32_sdwa v5, v2, s6 dst_sel:DWORD dst_unused:UNUSED_PAD src0_sel:WORD_1 src1_sel:DWORD
	v_lshlrev_b16_e32 v6, 8, v6
	v_or_b32_e32 v8, 0x700, v0
	v_or_b32_sdwa v5, v5, v6 dst_sel:WORD_1 dst_unused:UNUSED_PAD src0_sel:DWORD src1_sel:DWORD
	v_and_or_b32 v5, v2, s4, v5
	v_cmp_gt_i32_e64 s[2:3], s38, v8
	v_lshrrev_b16_sdwa v6, v1, sext(v10) dst_sel:DWORD dst_unused:UNUSED_PAD src0_sel:DWORD src1_sel:BYTE_0
	v_ashrrev_i32_sdwa v8, s5, sext(v10) dst_sel:DWORD dst_unused:UNUSED_PAD src0_sel:DWORD src1_sel:BYTE_0
	v_cndmask_b32_e64 v5, v2, v5, s[2:3]
	v_or_b32_e32 v2, 0x800, v0
	v_cndmask_b32_e32 v6, v8, v6, vcc
	v_lshrrev_b16_sdwa v8, v1, sext(v14) dst_sel:DWORD dst_unused:UNUSED_PAD src0_sel:DWORD src1_sel:BYTE_0
	v_ashrrev_i32_sdwa v9, s5, sext(v14) dst_sel:DWORD dst_unused:UNUSED_PAD src0_sel:DWORD src1_sel:BYTE_0
	v_and_b32_sdwa v6, s4, v6 dst_sel:DWORD dst_unused:UNUSED_PAD src0_sel:DWORD src1_sel:BYTE_0
	v_cmp_gt_i32_e64 s[2:3], s38, v2
	v_cndmask_b32_e32 v8, v9, v8, vcc
	v_cndmask_b32_e64 v2, 0, v6, s[2:3]
	v_lshlrev_b16_e32 v8, 8, v8
	v_or_b32_e32 v6, 0x900, v0
	v_or_b32_e32 v8, v2, v8
	v_and_b32_e32 v8, 0xffff, v8
	v_cmp_gt_i32_e64 s[2:3], s38, v6
	v_cndmask_b32_e64 v2, v2, v8, s[2:3]
	v_lshrrev_b16_sdwa v8, v1, sext(v15) dst_sel:DWORD dst_unused:UNUSED_PAD src0_sel:DWORD src1_sel:BYTE_0
	v_ashrrev_i32_sdwa v9, s5, sext(v15) dst_sel:DWORD dst_unused:UNUSED_PAD src0_sel:DWORD src1_sel:BYTE_0
	v_cndmask_b32_e32 v8, v9, v8, vcc
	v_or_b32_e32 v6, 0xa00, v0
	v_perm_b32 v8, v8, v2, s7
	v_lshl_or_b32 v8, v8, 16, v2
	v_cmp_gt_i32_e64 s[2:3], s38, v6
	v_lshrrev_b16_sdwa v9, v1, sext(v16) dst_sel:DWORD dst_unused:UNUSED_PAD src0_sel:DWORD src1_sel:BYTE_0
	v_ashrrev_i32_sdwa v10, s5, sext(v16) dst_sel:DWORD dst_unused:UNUSED_PAD src0_sel:DWORD src1_sel:BYTE_0
	v_cndmask_b32_e64 v2, v2, v8, s[2:3]
	v_cndmask_b32_e32 v9, v10, v9, vcc
	v_and_b32_sdwa v6, v2, s6 dst_sel:DWORD dst_unused:UNUSED_PAD src0_sel:WORD_1 src1_sel:DWORD
	v_lshlrev_b16_e32 v9, 8, v9
	v_or_b32_e32 v8, 0xb00, v0
	v_or_b32_sdwa v6, v6, v9 dst_sel:WORD_1 dst_unused:UNUSED_PAD src0_sel:DWORD src1_sel:DWORD
	v_and_or_b32 v6, v2, s4, v6
	v_cmp_gt_i32_e64 s[2:3], s38, v8
	v_cndmask_b32_e64 v2, v2, v6, s[2:3]
	v_lshrrev_b16_sdwa v6, v1, sext(v17) dst_sel:DWORD dst_unused:UNUSED_PAD src0_sel:DWORD src1_sel:BYTE_0
	v_ashrrev_i32_sdwa v8, s5, sext(v17) dst_sel:DWORD dst_unused:UNUSED_PAD src0_sel:DWORD src1_sel:BYTE_0
	v_cndmask_b32_e32 v6, v8, v6, vcc
	v_or_b32_e32 v8, 0xc00, v0
	v_cmp_gt_i32_e64 s[2:3], s38, v8
	v_lshrrev_b16_sdwa v8, v1, sext(v18) dst_sel:DWORD dst_unused:UNUSED_PAD src0_sel:DWORD src1_sel:BYTE_0
	v_ashrrev_i32_sdwa v9, s5, sext(v18) dst_sel:DWORD dst_unused:UNUSED_PAD src0_sel:DWORD src1_sel:BYTE_0
	v_perm_b32 v6, v6, 0, s10
	v_cndmask_b32_e32 v8, v9, v8, vcc
	v_cndmask_b32_e64 v6, 0, v6, s[2:3]
	v_lshlrev_b16_e32 v8, 8, v8
	v_or_b32_sdwa v8, v6, v8 dst_sel:DWORD dst_unused:UNUSED_PAD src0_sel:BYTE_0 src1_sel:DWORD
	v_and_b32_e32 v8, 0xffff, v8
	v_or_b32_e32 v9, 0xd00, v0
	v_and_or_b32 v8, v6, s11, v8
	v_cmp_gt_i32_e64 s[2:3], s38, v9
	v_lshrrev_b16_sdwa v9, v1, sext(v19) dst_sel:DWORD dst_unused:UNUSED_PAD src0_sel:DWORD src1_sel:BYTE_0
	v_ashrrev_i32_sdwa v10, s5, sext(v19) dst_sel:DWORD dst_unused:UNUSED_PAD src0_sel:DWORD src1_sel:BYTE_0
	v_cndmask_b32_e64 v6, v6, v8, s[2:3]
	v_or_b32_e32 v8, 0xe00, v0
	v_cndmask_b32_e32 v9, v10, v9, vcc
	v_perm_b32 v9, v6, v9, s12
	v_cmp_gt_i32_e64 s[2:3], s38, v8
	v_cndmask_b32_e64 v6, v6, v9, s[2:3]
	v_lshrrev_b16_sdwa v1, v1, sext(v20) dst_sel:DWORD dst_unused:UNUSED_PAD src0_sel:DWORD src1_sel:BYTE_0
	v_ashrrev_i32_sdwa v10, s5, sext(v20) dst_sel:DWORD dst_unused:UNUSED_PAD src0_sel:DWORD src1_sel:BYTE_0
	v_and_b32_sdwa v8, v6, s6 dst_sel:DWORD dst_unused:UNUSED_PAD src0_sel:WORD_1 src1_sel:DWORD
	v_cndmask_b32_sdwa v1, v10, v1, vcc dst_sel:BYTE_1 dst_unused:UNUSED_PAD src0_sel:DWORD src1_sel:DWORD
	v_or_b32_e32 v9, 0xf00, v0
	v_or_b32_sdwa v1, v8, v1 dst_sel:WORD_1 dst_unused:UNUSED_PAD src0_sel:DWORD src1_sel:DWORD
	v_and_or_b32 v1, v6, s4, v1
	v_cmp_gt_i32_e32 vcc, s38, v9
	v_cndmask_b32_e32 v1, v6, v1, vcc
	s_and_saveexec_b64 s[2:3], s[0:1]
	s_cbranch_execnz .LBB155_53
; %bb.36:
	s_or_b64 exec, exec, s[2:3]
	v_cmp_gt_i32_e32 vcc, s38, v0
	s_and_saveexec_b64 s[0:1], vcc
	s_cbranch_execnz .LBB155_54
.LBB155_37:
	s_or_b64 exec, exec, s[0:1]
	v_cmp_gt_i32_e32 vcc, s38, v0
	s_and_saveexec_b64 s[0:1], vcc
	s_cbranch_execnz .LBB155_55
.LBB155_38:
	s_or_b64 exec, exec, s[0:1]
	v_cmp_gt_i32_e32 vcc, s38, v0
	s_and_saveexec_b64 s[0:1], vcc
	s_cbranch_execnz .LBB155_56
.LBB155_39:
	s_or_b64 exec, exec, s[0:1]
	v_cmp_gt_i32_e32 vcc, s38, v0
	s_and_saveexec_b64 s[0:1], vcc
	s_cbranch_execnz .LBB155_57
.LBB155_40:
	s_or_b64 exec, exec, s[0:1]
	v_cmp_gt_i32_e32 vcc, s38, v0
	s_and_saveexec_b64 s[0:1], vcc
	s_cbranch_execnz .LBB155_58
.LBB155_41:
	s_or_b64 exec, exec, s[0:1]
	v_cmp_gt_i32_e32 vcc, s38, v0
	s_and_saveexec_b64 s[0:1], vcc
	s_cbranch_execnz .LBB155_59
.LBB155_42:
	s_or_b64 exec, exec, s[0:1]
	v_cmp_gt_i32_e32 vcc, s38, v0
	s_and_saveexec_b64 s[0:1], vcc
	s_cbranch_execnz .LBB155_60
.LBB155_43:
	s_or_b64 exec, exec, s[0:1]
	v_cmp_gt_i32_e32 vcc, s38, v0
	s_and_saveexec_b64 s[0:1], vcc
	s_cbranch_execnz .LBB155_61
.LBB155_44:
	s_or_b64 exec, exec, s[0:1]
	v_cmp_gt_i32_e32 vcc, s38, v0
	s_and_saveexec_b64 s[0:1], vcc
	s_cbranch_execnz .LBB155_62
.LBB155_45:
	s_or_b64 exec, exec, s[0:1]
	v_cmp_gt_i32_e32 vcc, s38, v0
	s_and_saveexec_b64 s[0:1], vcc
	s_cbranch_execnz .LBB155_63
.LBB155_46:
	s_or_b64 exec, exec, s[0:1]
	v_cmp_gt_i32_e32 vcc, s38, v0
	s_and_saveexec_b64 s[0:1], vcc
	s_cbranch_execnz .LBB155_64
.LBB155_47:
	s_or_b64 exec, exec, s[0:1]
	v_cmp_gt_i32_e32 vcc, s38, v0
	s_and_saveexec_b64 s[0:1], vcc
	s_cbranch_execnz .LBB155_65
.LBB155_48:
	s_or_b64 exec, exec, s[0:1]
	v_cmp_gt_i32_e32 vcc, s38, v0
	s_and_saveexec_b64 s[0:1], vcc
	s_cbranch_execnz .LBB155_66
.LBB155_49:
	s_or_b64 exec, exec, s[0:1]
	v_cmp_gt_i32_e32 vcc, s38, v0
	s_and_saveexec_b64 s[0:1], vcc
	s_cbranch_execnz .LBB155_67
.LBB155_50:
	s_or_b64 exec, exec, s[0:1]
	v_cmp_gt_i32_e32 vcc, s38, v0
	s_and_saveexec_b64 s[0:1], vcc
	s_cbranch_execz .LBB155_52
.LBB155_51:
	v_lshrrev_b32_e32 v1, 24, v1
	v_add_u32_e32 v0, s33, v0
	global_store_byte v0, v1, s[8:9]
.LBB155_52:
	s_endpgm
.LBB155_53:
	v_mov_b32_e32 v0, v3
	global_store_byte v4, v7, s[8:9]
	s_or_b64 exec, exec, s[2:3]
	v_cmp_gt_i32_e32 vcc, s38, v0
	s_and_saveexec_b64 s[0:1], vcc
	s_cbranch_execz .LBB155_37
.LBB155_54:
	v_lshrrev_b32_e32 v3, 8, v7
	v_add_u32_e32 v4, s33, v0
	v_add_u32_e32 v0, 0x100, v0
	global_store_byte v4, v3, s[8:9]
	s_or_b64 exec, exec, s[0:1]
	v_cmp_gt_i32_e32 vcc, s38, v0
	s_and_saveexec_b64 s[0:1], vcc
	s_cbranch_execz .LBB155_38
.LBB155_55:
	v_add_u32_e32 v3, s33, v0
	v_add_u32_e32 v0, 0x100, v0
	global_store_byte_d16_hi v3, v7, s[8:9]
	s_or_b64 exec, exec, s[0:1]
	v_cmp_gt_i32_e32 vcc, s38, v0
	s_and_saveexec_b64 s[0:1], vcc
	s_cbranch_execz .LBB155_39
.LBB155_56:
	v_lshrrev_b32_e32 v3, 24, v7
	v_add_u32_e32 v4, s33, v0
	v_add_u32_e32 v0, 0x100, v0
	global_store_byte v4, v3, s[8:9]
	s_or_b64 exec, exec, s[0:1]
	v_cmp_gt_i32_e32 vcc, s38, v0
	s_and_saveexec_b64 s[0:1], vcc
	s_cbranch_execz .LBB155_40
.LBB155_57:
	v_add_u32_e32 v3, s33, v0
	v_add_u32_e32 v0, 0x100, v0
	global_store_byte v3, v5, s[8:9]
	s_or_b64 exec, exec, s[0:1]
	v_cmp_gt_i32_e32 vcc, s38, v0
	s_and_saveexec_b64 s[0:1], vcc
	s_cbranch_execz .LBB155_41
.LBB155_58:
	v_lshrrev_b32_e32 v3, 8, v5
	v_add_u32_e32 v4, s33, v0
	v_add_u32_e32 v0, 0x100, v0
	global_store_byte v4, v3, s[8:9]
	s_or_b64 exec, exec, s[0:1]
	v_cmp_gt_i32_e32 vcc, s38, v0
	s_and_saveexec_b64 s[0:1], vcc
	s_cbranch_execz .LBB155_42
.LBB155_59:
	v_add_u32_e32 v3, s33, v0
	v_add_u32_e32 v0, 0x100, v0
	global_store_byte_d16_hi v3, v5, s[8:9]
	s_or_b64 exec, exec, s[0:1]
	v_cmp_gt_i32_e32 vcc, s38, v0
	s_and_saveexec_b64 s[0:1], vcc
	s_cbranch_execz .LBB155_43
.LBB155_60:
	v_lshrrev_b32_e32 v3, 24, v5
	v_add_u32_e32 v4, s33, v0
	v_add_u32_e32 v0, 0x100, v0
	global_store_byte v4, v3, s[8:9]
	s_or_b64 exec, exec, s[0:1]
	v_cmp_gt_i32_e32 vcc, s38, v0
	s_and_saveexec_b64 s[0:1], vcc
	s_cbranch_execz .LBB155_44
.LBB155_61:
	v_add_u32_e32 v3, s33, v0
	v_add_u32_e32 v0, 0x100, v0
	global_store_byte v3, v2, s[8:9]
	s_or_b64 exec, exec, s[0:1]
	v_cmp_gt_i32_e32 vcc, s38, v0
	s_and_saveexec_b64 s[0:1], vcc
	s_cbranch_execz .LBB155_45
.LBB155_62:
	v_lshrrev_b32_e32 v3, 8, v2
	v_add_u32_e32 v4, s33, v0
	v_add_u32_e32 v0, 0x100, v0
	global_store_byte v4, v3, s[8:9]
	s_or_b64 exec, exec, s[0:1]
	v_cmp_gt_i32_e32 vcc, s38, v0
	s_and_saveexec_b64 s[0:1], vcc
	s_cbranch_execz .LBB155_46
.LBB155_63:
	v_add_u32_e32 v3, s33, v0
	v_add_u32_e32 v0, 0x100, v0
	global_store_byte_d16_hi v3, v2, s[8:9]
	s_or_b64 exec, exec, s[0:1]
	v_cmp_gt_i32_e32 vcc, s38, v0
	s_and_saveexec_b64 s[0:1], vcc
	s_cbranch_execz .LBB155_47
.LBB155_64:
	v_lshrrev_b32_e32 v2, 24, v2
	v_add_u32_e32 v3, s33, v0
	v_add_u32_e32 v0, 0x100, v0
	global_store_byte v3, v2, s[8:9]
	s_or_b64 exec, exec, s[0:1]
	v_cmp_gt_i32_e32 vcc, s38, v0
	s_and_saveexec_b64 s[0:1], vcc
	s_cbranch_execz .LBB155_48
.LBB155_65:
	v_add_u32_e32 v2, s33, v0
	v_add_u32_e32 v0, 0x100, v0
	global_store_byte v2, v1, s[8:9]
	s_or_b64 exec, exec, s[0:1]
	v_cmp_gt_i32_e32 vcc, s38, v0
	s_and_saveexec_b64 s[0:1], vcc
	s_cbranch_execz .LBB155_49
.LBB155_66:
	v_lshrrev_b32_e32 v2, 8, v1
	v_add_u32_e32 v3, s33, v0
	v_add_u32_e32 v0, 0x100, v0
	global_store_byte v3, v2, s[8:9]
	s_or_b64 exec, exec, s[0:1]
	v_cmp_gt_i32_e32 vcc, s38, v0
	s_and_saveexec_b64 s[0:1], vcc
	s_cbranch_execz .LBB155_50
.LBB155_67:
	v_add_u32_e32 v2, s33, v0
	v_add_u32_e32 v0, 0x100, v0
	global_store_byte_d16_hi v2, v1, s[8:9]
	s_or_b64 exec, exec, s[0:1]
	v_cmp_gt_i32_e32 vcc, s38, v0
	s_and_saveexec_b64 s[0:1], vcc
	s_cbranch_execnz .LBB155_51
	s_branch .LBB155_52
	.section	.rodata,"a",@progbits
	.p2align	6, 0x0
	.amdhsa_kernel _ZN2at6native29vectorized_elementwise_kernelILi2ENS0_13BUnaryFunctorIaaaZZZNS0_18rshift_kernel_cudaERNS_18TensorIteratorBaseEENKUlvE_clEvENKUlvE0_clEvEUlaaE_EESt5arrayIPcLm2EEEEviT0_T1_
		.amdhsa_group_segment_fixed_size 0
		.amdhsa_private_segment_fixed_size 0
		.amdhsa_kernarg_size 24
		.amdhsa_user_sgpr_count 6
		.amdhsa_user_sgpr_private_segment_buffer 1
		.amdhsa_user_sgpr_dispatch_ptr 0
		.amdhsa_user_sgpr_queue_ptr 0
		.amdhsa_user_sgpr_kernarg_segment_ptr 1
		.amdhsa_user_sgpr_dispatch_id 0
		.amdhsa_user_sgpr_flat_scratch_init 0
		.amdhsa_user_sgpr_private_segment_size 0
		.amdhsa_uses_dynamic_stack 0
		.amdhsa_system_sgpr_private_segment_wavefront_offset 0
		.amdhsa_system_sgpr_workgroup_id_x 1
		.amdhsa_system_sgpr_workgroup_id_y 0
		.amdhsa_system_sgpr_workgroup_id_z 0
		.amdhsa_system_sgpr_workgroup_info 0
		.amdhsa_system_vgpr_workitem_id 0
		.amdhsa_next_free_vgpr 21
		.amdhsa_next_free_sgpr 40
		.amdhsa_reserve_vcc 1
		.amdhsa_reserve_flat_scratch 0
		.amdhsa_float_round_mode_32 0
		.amdhsa_float_round_mode_16_64 0
		.amdhsa_float_denorm_mode_32 3
		.amdhsa_float_denorm_mode_16_64 3
		.amdhsa_dx10_clamp 1
		.amdhsa_ieee_mode 1
		.amdhsa_fp16_overflow 0
		.amdhsa_exception_fp_ieee_invalid_op 0
		.amdhsa_exception_fp_denorm_src 0
		.amdhsa_exception_fp_ieee_div_zero 0
		.amdhsa_exception_fp_ieee_overflow 0
		.amdhsa_exception_fp_ieee_underflow 0
		.amdhsa_exception_fp_ieee_inexact 0
		.amdhsa_exception_int_div_zero 0
	.end_amdhsa_kernel
	.section	.text._ZN2at6native29vectorized_elementwise_kernelILi2ENS0_13BUnaryFunctorIaaaZZZNS0_18rshift_kernel_cudaERNS_18TensorIteratorBaseEENKUlvE_clEvENKUlvE0_clEvEUlaaE_EESt5arrayIPcLm2EEEEviT0_T1_,"axG",@progbits,_ZN2at6native29vectorized_elementwise_kernelILi2ENS0_13BUnaryFunctorIaaaZZZNS0_18rshift_kernel_cudaERNS_18TensorIteratorBaseEENKUlvE_clEvENKUlvE0_clEvEUlaaE_EESt5arrayIPcLm2EEEEviT0_T1_,comdat
.Lfunc_end155:
	.size	_ZN2at6native29vectorized_elementwise_kernelILi2ENS0_13BUnaryFunctorIaaaZZZNS0_18rshift_kernel_cudaERNS_18TensorIteratorBaseEENKUlvE_clEvENKUlvE0_clEvEUlaaE_EESt5arrayIPcLm2EEEEviT0_T1_, .Lfunc_end155-_ZN2at6native29vectorized_elementwise_kernelILi2ENS0_13BUnaryFunctorIaaaZZZNS0_18rshift_kernel_cudaERNS_18TensorIteratorBaseEENKUlvE_clEvENKUlvE0_clEvEUlaaE_EESt5arrayIPcLm2EEEEviT0_T1_
                                        ; -- End function
	.set _ZN2at6native29vectorized_elementwise_kernelILi2ENS0_13BUnaryFunctorIaaaZZZNS0_18rshift_kernel_cudaERNS_18TensorIteratorBaseEENKUlvE_clEvENKUlvE0_clEvEUlaaE_EESt5arrayIPcLm2EEEEviT0_T1_.num_vgpr, 21
	.set _ZN2at6native29vectorized_elementwise_kernelILi2ENS0_13BUnaryFunctorIaaaZZZNS0_18rshift_kernel_cudaERNS_18TensorIteratorBaseEENKUlvE_clEvENKUlvE0_clEvEUlaaE_EESt5arrayIPcLm2EEEEviT0_T1_.num_agpr, 0
	.set _ZN2at6native29vectorized_elementwise_kernelILi2ENS0_13BUnaryFunctorIaaaZZZNS0_18rshift_kernel_cudaERNS_18TensorIteratorBaseEENKUlvE_clEvENKUlvE0_clEvEUlaaE_EESt5arrayIPcLm2EEEEviT0_T1_.numbered_sgpr, 40
	.set _ZN2at6native29vectorized_elementwise_kernelILi2ENS0_13BUnaryFunctorIaaaZZZNS0_18rshift_kernel_cudaERNS_18TensorIteratorBaseEENKUlvE_clEvENKUlvE0_clEvEUlaaE_EESt5arrayIPcLm2EEEEviT0_T1_.num_named_barrier, 0
	.set _ZN2at6native29vectorized_elementwise_kernelILi2ENS0_13BUnaryFunctorIaaaZZZNS0_18rshift_kernel_cudaERNS_18TensorIteratorBaseEENKUlvE_clEvENKUlvE0_clEvEUlaaE_EESt5arrayIPcLm2EEEEviT0_T1_.private_seg_size, 0
	.set _ZN2at6native29vectorized_elementwise_kernelILi2ENS0_13BUnaryFunctorIaaaZZZNS0_18rshift_kernel_cudaERNS_18TensorIteratorBaseEENKUlvE_clEvENKUlvE0_clEvEUlaaE_EESt5arrayIPcLm2EEEEviT0_T1_.uses_vcc, 1
	.set _ZN2at6native29vectorized_elementwise_kernelILi2ENS0_13BUnaryFunctorIaaaZZZNS0_18rshift_kernel_cudaERNS_18TensorIteratorBaseEENKUlvE_clEvENKUlvE0_clEvEUlaaE_EESt5arrayIPcLm2EEEEviT0_T1_.uses_flat_scratch, 0
	.set _ZN2at6native29vectorized_elementwise_kernelILi2ENS0_13BUnaryFunctorIaaaZZZNS0_18rshift_kernel_cudaERNS_18TensorIteratorBaseEENKUlvE_clEvENKUlvE0_clEvEUlaaE_EESt5arrayIPcLm2EEEEviT0_T1_.has_dyn_sized_stack, 0
	.set _ZN2at6native29vectorized_elementwise_kernelILi2ENS0_13BUnaryFunctorIaaaZZZNS0_18rshift_kernel_cudaERNS_18TensorIteratorBaseEENKUlvE_clEvENKUlvE0_clEvEUlaaE_EESt5arrayIPcLm2EEEEviT0_T1_.has_recursion, 0
	.set _ZN2at6native29vectorized_elementwise_kernelILi2ENS0_13BUnaryFunctorIaaaZZZNS0_18rshift_kernel_cudaERNS_18TensorIteratorBaseEENKUlvE_clEvENKUlvE0_clEvEUlaaE_EESt5arrayIPcLm2EEEEviT0_T1_.has_indirect_call, 0
	.section	.AMDGPU.csdata,"",@progbits
; Kernel info:
; codeLenInByte = 3628
; TotalNumSgprs: 44
; NumVgprs: 21
; ScratchSize: 0
; MemoryBound: 0
; FloatMode: 240
; IeeeMode: 1
; LDSByteSize: 0 bytes/workgroup (compile time only)
; SGPRBlocks: 5
; VGPRBlocks: 5
; NumSGPRsForWavesPerEU: 44
; NumVGPRsForWavesPerEU: 21
; Occupancy: 10
; WaveLimiterHint : 1
; COMPUTE_PGM_RSRC2:SCRATCH_EN: 0
; COMPUTE_PGM_RSRC2:USER_SGPR: 6
; COMPUTE_PGM_RSRC2:TRAP_HANDLER: 0
; COMPUTE_PGM_RSRC2:TGID_X_EN: 1
; COMPUTE_PGM_RSRC2:TGID_Y_EN: 0
; COMPUTE_PGM_RSRC2:TGID_Z_EN: 0
; COMPUTE_PGM_RSRC2:TIDIG_COMP_CNT: 0
	.section	.text._ZN2at6native27unrolled_elementwise_kernelINS0_13BUnaryFunctorIaaaZZZNS0_18rshift_kernel_cudaERNS_18TensorIteratorBaseEENKUlvE_clEvENKUlvE0_clEvEUlaaE_EESt5arrayIPcLm2EELi4E23TrivialOffsetCalculatorILi1EjESD_NS0_6memory15LoadWithoutCastENSE_16StoreWithoutCastEEEviT_T0_T2_T3_T4_T5_,"axG",@progbits,_ZN2at6native27unrolled_elementwise_kernelINS0_13BUnaryFunctorIaaaZZZNS0_18rshift_kernel_cudaERNS_18TensorIteratorBaseEENKUlvE_clEvENKUlvE0_clEvEUlaaE_EESt5arrayIPcLm2EELi4E23TrivialOffsetCalculatorILi1EjESD_NS0_6memory15LoadWithoutCastENSE_16StoreWithoutCastEEEviT_T0_T2_T3_T4_T5_,comdat
	.globl	_ZN2at6native27unrolled_elementwise_kernelINS0_13BUnaryFunctorIaaaZZZNS0_18rshift_kernel_cudaERNS_18TensorIteratorBaseEENKUlvE_clEvENKUlvE0_clEvEUlaaE_EESt5arrayIPcLm2EELi4E23TrivialOffsetCalculatorILi1EjESD_NS0_6memory15LoadWithoutCastENSE_16StoreWithoutCastEEEviT_T0_T2_T3_T4_T5_ ; -- Begin function _ZN2at6native27unrolled_elementwise_kernelINS0_13BUnaryFunctorIaaaZZZNS0_18rshift_kernel_cudaERNS_18TensorIteratorBaseEENKUlvE_clEvENKUlvE0_clEvEUlaaE_EESt5arrayIPcLm2EELi4E23TrivialOffsetCalculatorILi1EjESD_NS0_6memory15LoadWithoutCastENSE_16StoreWithoutCastEEEviT_T0_T2_T3_T4_T5_
	.p2align	8
	.type	_ZN2at6native27unrolled_elementwise_kernelINS0_13BUnaryFunctorIaaaZZZNS0_18rshift_kernel_cudaERNS_18TensorIteratorBaseEENKUlvE_clEvENKUlvE0_clEvEUlaaE_EESt5arrayIPcLm2EELi4E23TrivialOffsetCalculatorILi1EjESD_NS0_6memory15LoadWithoutCastENSE_16StoreWithoutCastEEEviT_T0_T2_T3_T4_T5_,@function
_ZN2at6native27unrolled_elementwise_kernelINS0_13BUnaryFunctorIaaaZZZNS0_18rshift_kernel_cudaERNS_18TensorIteratorBaseEENKUlvE_clEvENKUlvE0_clEvEUlaaE_EESt5arrayIPcLm2EELi4E23TrivialOffsetCalculatorILi1EjESD_NS0_6memory15LoadWithoutCastENSE_16StoreWithoutCastEEEviT_T0_T2_T3_T4_T5_: ; @_ZN2at6native27unrolled_elementwise_kernelINS0_13BUnaryFunctorIaaaZZZNS0_18rshift_kernel_cudaERNS_18TensorIteratorBaseEENKUlvE_clEvENKUlvE0_clEvEUlaaE_EESt5arrayIPcLm2EELi4E23TrivialOffsetCalculatorILi1EjESD_NS0_6memory15LoadWithoutCastENSE_16StoreWithoutCastEEEviT_T0_T2_T3_T4_T5_
; %bb.0:
	v_mov_b32_e32 v3, 0
	global_load_ushort v4, v3, s[4:5] offset:4
	s_load_dword s0, s[4:5], 0x0
	s_load_dwordx4 s[8:11], s[4:5], 0x8
	s_lshl_b32 s14, s6, 10
	v_or_b32_e32 v1, 0x100, v0
	v_or_b32_e32 v2, s14, v0
	s_waitcnt lgkmcnt(0)
	s_sub_i32 s15, s0, s14
	v_cmp_gt_i32_e64 s[0:1], s15, v0
	v_mov_b32_e32 v5, 0
	v_mov_b32_e32 v6, 0
	;; [unrolled: 1-line block ×3, first 2 shown]
	s_and_saveexec_b64 s[2:3], s[0:1]
	s_cbranch_execz .LBB156_8
; %bb.1:
	global_load_ubyte v7, v2, s[10:11]
	v_cmp_gt_u32_e32 vcc, s15, v1
	v_mov_b32_e32 v6, 0
	v_mov_b32_e32 v5, 0
	;; [unrolled: 1-line block ×3, first 2 shown]
	s_and_saveexec_b64 s[4:5], vcc
	s_cbranch_execz .LBB156_7
; %bb.2:
	v_add_u32_e32 v3, s14, v1
	global_load_ubyte v6, v3, s[10:11]
	v_or_b32_e32 v8, 0x200, v0
	v_cmp_gt_u32_e32 vcc, s15, v8
	v_mov_b32_e32 v5, 0
	v_mov_b32_e32 v3, 0
	s_and_saveexec_b64 s[6:7], vcc
	s_cbranch_execz .LBB156_6
; %bb.3:
	v_add_u32_e32 v3, s14, v8
	global_load_ubyte v5, v3, s[10:11]
	v_or_b32_e32 v8, 0x300, v0
	v_cmp_gt_u32_e32 vcc, s15, v8
	v_mov_b32_e32 v3, 0
	s_and_saveexec_b64 s[12:13], vcc
	s_cbranch_execz .LBB156_5
; %bb.4:
	v_add_u32_e32 v3, s14, v8
	global_load_ubyte v3, v3, s[10:11]
.LBB156_5:
	s_or_b64 exec, exec, s[12:13]
.LBB156_6:
	s_or_b64 exec, exec, s[6:7]
.LBB156_7:
	s_or_b64 exec, exec, s[4:5]
.LBB156_8:
	s_or_b64 exec, exec, s[2:3]
	v_mov_b32_e32 v8, 8
	s_waitcnt vmcnt(0)
	v_lshrrev_b32_sdwa v4, v8, v4 dst_sel:DWORD dst_unused:UNUSED_PAD src0_sel:DWORD src1_sel:WORD_0
	v_mov_b32_e32 v8, 7
	v_lshrrev_b16_sdwa v9, v8, sext(v7) dst_sel:DWORD dst_unused:UNUSED_PAD src0_sel:DWORD src1_sel:BYTE_0
	v_ashrrev_i32_sdwa v7, v4, sext(v7) dst_sel:DWORD dst_unused:UNUSED_PAD src0_sel:DWORD src1_sel:BYTE_0
	v_cmp_lt_u32_e32 vcc, 6, v4
	s_mov_b32 s4, 0xffff
	v_cndmask_b32_e32 v7, v7, v9, vcc
	v_lshrrev_b16_sdwa v9, v8, sext(v6) dst_sel:DWORD dst_unused:UNUSED_PAD src0_sel:DWORD src1_sel:BYTE_0
	v_ashrrev_i32_sdwa v6, v4, sext(v6) dst_sel:DWORD dst_unused:UNUSED_PAD src0_sel:DWORD src1_sel:BYTE_0
	v_and_b32_sdwa v7, s4, v7 dst_sel:DWORD dst_unused:UNUSED_PAD src0_sel:DWORD src1_sel:BYTE_0
	v_cndmask_b32_e32 v6, v6, v9, vcc
	v_cndmask_b32_e64 v7, 0, v7, s[0:1]
	v_lshlrev_b16_e32 v6, 8, v6
	v_or_b32_e32 v6, v7, v6
	v_and_b32_e32 v6, 0xffff, v6
	v_cmp_gt_i32_e64 s[2:3], s15, v1
	v_lshrrev_b16_sdwa v9, v8, sext(v5) dst_sel:DWORD dst_unused:UNUSED_PAD src0_sel:DWORD src1_sel:BYTE_0
	v_ashrrev_i32_sdwa v5, v4, sext(v5) dst_sel:DWORD dst_unused:UNUSED_PAD src0_sel:DWORD src1_sel:BYTE_0
	v_cndmask_b32_e64 v6, v7, v6, s[2:3]
	v_cndmask_b32_e32 v5, v5, v9, vcc
	s_mov_b32 s2, 0xc0c0304
	v_or_b32_e32 v7, 0x200, v0
	v_perm_b32 v5, v5, v6, s2
	v_lshl_or_b32 v5, v5, 16, v6
	v_cmp_gt_i32_e64 s[2:3], s15, v7
	s_movk_i32 s5, 0xff
	v_cndmask_b32_e64 v5, v6, v5, s[2:3]
	v_lshrrev_b16_sdwa v8, v8, sext(v3) dst_sel:DWORD dst_unused:UNUSED_PAD src0_sel:DWORD src1_sel:BYTE_0
	v_ashrrev_i32_sdwa v3, v4, sext(v3) dst_sel:DWORD dst_unused:UNUSED_PAD src0_sel:DWORD src1_sel:BYTE_0
	v_and_b32_sdwa v6, v5, s5 dst_sel:DWORD dst_unused:UNUSED_PAD src0_sel:WORD_1 src1_sel:DWORD
	v_cndmask_b32_sdwa v3, v3, v8, vcc dst_sel:BYTE_1 dst_unused:UNUSED_PAD src0_sel:DWORD src1_sel:DWORD
	v_or_b32_e32 v7, 0x300, v0
	v_or_b32_sdwa v3, v6, v3 dst_sel:WORD_1 dst_unused:UNUSED_PAD src0_sel:DWORD src1_sel:DWORD
	v_and_or_b32 v3, v5, s4, v3
	v_cmp_gt_i32_e32 vcc, s15, v7
	v_cndmask_b32_e32 v3, v5, v3, vcc
	s_and_saveexec_b64 s[2:3], s[0:1]
	s_cbranch_execnz .LBB156_13
; %bb.9:
	s_or_b64 exec, exec, s[2:3]
	v_cmp_gt_i32_e32 vcc, s15, v0
	s_and_saveexec_b64 s[0:1], vcc
	s_cbranch_execnz .LBB156_14
.LBB156_10:
	s_or_b64 exec, exec, s[0:1]
	v_cmp_gt_i32_e32 vcc, s15, v0
	s_and_saveexec_b64 s[0:1], vcc
	s_cbranch_execnz .LBB156_15
.LBB156_11:
	s_or_b64 exec, exec, s[0:1]
	v_cmp_gt_i32_e32 vcc, s15, v0
	s_and_saveexec_b64 s[0:1], vcc
	s_cbranch_execnz .LBB156_16
.LBB156_12:
	s_endpgm
.LBB156_13:
	v_mov_b32_e32 v0, v1
	global_store_byte v2, v3, s[8:9]
	s_or_b64 exec, exec, s[2:3]
	v_cmp_gt_i32_e32 vcc, s15, v0
	s_and_saveexec_b64 s[0:1], vcc
	s_cbranch_execz .LBB156_10
.LBB156_14:
	v_add_u32_e32 v1, 0x100, v0
	v_add_u32_e32 v0, s14, v0
	v_lshrrev_b32_e32 v2, 8, v3
	global_store_byte v0, v2, s[8:9]
	v_mov_b32_e32 v0, v1
	s_or_b64 exec, exec, s[0:1]
	v_cmp_gt_i32_e32 vcc, s15, v0
	s_and_saveexec_b64 s[0:1], vcc
	s_cbranch_execz .LBB156_11
.LBB156_15:
	v_add_u32_e32 v1, 0x100, v0
	v_add_u32_e32 v0, s14, v0
	global_store_byte_d16_hi v0, v3, s[8:9]
	v_mov_b32_e32 v0, v1
	s_or_b64 exec, exec, s[0:1]
	v_cmp_gt_i32_e32 vcc, s15, v0
	s_and_saveexec_b64 s[0:1], vcc
	s_cbranch_execz .LBB156_12
.LBB156_16:
	v_add_u32_e32 v0, s14, v0
	v_lshrrev_b32_e32 v1, 24, v3
	global_store_byte v0, v1, s[8:9]
	s_endpgm
	.section	.rodata,"a",@progbits
	.p2align	6, 0x0
	.amdhsa_kernel _ZN2at6native27unrolled_elementwise_kernelINS0_13BUnaryFunctorIaaaZZZNS0_18rshift_kernel_cudaERNS_18TensorIteratorBaseEENKUlvE_clEvENKUlvE0_clEvEUlaaE_EESt5arrayIPcLm2EELi4E23TrivialOffsetCalculatorILi1EjESD_NS0_6memory15LoadWithoutCastENSE_16StoreWithoutCastEEEviT_T0_T2_T3_T4_T5_
		.amdhsa_group_segment_fixed_size 0
		.amdhsa_private_segment_fixed_size 0
		.amdhsa_kernarg_size 28
		.amdhsa_user_sgpr_count 6
		.amdhsa_user_sgpr_private_segment_buffer 1
		.amdhsa_user_sgpr_dispatch_ptr 0
		.amdhsa_user_sgpr_queue_ptr 0
		.amdhsa_user_sgpr_kernarg_segment_ptr 1
		.amdhsa_user_sgpr_dispatch_id 0
		.amdhsa_user_sgpr_flat_scratch_init 0
		.amdhsa_user_sgpr_private_segment_size 0
		.amdhsa_uses_dynamic_stack 0
		.amdhsa_system_sgpr_private_segment_wavefront_offset 0
		.amdhsa_system_sgpr_workgroup_id_x 1
		.amdhsa_system_sgpr_workgroup_id_y 0
		.amdhsa_system_sgpr_workgroup_id_z 0
		.amdhsa_system_sgpr_workgroup_info 0
		.amdhsa_system_vgpr_workitem_id 0
		.amdhsa_next_free_vgpr 10
		.amdhsa_next_free_sgpr 16
		.amdhsa_reserve_vcc 1
		.amdhsa_reserve_flat_scratch 0
		.amdhsa_float_round_mode_32 0
		.amdhsa_float_round_mode_16_64 0
		.amdhsa_float_denorm_mode_32 3
		.amdhsa_float_denorm_mode_16_64 3
		.amdhsa_dx10_clamp 1
		.amdhsa_ieee_mode 1
		.amdhsa_fp16_overflow 0
		.amdhsa_exception_fp_ieee_invalid_op 0
		.amdhsa_exception_fp_denorm_src 0
		.amdhsa_exception_fp_ieee_div_zero 0
		.amdhsa_exception_fp_ieee_overflow 0
		.amdhsa_exception_fp_ieee_underflow 0
		.amdhsa_exception_fp_ieee_inexact 0
		.amdhsa_exception_int_div_zero 0
	.end_amdhsa_kernel
	.section	.text._ZN2at6native27unrolled_elementwise_kernelINS0_13BUnaryFunctorIaaaZZZNS0_18rshift_kernel_cudaERNS_18TensorIteratorBaseEENKUlvE_clEvENKUlvE0_clEvEUlaaE_EESt5arrayIPcLm2EELi4E23TrivialOffsetCalculatorILi1EjESD_NS0_6memory15LoadWithoutCastENSE_16StoreWithoutCastEEEviT_T0_T2_T3_T4_T5_,"axG",@progbits,_ZN2at6native27unrolled_elementwise_kernelINS0_13BUnaryFunctorIaaaZZZNS0_18rshift_kernel_cudaERNS_18TensorIteratorBaseEENKUlvE_clEvENKUlvE0_clEvEUlaaE_EESt5arrayIPcLm2EELi4E23TrivialOffsetCalculatorILi1EjESD_NS0_6memory15LoadWithoutCastENSE_16StoreWithoutCastEEEviT_T0_T2_T3_T4_T5_,comdat
.Lfunc_end156:
	.size	_ZN2at6native27unrolled_elementwise_kernelINS0_13BUnaryFunctorIaaaZZZNS0_18rshift_kernel_cudaERNS_18TensorIteratorBaseEENKUlvE_clEvENKUlvE0_clEvEUlaaE_EESt5arrayIPcLm2EELi4E23TrivialOffsetCalculatorILi1EjESD_NS0_6memory15LoadWithoutCastENSE_16StoreWithoutCastEEEviT_T0_T2_T3_T4_T5_, .Lfunc_end156-_ZN2at6native27unrolled_elementwise_kernelINS0_13BUnaryFunctorIaaaZZZNS0_18rshift_kernel_cudaERNS_18TensorIteratorBaseEENKUlvE_clEvENKUlvE0_clEvEUlaaE_EESt5arrayIPcLm2EELi4E23TrivialOffsetCalculatorILi1EjESD_NS0_6memory15LoadWithoutCastENSE_16StoreWithoutCastEEEviT_T0_T2_T3_T4_T5_
                                        ; -- End function
	.set _ZN2at6native27unrolled_elementwise_kernelINS0_13BUnaryFunctorIaaaZZZNS0_18rshift_kernel_cudaERNS_18TensorIteratorBaseEENKUlvE_clEvENKUlvE0_clEvEUlaaE_EESt5arrayIPcLm2EELi4E23TrivialOffsetCalculatorILi1EjESD_NS0_6memory15LoadWithoutCastENSE_16StoreWithoutCastEEEviT_T0_T2_T3_T4_T5_.num_vgpr, 10
	.set _ZN2at6native27unrolled_elementwise_kernelINS0_13BUnaryFunctorIaaaZZZNS0_18rshift_kernel_cudaERNS_18TensorIteratorBaseEENKUlvE_clEvENKUlvE0_clEvEUlaaE_EESt5arrayIPcLm2EELi4E23TrivialOffsetCalculatorILi1EjESD_NS0_6memory15LoadWithoutCastENSE_16StoreWithoutCastEEEviT_T0_T2_T3_T4_T5_.num_agpr, 0
	.set _ZN2at6native27unrolled_elementwise_kernelINS0_13BUnaryFunctorIaaaZZZNS0_18rshift_kernel_cudaERNS_18TensorIteratorBaseEENKUlvE_clEvENKUlvE0_clEvEUlaaE_EESt5arrayIPcLm2EELi4E23TrivialOffsetCalculatorILi1EjESD_NS0_6memory15LoadWithoutCastENSE_16StoreWithoutCastEEEviT_T0_T2_T3_T4_T5_.numbered_sgpr, 16
	.set _ZN2at6native27unrolled_elementwise_kernelINS0_13BUnaryFunctorIaaaZZZNS0_18rshift_kernel_cudaERNS_18TensorIteratorBaseEENKUlvE_clEvENKUlvE0_clEvEUlaaE_EESt5arrayIPcLm2EELi4E23TrivialOffsetCalculatorILi1EjESD_NS0_6memory15LoadWithoutCastENSE_16StoreWithoutCastEEEviT_T0_T2_T3_T4_T5_.num_named_barrier, 0
	.set _ZN2at6native27unrolled_elementwise_kernelINS0_13BUnaryFunctorIaaaZZZNS0_18rshift_kernel_cudaERNS_18TensorIteratorBaseEENKUlvE_clEvENKUlvE0_clEvEUlaaE_EESt5arrayIPcLm2EELi4E23TrivialOffsetCalculatorILi1EjESD_NS0_6memory15LoadWithoutCastENSE_16StoreWithoutCastEEEviT_T0_T2_T3_T4_T5_.private_seg_size, 0
	.set _ZN2at6native27unrolled_elementwise_kernelINS0_13BUnaryFunctorIaaaZZZNS0_18rshift_kernel_cudaERNS_18TensorIteratorBaseEENKUlvE_clEvENKUlvE0_clEvEUlaaE_EESt5arrayIPcLm2EELi4E23TrivialOffsetCalculatorILi1EjESD_NS0_6memory15LoadWithoutCastENSE_16StoreWithoutCastEEEviT_T0_T2_T3_T4_T5_.uses_vcc, 1
	.set _ZN2at6native27unrolled_elementwise_kernelINS0_13BUnaryFunctorIaaaZZZNS0_18rshift_kernel_cudaERNS_18TensorIteratorBaseEENKUlvE_clEvENKUlvE0_clEvEUlaaE_EESt5arrayIPcLm2EELi4E23TrivialOffsetCalculatorILi1EjESD_NS0_6memory15LoadWithoutCastENSE_16StoreWithoutCastEEEviT_T0_T2_T3_T4_T5_.uses_flat_scratch, 0
	.set _ZN2at6native27unrolled_elementwise_kernelINS0_13BUnaryFunctorIaaaZZZNS0_18rshift_kernel_cudaERNS_18TensorIteratorBaseEENKUlvE_clEvENKUlvE0_clEvEUlaaE_EESt5arrayIPcLm2EELi4E23TrivialOffsetCalculatorILi1EjESD_NS0_6memory15LoadWithoutCastENSE_16StoreWithoutCastEEEviT_T0_T2_T3_T4_T5_.has_dyn_sized_stack, 0
	.set _ZN2at6native27unrolled_elementwise_kernelINS0_13BUnaryFunctorIaaaZZZNS0_18rshift_kernel_cudaERNS_18TensorIteratorBaseEENKUlvE_clEvENKUlvE0_clEvEUlaaE_EESt5arrayIPcLm2EELi4E23TrivialOffsetCalculatorILi1EjESD_NS0_6memory15LoadWithoutCastENSE_16StoreWithoutCastEEEviT_T0_T2_T3_T4_T5_.has_recursion, 0
	.set _ZN2at6native27unrolled_elementwise_kernelINS0_13BUnaryFunctorIaaaZZZNS0_18rshift_kernel_cudaERNS_18TensorIteratorBaseEENKUlvE_clEvENKUlvE0_clEvEUlaaE_EESt5arrayIPcLm2EELi4E23TrivialOffsetCalculatorILi1EjESD_NS0_6memory15LoadWithoutCastENSE_16StoreWithoutCastEEEviT_T0_T2_T3_T4_T5_.has_indirect_call, 0
	.section	.AMDGPU.csdata,"",@progbits
; Kernel info:
; codeLenInByte = 664
; TotalNumSgprs: 20
; NumVgprs: 10
; ScratchSize: 0
; MemoryBound: 0
; FloatMode: 240
; IeeeMode: 1
; LDSByteSize: 0 bytes/workgroup (compile time only)
; SGPRBlocks: 2
; VGPRBlocks: 2
; NumSGPRsForWavesPerEU: 20
; NumVGPRsForWavesPerEU: 10
; Occupancy: 10
; WaveLimiterHint : 0
; COMPUTE_PGM_RSRC2:SCRATCH_EN: 0
; COMPUTE_PGM_RSRC2:USER_SGPR: 6
; COMPUTE_PGM_RSRC2:TRAP_HANDLER: 0
; COMPUTE_PGM_RSRC2:TGID_X_EN: 1
; COMPUTE_PGM_RSRC2:TGID_Y_EN: 0
; COMPUTE_PGM_RSRC2:TGID_Z_EN: 0
; COMPUTE_PGM_RSRC2:TIDIG_COMP_CNT: 0
	.section	.text._ZN2at6native32elementwise_kernel_manual_unrollILi128ELi8EZNS0_22gpu_kernel_impl_nocastINS0_13BUnaryFunctorIaaaZZZNS0_18rshift_kernel_cudaERNS_18TensorIteratorBaseEENKUlvE_clEvENKUlvE0_clEvEUlaaE_EEEEvS5_RKT_EUlibE_EEviT1_,"axG",@progbits,_ZN2at6native32elementwise_kernel_manual_unrollILi128ELi8EZNS0_22gpu_kernel_impl_nocastINS0_13BUnaryFunctorIaaaZZZNS0_18rshift_kernel_cudaERNS_18TensorIteratorBaseEENKUlvE_clEvENKUlvE0_clEvEUlaaE_EEEEvS5_RKT_EUlibE_EEviT1_,comdat
	.globl	_ZN2at6native32elementwise_kernel_manual_unrollILi128ELi8EZNS0_22gpu_kernel_impl_nocastINS0_13BUnaryFunctorIaaaZZZNS0_18rshift_kernel_cudaERNS_18TensorIteratorBaseEENKUlvE_clEvENKUlvE0_clEvEUlaaE_EEEEvS5_RKT_EUlibE_EEviT1_ ; -- Begin function _ZN2at6native32elementwise_kernel_manual_unrollILi128ELi8EZNS0_22gpu_kernel_impl_nocastINS0_13BUnaryFunctorIaaaZZZNS0_18rshift_kernel_cudaERNS_18TensorIteratorBaseEENKUlvE_clEvENKUlvE0_clEvEUlaaE_EEEEvS5_RKT_EUlibE_EEviT1_
	.p2align	8
	.type	_ZN2at6native32elementwise_kernel_manual_unrollILi128ELi8EZNS0_22gpu_kernel_impl_nocastINS0_13BUnaryFunctorIaaaZZZNS0_18rshift_kernel_cudaERNS_18TensorIteratorBaseEENKUlvE_clEvENKUlvE0_clEvEUlaaE_EEEEvS5_RKT_EUlibE_EEviT1_,@function
_ZN2at6native32elementwise_kernel_manual_unrollILi128ELi8EZNS0_22gpu_kernel_impl_nocastINS0_13BUnaryFunctorIaaaZZZNS0_18rshift_kernel_cudaERNS_18TensorIteratorBaseEENKUlvE_clEvENKUlvE0_clEvEUlaaE_EEEEvS5_RKT_EUlibE_EEviT1_: ; @_ZN2at6native32elementwise_kernel_manual_unrollILi128ELi8EZNS0_22gpu_kernel_impl_nocastINS0_13BUnaryFunctorIaaaZZZNS0_18rshift_kernel_cudaERNS_18TensorIteratorBaseEENKUlvE_clEvENKUlvE0_clEvEUlaaE_EEEEvS5_RKT_EUlibE_EEviT1_
; %bb.0:
	s_load_dword s60, s[4:5], 0x0
	s_load_dword s33, s[4:5], 0x8
	s_add_u32 s34, s4, 8
	s_addc_u32 s35, s5, 0
	v_lshl_or_b32 v19, s6, 10, v0
	v_or_b32_e32 v25, 0x380, v19
	s_waitcnt lgkmcnt(0)
	s_add_i32 s58, s33, -1
	s_cmp_gt_u32 s58, 1
	v_cmp_le_i32_e32 vcc, s60, v25
	s_cselect_b64 s[2:3], -1, 0
	s_and_saveexec_b64 s[0:1], vcc
	s_xor_b64 s[6:7], exec, s[0:1]
	s_cbranch_execz .LBB157_7
; %bb.1:
	s_load_dwordx4 s[28:31], s[34:35], 0x4
	s_load_dwordx2 s[44:45], s[34:35], 0x14
	s_load_dword s0, s[4:5], 0x160
	s_cmp_lg_u32 s33, 0
	s_cselect_b64 s[50:51], -1, 0
	s_add_u32 s48, s34, 0xc4
	s_addc_u32 s49, s35, 0
	s_min_u32 s61, s58, 15
	s_load_dwordx4 s[36:39], s[34:35], 0xc4
	s_load_dwordx4 s[24:27], s[34:35], 0x148
	s_cmp_gt_u32 s33, 1
	s_cselect_b64 s[46:47], -1, 0
	s_waitcnt lgkmcnt(0)
	s_bfe_u32 s59, s0, 0x80008
	s_cmp_gt_u32 s59, 6
	s_cselect_b64 s[0:1], -1, 0
	v_cmp_gt_i32_e32 vcc, s60, v19
	s_and_saveexec_b64 s[52:53], vcc
	s_cbranch_execz .LBB157_14
; %bb.2:
	s_andn2_b64 vcc, exec, s[2:3]
	s_cbranch_vccnz .LBB157_21
; %bb.3:
	s_andn2_b64 vcc, exec, s[50:51]
	s_cbranch_vccnz .LBB157_129
; %bb.4:
	s_add_i32 s63, s61, 1
	s_cmp_eq_u32 s58, 2
	s_cbranch_scc1 .LBB157_131
; %bb.5:
	s_and_b32 s62, s63, 28
	v_mov_b32_e32 v2, 0
	s_mov_b32 s64, 0
	s_mov_b64 s[54:55], s[34:35]
	s_mov_b64 s[56:57], s[48:49]
	v_mov_b32_e32 v0, 0
	v_mov_b32_e32 v1, v19
.LBB157_6:                              ; =>This Inner Loop Header: Depth=1
	s_load_dwordx8 s[16:23], s[54:55], 0x4
	s_load_dwordx4 s[40:43], s[54:55], 0x24
	s_load_dwordx8 s[8:15], s[56:57], 0x0
	s_add_u32 s54, s54, 48
	s_addc_u32 s55, s55, 0
	s_waitcnt lgkmcnt(0)
	v_mul_hi_u32 v3, s17, v1
	s_add_i32 s64, s64, 4
	s_add_u32 s56, s56, 32
	s_addc_u32 s57, s57, 0
	v_add_u32_e32 v3, v1, v3
	v_lshrrev_b32_e32 v3, s18, v3
	v_mul_lo_u32 v4, v3, s16
	v_mul_hi_u32 v5, s20, v3
	s_cmp_lg_u32 s62, s64
	v_sub_u32_e32 v1, v1, v4
	v_add_u32_e32 v4, v3, v5
	v_mul_lo_u32 v5, v1, s8
	v_mul_lo_u32 v6, v1, s9
	v_lshrrev_b32_e32 v1, s21, v4
	v_mul_lo_u32 v4, v1, s19
	v_mul_hi_u32 v7, s23, v1
	v_sub_u32_e32 v3, v3, v4
	v_add_u32_e32 v4, v1, v7
	v_lshrrev_b32_e32 v4, s40, v4
	v_mul_hi_u32 v8, s42, v4
	v_mul_lo_u32 v9, v4, s22
	v_mul_lo_u32 v7, v3, s10
	;; [unrolled: 1-line block ×3, first 2 shown]
	v_sub_u32_e32 v9, v1, v9
	v_add_u32_e32 v1, v4, v8
	v_lshrrev_b32_e32 v1, s43, v1
	v_mul_lo_u32 v8, v1, s41
	v_mul_lo_u32 v10, v9, s12
	;; [unrolled: 1-line block ×3, first 2 shown]
	v_add3_u32 v0, v5, v0, v7
	v_sub_u32_e32 v4, v4, v8
	v_mul_lo_u32 v8, v4, s14
	v_mul_lo_u32 v4, v4, s15
	v_add3_u32 v2, v6, v2, v3
	v_add3_u32 v0, v10, v0, v8
	;; [unrolled: 1-line block ×3, first 2 shown]
	s_cbranch_scc1 .LBB157_6
	s_branch .LBB157_132
.LBB157_7:
	s_andn2_saveexec_b64 s[0:1], s[6:7]
	s_cbranch_execz .LBB157_221
.LBB157_8:
	v_cndmask_b32_e64 v0, 0, 1, s[2:3]
	v_cmp_ne_u32_e64 s[0:1], 1, v0
	s_andn2_b64 vcc, exec, s[2:3]
	s_cbranch_vccnz .LBB157_20
; %bb.9:
	s_cmp_lg_u32 s33, 0
	s_mov_b32 s28, 0
	s_cbranch_scc0 .LBB157_23
; %bb.10:
	s_min_u32 s29, s58, 15
	s_add_i32 s29, s29, 1
	s_cmp_eq_u32 s58, 2
	s_cbranch_scc1 .LBB157_24
; %bb.11:
	s_and_b32 s28, s29, 28
	s_add_u32 s2, s34, 0xc4
	s_addc_u32 s3, s35, 0
	v_mov_b32_e32 v2, 0
	s_mov_b32 s30, 0
	s_mov_b64 s[6:7], s[34:35]
	v_mov_b32_e32 v0, 0
	v_mov_b32_e32 v1, v19
.LBB157_12:                             ; =>This Inner Loop Header: Depth=1
	s_load_dwordx8 s[16:23], s[6:7], 0x4
	s_load_dwordx4 s[24:27], s[6:7], 0x24
	s_load_dwordx8 s[8:15], s[2:3], 0x0
	s_add_u32 s6, s6, 48
	s_addc_u32 s7, s7, 0
	s_waitcnt lgkmcnt(0)
	v_mul_hi_u32 v3, s17, v1
	s_add_i32 s30, s30, 4
	s_add_u32 s2, s2, 32
	s_addc_u32 s3, s3, 0
	v_add_u32_e32 v3, v1, v3
	v_lshrrev_b32_e32 v3, s18, v3
	v_mul_lo_u32 v4, v3, s16
	v_mul_hi_u32 v5, s20, v3
	s_cmp_lg_u32 s28, s30
	v_sub_u32_e32 v1, v1, v4
	v_add_u32_e32 v4, v3, v5
	v_mul_lo_u32 v5, v1, s8
	v_mul_lo_u32 v6, v1, s9
	v_lshrrev_b32_e32 v1, s21, v4
	v_mul_lo_u32 v4, v1, s19
	v_mul_hi_u32 v7, s23, v1
	v_sub_u32_e32 v3, v3, v4
	v_add_u32_e32 v4, v1, v7
	v_lshrrev_b32_e32 v4, s24, v4
	v_mul_hi_u32 v8, s26, v4
	v_mul_lo_u32 v9, v4, s22
	v_mul_lo_u32 v7, v3, s10
	;; [unrolled: 1-line block ×3, first 2 shown]
	v_sub_u32_e32 v9, v1, v9
	v_add_u32_e32 v1, v4, v8
	v_lshrrev_b32_e32 v1, s27, v1
	v_mul_lo_u32 v8, v1, s25
	v_mul_lo_u32 v10, v9, s12
	;; [unrolled: 1-line block ×3, first 2 shown]
	v_add3_u32 v0, v5, v0, v7
	v_sub_u32_e32 v4, v4, v8
	v_mul_lo_u32 v8, v4, s14
	v_mul_lo_u32 v4, v4, s15
	v_add3_u32 v2, v6, v2, v3
	v_add3_u32 v0, v10, v0, v8
	;; [unrolled: 1-line block ×3, first 2 shown]
	s_cbranch_scc1 .LBB157_12
; %bb.13:
	s_and_b32 s8, s29, 3
	s_cmp_eq_u32 s8, 0
	s_cbranch_scc0 .LBB157_25
	s_branch .LBB157_27
.LBB157_14:
	s_or_b64 exec, exec, s[52:53]
	v_cmp_gt_i32_e32 vcc, s60, v19
	s_and_saveexec_b64 s[52:53], vcc
	s_cbranch_execz .LBB157_139
.LBB157_15:
	s_andn2_b64 vcc, exec, s[2:3]
	s_cbranch_vccnz .LBB157_22
; %bb.16:
	s_andn2_b64 vcc, exec, s[50:51]
	s_cbranch_vccnz .LBB157_130
; %bb.17:
	s_add_i32 s63, s61, 1
	s_cmp_eq_u32 s58, 2
	s_cbranch_scc1 .LBB157_147
; %bb.18:
	s_and_b32 s62, s63, 28
	v_mov_b32_e32 v2, 0
	s_mov_b32 s64, 0
	s_mov_b64 s[54:55], s[34:35]
	s_mov_b64 s[56:57], s[48:49]
	v_mov_b32_e32 v0, 0
	v_mov_b32_e32 v1, v19
.LBB157_19:                             ; =>This Inner Loop Header: Depth=1
	s_load_dwordx8 s[16:23], s[54:55], 0x4
	s_load_dwordx4 s[40:43], s[54:55], 0x24
	s_load_dwordx8 s[8:15], s[56:57], 0x0
	s_add_u32 s54, s54, 48
	s_addc_u32 s55, s55, 0
	s_waitcnt lgkmcnt(0)
	v_mul_hi_u32 v3, s17, v1
	s_add_i32 s64, s64, 4
	s_add_u32 s56, s56, 32
	s_addc_u32 s57, s57, 0
	v_add_u32_e32 v3, v1, v3
	v_lshrrev_b32_e32 v3, s18, v3
	v_mul_lo_u32 v4, v3, s16
	v_mul_hi_u32 v5, s20, v3
	s_cmp_eq_u32 s62, s64
	v_sub_u32_e32 v1, v1, v4
	v_add_u32_e32 v4, v3, v5
	v_mul_lo_u32 v5, v1, s8
	v_mul_lo_u32 v6, v1, s9
	v_lshrrev_b32_e32 v1, s21, v4
	v_mul_lo_u32 v4, v1, s19
	v_mul_hi_u32 v7, s23, v1
	v_sub_u32_e32 v3, v3, v4
	v_add_u32_e32 v4, v1, v7
	v_lshrrev_b32_e32 v4, s40, v4
	v_mul_hi_u32 v8, s42, v4
	v_mul_lo_u32 v9, v4, s22
	v_mul_lo_u32 v7, v3, s10
	;; [unrolled: 1-line block ×3, first 2 shown]
	v_sub_u32_e32 v9, v1, v9
	v_add_u32_e32 v1, v4, v8
	v_lshrrev_b32_e32 v1, s43, v1
	v_mul_lo_u32 v8, v1, s41
	v_mul_lo_u32 v10, v9, s12
	;; [unrolled: 1-line block ×3, first 2 shown]
	v_add3_u32 v0, v5, v0, v7
	v_sub_u32_e32 v4, v4, v8
	v_mul_lo_u32 v8, v4, s14
	v_mul_lo_u32 v4, v4, s15
	v_add3_u32 v2, v6, v2, v3
	v_add3_u32 v0, v10, v0, v8
	;; [unrolled: 1-line block ×3, first 2 shown]
	s_cbranch_scc0 .LBB157_19
	s_branch .LBB157_148
.LBB157_20:
                                        ; implicit-def: $vgpr0
                                        ; implicit-def: $vgpr2
	s_branch .LBB157_28
.LBB157_21:
                                        ; implicit-def: $vgpr0
                                        ; implicit-def: $vgpr2
	s_branch .LBB157_136
.LBB157_22:
                                        ; implicit-def: $vgpr0
                                        ; implicit-def: $vgpr2
	s_branch .LBB157_152
.LBB157_23:
	v_mov_b32_e32 v0, 0
	v_mov_b32_e32 v2, 0
	s_branch .LBB157_27
.LBB157_24:
	v_mov_b32_e32 v0, 0
	v_mov_b32_e32 v2, 0
	;; [unrolled: 1-line block ×3, first 2 shown]
	s_and_b32 s8, s29, 3
	s_cmp_eq_u32 s8, 0
	s_cbranch_scc1 .LBB157_27
.LBB157_25:
	s_lshl_b32 s2, s28, 3
	s_add_u32 s2, s34, s2
	s_addc_u32 s3, s35, 0
	s_add_u32 s2, s2, 0xc4
	s_addc_u32 s3, s3, 0
	s_mul_i32 s6, s28, 12
	s_add_u32 s6, s34, s6
	s_addc_u32 s7, s35, 0
.LBB157_26:                             ; =>This Inner Loop Header: Depth=1
	s_load_dwordx2 s[10:11], s[6:7], 0x4
	s_load_dword s9, s[6:7], 0xc
	s_load_dwordx2 s[12:13], s[2:3], 0x0
	s_add_u32 s6, s6, 12
	s_addc_u32 s7, s7, 0
	s_waitcnt lgkmcnt(0)
	v_mul_hi_u32 v4, s11, v1
	s_add_u32 s2, s2, 8
	s_addc_u32 s3, s3, 0
	s_add_i32 s8, s8, -1
	v_add_u32_e32 v4, v1, v4
	v_lshrrev_b32_e32 v4, s9, v4
	v_mul_lo_u32 v5, v4, s10
	s_cmp_lg_u32 s8, 0
	v_sub_u32_e32 v5, v1, v5
	v_mad_u64_u32 v[0:1], s[10:11], v5, s12, v[0:1]
	v_mad_u64_u32 v[2:3], s[10:11], v5, s13, v[2:3]
	v_mov_b32_e32 v1, v4
	s_cbranch_scc1 .LBB157_26
.LBB157_27:
	s_cbranch_execnz .LBB157_30
.LBB157_28:
	s_load_dwordx4 s[8:11], s[34:35], 0x4
	s_load_dwordx2 s[2:3], s[34:35], 0xc4
	s_cmp_lt_u32 s33, 2
	s_waitcnt lgkmcnt(0)
	v_mul_hi_u32 v0, s9, v19
	v_add_u32_e32 v0, v19, v0
	v_lshrrev_b32_e32 v1, s10, v0
	v_mul_lo_u32 v0, v1, s8
	v_sub_u32_e32 v2, v19, v0
	v_mul_lo_u32 v0, v2, s2
	v_mul_lo_u32 v2, v2, s3
	s_cbranch_scc1 .LBB157_30
; %bb.29:
	s_load_dwordx4 s[8:11], s[34:35], 0x10
	s_load_dwordx2 s[2:3], s[34:35], 0xcc
	s_waitcnt lgkmcnt(0)
	v_mul_hi_u32 v3, s9, v1
	v_add_u32_e32 v3, v1, v3
	v_lshrrev_b32_e32 v3, s10, v3
	v_mul_lo_u32 v3, v3, s8
	v_sub_u32_e32 v3, v1, v3
	v_mad_u64_u32 v[0:1], s[6:7], v3, s2, v[0:1]
	v_mad_u64_u32 v[2:3], s[2:3], v3, s3, v[2:3]
.LBB157_30:
	s_and_b64 vcc, exec, s[0:1]
	v_add_u32_e32 v1, 0x80, v19
	s_cbranch_vccnz .LBB157_36
; %bb.31:
	s_cmp_lg_u32 s33, 0
	s_mov_b32 s28, 0
	s_cbranch_scc0 .LBB157_37
; %bb.32:
	s_min_u32 s29, s58, 15
	s_add_i32 s29, s29, 1
	s_cmp_eq_u32 s58, 2
	s_cbranch_scc1 .LBB157_38
; %bb.33:
	s_and_b32 s28, s29, 28
	s_add_u32 s2, s34, 0xc4
	s_addc_u32 s3, s35, 0
	v_mov_b32_e32 v5, 0
	s_mov_b32 s30, 0
	s_mov_b64 s[6:7], s[34:35]
	v_mov_b32_e32 v3, 0
	v_mov_b32_e32 v4, v1
.LBB157_34:                             ; =>This Inner Loop Header: Depth=1
	s_load_dwordx8 s[16:23], s[6:7], 0x4
	s_load_dwordx4 s[24:27], s[6:7], 0x24
	s_load_dwordx8 s[8:15], s[2:3], 0x0
	s_add_u32 s6, s6, 48
	s_addc_u32 s7, s7, 0
	s_waitcnt lgkmcnt(0)
	v_mul_hi_u32 v6, s17, v4
	s_add_i32 s30, s30, 4
	s_add_u32 s2, s2, 32
	s_addc_u32 s3, s3, 0
	v_add_u32_e32 v6, v4, v6
	v_lshrrev_b32_e32 v6, s18, v6
	v_mul_lo_u32 v7, v6, s16
	v_mul_hi_u32 v8, s20, v6
	s_cmp_lg_u32 s28, s30
	v_sub_u32_e32 v4, v4, v7
	v_add_u32_e32 v7, v6, v8
	v_mul_lo_u32 v8, v4, s8
	v_mul_lo_u32 v9, v4, s9
	v_lshrrev_b32_e32 v4, s21, v7
	v_mul_lo_u32 v7, v4, s19
	v_mul_hi_u32 v10, s23, v4
	v_sub_u32_e32 v6, v6, v7
	v_add_u32_e32 v7, v4, v10
	v_lshrrev_b32_e32 v7, s24, v7
	v_mul_hi_u32 v11, s26, v7
	v_mul_lo_u32 v12, v7, s22
	v_mul_lo_u32 v10, v6, s10
	;; [unrolled: 1-line block ×3, first 2 shown]
	v_sub_u32_e32 v12, v4, v12
	v_add_u32_e32 v4, v7, v11
	v_lshrrev_b32_e32 v4, s27, v4
	v_mul_lo_u32 v11, v4, s25
	v_mul_lo_u32 v13, v12, s12
	v_mul_lo_u32 v12, v12, s13
	v_add3_u32 v3, v8, v3, v10
	v_sub_u32_e32 v7, v7, v11
	v_mul_lo_u32 v11, v7, s14
	v_mul_lo_u32 v7, v7, s15
	v_add3_u32 v5, v9, v5, v6
	v_add3_u32 v3, v13, v3, v11
	;; [unrolled: 1-line block ×3, first 2 shown]
	s_cbranch_scc1 .LBB157_34
; %bb.35:
	s_and_b32 s8, s29, 3
	s_cmp_eq_u32 s8, 0
	s_cbranch_scc0 .LBB157_39
	s_branch .LBB157_41
.LBB157_36:
                                        ; implicit-def: $vgpr3
                                        ; implicit-def: $vgpr5
	s_branch .LBB157_42
.LBB157_37:
	v_mov_b32_e32 v3, 0
	v_mov_b32_e32 v5, 0
	s_branch .LBB157_41
.LBB157_38:
	v_mov_b32_e32 v3, 0
	v_mov_b32_e32 v5, 0
	;; [unrolled: 1-line block ×3, first 2 shown]
	s_and_b32 s8, s29, 3
	s_cmp_eq_u32 s8, 0
	s_cbranch_scc1 .LBB157_41
.LBB157_39:
	s_lshl_b32 s2, s28, 3
	s_add_u32 s2, s34, s2
	s_addc_u32 s3, s35, 0
	s_add_u32 s2, s2, 0xc4
	s_addc_u32 s3, s3, 0
	s_mul_i32 s6, s28, 12
	s_add_u32 s6, s34, s6
	s_addc_u32 s7, s35, 0
.LBB157_40:                             ; =>This Inner Loop Header: Depth=1
	s_load_dwordx2 s[10:11], s[6:7], 0x4
	s_load_dword s9, s[6:7], 0xc
	s_load_dwordx2 s[12:13], s[2:3], 0x0
	s_add_u32 s6, s6, 12
	s_addc_u32 s7, s7, 0
	s_waitcnt lgkmcnt(0)
	v_mul_hi_u32 v7, s11, v4
	s_add_u32 s2, s2, 8
	s_addc_u32 s3, s3, 0
	s_add_i32 s8, s8, -1
	v_add_u32_e32 v7, v4, v7
	v_lshrrev_b32_e32 v7, s9, v7
	v_mul_lo_u32 v8, v7, s10
	s_cmp_lg_u32 s8, 0
	v_sub_u32_e32 v8, v4, v8
	v_mad_u64_u32 v[3:4], s[10:11], v8, s12, v[3:4]
	v_mad_u64_u32 v[5:6], s[10:11], v8, s13, v[5:6]
	v_mov_b32_e32 v4, v7
	s_cbranch_scc1 .LBB157_40
.LBB157_41:
	s_cbranch_execnz .LBB157_44
.LBB157_42:
	s_load_dwordx4 s[8:11], s[34:35], 0x4
	s_load_dwordx2 s[2:3], s[34:35], 0xc4
	s_cmp_lt_u32 s33, 2
	s_waitcnt lgkmcnt(0)
	v_mul_hi_u32 v3, s9, v1
	v_add_u32_e32 v3, v1, v3
	v_lshrrev_b32_e32 v4, s10, v3
	v_mul_lo_u32 v3, v4, s8
	v_sub_u32_e32 v1, v1, v3
	v_mul_lo_u32 v3, v1, s2
	v_mul_lo_u32 v5, v1, s3
	s_cbranch_scc1 .LBB157_44
; %bb.43:
	s_load_dwordx4 s[8:11], s[34:35], 0x10
	s_load_dwordx2 s[2:3], s[34:35], 0xcc
	s_waitcnt lgkmcnt(0)
	v_mul_hi_u32 v1, s9, v4
	v_add_u32_e32 v1, v4, v1
	v_lshrrev_b32_e32 v1, s10, v1
	v_mul_lo_u32 v1, v1, s8
	v_sub_u32_e32 v1, v4, v1
	v_mad_u64_u32 v[3:4], s[6:7], v1, s2, v[3:4]
	v_mad_u64_u32 v[5:6], s[2:3], v1, s3, v[5:6]
.LBB157_44:
	s_and_b64 vcc, exec, s[0:1]
	v_add_u32_e32 v1, 0x100, v19
	s_cbranch_vccnz .LBB157_50
; %bb.45:
	s_cmp_lg_u32 s33, 0
	s_mov_b32 s28, 0
	s_cbranch_scc0 .LBB157_51
; %bb.46:
	s_min_u32 s29, s58, 15
	s_add_i32 s29, s29, 1
	s_cmp_eq_u32 s58, 2
	s_cbranch_scc1 .LBB157_52
; %bb.47:
	s_and_b32 s28, s29, 28
	s_add_u32 s2, s34, 0xc4
	s_addc_u32 s3, s35, 0
	v_mov_b32_e32 v8, 0
	s_mov_b32 s30, 0
	s_mov_b64 s[6:7], s[34:35]
	v_mov_b32_e32 v6, 0
	v_mov_b32_e32 v4, v1
.LBB157_48:                             ; =>This Inner Loop Header: Depth=1
	s_load_dwordx8 s[16:23], s[6:7], 0x4
	s_load_dwordx4 s[24:27], s[6:7], 0x24
	s_load_dwordx8 s[8:15], s[2:3], 0x0
	s_add_u32 s6, s6, 48
	s_addc_u32 s7, s7, 0
	s_waitcnt lgkmcnt(0)
	v_mul_hi_u32 v7, s17, v4
	s_add_i32 s30, s30, 4
	s_add_u32 s2, s2, 32
	s_addc_u32 s3, s3, 0
	v_add_u32_e32 v7, v4, v7
	v_lshrrev_b32_e32 v7, s18, v7
	v_mul_lo_u32 v9, v7, s16
	v_mul_hi_u32 v10, s20, v7
	s_cmp_lg_u32 s28, s30
	v_sub_u32_e32 v4, v4, v9
	v_add_u32_e32 v9, v7, v10
	v_mul_lo_u32 v10, v4, s8
	v_mul_lo_u32 v11, v4, s9
	v_lshrrev_b32_e32 v4, s21, v9
	v_mul_lo_u32 v9, v4, s19
	v_mul_hi_u32 v12, s23, v4
	v_sub_u32_e32 v7, v7, v9
	v_add_u32_e32 v9, v4, v12
	v_lshrrev_b32_e32 v9, s24, v9
	v_mul_hi_u32 v13, s26, v9
	v_mul_lo_u32 v14, v9, s22
	v_mul_lo_u32 v12, v7, s10
	;; [unrolled: 1-line block ×3, first 2 shown]
	v_sub_u32_e32 v14, v4, v14
	v_add_u32_e32 v4, v9, v13
	v_lshrrev_b32_e32 v4, s27, v4
	v_mul_lo_u32 v13, v4, s25
	v_mul_lo_u32 v15, v14, s12
	;; [unrolled: 1-line block ×3, first 2 shown]
	v_add3_u32 v6, v10, v6, v12
	v_sub_u32_e32 v9, v9, v13
	v_mul_lo_u32 v13, v9, s14
	v_mul_lo_u32 v9, v9, s15
	v_add3_u32 v7, v11, v8, v7
	v_add3_u32 v6, v15, v6, v13
	;; [unrolled: 1-line block ×3, first 2 shown]
	s_cbranch_scc1 .LBB157_48
; %bb.49:
	s_and_b32 s8, s29, 3
	s_cmp_eq_u32 s8, 0
	s_cbranch_scc0 .LBB157_53
	s_branch .LBB157_55
.LBB157_50:
                                        ; implicit-def: $vgpr6
                                        ; implicit-def: $vgpr8
	s_branch .LBB157_56
.LBB157_51:
	v_mov_b32_e32 v6, 0
	v_mov_b32_e32 v8, 0
	s_branch .LBB157_55
.LBB157_52:
	v_mov_b32_e32 v6, 0
	v_mov_b32_e32 v8, 0
	;; [unrolled: 1-line block ×3, first 2 shown]
	s_and_b32 s8, s29, 3
	s_cmp_eq_u32 s8, 0
	s_cbranch_scc1 .LBB157_55
.LBB157_53:
	s_lshl_b32 s2, s28, 3
	s_add_u32 s2, s34, s2
	s_addc_u32 s3, s35, 0
	s_add_u32 s2, s2, 0xc4
	s_addc_u32 s3, s3, 0
	s_mul_i32 s6, s28, 12
	s_add_u32 s6, s34, s6
	s_addc_u32 s7, s35, 0
.LBB157_54:                             ; =>This Inner Loop Header: Depth=1
	s_load_dwordx2 s[10:11], s[6:7], 0x4
	s_load_dword s9, s[6:7], 0xc
	s_load_dwordx2 s[12:13], s[2:3], 0x0
	s_add_u32 s6, s6, 12
	s_addc_u32 s7, s7, 0
	s_waitcnt lgkmcnt(0)
	v_mul_hi_u32 v7, s11, v4
	s_add_u32 s2, s2, 8
	s_addc_u32 s3, s3, 0
	s_add_i32 s8, s8, -1
	v_add_u32_e32 v7, v4, v7
	v_lshrrev_b32_e32 v10, s9, v7
	v_mul_lo_u32 v7, v10, s10
	s_cmp_lg_u32 s8, 0
	v_sub_u32_e32 v4, v4, v7
	v_mad_u64_u32 v[6:7], s[10:11], v4, s12, v[6:7]
	v_mad_u64_u32 v[8:9], s[10:11], v4, s13, v[8:9]
	v_mov_b32_e32 v4, v10
	s_cbranch_scc1 .LBB157_54
.LBB157_55:
	s_cbranch_execnz .LBB157_58
.LBB157_56:
	s_load_dwordx4 s[8:11], s[34:35], 0x4
	s_load_dwordx2 s[2:3], s[34:35], 0xc4
	s_cmp_lt_u32 s33, 2
	s_waitcnt lgkmcnt(0)
	v_mul_hi_u32 v4, s9, v1
	v_add_u32_e32 v4, v1, v4
	v_lshrrev_b32_e32 v4, s10, v4
	v_mul_lo_u32 v6, v4, s8
	v_sub_u32_e32 v1, v1, v6
	v_mul_lo_u32 v6, v1, s2
	v_mul_lo_u32 v8, v1, s3
	s_cbranch_scc1 .LBB157_58
; %bb.57:
	s_load_dwordx4 s[8:11], s[34:35], 0x10
	s_load_dwordx2 s[2:3], s[34:35], 0xcc
	s_waitcnt lgkmcnt(0)
	v_mul_hi_u32 v1, s9, v4
	v_add_u32_e32 v1, v4, v1
	v_lshrrev_b32_e32 v1, s10, v1
	v_mul_lo_u32 v1, v1, s8
	v_sub_u32_e32 v1, v4, v1
	v_mad_u64_u32 v[6:7], s[6:7], v1, s2, v[6:7]
	v_mad_u64_u32 v[8:9], s[2:3], v1, s3, v[8:9]
.LBB157_58:
	s_and_b64 vcc, exec, s[0:1]
	v_add_u32_e32 v1, 0x180, v19
	s_cbranch_vccnz .LBB157_64
; %bb.59:
	s_cmp_lg_u32 s33, 0
	s_mov_b32 s28, 0
	s_cbranch_scc0 .LBB157_65
; %bb.60:
	s_min_u32 s29, s58, 15
	s_add_i32 s29, s29, 1
	s_cmp_eq_u32 s58, 2
	s_cbranch_scc1 .LBB157_66
; %bb.61:
	s_and_b32 s28, s29, 28
	s_add_u32 s2, s34, 0xc4
	s_addc_u32 s3, s35, 0
	v_mov_b32_e32 v11, 0
	s_mov_b32 s30, 0
	s_mov_b64 s[6:7], s[34:35]
	v_mov_b32_e32 v9, 0
	v_mov_b32_e32 v4, v1
.LBB157_62:                             ; =>This Inner Loop Header: Depth=1
	s_load_dwordx8 s[16:23], s[6:7], 0x4
	s_load_dwordx4 s[24:27], s[6:7], 0x24
	s_load_dwordx8 s[8:15], s[2:3], 0x0
	s_add_u32 s6, s6, 48
	s_addc_u32 s7, s7, 0
	s_waitcnt lgkmcnt(0)
	v_mul_hi_u32 v7, s17, v4
	s_add_i32 s30, s30, 4
	s_add_u32 s2, s2, 32
	s_addc_u32 s3, s3, 0
	v_add_u32_e32 v7, v4, v7
	v_lshrrev_b32_e32 v7, s18, v7
	v_mul_lo_u32 v10, v7, s16
	v_mul_hi_u32 v12, s20, v7
	s_cmp_lg_u32 s28, s30
	v_sub_u32_e32 v4, v4, v10
	v_add_u32_e32 v10, v7, v12
	v_mul_lo_u32 v12, v4, s8
	v_mul_lo_u32 v13, v4, s9
	v_lshrrev_b32_e32 v4, s21, v10
	v_mul_lo_u32 v10, v4, s19
	v_mul_hi_u32 v14, s23, v4
	v_sub_u32_e32 v7, v7, v10
	v_add_u32_e32 v10, v4, v14
	v_lshrrev_b32_e32 v10, s24, v10
	v_mul_hi_u32 v15, s26, v10
	v_mul_lo_u32 v16, v10, s22
	v_mul_lo_u32 v14, v7, s10
	;; [unrolled: 1-line block ×3, first 2 shown]
	v_sub_u32_e32 v16, v4, v16
	v_add_u32_e32 v4, v10, v15
	v_lshrrev_b32_e32 v4, s27, v4
	v_mul_lo_u32 v15, v4, s25
	v_mul_lo_u32 v17, v16, s12
	;; [unrolled: 1-line block ×3, first 2 shown]
	v_add3_u32 v9, v12, v9, v14
	v_sub_u32_e32 v10, v10, v15
	v_mul_lo_u32 v15, v10, s14
	v_mul_lo_u32 v10, v10, s15
	v_add3_u32 v7, v13, v11, v7
	v_add3_u32 v9, v17, v9, v15
	;; [unrolled: 1-line block ×3, first 2 shown]
	s_cbranch_scc1 .LBB157_62
; %bb.63:
	s_and_b32 s8, s29, 3
	s_cmp_eq_u32 s8, 0
	s_cbranch_scc0 .LBB157_67
	s_branch .LBB157_69
.LBB157_64:
                                        ; implicit-def: $vgpr9
                                        ; implicit-def: $vgpr11
	s_branch .LBB157_70
.LBB157_65:
	v_mov_b32_e32 v9, 0
	v_mov_b32_e32 v11, 0
	s_branch .LBB157_69
.LBB157_66:
	v_mov_b32_e32 v9, 0
	v_mov_b32_e32 v11, 0
	;; [unrolled: 1-line block ×3, first 2 shown]
	s_and_b32 s8, s29, 3
	s_cmp_eq_u32 s8, 0
	s_cbranch_scc1 .LBB157_69
.LBB157_67:
	s_lshl_b32 s2, s28, 3
	s_add_u32 s2, s34, s2
	s_addc_u32 s3, s35, 0
	s_add_u32 s2, s2, 0xc4
	s_addc_u32 s3, s3, 0
	s_mul_i32 s6, s28, 12
	s_add_u32 s6, s34, s6
	s_addc_u32 s7, s35, 0
.LBB157_68:                             ; =>This Inner Loop Header: Depth=1
	s_load_dwordx2 s[10:11], s[6:7], 0x4
	s_load_dword s9, s[6:7], 0xc
	s_load_dwordx2 s[12:13], s[2:3], 0x0
	s_add_u32 s6, s6, 12
	s_addc_u32 s7, s7, 0
	s_waitcnt lgkmcnt(0)
	v_mul_hi_u32 v7, s11, v4
	s_add_u32 s2, s2, 8
	s_addc_u32 s3, s3, 0
	s_add_i32 s8, s8, -1
	v_add_u32_e32 v7, v4, v7
	v_lshrrev_b32_e32 v7, s9, v7
	v_mul_lo_u32 v10, v7, s10
	s_cmp_lg_u32 s8, 0
	v_sub_u32_e32 v4, v4, v10
	v_mad_u64_u32 v[9:10], s[10:11], v4, s12, v[9:10]
	v_mad_u64_u32 v[11:12], s[10:11], v4, s13, v[11:12]
	v_mov_b32_e32 v4, v7
	s_cbranch_scc1 .LBB157_68
.LBB157_69:
	s_cbranch_execnz .LBB157_72
.LBB157_70:
	s_load_dwordx4 s[8:11], s[34:35], 0x4
	s_load_dwordx2 s[2:3], s[34:35], 0xc4
	s_cmp_lt_u32 s33, 2
	s_waitcnt lgkmcnt(0)
	v_mul_hi_u32 v4, s9, v1
	v_add_u32_e32 v4, v1, v4
	v_lshrrev_b32_e32 v4, s10, v4
	v_mul_lo_u32 v7, v4, s8
	v_sub_u32_e32 v1, v1, v7
	v_mul_lo_u32 v9, v1, s2
	v_mul_lo_u32 v11, v1, s3
	s_cbranch_scc1 .LBB157_72
; %bb.71:
	s_load_dwordx4 s[8:11], s[34:35], 0x10
	s_load_dwordx2 s[2:3], s[34:35], 0xcc
	s_waitcnt lgkmcnt(0)
	v_mul_hi_u32 v1, s9, v4
	v_add_u32_e32 v1, v4, v1
	v_lshrrev_b32_e32 v1, s10, v1
	v_mul_lo_u32 v1, v1, s8
	v_sub_u32_e32 v1, v4, v1
	v_mad_u64_u32 v[9:10], s[6:7], v1, s2, v[9:10]
	v_mad_u64_u32 v[11:12], s[2:3], v1, s3, v[11:12]
.LBB157_72:
	s_and_b64 vcc, exec, s[0:1]
	v_add_u32_e32 v1, 0x200, v19
	s_cbranch_vccnz .LBB157_78
; %bb.73:
	s_cmp_lg_u32 s33, 0
	s_mov_b32 s28, 0
	s_cbranch_scc0 .LBB157_79
; %bb.74:
	s_min_u32 s29, s58, 15
	s_add_i32 s29, s29, 1
	s_cmp_eq_u32 s58, 2
	s_cbranch_scc1 .LBB157_80
; %bb.75:
	s_and_b32 s28, s29, 28
	s_add_u32 s2, s34, 0xc4
	s_addc_u32 s3, s35, 0
	v_mov_b32_e32 v14, 0
	s_mov_b32 s30, 0
	s_mov_b64 s[6:7], s[34:35]
	v_mov_b32_e32 v12, 0
	v_mov_b32_e32 v4, v1
.LBB157_76:                             ; =>This Inner Loop Header: Depth=1
	s_load_dwordx8 s[16:23], s[6:7], 0x4
	s_load_dwordx4 s[24:27], s[6:7], 0x24
	s_load_dwordx8 s[8:15], s[2:3], 0x0
	s_add_u32 s6, s6, 48
	s_addc_u32 s7, s7, 0
	s_waitcnt lgkmcnt(0)
	v_mul_hi_u32 v7, s17, v4
	s_add_i32 s30, s30, 4
	s_add_u32 s2, s2, 32
	s_addc_u32 s3, s3, 0
	v_add_u32_e32 v7, v4, v7
	v_lshrrev_b32_e32 v7, s18, v7
	v_mul_lo_u32 v10, v7, s16
	v_mul_hi_u32 v13, s20, v7
	s_cmp_lg_u32 s28, s30
	v_sub_u32_e32 v4, v4, v10
	v_add_u32_e32 v10, v7, v13
	v_mul_lo_u32 v13, v4, s8
	v_mul_lo_u32 v15, v4, s9
	v_lshrrev_b32_e32 v4, s21, v10
	v_mul_lo_u32 v10, v4, s19
	v_mul_hi_u32 v16, s23, v4
	v_sub_u32_e32 v7, v7, v10
	v_add_u32_e32 v10, v4, v16
	v_lshrrev_b32_e32 v10, s24, v10
	v_mul_hi_u32 v17, s26, v10
	v_mul_lo_u32 v18, v10, s22
	v_mul_lo_u32 v16, v7, s10
	;; [unrolled: 1-line block ×3, first 2 shown]
	v_sub_u32_e32 v18, v4, v18
	v_add_u32_e32 v4, v10, v17
	v_lshrrev_b32_e32 v4, s27, v4
	v_mul_lo_u32 v17, v4, s25
	v_mul_lo_u32 v20, v18, s12
	;; [unrolled: 1-line block ×3, first 2 shown]
	v_add3_u32 v12, v13, v12, v16
	v_sub_u32_e32 v10, v10, v17
	v_mul_lo_u32 v17, v10, s14
	v_mul_lo_u32 v10, v10, s15
	v_add3_u32 v7, v15, v14, v7
	v_add3_u32 v12, v20, v12, v17
	;; [unrolled: 1-line block ×3, first 2 shown]
	s_cbranch_scc1 .LBB157_76
; %bb.77:
	s_and_b32 s8, s29, 3
	s_cmp_eq_u32 s8, 0
	s_cbranch_scc0 .LBB157_81
	s_branch .LBB157_83
.LBB157_78:
                                        ; implicit-def: $vgpr12
                                        ; implicit-def: $vgpr14
	s_branch .LBB157_84
.LBB157_79:
	v_mov_b32_e32 v12, 0
	v_mov_b32_e32 v14, 0
	s_branch .LBB157_83
.LBB157_80:
	v_mov_b32_e32 v12, 0
	v_mov_b32_e32 v14, 0
	;; [unrolled: 1-line block ×3, first 2 shown]
	s_and_b32 s8, s29, 3
	s_cmp_eq_u32 s8, 0
	s_cbranch_scc1 .LBB157_83
.LBB157_81:
	s_lshl_b32 s2, s28, 3
	s_add_u32 s2, s34, s2
	s_addc_u32 s3, s35, 0
	s_add_u32 s2, s2, 0xc4
	s_addc_u32 s3, s3, 0
	s_mul_i32 s6, s28, 12
	s_add_u32 s6, s34, s6
	s_addc_u32 s7, s35, 0
.LBB157_82:                             ; =>This Inner Loop Header: Depth=1
	s_load_dwordx2 s[10:11], s[6:7], 0x4
	s_load_dword s9, s[6:7], 0xc
	s_load_dwordx2 s[12:13], s[2:3], 0x0
	s_add_u32 s6, s6, 12
	s_addc_u32 s7, s7, 0
	s_waitcnt lgkmcnt(0)
	v_mul_hi_u32 v7, s11, v4
	s_add_u32 s2, s2, 8
	s_addc_u32 s3, s3, 0
	s_add_i32 s8, s8, -1
	v_add_u32_e32 v7, v4, v7
	v_lshrrev_b32_e32 v7, s9, v7
	v_mul_lo_u32 v10, v7, s10
	s_cmp_lg_u32 s8, 0
	v_sub_u32_e32 v4, v4, v10
	v_mad_u64_u32 v[12:13], s[10:11], v4, s12, v[12:13]
	v_mad_u64_u32 v[14:15], s[10:11], v4, s13, v[14:15]
	v_mov_b32_e32 v4, v7
	s_cbranch_scc1 .LBB157_82
.LBB157_83:
	s_cbranch_execnz .LBB157_86
.LBB157_84:
	s_load_dwordx4 s[8:11], s[34:35], 0x4
	s_load_dwordx2 s[2:3], s[34:35], 0xc4
	s_cmp_lt_u32 s33, 2
	s_waitcnt lgkmcnt(0)
	v_mul_hi_u32 v4, s9, v1
	v_add_u32_e32 v4, v1, v4
	v_lshrrev_b32_e32 v4, s10, v4
	v_mul_lo_u32 v7, v4, s8
	v_sub_u32_e32 v1, v1, v7
	v_mul_lo_u32 v12, v1, s2
	v_mul_lo_u32 v14, v1, s3
	s_cbranch_scc1 .LBB157_86
; %bb.85:
	s_load_dwordx4 s[8:11], s[34:35], 0x10
	s_load_dwordx2 s[2:3], s[34:35], 0xcc
	s_waitcnt lgkmcnt(0)
	v_mul_hi_u32 v1, s9, v4
	v_add_u32_e32 v1, v4, v1
	v_lshrrev_b32_e32 v1, s10, v1
	v_mul_lo_u32 v1, v1, s8
	v_sub_u32_e32 v1, v4, v1
	v_mad_u64_u32 v[12:13], s[6:7], v1, s2, v[12:13]
	v_mad_u64_u32 v[14:15], s[2:3], v1, s3, v[14:15]
.LBB157_86:
	s_and_b64 vcc, exec, s[0:1]
	v_add_u32_e32 v1, 0x280, v19
	s_cbranch_vccnz .LBB157_92
; %bb.87:
	s_cmp_lg_u32 s33, 0
	s_mov_b32 s28, 0
	s_cbranch_scc0 .LBB157_93
; %bb.88:
	s_min_u32 s29, s58, 15
	s_add_i32 s29, s29, 1
	s_cmp_eq_u32 s58, 2
	s_cbranch_scc1 .LBB157_94
; %bb.89:
	s_and_b32 s28, s29, 28
	s_add_u32 s2, s34, 0xc4
	s_addc_u32 s3, s35, 0
	v_mov_b32_e32 v17, 0
	s_mov_b32 s30, 0
	s_mov_b64 s[6:7], s[34:35]
	v_mov_b32_e32 v15, 0
	v_mov_b32_e32 v4, v1
.LBB157_90:                             ; =>This Inner Loop Header: Depth=1
	s_load_dwordx8 s[16:23], s[6:7], 0x4
	s_load_dwordx4 s[24:27], s[6:7], 0x24
	s_load_dwordx8 s[8:15], s[2:3], 0x0
	s_add_u32 s6, s6, 48
	s_addc_u32 s7, s7, 0
	s_waitcnt lgkmcnt(0)
	v_mul_hi_u32 v7, s17, v4
	s_add_i32 s30, s30, 4
	s_add_u32 s2, s2, 32
	s_addc_u32 s3, s3, 0
	v_add_u32_e32 v7, v4, v7
	v_lshrrev_b32_e32 v7, s18, v7
	v_mul_lo_u32 v10, v7, s16
	v_mul_hi_u32 v13, s20, v7
	s_cmp_lg_u32 s28, s30
	v_sub_u32_e32 v4, v4, v10
	v_add_u32_e32 v10, v7, v13
	v_mul_lo_u32 v13, v4, s8
	v_mul_lo_u32 v16, v4, s9
	v_lshrrev_b32_e32 v4, s21, v10
	v_mul_lo_u32 v10, v4, s19
	v_mul_hi_u32 v18, s23, v4
	v_sub_u32_e32 v7, v7, v10
	v_add_u32_e32 v10, v4, v18
	v_lshrrev_b32_e32 v10, s24, v10
	v_mul_hi_u32 v20, s26, v10
	v_mul_lo_u32 v21, v10, s22
	v_mul_lo_u32 v18, v7, s10
	;; [unrolled: 1-line block ×3, first 2 shown]
	v_sub_u32_e32 v21, v4, v21
	v_add_u32_e32 v4, v10, v20
	v_lshrrev_b32_e32 v4, s27, v4
	v_mul_lo_u32 v20, v4, s25
	v_mul_lo_u32 v22, v21, s12
	;; [unrolled: 1-line block ×3, first 2 shown]
	v_add3_u32 v13, v13, v15, v18
	v_sub_u32_e32 v10, v10, v20
	v_mul_lo_u32 v20, v10, s14
	v_mul_lo_u32 v10, v10, s15
	v_add3_u32 v7, v16, v17, v7
	v_add3_u32 v15, v22, v13, v20
	;; [unrolled: 1-line block ×3, first 2 shown]
	s_cbranch_scc1 .LBB157_90
; %bb.91:
	s_and_b32 s8, s29, 3
	s_cmp_eq_u32 s8, 0
	s_cbranch_scc0 .LBB157_95
	s_branch .LBB157_97
.LBB157_92:
                                        ; implicit-def: $vgpr15
                                        ; implicit-def: $vgpr17
	s_branch .LBB157_98
.LBB157_93:
	v_mov_b32_e32 v15, 0
	v_mov_b32_e32 v17, 0
	s_branch .LBB157_97
.LBB157_94:
	v_mov_b32_e32 v15, 0
	v_mov_b32_e32 v17, 0
	v_mov_b32_e32 v4, v1
	s_and_b32 s8, s29, 3
	s_cmp_eq_u32 s8, 0
	s_cbranch_scc1 .LBB157_97
.LBB157_95:
	s_lshl_b32 s2, s28, 3
	s_add_u32 s2, s34, s2
	s_addc_u32 s3, s35, 0
	s_add_u32 s2, s2, 0xc4
	s_addc_u32 s3, s3, 0
	s_mul_i32 s6, s28, 12
	s_add_u32 s6, s34, s6
	s_addc_u32 s7, s35, 0
.LBB157_96:                             ; =>This Inner Loop Header: Depth=1
	s_load_dwordx2 s[10:11], s[6:7], 0x4
	s_load_dword s9, s[6:7], 0xc
	s_load_dwordx2 s[12:13], s[2:3], 0x0
	s_add_u32 s6, s6, 12
	s_addc_u32 s7, s7, 0
	s_waitcnt lgkmcnt(0)
	v_mul_hi_u32 v7, s11, v4
	s_add_u32 s2, s2, 8
	s_addc_u32 s3, s3, 0
	s_add_i32 s8, s8, -1
	v_add_u32_e32 v7, v4, v7
	v_lshrrev_b32_e32 v7, s9, v7
	v_mul_lo_u32 v10, v7, s10
	s_cmp_lg_u32 s8, 0
	v_sub_u32_e32 v4, v4, v10
	v_mad_u64_u32 v[15:16], s[10:11], v4, s12, v[15:16]
	v_mad_u64_u32 v[17:18], s[10:11], v4, s13, v[17:18]
	v_mov_b32_e32 v4, v7
	s_cbranch_scc1 .LBB157_96
.LBB157_97:
	s_cbranch_execnz .LBB157_100
.LBB157_98:
	s_load_dwordx4 s[8:11], s[34:35], 0x4
	s_load_dwordx2 s[2:3], s[34:35], 0xc4
	s_cmp_lt_u32 s33, 2
	s_waitcnt lgkmcnt(0)
	v_mul_hi_u32 v4, s9, v1
	v_add_u32_e32 v4, v1, v4
	v_lshrrev_b32_e32 v4, s10, v4
	v_mul_lo_u32 v7, v4, s8
	v_sub_u32_e32 v1, v1, v7
	v_mul_lo_u32 v15, v1, s2
	v_mul_lo_u32 v17, v1, s3
	s_cbranch_scc1 .LBB157_100
; %bb.99:
	s_load_dwordx4 s[8:11], s[34:35], 0x10
	s_load_dwordx2 s[2:3], s[34:35], 0xcc
	s_waitcnt lgkmcnt(0)
	v_mul_hi_u32 v1, s9, v4
	v_add_u32_e32 v1, v4, v1
	v_lshrrev_b32_e32 v1, s10, v1
	v_mul_lo_u32 v1, v1, s8
	v_sub_u32_e32 v1, v4, v1
	v_mad_u64_u32 v[15:16], s[6:7], v1, s2, v[15:16]
	v_mad_u64_u32 v[17:18], s[2:3], v1, s3, v[17:18]
.LBB157_100:
	s_and_b64 vcc, exec, s[0:1]
	v_add_u32_e32 v1, 0x300, v19
	s_cbranch_vccnz .LBB157_106
; %bb.101:
	s_cmp_lg_u32 s33, 0
	s_mov_b32 s28, 0
	s_cbranch_scc0 .LBB157_107
; %bb.102:
	s_min_u32 s29, s58, 15
	s_add_i32 s29, s29, 1
	s_cmp_eq_u32 s58, 2
	s_cbranch_scc1 .LBB157_108
; %bb.103:
	s_and_b32 s28, s29, 28
	s_add_u32 s2, s34, 0xc4
	s_addc_u32 s3, s35, 0
	v_mov_b32_e32 v20, 0
	s_mov_b32 s30, 0
	s_mov_b64 s[6:7], s[34:35]
	v_mov_b32_e32 v18, 0
	v_mov_b32_e32 v4, v1
.LBB157_104:                            ; =>This Inner Loop Header: Depth=1
	s_load_dwordx8 s[16:23], s[6:7], 0x4
	s_load_dwordx4 s[24:27], s[6:7], 0x24
	s_load_dwordx8 s[8:15], s[2:3], 0x0
	s_add_u32 s6, s6, 48
	s_addc_u32 s7, s7, 0
	s_waitcnt lgkmcnt(0)
	v_mul_hi_u32 v7, s17, v4
	s_add_i32 s30, s30, 4
	s_add_u32 s2, s2, 32
	s_addc_u32 s3, s3, 0
	v_add_u32_e32 v7, v4, v7
	v_lshrrev_b32_e32 v7, s18, v7
	v_mul_lo_u32 v10, v7, s16
	v_mul_hi_u32 v13, s20, v7
	s_cmp_lg_u32 s28, s30
	v_sub_u32_e32 v4, v4, v10
	v_add_u32_e32 v10, v7, v13
	v_mul_lo_u32 v13, v4, s8
	v_mul_lo_u32 v16, v4, s9
	v_lshrrev_b32_e32 v4, s21, v10
	v_mul_lo_u32 v10, v4, s19
	v_mul_hi_u32 v19, s23, v4
	v_sub_u32_e32 v7, v7, v10
	v_add_u32_e32 v10, v4, v19
	v_lshrrev_b32_e32 v10, s24, v10
	v_mul_hi_u32 v21, s26, v10
	v_mul_lo_u32 v22, v10, s22
	v_mul_lo_u32 v19, v7, s10
	;; [unrolled: 1-line block ×3, first 2 shown]
	v_sub_u32_e32 v22, v4, v22
	v_add_u32_e32 v4, v10, v21
	v_lshrrev_b32_e32 v4, s27, v4
	v_mul_lo_u32 v21, v4, s25
	v_mul_lo_u32 v23, v22, s12
	v_mul_lo_u32 v22, v22, s13
	v_add3_u32 v13, v13, v18, v19
	v_sub_u32_e32 v10, v10, v21
	v_mul_lo_u32 v21, v10, s14
	v_mul_lo_u32 v10, v10, s15
	v_add3_u32 v7, v16, v20, v7
	v_add3_u32 v18, v23, v13, v21
	;; [unrolled: 1-line block ×3, first 2 shown]
	s_cbranch_scc1 .LBB157_104
; %bb.105:
	s_and_b32 s8, s29, 3
	s_cmp_eq_u32 s8, 0
	s_cbranch_scc0 .LBB157_109
	s_branch .LBB157_111
.LBB157_106:
                                        ; implicit-def: $vgpr18
                                        ; implicit-def: $vgpr20
	s_branch .LBB157_112
.LBB157_107:
	v_mov_b32_e32 v18, 0
	v_mov_b32_e32 v20, 0
	s_branch .LBB157_111
.LBB157_108:
	v_mov_b32_e32 v18, 0
	v_mov_b32_e32 v20, 0
	;; [unrolled: 1-line block ×3, first 2 shown]
	s_and_b32 s8, s29, 3
	s_cmp_eq_u32 s8, 0
	s_cbranch_scc1 .LBB157_111
.LBB157_109:
	s_lshl_b32 s2, s28, 3
	s_add_u32 s2, s34, s2
	s_addc_u32 s3, s35, 0
	s_add_u32 s2, s2, 0xc4
	s_addc_u32 s3, s3, 0
	s_mul_i32 s6, s28, 12
	s_add_u32 s6, s34, s6
	s_addc_u32 s7, s35, 0
.LBB157_110:                            ; =>This Inner Loop Header: Depth=1
	s_load_dwordx2 s[10:11], s[6:7], 0x4
	s_load_dword s9, s[6:7], 0xc
	s_load_dwordx2 s[12:13], s[2:3], 0x0
	s_add_u32 s6, s6, 12
	s_addc_u32 s7, s7, 0
	s_waitcnt lgkmcnt(0)
	v_mul_hi_u32 v7, s11, v4
	s_add_u32 s2, s2, 8
	s_addc_u32 s3, s3, 0
	s_add_i32 s8, s8, -1
	v_add_u32_e32 v7, v4, v7
	v_lshrrev_b32_e32 v7, s9, v7
	v_mul_lo_u32 v10, v7, s10
	s_cmp_lg_u32 s8, 0
	v_sub_u32_e32 v4, v4, v10
	v_mad_u64_u32 v[18:19], s[10:11], v4, s12, v[18:19]
	v_mad_u64_u32 v[20:21], s[10:11], v4, s13, v[20:21]
	v_mov_b32_e32 v4, v7
	s_cbranch_scc1 .LBB157_110
.LBB157_111:
	s_cbranch_execnz .LBB157_114
.LBB157_112:
	s_load_dwordx4 s[8:11], s[34:35], 0x4
	s_load_dwordx2 s[2:3], s[34:35], 0xc4
	s_cmp_lt_u32 s33, 2
	s_waitcnt lgkmcnt(0)
	v_mul_hi_u32 v4, s9, v1
	v_add_u32_e32 v4, v1, v4
	v_lshrrev_b32_e32 v4, s10, v4
	v_mul_lo_u32 v7, v4, s8
	v_sub_u32_e32 v1, v1, v7
	v_mul_lo_u32 v18, v1, s2
	v_mul_lo_u32 v20, v1, s3
	s_cbranch_scc1 .LBB157_114
; %bb.113:
	s_load_dwordx4 s[8:11], s[34:35], 0x10
	s_load_dwordx2 s[2:3], s[34:35], 0xcc
	s_waitcnt lgkmcnt(0)
	v_mul_hi_u32 v1, s9, v4
	v_add_u32_e32 v1, v4, v1
	v_lshrrev_b32_e32 v1, s10, v1
	v_mul_lo_u32 v1, v1, s8
	v_sub_u32_e32 v1, v4, v1
	v_mad_u64_u32 v[18:19], s[6:7], v1, s2, v[18:19]
	v_mad_u64_u32 v[20:21], s[2:3], v1, s3, v[20:21]
.LBB157_114:
	s_and_b64 vcc, exec, s[0:1]
	s_cbranch_vccnz .LBB157_120
; %bb.115:
	s_cmp_lg_u32 s33, 0
	s_mov_b32 s26, 0
	s_cbranch_scc0 .LBB157_121
; %bb.116:
	s_min_u32 s27, s58, 15
	s_add_i32 s27, s27, 1
	s_cmp_eq_u32 s58, 2
	s_cbranch_scc1 .LBB157_122
; %bb.117:
	s_and_b32 s26, s27, 28
	s_add_u32 s6, s34, 0xc4
	s_addc_u32 s7, s35, 0
	v_mov_b32_e32 v23, 0
	s_mov_b32 s28, 0
	s_mov_b64 s[24:25], s[34:35]
	v_mov_b32_e32 v21, 0
	v_mov_b32_e32 v1, v25
.LBB157_118:                            ; =>This Inner Loop Header: Depth=1
	s_load_dwordx8 s[16:23], s[24:25], 0x4
	s_load_dwordx4 s[0:3], s[24:25], 0x24
	s_load_dwordx8 s[8:15], s[6:7], 0x0
	s_add_u32 s24, s24, 48
	s_addc_u32 s25, s25, 0
	s_waitcnt lgkmcnt(0)
	v_mul_hi_u32 v4, s17, v1
	s_add_i32 s28, s28, 4
	s_add_u32 s6, s6, 32
	s_addc_u32 s7, s7, 0
	v_add_u32_e32 v4, v1, v4
	v_lshrrev_b32_e32 v4, s18, v4
	v_mul_lo_u32 v7, v4, s16
	v_mul_hi_u32 v10, s20, v4
	s_cmp_lg_u32 s26, s28
	v_sub_u32_e32 v1, v1, v7
	v_add_u32_e32 v7, v4, v10
	v_mul_lo_u32 v10, v1, s8
	v_mul_lo_u32 v13, v1, s9
	v_lshrrev_b32_e32 v1, s21, v7
	v_mul_lo_u32 v7, v1, s19
	v_mul_hi_u32 v16, s23, v1
	v_sub_u32_e32 v4, v4, v7
	v_add_u32_e32 v7, v1, v16
	v_lshrrev_b32_e32 v7, s0, v7
	v_mul_hi_u32 v19, s2, v7
	v_mul_lo_u32 v22, v7, s22
	v_mul_lo_u32 v16, v4, s10
	;; [unrolled: 1-line block ×3, first 2 shown]
	v_sub_u32_e32 v22, v1, v22
	v_add_u32_e32 v1, v7, v19
	v_lshrrev_b32_e32 v1, s3, v1
	v_mul_lo_u32 v19, v1, s1
	v_mul_lo_u32 v24, v22, s12
	v_mul_lo_u32 v22, v22, s13
	v_add3_u32 v10, v10, v21, v16
	v_sub_u32_e32 v7, v7, v19
	v_mul_lo_u32 v19, v7, s14
	v_mul_lo_u32 v7, v7, s15
	v_add3_u32 v4, v13, v23, v4
	v_add3_u32 v21, v24, v10, v19
	;; [unrolled: 1-line block ×3, first 2 shown]
	s_cbranch_scc1 .LBB157_118
; %bb.119:
	s_and_b32 s6, s27, 3
	s_cmp_eq_u32 s6, 0
	s_cbranch_scc0 .LBB157_123
	s_branch .LBB157_125
.LBB157_120:
                                        ; implicit-def: $vgpr21
                                        ; implicit-def: $vgpr23
	s_branch .LBB157_126
.LBB157_121:
	v_mov_b32_e32 v21, 0
	v_mov_b32_e32 v23, 0
	s_branch .LBB157_125
.LBB157_122:
	v_mov_b32_e32 v21, 0
	v_mov_b32_e32 v23, 0
	;; [unrolled: 1-line block ×3, first 2 shown]
	s_and_b32 s6, s27, 3
	s_cmp_eq_u32 s6, 0
	s_cbranch_scc1 .LBB157_125
.LBB157_123:
	s_lshl_b32 s0, s26, 3
	s_add_u32 s0, s34, s0
	s_addc_u32 s1, s35, 0
	s_add_u32 s0, s0, 0xc4
	s_addc_u32 s1, s1, 0
	s_mul_i32 s2, s26, 12
	s_add_u32 s2, s34, s2
	s_addc_u32 s3, s35, 0
.LBB157_124:                            ; =>This Inner Loop Header: Depth=1
	s_load_dwordx2 s[8:9], s[2:3], 0x4
	s_load_dword s7, s[2:3], 0xc
	s_load_dwordx2 s[10:11], s[0:1], 0x0
	s_add_u32 s2, s2, 12
	s_addc_u32 s3, s3, 0
	s_waitcnt lgkmcnt(0)
	v_mul_hi_u32 v4, s9, v1
	s_add_u32 s0, s0, 8
	s_addc_u32 s1, s1, 0
	s_add_i32 s6, s6, -1
	v_add_u32_e32 v4, v1, v4
	v_lshrrev_b32_e32 v4, s7, v4
	v_mul_lo_u32 v7, v4, s8
	s_cmp_lg_u32 s6, 0
	v_sub_u32_e32 v1, v1, v7
	v_mad_u64_u32 v[21:22], s[8:9], v1, s10, v[21:22]
	v_mad_u64_u32 v[23:24], s[8:9], v1, s11, v[23:24]
	v_mov_b32_e32 v1, v4
	s_cbranch_scc1 .LBB157_124
.LBB157_125:
	s_cbranch_execnz .LBB157_128
.LBB157_126:
	s_load_dwordx4 s[0:3], s[34:35], 0x4
	s_load_dwordx2 s[6:7], s[34:35], 0xc4
	s_cmp_lt_u32 s33, 2
	s_waitcnt lgkmcnt(0)
	v_mul_hi_u32 v1, s1, v25
	v_add_u32_e32 v1, v25, v1
	v_lshrrev_b32_e32 v1, s2, v1
	v_mul_lo_u32 v4, v1, s0
	v_sub_u32_e32 v4, v25, v4
	v_mul_lo_u32 v21, v4, s6
	v_mul_lo_u32 v23, v4, s7
	s_cbranch_scc1 .LBB157_128
; %bb.127:
	s_load_dwordx4 s[0:3], s[34:35], 0x10
	s_load_dwordx2 s[6:7], s[34:35], 0xcc
	s_waitcnt lgkmcnt(0)
	v_mul_hi_u32 v4, s1, v1
	v_add_u32_e32 v4, v1, v4
	v_lshrrev_b32_e32 v4, s2, v4
	v_mul_lo_u32 v4, v4, s0
	v_sub_u32_e32 v1, v1, v4
	v_mad_u64_u32 v[21:22], s[0:1], v1, s6, v[21:22]
	v_mad_u64_u32 v[23:24], s[0:1], v1, s7, v[23:24]
.LBB157_128:
	s_load_dwordx4 s[0:3], s[34:35], 0x148
	s_load_dword s6, s[4:5], 0x160
	s_waitcnt lgkmcnt(0)
	global_load_sbyte v1, v2, s[2:3]
	global_load_sbyte v4, v5, s[2:3]
	;; [unrolled: 1-line block ×8, first 2 shown]
	s_lshr_b32 s2, s6, 8
	s_bfe_u32 s3, s6, 0x80008
	s_cmp_gt_u32 s3, 6
	s_cselect_b64 vcc, -1, 0
	s_waitcnt vmcnt(7)
	v_lshrrev_b16_e32 v2, 7, v1
	v_ashrrev_i32_sdwa v1, s2, sext(v1) dst_sel:DWORD dst_unused:UNUSED_PAD src0_sel:DWORD src1_sel:WORD_0
	v_cndmask_b32_e32 v1, v1, v2, vcc
	s_waitcnt vmcnt(6)
	v_lshrrev_b16_e32 v2, 7, v4
	v_ashrrev_i32_sdwa v4, s2, sext(v4) dst_sel:DWORD dst_unused:UNUSED_PAD src0_sel:DWORD src1_sel:WORD_0
	v_cndmask_b32_e32 v2, v4, v2, vcc
	;; [unrolled: 4-line block ×8, first 2 shown]
	global_store_byte v0, v1, s[0:1]
	global_store_byte v3, v2, s[0:1]
	global_store_byte v6, v4, s[0:1]
	global_store_byte v9, v5, s[0:1]
	global_store_byte v12, v7, s[0:1]
	global_store_byte v15, v8, s[0:1]
	global_store_byte v18, v10, s[0:1]
	global_store_byte v21, v11, s[0:1]
	s_endpgm
.LBB157_129:
	v_mov_b32_e32 v0, 0
	v_mov_b32_e32 v2, 0
	s_branch .LBB157_135
.LBB157_130:
	v_mov_b32_e32 v0, 0
	v_mov_b32_e32 v2, 0
	s_branch .LBB157_151
.LBB157_131:
	s_mov_b32 s62, 0
	v_mov_b32_e32 v0, 0
	v_mov_b32_e32 v2, 0
	;; [unrolled: 1-line block ×3, first 2 shown]
.LBB157_132:
	s_and_b32 s12, s63, 3
	s_cmp_eq_u32 s12, 0
	s_cbranch_scc1 .LBB157_135
; %bb.133:
	s_lshl_b32 s8, s62, 3
	s_add_u32 s8, s34, s8
	s_addc_u32 s9, s35, 0
	s_add_u32 s8, s8, 0xc4
	s_addc_u32 s9, s9, 0
	s_mul_i32 s10, s62, 12
	s_add_u32 s10, s34, s10
	s_addc_u32 s11, s35, 0
.LBB157_134:                            ; =>This Inner Loop Header: Depth=1
	s_load_dwordx2 s[14:15], s[10:11], 0x4
	s_load_dword s13, s[10:11], 0xc
	s_load_dwordx2 s[16:17], s[8:9], 0x0
	s_add_u32 s10, s10, 12
	s_addc_u32 s11, s11, 0
	s_waitcnt lgkmcnt(0)
	v_mul_hi_u32 v3, s15, v1
	s_add_u32 s8, s8, 8
	s_addc_u32 s9, s9, 0
	s_add_i32 s12, s12, -1
	v_add_u32_e32 v3, v1, v3
	v_lshrrev_b32_e32 v4, s13, v3
	v_mul_lo_u32 v3, v4, s14
	s_cmp_lg_u32 s12, 0
	v_sub_u32_e32 v3, v1, v3
	v_mad_u64_u32 v[0:1], s[14:15], v3, s16, v[0:1]
	v_mad_u64_u32 v[2:3], s[14:15], v3, s17, v[2:3]
	v_mov_b32_e32 v1, v4
	s_cbranch_scc1 .LBB157_134
.LBB157_135:
	s_cbranch_execnz .LBB157_138
.LBB157_136:
	v_mul_hi_u32 v0, s29, v19
	s_andn2_b64 vcc, exec, s[46:47]
	v_add_u32_e32 v0, v19, v0
	v_lshrrev_b32_e32 v1, s30, v0
	v_mul_lo_u32 v0, v1, s28
	v_sub_u32_e32 v2, v19, v0
	v_mul_lo_u32 v0, v2, s36
	v_mul_lo_u32 v2, v2, s37
	s_cbranch_vccnz .LBB157_138
; %bb.137:
	v_mul_hi_u32 v3, s44, v1
	v_add_u32_e32 v3, v1, v3
	v_lshrrev_b32_e32 v3, s45, v3
	v_mul_lo_u32 v3, v3, s31
	v_sub_u32_e32 v3, v1, v3
	v_mad_u64_u32 v[0:1], s[8:9], v3, s38, v[0:1]
	v_mad_u64_u32 v[2:3], s[8:9], v3, s39, v[2:3]
.LBB157_138:
	global_load_sbyte v1, v2, s[26:27]
	v_add_u32_e32 v19, 0x80, v19
	s_waitcnt vmcnt(0)
	v_lshrrev_b16_e32 v2, 7, v1
	v_ashrrev_i32_sdwa v1, s59, sext(v1) dst_sel:DWORD dst_unused:UNUSED_PAD src0_sel:DWORD src1_sel:WORD_0
	v_cndmask_b32_e64 v1, v1, v2, s[0:1]
	global_store_byte v0, v1, s[24:25]
	s_or_b64 exec, exec, s[52:53]
	v_cmp_gt_i32_e32 vcc, s60, v19
	s_and_saveexec_b64 s[52:53], vcc
	s_cbranch_execnz .LBB157_15
.LBB157_139:
	s_or_b64 exec, exec, s[52:53]
	v_cmp_gt_i32_e32 vcc, s60, v19
	s_and_saveexec_b64 s[52:53], vcc
	s_cbranch_execz .LBB157_155
.LBB157_140:
	s_andn2_b64 vcc, exec, s[2:3]
	s_cbranch_vccnz .LBB157_145
; %bb.141:
	s_andn2_b64 vcc, exec, s[50:51]
	s_cbranch_vccnz .LBB157_146
; %bb.142:
	s_add_i32 s63, s61, 1
	s_cmp_eq_u32 s58, 2
	s_cbranch_scc1 .LBB157_163
; %bb.143:
	s_and_b32 s62, s63, 28
	v_mov_b32_e32 v2, 0
	s_mov_b32 s64, 0
	s_mov_b64 s[54:55], s[34:35]
	s_mov_b64 s[56:57], s[48:49]
	v_mov_b32_e32 v0, 0
	v_mov_b32_e32 v1, v19
.LBB157_144:                            ; =>This Inner Loop Header: Depth=1
	s_load_dwordx8 s[16:23], s[54:55], 0x4
	s_load_dwordx4 s[40:43], s[54:55], 0x24
	s_load_dwordx8 s[8:15], s[56:57], 0x0
	s_add_u32 s54, s54, 48
	s_addc_u32 s55, s55, 0
	s_waitcnt lgkmcnt(0)
	v_mul_hi_u32 v3, s17, v1
	s_add_i32 s64, s64, 4
	s_add_u32 s56, s56, 32
	s_addc_u32 s57, s57, 0
	v_add_u32_e32 v3, v1, v3
	v_lshrrev_b32_e32 v3, s18, v3
	v_mul_lo_u32 v4, v3, s16
	v_mul_hi_u32 v5, s20, v3
	s_cmp_eq_u32 s62, s64
	v_sub_u32_e32 v1, v1, v4
	v_add_u32_e32 v4, v3, v5
	v_mul_lo_u32 v5, v1, s8
	v_mul_lo_u32 v6, v1, s9
	v_lshrrev_b32_e32 v1, s21, v4
	v_mul_lo_u32 v4, v1, s19
	v_mul_hi_u32 v7, s23, v1
	v_sub_u32_e32 v3, v3, v4
	v_add_u32_e32 v4, v1, v7
	v_lshrrev_b32_e32 v4, s40, v4
	v_mul_hi_u32 v8, s42, v4
	v_mul_lo_u32 v9, v4, s22
	v_mul_lo_u32 v7, v3, s10
	;; [unrolled: 1-line block ×3, first 2 shown]
	v_sub_u32_e32 v9, v1, v9
	v_add_u32_e32 v1, v4, v8
	v_lshrrev_b32_e32 v1, s43, v1
	v_mul_lo_u32 v8, v1, s41
	v_mul_lo_u32 v10, v9, s12
	;; [unrolled: 1-line block ×3, first 2 shown]
	v_add3_u32 v0, v5, v0, v7
	v_sub_u32_e32 v4, v4, v8
	v_mul_lo_u32 v8, v4, s14
	v_mul_lo_u32 v4, v4, s15
	v_add3_u32 v2, v6, v2, v3
	v_add3_u32 v0, v10, v0, v8
	;; [unrolled: 1-line block ×3, first 2 shown]
	s_cbranch_scc0 .LBB157_144
	s_branch .LBB157_164
.LBB157_145:
                                        ; implicit-def: $vgpr0
                                        ; implicit-def: $vgpr2
	s_branch .LBB157_168
.LBB157_146:
	v_mov_b32_e32 v0, 0
	v_mov_b32_e32 v2, 0
	s_branch .LBB157_167
.LBB157_147:
	s_mov_b32 s62, 0
	v_mov_b32_e32 v0, 0
	v_mov_b32_e32 v2, 0
	;; [unrolled: 1-line block ×3, first 2 shown]
.LBB157_148:
	s_and_b32 s12, s63, 3
	s_cmp_eq_u32 s12, 0
	s_cbranch_scc1 .LBB157_151
; %bb.149:
	s_lshl_b32 s8, s62, 3
	s_add_u32 s8, s34, s8
	s_addc_u32 s9, s35, 0
	s_add_u32 s8, s8, 0xc4
	s_addc_u32 s9, s9, 0
	s_mul_i32 s10, s62, 12
	s_add_u32 s10, s34, s10
	s_addc_u32 s11, s35, 0
.LBB157_150:                            ; =>This Inner Loop Header: Depth=1
	s_load_dwordx2 s[14:15], s[10:11], 0x4
	s_load_dword s13, s[10:11], 0xc
	s_load_dwordx2 s[16:17], s[8:9], 0x0
	s_add_u32 s10, s10, 12
	s_addc_u32 s11, s11, 0
	s_waitcnt lgkmcnt(0)
	v_mul_hi_u32 v3, s15, v1
	s_add_u32 s8, s8, 8
	s_addc_u32 s9, s9, 0
	s_add_i32 s12, s12, -1
	v_add_u32_e32 v3, v1, v3
	v_lshrrev_b32_e32 v4, s13, v3
	v_mul_lo_u32 v3, v4, s14
	s_cmp_lg_u32 s12, 0
	v_sub_u32_e32 v3, v1, v3
	v_mad_u64_u32 v[0:1], s[14:15], v3, s16, v[0:1]
	v_mad_u64_u32 v[2:3], s[14:15], v3, s17, v[2:3]
	v_mov_b32_e32 v1, v4
	s_cbranch_scc1 .LBB157_150
.LBB157_151:
	s_cbranch_execnz .LBB157_154
.LBB157_152:
	v_mul_hi_u32 v0, s29, v19
	s_andn2_b64 vcc, exec, s[46:47]
	v_add_u32_e32 v0, v19, v0
	v_lshrrev_b32_e32 v1, s30, v0
	v_mul_lo_u32 v0, v1, s28
	v_sub_u32_e32 v2, v19, v0
	v_mul_lo_u32 v0, v2, s36
	v_mul_lo_u32 v2, v2, s37
	s_cbranch_vccnz .LBB157_154
; %bb.153:
	v_mul_hi_u32 v3, s44, v1
	v_add_u32_e32 v3, v1, v3
	v_lshrrev_b32_e32 v3, s45, v3
	v_mul_lo_u32 v3, v3, s31
	v_sub_u32_e32 v3, v1, v3
	v_mad_u64_u32 v[0:1], s[8:9], v3, s38, v[0:1]
	v_mad_u64_u32 v[2:3], s[8:9], v3, s39, v[2:3]
.LBB157_154:
	global_load_sbyte v1, v2, s[26:27]
	v_add_u32_e32 v19, 0x80, v19
	s_waitcnt vmcnt(0)
	v_lshrrev_b16_e32 v2, 7, v1
	v_ashrrev_i32_sdwa v1, s59, sext(v1) dst_sel:DWORD dst_unused:UNUSED_PAD src0_sel:DWORD src1_sel:WORD_0
	v_cndmask_b32_e64 v1, v1, v2, s[0:1]
	global_store_byte v0, v1, s[24:25]
	s_or_b64 exec, exec, s[52:53]
	v_cmp_gt_i32_e32 vcc, s60, v19
	s_and_saveexec_b64 s[52:53], vcc
	s_cbranch_execnz .LBB157_140
.LBB157_155:
	s_or_b64 exec, exec, s[52:53]
	v_cmp_gt_i32_e32 vcc, s60, v19
	s_and_saveexec_b64 s[52:53], vcc
	s_cbranch_execz .LBB157_171
.LBB157_156:
	s_andn2_b64 vcc, exec, s[2:3]
	s_cbranch_vccnz .LBB157_161
; %bb.157:
	s_andn2_b64 vcc, exec, s[50:51]
	s_cbranch_vccnz .LBB157_162
; %bb.158:
	s_add_i32 s63, s61, 1
	s_cmp_eq_u32 s58, 2
	s_cbranch_scc1 .LBB157_179
; %bb.159:
	s_and_b32 s62, s63, 28
	v_mov_b32_e32 v2, 0
	s_mov_b32 s64, 0
	s_mov_b64 s[54:55], s[34:35]
	s_mov_b64 s[56:57], s[48:49]
	v_mov_b32_e32 v0, 0
	v_mov_b32_e32 v1, v19
.LBB157_160:                            ; =>This Inner Loop Header: Depth=1
	s_load_dwordx8 s[16:23], s[54:55], 0x4
	s_load_dwordx4 s[40:43], s[54:55], 0x24
	s_load_dwordx8 s[8:15], s[56:57], 0x0
	s_add_u32 s54, s54, 48
	s_addc_u32 s55, s55, 0
	s_waitcnt lgkmcnt(0)
	v_mul_hi_u32 v3, s17, v1
	s_add_i32 s64, s64, 4
	s_add_u32 s56, s56, 32
	s_addc_u32 s57, s57, 0
	v_add_u32_e32 v3, v1, v3
	v_lshrrev_b32_e32 v3, s18, v3
	v_mul_lo_u32 v4, v3, s16
	v_mul_hi_u32 v5, s20, v3
	s_cmp_eq_u32 s62, s64
	v_sub_u32_e32 v1, v1, v4
	v_add_u32_e32 v4, v3, v5
	v_mul_lo_u32 v5, v1, s8
	v_mul_lo_u32 v6, v1, s9
	v_lshrrev_b32_e32 v1, s21, v4
	v_mul_lo_u32 v4, v1, s19
	v_mul_hi_u32 v7, s23, v1
	v_sub_u32_e32 v3, v3, v4
	v_add_u32_e32 v4, v1, v7
	v_lshrrev_b32_e32 v4, s40, v4
	v_mul_hi_u32 v8, s42, v4
	v_mul_lo_u32 v9, v4, s22
	v_mul_lo_u32 v7, v3, s10
	;; [unrolled: 1-line block ×3, first 2 shown]
	v_sub_u32_e32 v9, v1, v9
	v_add_u32_e32 v1, v4, v8
	v_lshrrev_b32_e32 v1, s43, v1
	v_mul_lo_u32 v8, v1, s41
	v_mul_lo_u32 v10, v9, s12
	;; [unrolled: 1-line block ×3, first 2 shown]
	v_add3_u32 v0, v5, v0, v7
	v_sub_u32_e32 v4, v4, v8
	v_mul_lo_u32 v8, v4, s14
	v_mul_lo_u32 v4, v4, s15
	v_add3_u32 v2, v6, v2, v3
	v_add3_u32 v0, v10, v0, v8
	;; [unrolled: 1-line block ×3, first 2 shown]
	s_cbranch_scc0 .LBB157_160
	s_branch .LBB157_180
.LBB157_161:
                                        ; implicit-def: $vgpr0
                                        ; implicit-def: $vgpr2
	s_branch .LBB157_184
.LBB157_162:
	v_mov_b32_e32 v0, 0
	v_mov_b32_e32 v2, 0
	s_branch .LBB157_183
.LBB157_163:
	s_mov_b32 s62, 0
	v_mov_b32_e32 v0, 0
	v_mov_b32_e32 v2, 0
	;; [unrolled: 1-line block ×3, first 2 shown]
.LBB157_164:
	s_and_b32 s12, s63, 3
	s_cmp_eq_u32 s12, 0
	s_cbranch_scc1 .LBB157_167
; %bb.165:
	s_lshl_b32 s8, s62, 3
	s_add_u32 s8, s34, s8
	s_addc_u32 s9, s35, 0
	s_add_u32 s8, s8, 0xc4
	s_addc_u32 s9, s9, 0
	s_mul_i32 s10, s62, 12
	s_add_u32 s10, s34, s10
	s_addc_u32 s11, s35, 0
.LBB157_166:                            ; =>This Inner Loop Header: Depth=1
	s_load_dwordx2 s[14:15], s[10:11], 0x4
	s_load_dword s13, s[10:11], 0xc
	s_load_dwordx2 s[16:17], s[8:9], 0x0
	s_add_u32 s10, s10, 12
	s_addc_u32 s11, s11, 0
	s_waitcnt lgkmcnt(0)
	v_mul_hi_u32 v3, s15, v1
	s_add_u32 s8, s8, 8
	s_addc_u32 s9, s9, 0
	s_add_i32 s12, s12, -1
	v_add_u32_e32 v3, v1, v3
	v_lshrrev_b32_e32 v4, s13, v3
	v_mul_lo_u32 v3, v4, s14
	s_cmp_lg_u32 s12, 0
	v_sub_u32_e32 v3, v1, v3
	v_mad_u64_u32 v[0:1], s[14:15], v3, s16, v[0:1]
	v_mad_u64_u32 v[2:3], s[14:15], v3, s17, v[2:3]
	v_mov_b32_e32 v1, v4
	s_cbranch_scc1 .LBB157_166
.LBB157_167:
	s_cbranch_execnz .LBB157_170
.LBB157_168:
	v_mul_hi_u32 v0, s29, v19
	s_andn2_b64 vcc, exec, s[46:47]
	v_add_u32_e32 v0, v19, v0
	v_lshrrev_b32_e32 v1, s30, v0
	v_mul_lo_u32 v0, v1, s28
	v_sub_u32_e32 v2, v19, v0
	v_mul_lo_u32 v0, v2, s36
	v_mul_lo_u32 v2, v2, s37
	s_cbranch_vccnz .LBB157_170
; %bb.169:
	v_mul_hi_u32 v3, s44, v1
	v_add_u32_e32 v3, v1, v3
	v_lshrrev_b32_e32 v3, s45, v3
	v_mul_lo_u32 v3, v3, s31
	v_sub_u32_e32 v3, v1, v3
	v_mad_u64_u32 v[0:1], s[8:9], v3, s38, v[0:1]
	v_mad_u64_u32 v[2:3], s[8:9], v3, s39, v[2:3]
.LBB157_170:
	global_load_sbyte v1, v2, s[26:27]
	v_add_u32_e32 v19, 0x80, v19
	s_waitcnt vmcnt(0)
	v_lshrrev_b16_e32 v2, 7, v1
	v_ashrrev_i32_sdwa v1, s59, sext(v1) dst_sel:DWORD dst_unused:UNUSED_PAD src0_sel:DWORD src1_sel:WORD_0
	v_cndmask_b32_e64 v1, v1, v2, s[0:1]
	global_store_byte v0, v1, s[24:25]
	s_or_b64 exec, exec, s[52:53]
	v_cmp_gt_i32_e32 vcc, s60, v19
	s_and_saveexec_b64 s[52:53], vcc
	s_cbranch_execnz .LBB157_156
.LBB157_171:
	s_or_b64 exec, exec, s[52:53]
	v_cmp_gt_i32_e32 vcc, s60, v19
	s_and_saveexec_b64 s[52:53], vcc
	s_cbranch_execz .LBB157_187
.LBB157_172:
	s_andn2_b64 vcc, exec, s[2:3]
	s_cbranch_vccnz .LBB157_177
; %bb.173:
	s_andn2_b64 vcc, exec, s[50:51]
	s_cbranch_vccnz .LBB157_178
; %bb.174:
	s_add_i32 s63, s61, 1
	s_cmp_eq_u32 s58, 2
	s_cbranch_scc1 .LBB157_195
; %bb.175:
	s_and_b32 s62, s63, 28
	v_mov_b32_e32 v2, 0
	s_mov_b32 s64, 0
	s_mov_b64 s[54:55], s[34:35]
	s_mov_b64 s[56:57], s[48:49]
	v_mov_b32_e32 v0, 0
	v_mov_b32_e32 v1, v19
.LBB157_176:                            ; =>This Inner Loop Header: Depth=1
	s_load_dwordx8 s[16:23], s[54:55], 0x4
	s_load_dwordx4 s[40:43], s[54:55], 0x24
	s_load_dwordx8 s[8:15], s[56:57], 0x0
	s_add_u32 s54, s54, 48
	s_addc_u32 s55, s55, 0
	s_waitcnt lgkmcnt(0)
	v_mul_hi_u32 v3, s17, v1
	s_add_i32 s64, s64, 4
	s_add_u32 s56, s56, 32
	s_addc_u32 s57, s57, 0
	v_add_u32_e32 v3, v1, v3
	v_lshrrev_b32_e32 v3, s18, v3
	v_mul_lo_u32 v4, v3, s16
	v_mul_hi_u32 v5, s20, v3
	s_cmp_eq_u32 s62, s64
	v_sub_u32_e32 v1, v1, v4
	v_add_u32_e32 v4, v3, v5
	v_mul_lo_u32 v5, v1, s8
	v_mul_lo_u32 v6, v1, s9
	v_lshrrev_b32_e32 v1, s21, v4
	v_mul_lo_u32 v4, v1, s19
	v_mul_hi_u32 v7, s23, v1
	v_sub_u32_e32 v3, v3, v4
	v_add_u32_e32 v4, v1, v7
	v_lshrrev_b32_e32 v4, s40, v4
	v_mul_hi_u32 v8, s42, v4
	v_mul_lo_u32 v9, v4, s22
	v_mul_lo_u32 v7, v3, s10
	;; [unrolled: 1-line block ×3, first 2 shown]
	v_sub_u32_e32 v9, v1, v9
	v_add_u32_e32 v1, v4, v8
	v_lshrrev_b32_e32 v1, s43, v1
	v_mul_lo_u32 v8, v1, s41
	v_mul_lo_u32 v10, v9, s12
	;; [unrolled: 1-line block ×3, first 2 shown]
	v_add3_u32 v0, v5, v0, v7
	v_sub_u32_e32 v4, v4, v8
	v_mul_lo_u32 v8, v4, s14
	v_mul_lo_u32 v4, v4, s15
	v_add3_u32 v2, v6, v2, v3
	v_add3_u32 v0, v10, v0, v8
	;; [unrolled: 1-line block ×3, first 2 shown]
	s_cbranch_scc0 .LBB157_176
	s_branch .LBB157_196
.LBB157_177:
                                        ; implicit-def: $vgpr0
                                        ; implicit-def: $vgpr2
	s_branch .LBB157_200
.LBB157_178:
	v_mov_b32_e32 v0, 0
	v_mov_b32_e32 v2, 0
	s_branch .LBB157_199
.LBB157_179:
	s_mov_b32 s62, 0
	v_mov_b32_e32 v0, 0
	v_mov_b32_e32 v2, 0
	;; [unrolled: 1-line block ×3, first 2 shown]
.LBB157_180:
	s_and_b32 s12, s63, 3
	s_cmp_eq_u32 s12, 0
	s_cbranch_scc1 .LBB157_183
; %bb.181:
	s_lshl_b32 s8, s62, 3
	s_add_u32 s8, s34, s8
	s_addc_u32 s9, s35, 0
	s_add_u32 s8, s8, 0xc4
	s_addc_u32 s9, s9, 0
	s_mul_i32 s10, s62, 12
	s_add_u32 s10, s34, s10
	s_addc_u32 s11, s35, 0
.LBB157_182:                            ; =>This Inner Loop Header: Depth=1
	s_load_dwordx2 s[14:15], s[10:11], 0x4
	s_load_dword s13, s[10:11], 0xc
	s_load_dwordx2 s[16:17], s[8:9], 0x0
	s_add_u32 s10, s10, 12
	s_addc_u32 s11, s11, 0
	s_waitcnt lgkmcnt(0)
	v_mul_hi_u32 v3, s15, v1
	s_add_u32 s8, s8, 8
	s_addc_u32 s9, s9, 0
	s_add_i32 s12, s12, -1
	v_add_u32_e32 v3, v1, v3
	v_lshrrev_b32_e32 v4, s13, v3
	v_mul_lo_u32 v3, v4, s14
	s_cmp_lg_u32 s12, 0
	v_sub_u32_e32 v3, v1, v3
	v_mad_u64_u32 v[0:1], s[14:15], v3, s16, v[0:1]
	v_mad_u64_u32 v[2:3], s[14:15], v3, s17, v[2:3]
	v_mov_b32_e32 v1, v4
	s_cbranch_scc1 .LBB157_182
.LBB157_183:
	s_cbranch_execnz .LBB157_186
.LBB157_184:
	v_mul_hi_u32 v0, s29, v19
	s_andn2_b64 vcc, exec, s[46:47]
	v_add_u32_e32 v0, v19, v0
	v_lshrrev_b32_e32 v1, s30, v0
	v_mul_lo_u32 v0, v1, s28
	v_sub_u32_e32 v2, v19, v0
	v_mul_lo_u32 v0, v2, s36
	v_mul_lo_u32 v2, v2, s37
	s_cbranch_vccnz .LBB157_186
; %bb.185:
	v_mul_hi_u32 v3, s44, v1
	v_add_u32_e32 v3, v1, v3
	v_lshrrev_b32_e32 v3, s45, v3
	v_mul_lo_u32 v3, v3, s31
	v_sub_u32_e32 v3, v1, v3
	v_mad_u64_u32 v[0:1], s[8:9], v3, s38, v[0:1]
	v_mad_u64_u32 v[2:3], s[8:9], v3, s39, v[2:3]
.LBB157_186:
	global_load_sbyte v1, v2, s[26:27]
	v_add_u32_e32 v19, 0x80, v19
	s_waitcnt vmcnt(0)
	v_lshrrev_b16_e32 v2, 7, v1
	v_ashrrev_i32_sdwa v1, s59, sext(v1) dst_sel:DWORD dst_unused:UNUSED_PAD src0_sel:DWORD src1_sel:WORD_0
	v_cndmask_b32_e64 v1, v1, v2, s[0:1]
	global_store_byte v0, v1, s[24:25]
	s_or_b64 exec, exec, s[52:53]
	v_cmp_gt_i32_e32 vcc, s60, v19
	s_and_saveexec_b64 s[52:53], vcc
	s_cbranch_execnz .LBB157_172
.LBB157_187:
	s_or_b64 exec, exec, s[52:53]
	v_cmp_gt_i32_e32 vcc, s60, v19
	s_and_saveexec_b64 s[52:53], vcc
	s_cbranch_execz .LBB157_203
.LBB157_188:
	s_andn2_b64 vcc, exec, s[2:3]
	s_cbranch_vccnz .LBB157_193
; %bb.189:
	s_andn2_b64 vcc, exec, s[50:51]
	s_cbranch_vccnz .LBB157_194
; %bb.190:
	s_add_i32 s63, s61, 1
	s_cmp_eq_u32 s58, 2
	s_cbranch_scc1 .LBB157_211
; %bb.191:
	s_and_b32 s62, s63, 28
	v_mov_b32_e32 v2, 0
	s_mov_b32 s64, 0
	s_mov_b64 s[54:55], s[34:35]
	s_mov_b64 s[56:57], s[48:49]
	v_mov_b32_e32 v0, 0
	v_mov_b32_e32 v1, v19
.LBB157_192:                            ; =>This Inner Loop Header: Depth=1
	s_load_dwordx8 s[16:23], s[54:55], 0x4
	s_load_dwordx4 s[40:43], s[54:55], 0x24
	s_load_dwordx8 s[8:15], s[56:57], 0x0
	s_add_u32 s54, s54, 48
	s_addc_u32 s55, s55, 0
	s_waitcnt lgkmcnt(0)
	v_mul_hi_u32 v3, s17, v1
	s_add_i32 s64, s64, 4
	s_add_u32 s56, s56, 32
	s_addc_u32 s57, s57, 0
	v_add_u32_e32 v3, v1, v3
	v_lshrrev_b32_e32 v3, s18, v3
	v_mul_lo_u32 v4, v3, s16
	v_mul_hi_u32 v5, s20, v3
	s_cmp_eq_u32 s62, s64
	v_sub_u32_e32 v1, v1, v4
	v_add_u32_e32 v4, v3, v5
	v_mul_lo_u32 v5, v1, s8
	v_mul_lo_u32 v6, v1, s9
	v_lshrrev_b32_e32 v1, s21, v4
	v_mul_lo_u32 v4, v1, s19
	v_mul_hi_u32 v7, s23, v1
	v_sub_u32_e32 v3, v3, v4
	v_add_u32_e32 v4, v1, v7
	v_lshrrev_b32_e32 v4, s40, v4
	v_mul_hi_u32 v8, s42, v4
	v_mul_lo_u32 v9, v4, s22
	v_mul_lo_u32 v7, v3, s10
	;; [unrolled: 1-line block ×3, first 2 shown]
	v_sub_u32_e32 v9, v1, v9
	v_add_u32_e32 v1, v4, v8
	v_lshrrev_b32_e32 v1, s43, v1
	v_mul_lo_u32 v8, v1, s41
	v_mul_lo_u32 v10, v9, s12
	;; [unrolled: 1-line block ×3, first 2 shown]
	v_add3_u32 v0, v5, v0, v7
	v_sub_u32_e32 v4, v4, v8
	v_mul_lo_u32 v8, v4, s14
	v_mul_lo_u32 v4, v4, s15
	v_add3_u32 v2, v6, v2, v3
	v_add3_u32 v0, v10, v0, v8
	;; [unrolled: 1-line block ×3, first 2 shown]
	s_cbranch_scc0 .LBB157_192
	s_branch .LBB157_212
.LBB157_193:
                                        ; implicit-def: $vgpr0
                                        ; implicit-def: $vgpr2
	s_branch .LBB157_216
.LBB157_194:
	v_mov_b32_e32 v0, 0
	v_mov_b32_e32 v2, 0
	s_branch .LBB157_215
.LBB157_195:
	s_mov_b32 s62, 0
	v_mov_b32_e32 v0, 0
	v_mov_b32_e32 v2, 0
	;; [unrolled: 1-line block ×3, first 2 shown]
.LBB157_196:
	s_and_b32 s12, s63, 3
	s_cmp_eq_u32 s12, 0
	s_cbranch_scc1 .LBB157_199
; %bb.197:
	s_lshl_b32 s8, s62, 3
	s_add_u32 s8, s34, s8
	s_addc_u32 s9, s35, 0
	s_add_u32 s8, s8, 0xc4
	s_addc_u32 s9, s9, 0
	s_mul_i32 s10, s62, 12
	s_add_u32 s10, s34, s10
	s_addc_u32 s11, s35, 0
.LBB157_198:                            ; =>This Inner Loop Header: Depth=1
	s_load_dwordx2 s[14:15], s[10:11], 0x4
	s_load_dword s13, s[10:11], 0xc
	s_load_dwordx2 s[16:17], s[8:9], 0x0
	s_add_u32 s10, s10, 12
	s_addc_u32 s11, s11, 0
	s_waitcnt lgkmcnt(0)
	v_mul_hi_u32 v3, s15, v1
	s_add_u32 s8, s8, 8
	s_addc_u32 s9, s9, 0
	s_add_i32 s12, s12, -1
	v_add_u32_e32 v3, v1, v3
	v_lshrrev_b32_e32 v4, s13, v3
	v_mul_lo_u32 v3, v4, s14
	s_cmp_lg_u32 s12, 0
	v_sub_u32_e32 v3, v1, v3
	v_mad_u64_u32 v[0:1], s[14:15], v3, s16, v[0:1]
	v_mad_u64_u32 v[2:3], s[14:15], v3, s17, v[2:3]
	v_mov_b32_e32 v1, v4
	s_cbranch_scc1 .LBB157_198
.LBB157_199:
	s_cbranch_execnz .LBB157_202
.LBB157_200:
	v_mul_hi_u32 v0, s29, v19
	s_andn2_b64 vcc, exec, s[46:47]
	v_add_u32_e32 v0, v19, v0
	v_lshrrev_b32_e32 v1, s30, v0
	v_mul_lo_u32 v0, v1, s28
	v_sub_u32_e32 v2, v19, v0
	v_mul_lo_u32 v0, v2, s36
	v_mul_lo_u32 v2, v2, s37
	s_cbranch_vccnz .LBB157_202
; %bb.201:
	v_mul_hi_u32 v3, s44, v1
	v_add_u32_e32 v3, v1, v3
	v_lshrrev_b32_e32 v3, s45, v3
	v_mul_lo_u32 v3, v3, s31
	v_sub_u32_e32 v3, v1, v3
	v_mad_u64_u32 v[0:1], s[8:9], v3, s38, v[0:1]
	v_mad_u64_u32 v[2:3], s[8:9], v3, s39, v[2:3]
.LBB157_202:
	global_load_sbyte v1, v2, s[26:27]
	v_add_u32_e32 v19, 0x80, v19
	s_waitcnt vmcnt(0)
	v_lshrrev_b16_e32 v2, 7, v1
	v_ashrrev_i32_sdwa v1, s59, sext(v1) dst_sel:DWORD dst_unused:UNUSED_PAD src0_sel:DWORD src1_sel:WORD_0
	v_cndmask_b32_e64 v1, v1, v2, s[0:1]
	global_store_byte v0, v1, s[24:25]
	s_or_b64 exec, exec, s[52:53]
	v_cmp_gt_i32_e32 vcc, s60, v19
	s_and_saveexec_b64 s[52:53], vcc
	s_cbranch_execnz .LBB157_188
.LBB157_203:
	s_or_b64 exec, exec, s[52:53]
	v_cmp_gt_i32_e32 vcc, s60, v19
	s_and_saveexec_b64 s[52:53], vcc
	s_cbranch_execz .LBB157_219
.LBB157_204:
	s_andn2_b64 vcc, exec, s[2:3]
	s_cbranch_vccnz .LBB157_209
; %bb.205:
	s_andn2_b64 vcc, exec, s[50:51]
	s_cbranch_vccnz .LBB157_210
; %bb.206:
	s_add_i32 s63, s61, 1
	s_cmp_eq_u32 s58, 2
	s_cbranch_scc1 .LBB157_222
; %bb.207:
	s_and_b32 s62, s63, 28
	v_mov_b32_e32 v2, 0
	s_mov_b32 s64, 0
	s_mov_b64 s[54:55], s[34:35]
	s_mov_b64 s[56:57], s[48:49]
	v_mov_b32_e32 v0, 0
	v_mov_b32_e32 v1, v19
.LBB157_208:                            ; =>This Inner Loop Header: Depth=1
	s_load_dwordx8 s[16:23], s[54:55], 0x4
	s_load_dwordx4 s[40:43], s[54:55], 0x24
	s_load_dwordx8 s[8:15], s[56:57], 0x0
	s_add_u32 s54, s54, 48
	s_addc_u32 s55, s55, 0
	s_waitcnt lgkmcnt(0)
	v_mul_hi_u32 v3, s17, v1
	s_add_i32 s64, s64, 4
	s_add_u32 s56, s56, 32
	s_addc_u32 s57, s57, 0
	v_add_u32_e32 v3, v1, v3
	v_lshrrev_b32_e32 v3, s18, v3
	v_mul_lo_u32 v4, v3, s16
	v_mul_hi_u32 v5, s20, v3
	s_cmp_eq_u32 s62, s64
	v_sub_u32_e32 v1, v1, v4
	v_add_u32_e32 v4, v3, v5
	v_mul_lo_u32 v5, v1, s8
	v_mul_lo_u32 v6, v1, s9
	v_lshrrev_b32_e32 v1, s21, v4
	v_mul_lo_u32 v4, v1, s19
	v_mul_hi_u32 v7, s23, v1
	v_sub_u32_e32 v3, v3, v4
	v_add_u32_e32 v4, v1, v7
	v_lshrrev_b32_e32 v4, s40, v4
	v_mul_hi_u32 v8, s42, v4
	v_mul_lo_u32 v9, v4, s22
	v_mul_lo_u32 v7, v3, s10
	;; [unrolled: 1-line block ×3, first 2 shown]
	v_sub_u32_e32 v9, v1, v9
	v_add_u32_e32 v1, v4, v8
	v_lshrrev_b32_e32 v1, s43, v1
	v_mul_lo_u32 v8, v1, s41
	v_mul_lo_u32 v10, v9, s12
	;; [unrolled: 1-line block ×3, first 2 shown]
	v_add3_u32 v0, v5, v0, v7
	v_sub_u32_e32 v4, v4, v8
	v_mul_lo_u32 v8, v4, s14
	v_mul_lo_u32 v4, v4, s15
	v_add3_u32 v2, v6, v2, v3
	v_add3_u32 v0, v10, v0, v8
	;; [unrolled: 1-line block ×3, first 2 shown]
	s_cbranch_scc0 .LBB157_208
	s_branch .LBB157_223
.LBB157_209:
                                        ; implicit-def: $vgpr0
                                        ; implicit-def: $vgpr2
	s_branch .LBB157_227
.LBB157_210:
	v_mov_b32_e32 v0, 0
	v_mov_b32_e32 v2, 0
	s_branch .LBB157_226
.LBB157_211:
	s_mov_b32 s62, 0
	v_mov_b32_e32 v0, 0
	v_mov_b32_e32 v2, 0
	;; [unrolled: 1-line block ×3, first 2 shown]
.LBB157_212:
	s_and_b32 s12, s63, 3
	s_cmp_eq_u32 s12, 0
	s_cbranch_scc1 .LBB157_215
; %bb.213:
	s_lshl_b32 s8, s62, 3
	s_add_u32 s8, s34, s8
	s_addc_u32 s9, s35, 0
	s_add_u32 s8, s8, 0xc4
	s_addc_u32 s9, s9, 0
	s_mul_i32 s10, s62, 12
	s_add_u32 s10, s34, s10
	s_addc_u32 s11, s35, 0
.LBB157_214:                            ; =>This Inner Loop Header: Depth=1
	s_load_dwordx2 s[14:15], s[10:11], 0x4
	s_load_dword s13, s[10:11], 0xc
	s_load_dwordx2 s[16:17], s[8:9], 0x0
	s_add_u32 s10, s10, 12
	s_addc_u32 s11, s11, 0
	s_waitcnt lgkmcnt(0)
	v_mul_hi_u32 v3, s15, v1
	s_add_u32 s8, s8, 8
	s_addc_u32 s9, s9, 0
	s_add_i32 s12, s12, -1
	v_add_u32_e32 v3, v1, v3
	v_lshrrev_b32_e32 v4, s13, v3
	v_mul_lo_u32 v3, v4, s14
	s_cmp_lg_u32 s12, 0
	v_sub_u32_e32 v3, v1, v3
	v_mad_u64_u32 v[0:1], s[14:15], v3, s16, v[0:1]
	v_mad_u64_u32 v[2:3], s[14:15], v3, s17, v[2:3]
	v_mov_b32_e32 v1, v4
	s_cbranch_scc1 .LBB157_214
.LBB157_215:
	s_cbranch_execnz .LBB157_218
.LBB157_216:
	v_mul_hi_u32 v0, s29, v19
	s_andn2_b64 vcc, exec, s[46:47]
	v_add_u32_e32 v0, v19, v0
	v_lshrrev_b32_e32 v1, s30, v0
	v_mul_lo_u32 v0, v1, s28
	v_sub_u32_e32 v2, v19, v0
	v_mul_lo_u32 v0, v2, s36
	v_mul_lo_u32 v2, v2, s37
	s_cbranch_vccnz .LBB157_218
; %bb.217:
	v_mul_hi_u32 v3, s44, v1
	v_add_u32_e32 v3, v1, v3
	v_lshrrev_b32_e32 v3, s45, v3
	v_mul_lo_u32 v3, v3, s31
	v_sub_u32_e32 v3, v1, v3
	v_mad_u64_u32 v[0:1], s[8:9], v3, s38, v[0:1]
	v_mad_u64_u32 v[2:3], s[8:9], v3, s39, v[2:3]
.LBB157_218:
	global_load_sbyte v1, v2, s[26:27]
	v_add_u32_e32 v19, 0x80, v19
	s_waitcnt vmcnt(0)
	v_lshrrev_b16_e32 v2, 7, v1
	v_ashrrev_i32_sdwa v1, s59, sext(v1) dst_sel:DWORD dst_unused:UNUSED_PAD src0_sel:DWORD src1_sel:WORD_0
	v_cndmask_b32_e64 v1, v1, v2, s[0:1]
	global_store_byte v0, v1, s[24:25]
	s_or_b64 exec, exec, s[52:53]
	v_cmp_gt_i32_e32 vcc, s60, v19
	s_and_saveexec_b64 s[52:53], vcc
	s_cbranch_execnz .LBB157_204
.LBB157_219:
	s_or_b64 exec, exec, s[52:53]
	v_cmp_gt_i32_e32 vcc, s60, v19
	s_and_saveexec_b64 s[52:53], vcc
	s_cbranch_execnz .LBB157_230
.LBB157_220:
	s_or_b64 exec, exec, s[52:53]
                                        ; implicit-def: $vgpr25
                                        ; implicit-def: $vgpr19
	s_andn2_saveexec_b64 s[0:1], s[6:7]
	s_cbranch_execnz .LBB157_8
.LBB157_221:
	s_endpgm
.LBB157_222:
	s_mov_b32 s62, 0
	v_mov_b32_e32 v0, 0
	v_mov_b32_e32 v2, 0
	;; [unrolled: 1-line block ×3, first 2 shown]
.LBB157_223:
	s_and_b32 s12, s63, 3
	s_cmp_eq_u32 s12, 0
	s_cbranch_scc1 .LBB157_226
; %bb.224:
	s_lshl_b32 s8, s62, 3
	s_add_u32 s8, s34, s8
	s_addc_u32 s9, s35, 0
	s_add_u32 s8, s8, 0xc4
	s_addc_u32 s9, s9, 0
	s_mul_i32 s10, s62, 12
	s_add_u32 s10, s34, s10
	s_addc_u32 s11, s35, 0
.LBB157_225:                            ; =>This Inner Loop Header: Depth=1
	s_load_dwordx2 s[14:15], s[10:11], 0x4
	s_load_dword s13, s[10:11], 0xc
	s_load_dwordx2 s[16:17], s[8:9], 0x0
	s_add_u32 s10, s10, 12
	s_addc_u32 s11, s11, 0
	s_waitcnt lgkmcnt(0)
	v_mul_hi_u32 v3, s15, v1
	s_add_u32 s8, s8, 8
	s_addc_u32 s9, s9, 0
	s_add_i32 s12, s12, -1
	v_add_u32_e32 v3, v1, v3
	v_lshrrev_b32_e32 v4, s13, v3
	v_mul_lo_u32 v3, v4, s14
	s_cmp_lg_u32 s12, 0
	v_sub_u32_e32 v3, v1, v3
	v_mad_u64_u32 v[0:1], s[14:15], v3, s16, v[0:1]
	v_mad_u64_u32 v[2:3], s[14:15], v3, s17, v[2:3]
	v_mov_b32_e32 v1, v4
	s_cbranch_scc1 .LBB157_225
.LBB157_226:
	s_cbranch_execnz .LBB157_229
.LBB157_227:
	v_mul_hi_u32 v0, s29, v19
	s_andn2_b64 vcc, exec, s[46:47]
	v_add_u32_e32 v0, v19, v0
	v_lshrrev_b32_e32 v1, s30, v0
	v_mul_lo_u32 v0, v1, s28
	v_sub_u32_e32 v2, v19, v0
	v_mul_lo_u32 v0, v2, s36
	v_mul_lo_u32 v2, v2, s37
	s_cbranch_vccnz .LBB157_229
; %bb.228:
	v_mul_hi_u32 v3, s44, v1
	v_add_u32_e32 v3, v1, v3
	v_lshrrev_b32_e32 v3, s45, v3
	v_mul_lo_u32 v3, v3, s31
	v_sub_u32_e32 v3, v1, v3
	v_mad_u64_u32 v[0:1], s[8:9], v3, s38, v[0:1]
	v_mad_u64_u32 v[2:3], s[8:9], v3, s39, v[2:3]
.LBB157_229:
	global_load_sbyte v1, v2, s[26:27]
	v_add_u32_e32 v19, 0x80, v19
	s_waitcnt vmcnt(0)
	v_lshrrev_b16_e32 v2, 7, v1
	v_ashrrev_i32_sdwa v1, s59, sext(v1) dst_sel:DWORD dst_unused:UNUSED_PAD src0_sel:DWORD src1_sel:WORD_0
	v_cndmask_b32_e64 v1, v1, v2, s[0:1]
	global_store_byte v0, v1, s[24:25]
	s_or_b64 exec, exec, s[52:53]
	v_cmp_gt_i32_e32 vcc, s60, v19
	s_and_saveexec_b64 s[52:53], vcc
	s_cbranch_execz .LBB157_220
.LBB157_230:
	s_andn2_b64 vcc, exec, s[2:3]
	s_cbranch_vccnz .LBB157_235
; %bb.231:
	s_andn2_b64 vcc, exec, s[50:51]
	s_cbranch_vccnz .LBB157_236
; %bb.232:
	s_add_i32 s61, s61, 1
	s_cmp_eq_u32 s58, 2
	s_cbranch_scc1 .LBB157_237
; %bb.233:
	s_and_b32 s54, s61, 28
	v_mov_b32_e32 v2, 0
	s_mov_b32 s55, 0
	s_mov_b64 s[50:51], s[34:35]
	v_mov_b32_e32 v0, 0
	v_mov_b32_e32 v1, v19
.LBB157_234:                            ; =>This Inner Loop Header: Depth=1
	s_load_dwordx8 s[16:23], s[50:51], 0x4
	s_load_dwordx4 s[40:43], s[50:51], 0x24
	s_load_dwordx8 s[8:15], s[48:49], 0x0
	s_add_u32 s50, s50, 48
	s_addc_u32 s51, s51, 0
	s_waitcnt lgkmcnt(0)
	v_mul_hi_u32 v3, s17, v1
	s_add_i32 s55, s55, 4
	s_add_u32 s48, s48, 32
	s_addc_u32 s49, s49, 0
	v_add_u32_e32 v3, v1, v3
	v_lshrrev_b32_e32 v3, s18, v3
	v_mul_lo_u32 v4, v3, s16
	v_mul_hi_u32 v5, s20, v3
	s_cmp_eq_u32 s54, s55
	v_sub_u32_e32 v1, v1, v4
	v_add_u32_e32 v4, v3, v5
	v_mul_lo_u32 v5, v1, s8
	v_mul_lo_u32 v6, v1, s9
	v_lshrrev_b32_e32 v1, s21, v4
	v_mul_lo_u32 v4, v1, s19
	v_mul_hi_u32 v7, s23, v1
	v_sub_u32_e32 v3, v3, v4
	v_add_u32_e32 v4, v1, v7
	v_lshrrev_b32_e32 v4, s40, v4
	v_mul_hi_u32 v8, s42, v4
	v_mul_lo_u32 v9, v4, s22
	v_mul_lo_u32 v7, v3, s10
	;; [unrolled: 1-line block ×3, first 2 shown]
	v_sub_u32_e32 v9, v1, v9
	v_add_u32_e32 v1, v4, v8
	v_lshrrev_b32_e32 v1, s43, v1
	v_mul_lo_u32 v8, v1, s41
	v_mul_lo_u32 v10, v9, s12
	;; [unrolled: 1-line block ×3, first 2 shown]
	v_add3_u32 v0, v5, v0, v7
	v_sub_u32_e32 v4, v4, v8
	v_mul_lo_u32 v8, v4, s14
	v_mul_lo_u32 v4, v4, s15
	v_add3_u32 v2, v6, v2, v3
	v_add3_u32 v0, v10, v0, v8
	v_add3_u32 v2, v9, v2, v4
	s_cbranch_scc0 .LBB157_234
	s_branch .LBB157_238
.LBB157_235:
                                        ; implicit-def: $vgpr0
                                        ; implicit-def: $vgpr2
	s_branch .LBB157_242
.LBB157_236:
	v_mov_b32_e32 v0, 0
	v_mov_b32_e32 v2, 0
	s_branch .LBB157_241
.LBB157_237:
	s_mov_b32 s54, 0
	v_mov_b32_e32 v0, 0
	v_mov_b32_e32 v2, 0
	;; [unrolled: 1-line block ×3, first 2 shown]
.LBB157_238:
	s_and_b32 s12, s61, 3
	s_cmp_eq_u32 s12, 0
	s_cbranch_scc1 .LBB157_241
; %bb.239:
	s_lshl_b32 s8, s54, 3
	s_add_u32 s8, s34, s8
	s_addc_u32 s9, s35, 0
	s_add_u32 s8, s8, 0xc4
	s_addc_u32 s9, s9, 0
	s_mul_i32 s10, s54, 12
	s_add_u32 s10, s34, s10
	s_addc_u32 s11, s35, 0
.LBB157_240:                            ; =>This Inner Loop Header: Depth=1
	s_load_dwordx2 s[14:15], s[10:11], 0x4
	s_load_dword s13, s[10:11], 0xc
	s_load_dwordx2 s[16:17], s[8:9], 0x0
	s_add_u32 s10, s10, 12
	s_addc_u32 s11, s11, 0
	s_waitcnt lgkmcnt(0)
	v_mul_hi_u32 v3, s15, v1
	s_add_u32 s8, s8, 8
	s_addc_u32 s9, s9, 0
	s_add_i32 s12, s12, -1
	v_add_u32_e32 v3, v1, v3
	v_lshrrev_b32_e32 v4, s13, v3
	v_mul_lo_u32 v3, v4, s14
	s_cmp_lg_u32 s12, 0
	v_sub_u32_e32 v3, v1, v3
	v_mad_u64_u32 v[0:1], s[14:15], v3, s16, v[0:1]
	v_mad_u64_u32 v[2:3], s[14:15], v3, s17, v[2:3]
	v_mov_b32_e32 v1, v4
	s_cbranch_scc1 .LBB157_240
.LBB157_241:
	s_cbranch_execnz .LBB157_244
.LBB157_242:
	v_mul_hi_u32 v0, s29, v19
	s_andn2_b64 vcc, exec, s[46:47]
	v_add_u32_e32 v0, v19, v0
	v_lshrrev_b32_e32 v1, s30, v0
	v_mul_lo_u32 v0, v1, s28
	v_sub_u32_e32 v2, v19, v0
	v_mul_lo_u32 v0, v2, s36
	v_mul_lo_u32 v2, v2, s37
	s_cbranch_vccnz .LBB157_244
; %bb.243:
	v_mul_hi_u32 v3, s44, v1
	v_add_u32_e32 v3, v1, v3
	v_lshrrev_b32_e32 v3, s45, v3
	v_mul_lo_u32 v3, v3, s31
	v_sub_u32_e32 v3, v1, v3
	v_mad_u64_u32 v[0:1], s[8:9], v3, s38, v[0:1]
	v_mad_u64_u32 v[2:3], s[8:9], v3, s39, v[2:3]
.LBB157_244:
	global_load_sbyte v1, v2, s[26:27]
	s_waitcnt vmcnt(0)
	v_lshrrev_b16_e32 v2, 7, v1
	v_ashrrev_i32_sdwa v1, s59, sext(v1) dst_sel:DWORD dst_unused:UNUSED_PAD src0_sel:DWORD src1_sel:WORD_0
	v_cndmask_b32_e64 v1, v1, v2, s[0:1]
	global_store_byte v0, v1, s[24:25]
	s_or_b64 exec, exec, s[52:53]
                                        ; implicit-def: $vgpr25
                                        ; implicit-def: $vgpr19
	s_andn2_saveexec_b64 s[0:1], s[6:7]
	s_cbranch_execz .LBB157_221
	s_branch .LBB157_8
	.section	.rodata,"a",@progbits
	.p2align	6, 0x0
	.amdhsa_kernel _ZN2at6native32elementwise_kernel_manual_unrollILi128ELi8EZNS0_22gpu_kernel_impl_nocastINS0_13BUnaryFunctorIaaaZZZNS0_18rshift_kernel_cudaERNS_18TensorIteratorBaseEENKUlvE_clEvENKUlvE0_clEvEUlaaE_EEEEvS5_RKT_EUlibE_EEviT1_
		.amdhsa_group_segment_fixed_size 0
		.amdhsa_private_segment_fixed_size 0
		.amdhsa_kernarg_size 360
		.amdhsa_user_sgpr_count 6
		.amdhsa_user_sgpr_private_segment_buffer 1
		.amdhsa_user_sgpr_dispatch_ptr 0
		.amdhsa_user_sgpr_queue_ptr 0
		.amdhsa_user_sgpr_kernarg_segment_ptr 1
		.amdhsa_user_sgpr_dispatch_id 0
		.amdhsa_user_sgpr_flat_scratch_init 0
		.amdhsa_user_sgpr_private_segment_size 0
		.amdhsa_uses_dynamic_stack 0
		.amdhsa_system_sgpr_private_segment_wavefront_offset 0
		.amdhsa_system_sgpr_workgroup_id_x 1
		.amdhsa_system_sgpr_workgroup_id_y 0
		.amdhsa_system_sgpr_workgroup_id_z 0
		.amdhsa_system_sgpr_workgroup_info 0
		.amdhsa_system_vgpr_workitem_id 0
		.amdhsa_next_free_vgpr 26
		.amdhsa_next_free_sgpr 65
		.amdhsa_reserve_vcc 1
		.amdhsa_reserve_flat_scratch 0
		.amdhsa_float_round_mode_32 0
		.amdhsa_float_round_mode_16_64 0
		.amdhsa_float_denorm_mode_32 3
		.amdhsa_float_denorm_mode_16_64 3
		.amdhsa_dx10_clamp 1
		.amdhsa_ieee_mode 1
		.amdhsa_fp16_overflow 0
		.amdhsa_exception_fp_ieee_invalid_op 0
		.amdhsa_exception_fp_denorm_src 0
		.amdhsa_exception_fp_ieee_div_zero 0
		.amdhsa_exception_fp_ieee_overflow 0
		.amdhsa_exception_fp_ieee_underflow 0
		.amdhsa_exception_fp_ieee_inexact 0
		.amdhsa_exception_int_div_zero 0
	.end_amdhsa_kernel
	.section	.text._ZN2at6native32elementwise_kernel_manual_unrollILi128ELi8EZNS0_22gpu_kernel_impl_nocastINS0_13BUnaryFunctorIaaaZZZNS0_18rshift_kernel_cudaERNS_18TensorIteratorBaseEENKUlvE_clEvENKUlvE0_clEvEUlaaE_EEEEvS5_RKT_EUlibE_EEviT1_,"axG",@progbits,_ZN2at6native32elementwise_kernel_manual_unrollILi128ELi8EZNS0_22gpu_kernel_impl_nocastINS0_13BUnaryFunctorIaaaZZZNS0_18rshift_kernel_cudaERNS_18TensorIteratorBaseEENKUlvE_clEvENKUlvE0_clEvEUlaaE_EEEEvS5_RKT_EUlibE_EEviT1_,comdat
.Lfunc_end157:
	.size	_ZN2at6native32elementwise_kernel_manual_unrollILi128ELi8EZNS0_22gpu_kernel_impl_nocastINS0_13BUnaryFunctorIaaaZZZNS0_18rshift_kernel_cudaERNS_18TensorIteratorBaseEENKUlvE_clEvENKUlvE0_clEvEUlaaE_EEEEvS5_RKT_EUlibE_EEviT1_, .Lfunc_end157-_ZN2at6native32elementwise_kernel_manual_unrollILi128ELi8EZNS0_22gpu_kernel_impl_nocastINS0_13BUnaryFunctorIaaaZZZNS0_18rshift_kernel_cudaERNS_18TensorIteratorBaseEENKUlvE_clEvENKUlvE0_clEvEUlaaE_EEEEvS5_RKT_EUlibE_EEviT1_
                                        ; -- End function
	.set _ZN2at6native32elementwise_kernel_manual_unrollILi128ELi8EZNS0_22gpu_kernel_impl_nocastINS0_13BUnaryFunctorIaaaZZZNS0_18rshift_kernel_cudaERNS_18TensorIteratorBaseEENKUlvE_clEvENKUlvE0_clEvEUlaaE_EEEEvS5_RKT_EUlibE_EEviT1_.num_vgpr, 26
	.set _ZN2at6native32elementwise_kernel_manual_unrollILi128ELi8EZNS0_22gpu_kernel_impl_nocastINS0_13BUnaryFunctorIaaaZZZNS0_18rshift_kernel_cudaERNS_18TensorIteratorBaseEENKUlvE_clEvENKUlvE0_clEvEUlaaE_EEEEvS5_RKT_EUlibE_EEviT1_.num_agpr, 0
	.set _ZN2at6native32elementwise_kernel_manual_unrollILi128ELi8EZNS0_22gpu_kernel_impl_nocastINS0_13BUnaryFunctorIaaaZZZNS0_18rshift_kernel_cudaERNS_18TensorIteratorBaseEENKUlvE_clEvENKUlvE0_clEvEUlaaE_EEEEvS5_RKT_EUlibE_EEviT1_.numbered_sgpr, 65
	.set _ZN2at6native32elementwise_kernel_manual_unrollILi128ELi8EZNS0_22gpu_kernel_impl_nocastINS0_13BUnaryFunctorIaaaZZZNS0_18rshift_kernel_cudaERNS_18TensorIteratorBaseEENKUlvE_clEvENKUlvE0_clEvEUlaaE_EEEEvS5_RKT_EUlibE_EEviT1_.num_named_barrier, 0
	.set _ZN2at6native32elementwise_kernel_manual_unrollILi128ELi8EZNS0_22gpu_kernel_impl_nocastINS0_13BUnaryFunctorIaaaZZZNS0_18rshift_kernel_cudaERNS_18TensorIteratorBaseEENKUlvE_clEvENKUlvE0_clEvEUlaaE_EEEEvS5_RKT_EUlibE_EEviT1_.private_seg_size, 0
	.set _ZN2at6native32elementwise_kernel_manual_unrollILi128ELi8EZNS0_22gpu_kernel_impl_nocastINS0_13BUnaryFunctorIaaaZZZNS0_18rshift_kernel_cudaERNS_18TensorIteratorBaseEENKUlvE_clEvENKUlvE0_clEvEUlaaE_EEEEvS5_RKT_EUlibE_EEviT1_.uses_vcc, 1
	.set _ZN2at6native32elementwise_kernel_manual_unrollILi128ELi8EZNS0_22gpu_kernel_impl_nocastINS0_13BUnaryFunctorIaaaZZZNS0_18rshift_kernel_cudaERNS_18TensorIteratorBaseEENKUlvE_clEvENKUlvE0_clEvEUlaaE_EEEEvS5_RKT_EUlibE_EEviT1_.uses_flat_scratch, 0
	.set _ZN2at6native32elementwise_kernel_manual_unrollILi128ELi8EZNS0_22gpu_kernel_impl_nocastINS0_13BUnaryFunctorIaaaZZZNS0_18rshift_kernel_cudaERNS_18TensorIteratorBaseEENKUlvE_clEvENKUlvE0_clEvEUlaaE_EEEEvS5_RKT_EUlibE_EEviT1_.has_dyn_sized_stack, 0
	.set _ZN2at6native32elementwise_kernel_manual_unrollILi128ELi8EZNS0_22gpu_kernel_impl_nocastINS0_13BUnaryFunctorIaaaZZZNS0_18rshift_kernel_cudaERNS_18TensorIteratorBaseEENKUlvE_clEvENKUlvE0_clEvEUlaaE_EEEEvS5_RKT_EUlibE_EEviT1_.has_recursion, 0
	.set _ZN2at6native32elementwise_kernel_manual_unrollILi128ELi8EZNS0_22gpu_kernel_impl_nocastINS0_13BUnaryFunctorIaaaZZZNS0_18rshift_kernel_cudaERNS_18TensorIteratorBaseEENKUlvE_clEvENKUlvE0_clEvEUlaaE_EEEEvS5_RKT_EUlibE_EEviT1_.has_indirect_call, 0
	.section	.AMDGPU.csdata,"",@progbits
; Kernel info:
; codeLenInByte = 11448
; TotalNumSgprs: 69
; NumVgprs: 26
; ScratchSize: 0
; MemoryBound: 0
; FloatMode: 240
; IeeeMode: 1
; LDSByteSize: 0 bytes/workgroup (compile time only)
; SGPRBlocks: 8
; VGPRBlocks: 6
; NumSGPRsForWavesPerEU: 69
; NumVGPRsForWavesPerEU: 26
; Occupancy: 9
; WaveLimiterHint : 1
; COMPUTE_PGM_RSRC2:SCRATCH_EN: 0
; COMPUTE_PGM_RSRC2:USER_SGPR: 6
; COMPUTE_PGM_RSRC2:TRAP_HANDLER: 0
; COMPUTE_PGM_RSRC2:TGID_X_EN: 1
; COMPUTE_PGM_RSRC2:TGID_Y_EN: 0
; COMPUTE_PGM_RSRC2:TGID_Z_EN: 0
; COMPUTE_PGM_RSRC2:TIDIG_COMP_CNT: 0
	.section	.text._ZN2at6native32elementwise_kernel_manual_unrollILi128ELi4EZNS0_15gpu_kernel_implINS0_13BUnaryFunctorIaaaZZZNS0_18rshift_kernel_cudaERNS_18TensorIteratorBaseEENKUlvE_clEvENKUlvE0_clEvEUlaaE_EEEEvS5_RKT_EUlibE_EEviT1_,"axG",@progbits,_ZN2at6native32elementwise_kernel_manual_unrollILi128ELi4EZNS0_15gpu_kernel_implINS0_13BUnaryFunctorIaaaZZZNS0_18rshift_kernel_cudaERNS_18TensorIteratorBaseEENKUlvE_clEvENKUlvE0_clEvEUlaaE_EEEEvS5_RKT_EUlibE_EEviT1_,comdat
	.globl	_ZN2at6native32elementwise_kernel_manual_unrollILi128ELi4EZNS0_15gpu_kernel_implINS0_13BUnaryFunctorIaaaZZZNS0_18rshift_kernel_cudaERNS_18TensorIteratorBaseEENKUlvE_clEvENKUlvE0_clEvEUlaaE_EEEEvS5_RKT_EUlibE_EEviT1_ ; -- Begin function _ZN2at6native32elementwise_kernel_manual_unrollILi128ELi4EZNS0_15gpu_kernel_implINS0_13BUnaryFunctorIaaaZZZNS0_18rshift_kernel_cudaERNS_18TensorIteratorBaseEENKUlvE_clEvENKUlvE0_clEvEUlaaE_EEEEvS5_RKT_EUlibE_EEviT1_
	.p2align	8
	.type	_ZN2at6native32elementwise_kernel_manual_unrollILi128ELi4EZNS0_15gpu_kernel_implINS0_13BUnaryFunctorIaaaZZZNS0_18rshift_kernel_cudaERNS_18TensorIteratorBaseEENKUlvE_clEvENKUlvE0_clEvEUlaaE_EEEEvS5_RKT_EUlibE_EEviT1_,@function
_ZN2at6native32elementwise_kernel_manual_unrollILi128ELi4EZNS0_15gpu_kernel_implINS0_13BUnaryFunctorIaaaZZZNS0_18rshift_kernel_cudaERNS_18TensorIteratorBaseEENKUlvE_clEvENKUlvE0_clEvEUlaaE_EEEEvS5_RKT_EUlibE_EEviT1_: ; @_ZN2at6native32elementwise_kernel_manual_unrollILi128ELi4EZNS0_15gpu_kernel_implINS0_13BUnaryFunctorIaaaZZZNS0_18rshift_kernel_cudaERNS_18TensorIteratorBaseEENKUlvE_clEvENKUlvE0_clEvEUlaaE_EEEEvS5_RKT_EUlibE_EEviT1_
; %bb.0:
	v_mov_b32_e32 v1, 0
	global_load_ushort v2, v1, s[4:5] offset:33
	global_load_sbyte v3, v1, s[4:5] offset:35
	s_load_dwordx2 s[12:13], s[4:5], 0x18
	s_load_dword s40, s[4:5], 0x0
	s_load_dwordx4 s[8:11], s[4:5], 0x8
	v_lshl_or_b32 v9, s6, 9, v0
	v_or_b32_e32 v0, 0x180, v9
	s_mov_b64 s[14:15], 0
	s_waitcnt lgkmcnt(0)
	v_cmp_le_i32_e32 vcc, s40, v0
	s_mov_b64 s[6:7], 0
	s_waitcnt vmcnt(1)
	v_readfirstlane_b32 s44, v2
	s_waitcnt vmcnt(0)
	v_readfirstlane_b32 s45, v3
	s_lshr_b32 s33, s44, 8
	s_and_saveexec_b64 s[0:1], vcc
	s_xor_b64 s[4:5], exec, s[0:1]
	s_cbranch_execz .LBB158_1011
; %bb.1:
	s_and_b32 s46, s44, 0xff
	s_cmp_gt_u32 s46, 6
	s_cselect_b64 s[0:1], -1, 0
	v_cmp_gt_i32_e32 vcc, s40, v9
	s_mov_b64 s[2:3], -1
	s_mov_b64 s[22:23], 0
	s_mov_b64 s[16:17], 0
	s_and_saveexec_b64 s[18:19], vcc
	s_cbranch_execz .LBB158_248
; %bb.2:
	v_mul_lo_u32 v0, v9, s13
	v_mov_b32_e32 v1, s11
	s_and_b32 s20, s45, 0xff
	s_cmp_lt_i32 s20, 11
	v_ashrrev_i32_e32 v2, 31, v0
	v_add_co_u32_e32 v0, vcc, s10, v0
	v_addc_co_u32_e32 v1, vcc, v1, v2, vcc
	s_cbranch_scc1 .LBB158_9
; %bb.3:
	s_and_b32 s21, 0xffff, s20
	s_cmp_gt_i32 s21, 25
	s_cbranch_scc0 .LBB158_18
; %bb.4:
	s_cmp_gt_i32 s21, 28
	s_cbranch_scc0 .LBB158_22
; %bb.5:
	;; [unrolled: 3-line block ×4, first 2 shown]
	s_cmp_eq_u32 s21, 46
	s_cbranch_scc0 .LBB158_28
; %bb.8:
	global_load_dword v2, v[0:1], off
	s_waitcnt vmcnt(0)
	v_lshlrev_b32_e32 v2, 16, v2
	v_cvt_i32_f32_e32 v2, v2
	s_branch .LBB158_30
.LBB158_9:
                                        ; implicit-def: $vgpr2
	s_mov_b64 s[2:3], 0
	s_cbranch_execnz .LBB158_199
.LBB158_10:
	s_andn2_b64 vcc, exec, s[2:3]
	s_cbranch_vccnz .LBB158_246
.LBB158_11:
	v_mul_lo_u32 v1, v9, s12
	v_mov_b32_e32 v0, 7
	s_waitcnt vmcnt(0)
	v_ashrrev_i16_sdwa v0, v0, sext(v2) dst_sel:DWORD dst_unused:UNUSED_PAD src0_sel:DWORD src1_sel:BYTE_0
	v_ashrrev_i32_sdwa v2, s46, sext(v2) dst_sel:DWORD dst_unused:UNUSED_PAD src0_sel:DWORD src1_sel:BYTE_0
	v_cndmask_b32_e64 v4, v2, v0, s[0:1]
	v_ashrrev_i32_e32 v2, 31, v1
	v_mov_b32_e32 v3, s9
	s_and_b32 s26, s33, 0xff
	v_add_co_u32_e32 v0, vcc, s8, v1
	s_cmp_lt_i32 s26, 11
	v_addc_co_u32_e32 v1, vcc, v3, v2, vcc
	s_cbranch_scc1 .LBB158_19
; %bb.12:
	s_and_b32 s27, 0xffff, s26
	s_cmp_gt_i32 s27, 25
	s_cbranch_scc0 .LBB158_23
; %bb.13:
	s_cmp_gt_i32 s27, 28
	s_cbranch_scc0 .LBB158_25
; %bb.14:
	;; [unrolled: 3-line block ×4, first 2 shown]
	s_mov_b64 s[20:21], 0
	s_mov_b64 s[2:3], -1
	s_cmp_eq_u32 s27, 46
	s_mov_b64 s[6:7], 0
	s_cbranch_scc0 .LBB158_34
; %bb.17:
	v_cvt_f32_i32_sdwa v2, sext(v4) dst_sel:DWORD dst_unused:UNUSED_PAD src0_sel:WORD_0
	s_movk_i32 s2, 0x7fff
	s_mov_b64 s[6:7], -1
	v_bfe_u32 v3, v2, 16, 1
	v_add3_u32 v2, v2, v3, s2
	v_lshrrev_b32_e32 v2, 16, v2
	global_store_dword v[0:1], v2, off
	s_mov_b64 s[2:3], 0
	s_branch .LBB158_34
.LBB158_18:
	s_mov_b64 s[2:3], 0
                                        ; implicit-def: $vgpr2
	s_cbranch_execnz .LBB158_166
	s_branch .LBB158_198
.LBB158_19:
	s_mov_b64 s[2:3], 0
	s_mov_b64 s[6:7], 0
	s_cbranch_execnz .LBB158_103
.LBB158_20:
	s_andn2_b64 vcc, exec, s[6:7]
	s_cbranch_vccnz .LBB158_141
.LBB158_21:
	v_add_u32_e32 v9, 0x80, v9
	s_mov_b64 s[20:21], -1
	s_branch .LBB158_247
.LBB158_22:
	s_mov_b64 s[6:7], -1
	s_mov_b64 s[2:3], 0
                                        ; implicit-def: $vgpr2
	s_branch .LBB158_149
.LBB158_23:
	s_mov_b64 s[20:21], -1
	s_mov_b64 s[2:3], 0
	s_mov_b64 s[6:7], 0
	s_branch .LBB158_61
.LBB158_24:
	s_mov_b64 s[6:7], -1
	s_mov_b64 s[2:3], 0
                                        ; implicit-def: $vgpr2
	s_branch .LBB158_144
.LBB158_25:
	s_mov_b64 s[20:21], -1
	s_mov_b64 s[2:3], 0
	s_mov_b64 s[6:7], 0
	s_branch .LBB158_44
.LBB158_26:
	s_mov_b64 s[6:7], -1
	s_branch .LBB158_29
.LBB158_27:
	s_mov_b64 s[20:21], -1
	s_mov_b64 s[2:3], 0
	s_mov_b64 s[6:7], 0
	s_branch .LBB158_40
.LBB158_28:
	s_mov_b64 s[16:17], -1
.LBB158_29:
	s_mov_b64 s[2:3], 0
                                        ; implicit-def: $vgpr2
.LBB158_30:
	s_and_b64 vcc, exec, s[6:7]
	s_cbranch_vccz .LBB158_143
; %bb.31:
	s_cmp_eq_u32 s21, 44
	s_cbranch_scc0 .LBB158_142
; %bb.32:
	global_load_ubyte v2, v[0:1], off
	s_mov_b64 s[2:3], -1
	s_mov_b64 s[16:17], 0
	s_waitcnt vmcnt(0)
	v_lshlrev_b32_e32 v3, 23, v2
	v_cvt_i32_f32_e32 v3, v3
	v_cmp_ne_u32_e32 vcc, 0, v2
	v_cndmask_b32_e32 v2, 0, v3, vcc
	s_branch .LBB158_143
.LBB158_33:
	s_mov_b64 s[20:21], -1
	s_mov_b64 s[2:3], 0
	s_mov_b64 s[6:7], 0
.LBB158_34:
	s_and_b64 vcc, exec, s[20:21]
	s_cbranch_vccz .LBB158_39
; %bb.35:
	s_cmp_eq_u32 s27, 44
	s_mov_b64 s[2:3], -1
	s_cbranch_scc0 .LBB158_39
; %bb.36:
	v_cvt_f32_i32_sdwa v2, sext(v4) dst_sel:DWORD dst_unused:UNUSED_PAD src0_sel:WORD_0
	s_movk_i32 s2, 0xff
	v_mov_b32_e32 v5, 0xff
	v_bfe_u32 v3, v2, 23, 8
	v_cmp_ne_u32_e32 vcc, s2, v3
	s_and_saveexec_b64 s[6:7], vcc
; %bb.37:
	s_mov_b32 s2, 0x3fffff
	v_lshrrev_b32_e32 v5, 23, v2
	v_and_b32_e32 v6, 0x400000, v2
	v_and_or_b32 v2, v2, s2, v3
	v_cmp_ne_u32_e32 vcc, 0, v6
	v_cmp_ne_u32_e64 s[2:3], 0, v2
	s_and_b64 s[2:3], vcc, s[2:3]
	v_cndmask_b32_e64 v2, 0, 1, s[2:3]
	v_add_u32_e32 v5, v5, v2
; %bb.38:
	s_or_b64 exec, exec, s[6:7]
	s_mov_b64 s[6:7], -1
	s_mov_b64 s[2:3], 0
	global_store_byte v[0:1], v5, off
.LBB158_39:
	s_mov_b64 s[20:21], 0
.LBB158_40:
	s_and_b64 vcc, exec, s[20:21]
	s_cbranch_vccz .LBB158_43
; %bb.41:
	s_cmp_eq_u32 s27, 29
	s_mov_b64 s[2:3], -1
	s_cbranch_scc0 .LBB158_43
; %bb.42:
	v_bfe_i32 v2, v4, 0, 16
	v_ashrrev_i32_e32 v3, 31, v2
	global_store_dwordx2 v[0:1], v[2:3], off
	s_mov_b64 s[6:7], -1
	s_mov_b64 s[2:3], 0
.LBB158_43:
	s_mov_b64 s[20:21], 0
.LBB158_44:
	s_and_b64 vcc, exec, s[20:21]
	s_cbranch_vccz .LBB158_60
; %bb.45:
	s_cmp_lt_i32 s27, 27
	s_mov_b64 s[6:7], -1
	s_cbranch_scc1 .LBB158_51
; %bb.46:
	s_cmp_gt_i32 s27, 27
	s_cbranch_scc0 .LBB158_48
; %bb.47:
	v_bfe_i32 v2, v4, 0, 16
	s_mov_b64 s[6:7], 0
	global_store_dword v[0:1], v2, off
.LBB158_48:
	s_andn2_b64 vcc, exec, s[6:7]
	s_cbranch_vccnz .LBB158_50
; %bb.49:
	global_store_short v[0:1], v4, off
.LBB158_50:
	s_mov_b64 s[6:7], 0
.LBB158_51:
	s_andn2_b64 vcc, exec, s[6:7]
	s_cbranch_vccnz .LBB158_59
; %bb.52:
	v_cvt_f32_i32_sdwa v2, sext(v4) dst_sel:DWORD dst_unused:UNUSED_PAD src0_sel:WORD_0
	s_mov_b32 s6, 0x43800000
	v_mov_b32_e32 v5, 0x80
	v_and_b32_e32 v3, 0x7fffffff, v2
	v_cmp_gt_u32_e32 vcc, s6, v3
	s_and_saveexec_b64 s[6:7], vcc
	s_cbranch_execz .LBB158_58
; %bb.53:
	s_mov_b32 s20, 0x3bffffff
	v_cmp_lt_u32_e32 vcc, s20, v3
	s_mov_b64 s[20:21], 0
                                        ; implicit-def: $vgpr3
	s_and_saveexec_b64 s[24:25], vcc
	s_xor_b64 s[24:25], exec, s[24:25]
	s_cbranch_execz .LBB158_275
; %bb.54:
	v_bfe_u32 v3, v2, 20, 1
	s_mov_b32 s28, 0x487ffff
	v_add3_u32 v3, v2, v3, s28
	s_mov_b64 s[20:21], exec
	v_lshrrev_b32_e32 v3, 20, v3
	s_andn2_saveexec_b64 s[24:25], s[24:25]
	s_cbranch_execnz .LBB158_276
.LBB158_55:
	s_or_b64 exec, exec, s[24:25]
	v_mov_b32_e32 v5, 0
	s_and_saveexec_b64 s[24:25], s[20:21]
.LBB158_56:
	v_lshrrev_b32_e32 v2, 24, v2
	s_movk_i32 s20, 0x80
	v_and_or_b32 v5, v2, s20, v3
.LBB158_57:
	s_or_b64 exec, exec, s[24:25]
.LBB158_58:
	s_or_b64 exec, exec, s[6:7]
	global_store_byte v[0:1], v5, off
.LBB158_59:
	s_mov_b64 s[6:7], -1
.LBB158_60:
	s_mov_b64 s[20:21], 0
.LBB158_61:
	s_and_b64 vcc, exec, s[20:21]
	s_cbranch_vccz .LBB158_102
; %bb.62:
	s_cmp_gt_i32 s27, 22
	s_mov_b64 s[20:21], -1
	s_cbranch_scc0 .LBB158_94
; %bb.63:
	s_cmp_lt_i32 s27, 24
	s_mov_b64 s[6:7], -1
	s_cbranch_scc1 .LBB158_83
; %bb.64:
	s_cmp_gt_i32 s27, 24
	s_cbranch_scc0 .LBB158_72
; %bb.65:
	v_cvt_f32_i32_sdwa v2, sext(v4) dst_sel:DWORD dst_unused:UNUSED_PAD src0_sel:WORD_0
	s_mov_b32 s6, 0x47800000
	v_mov_b32_e32 v5, 0x80
	v_and_b32_e32 v3, 0x7fffffff, v2
	v_cmp_gt_u32_e32 vcc, s6, v3
	s_and_saveexec_b64 s[6:7], vcc
	s_cbranch_execz .LBB158_71
; %bb.66:
	s_mov_b32 s20, 0x37ffffff
	v_cmp_lt_u32_e32 vcc, s20, v3
	s_mov_b64 s[20:21], 0
                                        ; implicit-def: $vgpr3
	s_and_saveexec_b64 s[24:25], vcc
	s_xor_b64 s[24:25], exec, s[24:25]
	s_cbranch_execz .LBB158_279
; %bb.67:
	v_bfe_u32 v3, v2, 21, 1
	s_mov_b32 s28, 0x88fffff
	v_add3_u32 v3, v2, v3, s28
	s_mov_b64 s[20:21], exec
	v_lshrrev_b32_e32 v3, 21, v3
	s_andn2_saveexec_b64 s[24:25], s[24:25]
	s_cbranch_execnz .LBB158_280
.LBB158_68:
	s_or_b64 exec, exec, s[24:25]
	v_mov_b32_e32 v5, 0
	s_and_saveexec_b64 s[24:25], s[20:21]
.LBB158_69:
	v_lshrrev_b32_e32 v2, 24, v2
	s_movk_i32 s20, 0x80
	v_and_or_b32 v5, v2, s20, v3
.LBB158_70:
	s_or_b64 exec, exec, s[24:25]
.LBB158_71:
	s_or_b64 exec, exec, s[6:7]
	s_mov_b64 s[6:7], 0
	global_store_byte v[0:1], v5, off
.LBB158_72:
	s_and_b64 vcc, exec, s[6:7]
	s_cbranch_vccz .LBB158_82
; %bb.73:
	v_cvt_f32_i32_sdwa v2, sext(v4) dst_sel:DWORD dst_unused:UNUSED_PAD src0_sel:WORD_0
	s_mov_b32 s6, 0x43f00000
                                        ; implicit-def: $vgpr3
	v_and_b32_e32 v5, 0x7fffffff, v2
	v_cmp_gt_u32_e32 vcc, s6, v5
	s_and_saveexec_b64 s[6:7], vcc
	s_xor_b64 s[6:7], exec, s[6:7]
	s_cbranch_execz .LBB158_79
; %bb.74:
	s_mov_b32 s20, 0x3c7fffff
	v_cmp_lt_u32_e32 vcc, s20, v5
                                        ; implicit-def: $vgpr3
	s_and_saveexec_b64 s[20:21], vcc
	s_xor_b64 s[20:21], exec, s[20:21]
; %bb.75:
	v_bfe_u32 v3, v2, 20, 1
	s_mov_b32 s24, 0x407ffff
	v_add3_u32 v3, v2, v3, s24
	v_lshrrev_b32_e32 v5, 20, v3
	v_and_b32_e32 v3, 0xff00000, v3
	s_mov_b32 s24, 0x7f00000
	v_mov_b32_e32 v6, 0x7e
	v_cmp_ne_u32_e32 vcc, s24, v3
	v_cndmask_b32_e32 v3, v6, v5, vcc
; %bb.76:
	s_andn2_saveexec_b64 s[20:21], s[20:21]
; %bb.77:
	s_mov_b32 s24, 0x46800000
	v_add_f32_e64 v3, |v2|, s24
; %bb.78:
	s_or_b64 exec, exec, s[20:21]
                                        ; implicit-def: $vgpr5
.LBB158_79:
	s_andn2_saveexec_b64 s[6:7], s[6:7]
; %bb.80:
	s_mov_b32 s20, 0x7f800000
	v_mov_b32_e32 v3, 0x7e
	v_mov_b32_e32 v6, 0x7f
	v_cmp_lt_u32_e32 vcc, s20, v5
	v_cndmask_b32_e32 v3, v3, v6, vcc
; %bb.81:
	s_or_b64 exec, exec, s[6:7]
	v_lshrrev_b32_e32 v2, 24, v2
	s_movk_i32 s6, 0x80
	v_and_or_b32 v2, v2, s6, v3
	global_store_byte v[0:1], v2, off
.LBB158_82:
	s_mov_b64 s[6:7], 0
.LBB158_83:
	s_andn2_b64 vcc, exec, s[6:7]
	s_cbranch_vccnz .LBB158_93
; %bb.84:
	v_cvt_f32_i32_sdwa v2, sext(v4) dst_sel:DWORD dst_unused:UNUSED_PAD src0_sel:WORD_0
	s_mov_b32 s6, 0x47800000
                                        ; implicit-def: $vgpr3
	v_and_b32_e32 v5, 0x7fffffff, v2
	v_cmp_gt_u32_e32 vcc, s6, v5
	s_and_saveexec_b64 s[6:7], vcc
	s_xor_b64 s[6:7], exec, s[6:7]
	s_cbranch_execz .LBB158_90
; %bb.85:
	s_mov_b32 s20, 0x387fffff
	v_cmp_lt_u32_e32 vcc, s20, v5
                                        ; implicit-def: $vgpr3
	s_and_saveexec_b64 s[20:21], vcc
	s_xor_b64 s[20:21], exec, s[20:21]
; %bb.86:
	v_bfe_u32 v3, v2, 21, 1
	s_mov_b32 s24, 0x80fffff
	v_add3_u32 v3, v2, v3, s24
	v_lshrrev_b32_e32 v3, 21, v3
; %bb.87:
	s_andn2_saveexec_b64 s[20:21], s[20:21]
; %bb.88:
	s_mov_b32 s24, 0x43000000
	v_add_f32_e64 v3, |v2|, s24
; %bb.89:
	s_or_b64 exec, exec, s[20:21]
                                        ; implicit-def: $vgpr5
.LBB158_90:
	s_andn2_saveexec_b64 s[6:7], s[6:7]
; %bb.91:
	s_mov_b32 s20, 0x7f800000
	v_mov_b32_e32 v3, 0x7c
	v_mov_b32_e32 v6, 0x7f
	v_cmp_lt_u32_e32 vcc, s20, v5
	v_cndmask_b32_e32 v3, v3, v6, vcc
; %bb.92:
	s_or_b64 exec, exec, s[6:7]
	v_lshrrev_b32_e32 v2, 24, v2
	s_movk_i32 s6, 0x80
	v_and_or_b32 v2, v2, s6, v3
	global_store_byte v[0:1], v2, off
.LBB158_93:
	s_mov_b64 s[20:21], 0
	s_mov_b64 s[6:7], -1
.LBB158_94:
	s_andn2_b64 vcc, exec, s[20:21]
	s_cbranch_vccnz .LBB158_102
; %bb.95:
	s_cmp_gt_i32 s27, 14
	s_mov_b64 s[20:21], -1
	s_cbranch_scc0 .LBB158_99
; %bb.96:
	s_cmp_eq_u32 s27, 15
	s_mov_b64 s[2:3], -1
	s_cbranch_scc0 .LBB158_98
; %bb.97:
	v_cvt_f32_i32_sdwa v2, sext(v4) dst_sel:DWORD dst_unused:UNUSED_PAD src0_sel:WORD_0
	s_movk_i32 s2, 0x7fff
	s_mov_b64 s[6:7], -1
	v_bfe_u32 v3, v2, 16, 1
	v_add3_u32 v2, v2, v3, s2
	global_store_short_d16_hi v[0:1], v2, off
	s_mov_b64 s[2:3], 0
.LBB158_98:
	s_mov_b64 s[20:21], 0
.LBB158_99:
	s_and_b64 vcc, exec, s[20:21]
	s_cbranch_vccz .LBB158_102
; %bb.100:
	s_cmp_eq_u32 s27, 11
	s_mov_b64 s[2:3], -1
	s_cbranch_scc0 .LBB158_102
; %bb.101:
	v_cmp_ne_u16_e32 vcc, 0, v4
	v_cndmask_b32_e64 v2, 0, 1, vcc
	s_mov_b64 s[6:7], -1
	s_mov_b64 s[2:3], 0
	global_store_byte v[0:1], v2, off
.LBB158_102:
	s_branch .LBB158_20
.LBB158_103:
	s_and_b32 s20, 0xffff, s26
	s_cmp_lt_i32 s20, 5
	s_mov_b64 s[6:7], -1
	s_cbranch_scc1 .LBB158_124
; %bb.104:
	s_cmp_lt_i32 s20, 8
	s_cbranch_scc1 .LBB158_114
; %bb.105:
	s_cmp_lt_i32 s20, 9
	s_cbranch_scc1 .LBB158_111
; %bb.106:
	s_cmp_gt_i32 s20, 9
	s_cbranch_scc0 .LBB158_108
; %bb.107:
	v_bfe_i32 v2, v4, 0, 16
	v_cvt_f64_i32_e32 v[5:6], v2
	v_mov_b32_e32 v7, 0
	v_mov_b32_e32 v8, v7
	s_mov_b64 s[6:7], 0
	global_store_dwordx4 v[0:1], v[5:8], off
.LBB158_108:
	s_andn2_b64 vcc, exec, s[6:7]
	s_cbranch_vccnz .LBB158_110
; %bb.109:
	v_cvt_f32_i32_sdwa v2, sext(v4) dst_sel:DWORD dst_unused:UNUSED_PAD src0_sel:WORD_0
	v_mov_b32_e32 v3, 0
	global_store_dwordx2 v[0:1], v[2:3], off
.LBB158_110:
	s_mov_b64 s[6:7], 0
.LBB158_111:
	s_andn2_b64 vcc, exec, s[6:7]
	s_cbranch_vccnz .LBB158_113
; %bb.112:
	v_cvt_f16_i16_e32 v2, v4
	global_store_dword v[0:1], v2, off
.LBB158_113:
	s_mov_b64 s[6:7], 0
.LBB158_114:
	s_andn2_b64 vcc, exec, s[6:7]
	s_cbranch_vccnz .LBB158_123
; %bb.115:
	s_cmp_lt_i32 s20, 6
	s_mov_b64 s[6:7], -1
	s_cbranch_scc1 .LBB158_121
; %bb.116:
	s_cmp_gt_i32 s20, 6
	s_cbranch_scc0 .LBB158_118
; %bb.117:
	v_bfe_i32 v2, v4, 0, 16
	v_cvt_f64_i32_e32 v[2:3], v2
	s_mov_b64 s[6:7], 0
	global_store_dwordx2 v[0:1], v[2:3], off
.LBB158_118:
	s_andn2_b64 vcc, exec, s[6:7]
	s_cbranch_vccnz .LBB158_120
; %bb.119:
	v_cvt_f32_i32_sdwa v2, sext(v4) dst_sel:DWORD dst_unused:UNUSED_PAD src0_sel:WORD_0
	global_store_dword v[0:1], v2, off
.LBB158_120:
	s_mov_b64 s[6:7], 0
.LBB158_121:
	s_andn2_b64 vcc, exec, s[6:7]
	s_cbranch_vccnz .LBB158_123
; %bb.122:
	v_cvt_f16_i16_e32 v2, v4
	global_store_short v[0:1], v2, off
.LBB158_123:
	s_mov_b64 s[6:7], 0
.LBB158_124:
	s_andn2_b64 vcc, exec, s[6:7]
	s_cbranch_vccnz .LBB158_140
; %bb.125:
	s_cmp_lt_i32 s20, 2
	s_mov_b64 s[6:7], -1
	s_cbranch_scc1 .LBB158_135
; %bb.126:
	s_cmp_lt_i32 s20, 3
	s_cbranch_scc1 .LBB158_132
; %bb.127:
	s_cmp_gt_i32 s20, 3
	v_bfe_i32 v2, v4, 0, 16
	s_cbranch_scc0 .LBB158_129
; %bb.128:
	v_ashrrev_i32_e32 v3, 31, v2
	global_store_dwordx2 v[0:1], v[2:3], off
	s_mov_b64 s[6:7], 0
.LBB158_129:
	s_andn2_b64 vcc, exec, s[6:7]
	s_cbranch_vccnz .LBB158_131
; %bb.130:
	global_store_dword v[0:1], v2, off
.LBB158_131:
	s_mov_b64 s[6:7], 0
.LBB158_132:
	s_andn2_b64 vcc, exec, s[6:7]
	s_cbranch_vccnz .LBB158_134
; %bb.133:
	global_store_short v[0:1], v4, off
.LBB158_134:
	s_mov_b64 s[6:7], 0
.LBB158_135:
	s_andn2_b64 vcc, exec, s[6:7]
	s_cbranch_vccnz .LBB158_140
; %bb.136:
	s_cmp_gt_i32 s20, 0
	s_mov_b64 s[6:7], -1
	s_cbranch_scc0 .LBB158_138
; %bb.137:
	global_store_byte v[0:1], v4, off
	s_mov_b64 s[6:7], 0
.LBB158_138:
	s_andn2_b64 vcc, exec, s[6:7]
	s_cbranch_vccnz .LBB158_140
; %bb.139:
	global_store_byte v[0:1], v4, off
.LBB158_140:
	s_branch .LBB158_21
.LBB158_141:
	s_mov_b64 s[20:21], 0
                                        ; implicit-def: $vgpr9
	s_branch .LBB158_247
.LBB158_142:
	s_mov_b64 s[16:17], -1
                                        ; implicit-def: $vgpr2
.LBB158_143:
	s_mov_b64 s[6:7], 0
.LBB158_144:
	s_and_b64 vcc, exec, s[6:7]
	s_cbranch_vccz .LBB158_148
; %bb.145:
	s_cmp_eq_u32 s21, 29
	s_cbranch_scc0 .LBB158_147
; %bb.146:
	global_load_dwordx2 v[2:3], v[0:1], off
	s_mov_b64 s[2:3], -1
	s_mov_b64 s[16:17], 0
	s_branch .LBB158_148
.LBB158_147:
	s_mov_b64 s[16:17], -1
                                        ; implicit-def: $vgpr2
.LBB158_148:
	s_mov_b64 s[6:7], 0
.LBB158_149:
	s_and_b64 vcc, exec, s[6:7]
	s_cbranch_vccz .LBB158_165
; %bb.150:
	s_cmp_lt_i32 s21, 27
	s_cbranch_scc1 .LBB158_153
; %bb.151:
	s_cmp_gt_i32 s21, 27
	s_cbranch_scc0 .LBB158_154
; %bb.152:
	global_load_dword v2, v[0:1], off
	s_mov_b64 s[2:3], 0
	s_branch .LBB158_155
.LBB158_153:
	s_mov_b64 s[2:3], -1
                                        ; implicit-def: $vgpr2
	s_branch .LBB158_158
.LBB158_154:
	s_mov_b64 s[2:3], -1
                                        ; implicit-def: $vgpr2
.LBB158_155:
	s_andn2_b64 vcc, exec, s[2:3]
	s_cbranch_vccnz .LBB158_157
; %bb.156:
	global_load_ushort v2, v[0:1], off
.LBB158_157:
	s_mov_b64 s[2:3], 0
.LBB158_158:
	s_andn2_b64 vcc, exec, s[2:3]
	s_cbranch_vccnz .LBB158_164
; %bb.159:
	global_load_ubyte v3, v[0:1], off
	s_movk_i32 s2, 0x7f
	s_mov_b64 s[6:7], 0
	s_waitcnt vmcnt(0)
	v_cmp_lt_i16_e32 vcc, s2, v3
	s_and_saveexec_b64 s[2:3], vcc
	s_xor_b64 s[2:3], exec, s[2:3]
	s_cbranch_execz .LBB158_175
; %bb.160:
	s_movk_i32 s6, 0x80
	v_cmp_ne_u16_e32 vcc, s6, v3
	s_and_b64 s[6:7], vcc, exec
	s_andn2_saveexec_b64 s[2:3], s[2:3]
	s_cbranch_execnz .LBB158_176
.LBB158_161:
	s_or_b64 exec, exec, s[2:3]
	v_mov_b32_e32 v2, 0
	s_and_saveexec_b64 s[2:3], s[6:7]
	s_cbranch_execz .LBB158_163
.LBB158_162:
	v_lshlrev_b32_e32 v2, 24, v3
	v_and_b32_e32 v3, 0xffff, v3
	v_and_b32_e32 v4, 7, v3
	v_ffbh_u32_e32 v6, v4
	v_min_u32_e32 v6, 32, v6
	v_subrev_u32_e32 v7, 28, v6
	v_bfe_u32 v5, v3, 3, 4
	v_lshlrev_b32_e32 v3, v7, v3
	v_sub_u32_e32 v6, 29, v6
	v_and_b32_e32 v3, 7, v3
	v_cmp_eq_u32_e32 vcc, 0, v5
	v_cndmask_b32_e32 v5, v5, v6, vcc
	v_cndmask_b32_e32 v3, v4, v3, vcc
	v_mov_b32_e32 v4, 0x3b800000
	v_lshlrev_b32_e32 v3, 20, v3
	v_and_b32_e32 v2, 0x80000000, v2
	v_lshl_add_u32 v4, v5, 23, v4
	v_or3_b32 v2, v2, v4, v3
	v_cvt_i32_f32_e32 v2, v2
.LBB158_163:
	s_or_b64 exec, exec, s[2:3]
.LBB158_164:
	s_mov_b64 s[2:3], -1
.LBB158_165:
	s_branch .LBB158_198
.LBB158_166:
	s_cmp_gt_i32 s21, 22
	s_cbranch_scc0 .LBB158_174
; %bb.167:
	s_cmp_lt_i32 s21, 24
	s_cbranch_scc1 .LBB158_177
; %bb.168:
	s_cmp_gt_i32 s21, 24
	s_cbranch_scc0 .LBB158_178
; %bb.169:
	global_load_ubyte v3, v[0:1], off
	s_movk_i32 s2, 0x7f
	s_mov_b64 s[6:7], 0
	s_waitcnt vmcnt(0)
	v_cmp_lt_i16_e32 vcc, s2, v3
	s_and_saveexec_b64 s[2:3], vcc
	s_xor_b64 s[2:3], exec, s[2:3]
	s_cbranch_execz .LBB158_190
; %bb.170:
	s_movk_i32 s6, 0x80
	v_cmp_ne_u16_e32 vcc, s6, v3
	s_and_b64 s[6:7], vcc, exec
	s_andn2_saveexec_b64 s[2:3], s[2:3]
	s_cbranch_execnz .LBB158_191
.LBB158_171:
	s_or_b64 exec, exec, s[2:3]
	v_mov_b32_e32 v2, 0
	s_and_saveexec_b64 s[2:3], s[6:7]
	s_cbranch_execz .LBB158_173
.LBB158_172:
	v_lshlrev_b32_e32 v2, 24, v3
	v_and_b32_e32 v3, 0xffff, v3
	v_and_b32_e32 v4, 3, v3
	v_ffbh_u32_e32 v6, v4
	v_min_u32_e32 v6, 32, v6
	v_subrev_u32_e32 v7, 29, v6
	v_bfe_u32 v5, v3, 2, 5
	v_lshlrev_b32_e32 v3, v7, v3
	v_sub_u32_e32 v6, 30, v6
	v_and_b32_e32 v3, 3, v3
	v_cmp_eq_u32_e32 vcc, 0, v5
	v_cndmask_b32_e32 v5, v5, v6, vcc
	v_cndmask_b32_e32 v3, v4, v3, vcc
	v_mov_b32_e32 v4, 0x37800000
	v_lshlrev_b32_e32 v3, 21, v3
	v_and_b32_e32 v2, 0x80000000, v2
	v_lshl_add_u32 v4, v5, 23, v4
	v_or3_b32 v2, v2, v4, v3
	v_cvt_i32_f32_e32 v2, v2
.LBB158_173:
	s_or_b64 exec, exec, s[2:3]
	s_mov_b64 s[2:3], 0
	s_branch .LBB158_179
.LBB158_174:
	s_mov_b64 s[6:7], -1
                                        ; implicit-def: $vgpr2
	s_branch .LBB158_185
.LBB158_175:
	s_andn2_saveexec_b64 s[2:3], s[2:3]
	s_cbranch_execz .LBB158_161
.LBB158_176:
	v_cmp_ne_u16_e32 vcc, 0, v3
	s_andn2_b64 s[6:7], s[6:7], exec
	s_and_b64 s[24:25], vcc, exec
	s_or_b64 s[6:7], s[6:7], s[24:25]
	s_or_b64 exec, exec, s[2:3]
	v_mov_b32_e32 v2, 0
	s_and_saveexec_b64 s[2:3], s[6:7]
	s_cbranch_execnz .LBB158_162
	s_branch .LBB158_163
.LBB158_177:
	s_mov_b64 s[2:3], -1
                                        ; implicit-def: $vgpr2
	s_branch .LBB158_182
.LBB158_178:
	s_mov_b64 s[2:3], -1
                                        ; implicit-def: $vgpr2
.LBB158_179:
	s_and_b64 vcc, exec, s[2:3]
	s_cbranch_vccz .LBB158_181
; %bb.180:
	global_load_ubyte v2, v[0:1], off
	s_mov_b32 s2, 0x7f800000
	s_waitcnt vmcnt(0)
	v_lshlrev_b32_e32 v2, 24, v2
	v_and_b32_e32 v3, 0x7f000000, v2
	v_ffbh_u32_e32 v4, v3
	v_min_u32_e32 v4, 32, v4
	v_sub_u32_e64 v4, v4, 4 clamp
	v_lshlrev_b32_e32 v6, v4, v3
	v_lshlrev_b32_e32 v4, 23, v4
	v_lshrrev_b32_e32 v6, 4, v6
	v_add_u32_e32 v5, 0x1000000, v3
	v_sub_u32_e32 v4, v6, v4
	v_ashrrev_i32_e32 v5, 8, v5
	v_add_u32_e32 v4, 0x3c000000, v4
	v_and_or_b32 v4, v5, s2, v4
	v_cmp_ne_u32_e32 vcc, 0, v3
	v_cndmask_b32_e32 v3, 0, v4, vcc
	s_brev_b32 s2, 1
	v_and_or_b32 v2, v2, s2, v3
	v_cvt_i32_f32_e32 v2, v2
.LBB158_181:
	s_mov_b64 s[2:3], 0
.LBB158_182:
	s_andn2_b64 vcc, exec, s[2:3]
	s_cbranch_vccnz .LBB158_184
; %bb.183:
	global_load_ubyte v2, v[0:1], off
	s_movk_i32 s2, 0x7f00
	s_brev_b32 s3, 16
	s_waitcnt vmcnt(0)
	v_lshlrev_b16_e32 v3, 8, v2
	v_lshlrev_b32_e32 v2, 25, v2
	v_lshrrev_b32_e32 v4, 4, v2
	v_and_or_b32 v5, v3, s2, 0.5
	v_or_b32_e32 v4, 0x70000000, v4
	v_add_f32_e32 v5, -0.5, v5
	v_mul_f32_e32 v4, 0x7800000, v4
	v_cmp_gt_u32_e32 vcc, s3, v2
	v_bfe_i32 v3, v3, 0, 16
	v_cndmask_b32_e32 v2, v4, v5, vcc
	s_brev_b32 s2, 1
	v_and_or_b32 v2, v3, s2, v2
	v_cvt_i32_f32_e32 v2, v2
.LBB158_184:
	s_mov_b64 s[6:7], 0
	s_mov_b64 s[2:3], -1
.LBB158_185:
	s_andn2_b64 vcc, exec, s[6:7]
	s_cbranch_vccnz .LBB158_198
; %bb.186:
	s_cmp_gt_i32 s21, 14
	s_cbranch_scc0 .LBB158_189
; %bb.187:
	s_cmp_eq_u32 s21, 15
	s_cbranch_scc0 .LBB158_192
; %bb.188:
	global_load_ushort v2, v[0:1], off
	s_mov_b64 s[2:3], -1
	s_mov_b64 s[16:17], 0
	s_waitcnt vmcnt(0)
	v_lshlrev_b32_e32 v2, 16, v2
	v_cvt_i32_f32_e32 v2, v2
	s_branch .LBB158_193
.LBB158_189:
	s_mov_b64 s[6:7], -1
                                        ; implicit-def: $vgpr2
	s_branch .LBB158_194
.LBB158_190:
	s_andn2_saveexec_b64 s[2:3], s[2:3]
	s_cbranch_execz .LBB158_171
.LBB158_191:
	v_cmp_ne_u16_e32 vcc, 0, v3
	s_andn2_b64 s[6:7], s[6:7], exec
	s_and_b64 s[24:25], vcc, exec
	s_or_b64 s[6:7], s[6:7], s[24:25]
	s_or_b64 exec, exec, s[2:3]
	v_mov_b32_e32 v2, 0
	s_and_saveexec_b64 s[2:3], s[6:7]
	s_cbranch_execnz .LBB158_172
	s_branch .LBB158_173
.LBB158_192:
	s_mov_b64 s[16:17], -1
                                        ; implicit-def: $vgpr2
.LBB158_193:
	s_mov_b64 s[6:7], 0
.LBB158_194:
	s_and_b64 vcc, exec, s[6:7]
	s_cbranch_vccz .LBB158_198
; %bb.195:
	s_cmp_eq_u32 s21, 11
	s_cbranch_scc0 .LBB158_197
; %bb.196:
	global_load_ubyte v2, v[0:1], off
	s_mov_b64 s[2:3], -1
	s_mov_b64 s[16:17], 0
	s_waitcnt vmcnt(0)
	v_cmp_ne_u16_e32 vcc, 0, v2
	v_cndmask_b32_e64 v2, 0, 1, vcc
	s_branch .LBB158_198
.LBB158_197:
	s_mov_b64 s[16:17], -1
                                        ; implicit-def: $vgpr2
.LBB158_198:
	s_branch .LBB158_10
.LBB158_199:
	s_and_b32 s6, 0xffff, s20
	s_cmp_lt_i32 s6, 5
	s_cbranch_scc1 .LBB158_204
; %bb.200:
	s_cmp_lt_i32 s6, 8
	s_cbranch_scc1 .LBB158_205
; %bb.201:
	;; [unrolled: 3-line block ×3, first 2 shown]
	s_cmp_gt_i32 s6, 9
	s_cbranch_scc0 .LBB158_207
; %bb.203:
	global_load_dwordx2 v[2:3], v[0:1], off
	s_mov_b64 s[2:3], 0
	s_waitcnt vmcnt(0)
	v_cvt_i32_f64_e32 v2, v[2:3]
	s_branch .LBB158_208
.LBB158_204:
                                        ; implicit-def: $vgpr2
	s_branch .LBB158_226
.LBB158_205:
	s_mov_b64 s[2:3], -1
                                        ; implicit-def: $vgpr2
	s_branch .LBB158_214
.LBB158_206:
	s_mov_b64 s[2:3], -1
                                        ; implicit-def: $vgpr2
	s_branch .LBB158_211
.LBB158_207:
	s_mov_b64 s[2:3], -1
                                        ; implicit-def: $vgpr2
.LBB158_208:
	s_andn2_b64 vcc, exec, s[2:3]
	s_cbranch_vccnz .LBB158_210
; %bb.209:
	global_load_dword v2, v[0:1], off
	s_waitcnt vmcnt(0)
	v_cvt_i32_f32_e32 v2, v2
.LBB158_210:
	s_mov_b64 s[2:3], 0
.LBB158_211:
	s_andn2_b64 vcc, exec, s[2:3]
	s_cbranch_vccnz .LBB158_213
; %bb.212:
	global_load_dword v2, v[0:1], off
	s_waitcnt vmcnt(0)
	v_cvt_i16_f16_e32 v2, v2
.LBB158_213:
	s_mov_b64 s[2:3], 0
.LBB158_214:
	s_andn2_b64 vcc, exec, s[2:3]
	s_cbranch_vccnz .LBB158_225
; %bb.215:
	s_cmp_lt_i32 s6, 6
	s_cbranch_scc1 .LBB158_218
; %bb.216:
	s_cmp_gt_i32 s6, 6
	s_cbranch_scc0 .LBB158_219
; %bb.217:
	global_load_dwordx2 v[2:3], v[0:1], off
	s_mov_b64 s[2:3], 0
	s_waitcnt vmcnt(0)
	v_cvt_i32_f64_e32 v2, v[2:3]
	s_branch .LBB158_220
.LBB158_218:
	s_mov_b64 s[2:3], -1
                                        ; implicit-def: $vgpr2
	s_branch .LBB158_223
.LBB158_219:
	s_mov_b64 s[2:3], -1
                                        ; implicit-def: $vgpr2
.LBB158_220:
	s_andn2_b64 vcc, exec, s[2:3]
	s_cbranch_vccnz .LBB158_222
; %bb.221:
	global_load_dword v2, v[0:1], off
	s_waitcnt vmcnt(0)
	v_cvt_i32_f32_e32 v2, v2
.LBB158_222:
	s_mov_b64 s[2:3], 0
.LBB158_223:
	s_andn2_b64 vcc, exec, s[2:3]
	s_cbranch_vccnz .LBB158_225
; %bb.224:
	global_load_ushort v2, v[0:1], off
	s_waitcnt vmcnt(0)
	v_cvt_i16_f16_e32 v2, v2
.LBB158_225:
	s_cbranch_execnz .LBB158_245
.LBB158_226:
	s_cmp_lt_i32 s6, 2
	s_cbranch_scc1 .LBB158_230
; %bb.227:
	s_cmp_lt_i32 s6, 3
	s_cbranch_scc1 .LBB158_231
; %bb.228:
	s_cmp_gt_i32 s6, 3
	s_cbranch_scc0 .LBB158_232
; %bb.229:
	global_load_dwordx2 v[2:3], v[0:1], off
	s_mov_b64 s[2:3], 0
	s_branch .LBB158_233
.LBB158_230:
	s_mov_b64 s[2:3], -1
                                        ; implicit-def: $vgpr2
	s_branch .LBB158_239
.LBB158_231:
	s_mov_b64 s[2:3], -1
                                        ; implicit-def: $vgpr2
	s_branch .LBB158_236
.LBB158_232:
	s_mov_b64 s[2:3], -1
                                        ; implicit-def: $vgpr2
.LBB158_233:
	s_andn2_b64 vcc, exec, s[2:3]
	s_cbranch_vccnz .LBB158_235
; %bb.234:
	global_load_dword v2, v[0:1], off
.LBB158_235:
	s_mov_b64 s[2:3], 0
.LBB158_236:
	s_andn2_b64 vcc, exec, s[2:3]
	s_cbranch_vccnz .LBB158_238
; %bb.237:
	global_load_ushort v2, v[0:1], off
.LBB158_238:
	s_mov_b64 s[2:3], 0
.LBB158_239:
	s_andn2_b64 vcc, exec, s[2:3]
	s_cbranch_vccnz .LBB158_245
; %bb.240:
	s_cmp_gt_i32 s6, 0
	s_cbranch_scc0 .LBB158_242
; %bb.241:
	global_load_ubyte v2, v[0:1], off
	s_mov_b64 s[2:3], 0
	s_branch .LBB158_243
.LBB158_242:
	s_mov_b64 s[2:3], -1
                                        ; implicit-def: $vgpr2
.LBB158_243:
	s_andn2_b64 vcc, exec, s[2:3]
	s_cbranch_vccnz .LBB158_245
; %bb.244:
	global_load_ubyte v2, v[0:1], off
.LBB158_245:
	s_branch .LBB158_11
.LBB158_246:
	s_mov_b64 s[2:3], 0
                                        ; implicit-def: $vgpr9
	s_mov_b64 s[20:21], 0
.LBB158_247:
	s_and_b64 s[6:7], s[2:3], exec
	s_and_b64 s[16:17], s[16:17], exec
	s_orn2_b64 s[2:3], s[20:21], exec
.LBB158_248:
	s_or_b64 exec, exec, s[18:19]
	s_mov_b64 s[26:27], 0
	s_mov_b64 s[24:25], 0
                                        ; implicit-def: $sgpr47
                                        ; implicit-def: $vgpr0_vgpr1
                                        ; implicit-def: $vgpr2
	s_and_saveexec_b64 s[18:19], s[2:3]
	s_cbranch_execz .LBB158_257
; %bb.249:
	v_cmp_gt_i32_e32 vcc, s40, v9
	s_mov_b64 s[2:3], -1
	s_mov_b64 s[20:21], s[16:17]
	s_mov_b64 s[22:23], s[6:7]
	s_and_saveexec_b64 s[24:25], vcc
	s_cbranch_execz .LBB158_505
; %bb.250:
	v_mul_lo_u32 v0, v9, s13
	v_mov_b32_e32 v1, s11
	s_and_b32 s26, s45, 0xff
	s_cmp_lt_i32 s26, 11
	s_waitcnt vmcnt(0)
	v_ashrrev_i32_e32 v2, 31, v0
	v_add_co_u32_e32 v0, vcc, s10, v0
	v_addc_co_u32_e32 v1, vcc, v1, v2, vcc
	s_cbranch_scc1 .LBB158_260
; %bb.251:
	s_and_b32 s27, 0xffff, s26
	s_cmp_gt_i32 s27, 25
	s_cbranch_scc0 .LBB158_269
; %bb.252:
	s_cmp_gt_i32 s27, 28
	s_cbranch_scc0 .LBB158_271
; %bb.253:
	;; [unrolled: 3-line block ×4, first 2 shown]
	s_cmp_eq_u32 s27, 46
	s_mov_b64 s[22:23], 0
	s_cbranch_scc0 .LBB158_281
; %bb.256:
	global_load_dword v2, v[0:1], off
	s_mov_b64 s[20:21], 0
	s_waitcnt vmcnt(0)
	v_lshlrev_b32_e32 v2, 16, v2
	v_cvt_i32_f32_e32 v2, v2
	s_branch .LBB158_282
.LBB158_257:
	s_or_b64 exec, exec, s[18:19]
	s_mov_b64 s[2:3], 0
	s_and_saveexec_b64 s[18:19], s[16:17]
	s_cbranch_execnz .LBB158_843
.LBB158_258:
	s_or_b64 exec, exec, s[18:19]
	s_and_saveexec_b64 s[16:17], s[22:23]
	s_xor_b64 s[16:17], exec, s[16:17]
	s_cbranch_execz .LBB158_844
.LBB158_259:
	global_load_ubyte v2, v[0:1], off
	s_or_b64 s[24:25], s[24:25], exec
	s_waitcnt vmcnt(0)
	v_cmp_ne_u16_e32 vcc, 0, v2
	v_cndmask_b32_e64 v2, 0, 1, vcc
	s_or_b64 exec, exec, s[16:17]
	s_and_saveexec_b64 s[16:17], s[26:27]
	s_cbranch_execz .LBB158_890
	s_branch .LBB158_845
.LBB158_260:
	s_mov_b64 s[2:3], 0
                                        ; implicit-def: $vgpr2
	s_mov_b64 s[20:21], s[16:17]
	s_cbranch_execnz .LBB158_455
.LBB158_261:
	s_andn2_b64 vcc, exec, s[2:3]
	s_cbranch_vccnz .LBB158_503
.LBB158_262:
	v_mul_lo_u32 v1, v9, s12
	v_mov_b32_e32 v0, 7
	s_waitcnt vmcnt(0)
	v_ashrrev_i16_sdwa v0, v0, sext(v2) dst_sel:DWORD dst_unused:UNUSED_PAD src0_sel:DWORD src1_sel:BYTE_0
	v_ashrrev_i32_sdwa v2, s46, sext(v2) dst_sel:DWORD dst_unused:UNUSED_PAD src0_sel:DWORD src1_sel:BYTE_0
	v_cndmask_b32_e64 v4, v2, v0, s[0:1]
	v_ashrrev_i32_e32 v2, 31, v1
	v_mov_b32_e32 v3, s9
	s_and_b32 s30, s33, 0xff
	v_add_co_u32_e32 v0, vcc, s8, v1
	s_cmp_lt_i32 s30, 11
	v_addc_co_u32_e32 v1, vcc, v3, v2, vcc
	s_cbranch_scc1 .LBB158_270
; %bb.263:
	s_and_b32 s31, 0xffff, s30
	s_cmp_gt_i32 s31, 25
	s_cbranch_scc0 .LBB158_272
; %bb.264:
	s_cmp_gt_i32 s31, 28
	s_cbranch_scc0 .LBB158_274
; %bb.265:
	;; [unrolled: 3-line block ×4, first 2 shown]
	s_mov_b64 s[26:27], 0
	s_mov_b64 s[2:3], -1
	s_cmp_eq_u32 s31, 46
	s_mov_b64 s[22:23], 0
	s_cbranch_scc0 .LBB158_286
; %bb.268:
	v_cvt_f32_i32_sdwa v2, sext(v4) dst_sel:DWORD dst_unused:UNUSED_PAD src0_sel:WORD_0
	s_movk_i32 s2, 0x7fff
	s_mov_b64 s[22:23], -1
	v_bfe_u32 v3, v2, 16, 1
	v_add3_u32 v2, v2, v3, s2
	v_lshrrev_b32_e32 v2, 16, v2
	global_store_dword v[0:1], v2, off
	s_mov_b64 s[2:3], 0
	s_branch .LBB158_286
.LBB158_269:
	s_mov_b64 s[22:23], -1
	s_mov_b64 s[2:3], 0
	s_mov_b64 s[20:21], s[16:17]
                                        ; implicit-def: $vgpr2
	s_branch .LBB158_421
.LBB158_270:
	s_mov_b64 s[26:27], -1
	s_mov_b64 s[22:23], 0
	s_mov_b64 s[2:3], s[6:7]
	s_branch .LBB158_355
.LBB158_271:
	s_mov_b64 s[22:23], -1
	s_mov_b64 s[2:3], 0
	s_mov_b64 s[20:21], s[16:17]
                                        ; implicit-def: $vgpr2
	s_branch .LBB158_404
.LBB158_272:
	s_mov_b64 s[26:27], -1
	s_mov_b64 s[22:23], 0
	s_mov_b64 s[2:3], s[6:7]
	s_branch .LBB158_313
.LBB158_273:
	s_mov_b64 s[22:23], -1
	s_mov_b64 s[2:3], 0
	s_mov_b64 s[20:21], s[16:17]
                                        ; implicit-def: $vgpr2
	s_branch .LBB158_399
.LBB158_274:
	s_mov_b64 s[26:27], -1
	s_mov_b64 s[22:23], 0
	s_mov_b64 s[2:3], s[6:7]
	s_branch .LBB158_296
.LBB158_275:
	s_andn2_saveexec_b64 s[24:25], s[24:25]
	s_cbranch_execz .LBB158_55
.LBB158_276:
	s_mov_b32 s28, 0x46000000
	v_add_f32_e64 v3, |v2|, s28
	v_and_b32_e32 v3, 0xff, v3
	v_cmp_ne_u32_e32 vcc, 0, v3
	s_andn2_b64 s[20:21], s[20:21], exec
	s_and_b64 s[28:29], vcc, exec
	s_or_b64 s[20:21], s[20:21], s[28:29]
	s_or_b64 exec, exec, s[24:25]
	v_mov_b32_e32 v5, 0
	s_and_saveexec_b64 s[24:25], s[20:21]
	s_cbranch_execnz .LBB158_56
	s_branch .LBB158_57
.LBB158_277:
	s_mov_b64 s[22:23], -1
	s_mov_b64 s[2:3], 0
	s_mov_b64 s[20:21], s[16:17]
                                        ; implicit-def: $vgpr2
	s_branch .LBB158_282
.LBB158_278:
	s_mov_b64 s[26:27], -1
	s_mov_b64 s[22:23], 0
	s_mov_b64 s[2:3], s[6:7]
	s_branch .LBB158_292
.LBB158_279:
	s_andn2_saveexec_b64 s[24:25], s[24:25]
	s_cbranch_execz .LBB158_68
.LBB158_280:
	s_mov_b32 s28, 0x42800000
	v_add_f32_e64 v3, |v2|, s28
	v_and_b32_e32 v3, 0xff, v3
	v_cmp_ne_u32_e32 vcc, 0, v3
	s_andn2_b64 s[20:21], s[20:21], exec
	s_and_b64 s[28:29], vcc, exec
	s_or_b64 s[20:21], s[20:21], s[28:29]
	s_or_b64 exec, exec, s[24:25]
	v_mov_b32_e32 v5, 0
	s_and_saveexec_b64 s[24:25], s[20:21]
	s_cbranch_execnz .LBB158_69
	s_branch .LBB158_70
.LBB158_281:
	s_mov_b64 s[20:21], -1
                                        ; implicit-def: $vgpr2
	s_mov_b64 s[2:3], 0
.LBB158_282:
	s_and_b64 vcc, exec, s[22:23]
	s_cbranch_vccz .LBB158_398
; %bb.283:
	s_cmp_eq_u32 s27, 44
	s_cbranch_scc0 .LBB158_397
; %bb.284:
	global_load_ubyte v2, v[0:1], off
	s_mov_b64 s[2:3], -1
	s_mov_b64 s[20:21], 0
	s_waitcnt vmcnt(0)
	v_lshlrev_b32_e32 v3, 23, v2
	v_cvt_i32_f32_e32 v3, v3
	v_cmp_ne_u32_e32 vcc, 0, v2
	v_cndmask_b32_e32 v2, 0, v3, vcc
	s_branch .LBB158_398
.LBB158_285:
	s_mov_b64 s[26:27], -1
	s_mov_b64 s[22:23], 0
	s_mov_b64 s[2:3], s[6:7]
.LBB158_286:
	s_and_b64 vcc, exec, s[26:27]
	s_cbranch_vccz .LBB158_291
; %bb.287:
	s_cmp_eq_u32 s31, 44
	s_mov_b64 s[2:3], -1
	s_cbranch_scc0 .LBB158_291
; %bb.288:
	v_cvt_f32_i32_sdwa v2, sext(v4) dst_sel:DWORD dst_unused:UNUSED_PAD src0_sel:WORD_0
	s_movk_i32 s2, 0xff
	v_mov_b32_e32 v5, 0xff
	v_bfe_u32 v3, v2, 23, 8
	v_cmp_ne_u32_e32 vcc, s2, v3
	s_and_saveexec_b64 s[22:23], vcc
; %bb.289:
	s_mov_b32 s2, 0x3fffff
	v_lshrrev_b32_e32 v5, 23, v2
	v_and_b32_e32 v6, 0x400000, v2
	v_and_or_b32 v2, v2, s2, v3
	v_cmp_ne_u32_e32 vcc, 0, v6
	v_cmp_ne_u32_e64 s[2:3], 0, v2
	s_and_b64 s[2:3], vcc, s[2:3]
	v_cndmask_b32_e64 v2, 0, 1, s[2:3]
	v_add_u32_e32 v5, v5, v2
; %bb.290:
	s_or_b64 exec, exec, s[22:23]
	s_mov_b64 s[22:23], -1
	s_mov_b64 s[2:3], 0
	global_store_byte v[0:1], v5, off
.LBB158_291:
	s_mov_b64 s[26:27], 0
.LBB158_292:
	s_and_b64 vcc, exec, s[26:27]
	s_cbranch_vccz .LBB158_295
; %bb.293:
	s_cmp_eq_u32 s31, 29
	s_mov_b64 s[2:3], -1
	s_cbranch_scc0 .LBB158_295
; %bb.294:
	v_bfe_i32 v2, v4, 0, 16
	v_ashrrev_i32_e32 v3, 31, v2
	global_store_dwordx2 v[0:1], v[2:3], off
	s_mov_b64 s[22:23], -1
	s_mov_b64 s[2:3], 0
.LBB158_295:
	s_mov_b64 s[26:27], 0
.LBB158_296:
	s_and_b64 vcc, exec, s[26:27]
	s_cbranch_vccz .LBB158_312
; %bb.297:
	s_cmp_lt_i32 s31, 27
	s_mov_b64 s[22:23], -1
	s_cbranch_scc1 .LBB158_303
; %bb.298:
	s_cmp_gt_i32 s31, 27
	s_cbranch_scc0 .LBB158_300
; %bb.299:
	v_bfe_i32 v2, v4, 0, 16
	s_mov_b64 s[22:23], 0
	global_store_dword v[0:1], v2, off
.LBB158_300:
	s_andn2_b64 vcc, exec, s[22:23]
	s_cbranch_vccnz .LBB158_302
; %bb.301:
	global_store_short v[0:1], v4, off
.LBB158_302:
	s_mov_b64 s[22:23], 0
.LBB158_303:
	s_andn2_b64 vcc, exec, s[22:23]
	s_cbranch_vccnz .LBB158_311
; %bb.304:
	v_cvt_f32_i32_sdwa v2, sext(v4) dst_sel:DWORD dst_unused:UNUSED_PAD src0_sel:WORD_0
	s_mov_b32 s22, 0x43800000
	v_mov_b32_e32 v5, 0x80
	v_and_b32_e32 v3, 0x7fffffff, v2
	v_cmp_gt_u32_e32 vcc, s22, v3
	s_and_saveexec_b64 s[22:23], vcc
	s_cbranch_execz .LBB158_310
; %bb.305:
	s_mov_b32 s26, 0x3bffffff
	v_cmp_lt_u32_e32 vcc, s26, v3
	s_mov_b64 s[26:27], 0
                                        ; implicit-def: $vgpr3
	s_and_saveexec_b64 s[28:29], vcc
	s_xor_b64 s[28:29], exec, s[28:29]
	s_cbranch_execz .LBB158_518
; %bb.306:
	v_bfe_u32 v3, v2, 20, 1
	s_mov_b32 s34, 0x487ffff
	v_add3_u32 v3, v2, v3, s34
	s_mov_b64 s[26:27], exec
	v_lshrrev_b32_e32 v3, 20, v3
	s_andn2_saveexec_b64 s[28:29], s[28:29]
	s_cbranch_execnz .LBB158_519
.LBB158_307:
	s_or_b64 exec, exec, s[28:29]
	v_mov_b32_e32 v5, 0
	s_and_saveexec_b64 s[28:29], s[26:27]
.LBB158_308:
	v_lshrrev_b32_e32 v2, 24, v2
	s_movk_i32 s26, 0x80
	v_and_or_b32 v5, v2, s26, v3
.LBB158_309:
	s_or_b64 exec, exec, s[28:29]
.LBB158_310:
	s_or_b64 exec, exec, s[22:23]
	global_store_byte v[0:1], v5, off
.LBB158_311:
	s_mov_b64 s[22:23], -1
.LBB158_312:
	s_mov_b64 s[26:27], 0
.LBB158_313:
	s_and_b64 vcc, exec, s[26:27]
	s_cbranch_vccz .LBB158_354
; %bb.314:
	s_cmp_gt_i32 s31, 22
	s_mov_b64 s[26:27], -1
	s_cbranch_scc0 .LBB158_346
; %bb.315:
	s_cmp_lt_i32 s31, 24
	s_mov_b64 s[22:23], -1
	s_cbranch_scc1 .LBB158_335
; %bb.316:
	s_cmp_gt_i32 s31, 24
	s_cbranch_scc0 .LBB158_324
; %bb.317:
	v_cvt_f32_i32_sdwa v2, sext(v4) dst_sel:DWORD dst_unused:UNUSED_PAD src0_sel:WORD_0
	s_mov_b32 s22, 0x47800000
	v_mov_b32_e32 v5, 0x80
	v_and_b32_e32 v3, 0x7fffffff, v2
	v_cmp_gt_u32_e32 vcc, s22, v3
	s_and_saveexec_b64 s[22:23], vcc
	s_cbranch_execz .LBB158_323
; %bb.318:
	s_mov_b32 s26, 0x37ffffff
	v_cmp_lt_u32_e32 vcc, s26, v3
	s_mov_b64 s[26:27], 0
                                        ; implicit-def: $vgpr3
	s_and_saveexec_b64 s[28:29], vcc
	s_xor_b64 s[28:29], exec, s[28:29]
	s_cbranch_execz .LBB158_521
; %bb.319:
	v_bfe_u32 v3, v2, 21, 1
	s_mov_b32 s34, 0x88fffff
	v_add3_u32 v3, v2, v3, s34
	s_mov_b64 s[26:27], exec
	v_lshrrev_b32_e32 v3, 21, v3
	s_andn2_saveexec_b64 s[28:29], s[28:29]
	s_cbranch_execnz .LBB158_522
.LBB158_320:
	s_or_b64 exec, exec, s[28:29]
	v_mov_b32_e32 v5, 0
	s_and_saveexec_b64 s[28:29], s[26:27]
.LBB158_321:
	v_lshrrev_b32_e32 v2, 24, v2
	s_movk_i32 s26, 0x80
	v_and_or_b32 v5, v2, s26, v3
.LBB158_322:
	s_or_b64 exec, exec, s[28:29]
.LBB158_323:
	s_or_b64 exec, exec, s[22:23]
	s_mov_b64 s[22:23], 0
	global_store_byte v[0:1], v5, off
.LBB158_324:
	s_and_b64 vcc, exec, s[22:23]
	s_cbranch_vccz .LBB158_334
; %bb.325:
	v_cvt_f32_i32_sdwa v2, sext(v4) dst_sel:DWORD dst_unused:UNUSED_PAD src0_sel:WORD_0
	s_mov_b32 s22, 0x43f00000
                                        ; implicit-def: $vgpr3
	v_and_b32_e32 v5, 0x7fffffff, v2
	v_cmp_gt_u32_e32 vcc, s22, v5
	s_and_saveexec_b64 s[22:23], vcc
	s_xor_b64 s[22:23], exec, s[22:23]
	s_cbranch_execz .LBB158_331
; %bb.326:
	s_mov_b32 s26, 0x3c7fffff
	v_cmp_lt_u32_e32 vcc, s26, v5
                                        ; implicit-def: $vgpr3
	s_and_saveexec_b64 s[26:27], vcc
	s_xor_b64 s[26:27], exec, s[26:27]
; %bb.327:
	v_bfe_u32 v3, v2, 20, 1
	s_mov_b32 s28, 0x407ffff
	v_add3_u32 v3, v2, v3, s28
	v_lshrrev_b32_e32 v5, 20, v3
	v_and_b32_e32 v3, 0xff00000, v3
	s_mov_b32 s28, 0x7f00000
	v_mov_b32_e32 v6, 0x7e
	v_cmp_ne_u32_e32 vcc, s28, v3
	v_cndmask_b32_e32 v3, v6, v5, vcc
; %bb.328:
	s_andn2_saveexec_b64 s[26:27], s[26:27]
; %bb.329:
	s_mov_b32 s28, 0x46800000
	v_add_f32_e64 v3, |v2|, s28
; %bb.330:
	s_or_b64 exec, exec, s[26:27]
                                        ; implicit-def: $vgpr5
.LBB158_331:
	s_andn2_saveexec_b64 s[22:23], s[22:23]
; %bb.332:
	s_mov_b32 s26, 0x7f800000
	v_mov_b32_e32 v3, 0x7e
	v_mov_b32_e32 v6, 0x7f
	v_cmp_lt_u32_e32 vcc, s26, v5
	v_cndmask_b32_e32 v3, v3, v6, vcc
; %bb.333:
	s_or_b64 exec, exec, s[22:23]
	v_lshrrev_b32_e32 v2, 24, v2
	s_movk_i32 s22, 0x80
	v_and_or_b32 v2, v2, s22, v3
	global_store_byte v[0:1], v2, off
.LBB158_334:
	s_mov_b64 s[22:23], 0
.LBB158_335:
	s_andn2_b64 vcc, exec, s[22:23]
	s_cbranch_vccnz .LBB158_345
; %bb.336:
	v_cvt_f32_i32_sdwa v2, sext(v4) dst_sel:DWORD dst_unused:UNUSED_PAD src0_sel:WORD_0
	s_mov_b32 s22, 0x47800000
                                        ; implicit-def: $vgpr3
	v_and_b32_e32 v5, 0x7fffffff, v2
	v_cmp_gt_u32_e32 vcc, s22, v5
	s_and_saveexec_b64 s[22:23], vcc
	s_xor_b64 s[22:23], exec, s[22:23]
	s_cbranch_execz .LBB158_342
; %bb.337:
	s_mov_b32 s26, 0x387fffff
	v_cmp_lt_u32_e32 vcc, s26, v5
                                        ; implicit-def: $vgpr3
	s_and_saveexec_b64 s[26:27], vcc
	s_xor_b64 s[26:27], exec, s[26:27]
; %bb.338:
	v_bfe_u32 v3, v2, 21, 1
	s_mov_b32 s28, 0x80fffff
	v_add3_u32 v3, v2, v3, s28
	v_lshrrev_b32_e32 v3, 21, v3
; %bb.339:
	s_andn2_saveexec_b64 s[26:27], s[26:27]
; %bb.340:
	s_mov_b32 s28, 0x43000000
	v_add_f32_e64 v3, |v2|, s28
; %bb.341:
	s_or_b64 exec, exec, s[26:27]
                                        ; implicit-def: $vgpr5
.LBB158_342:
	s_andn2_saveexec_b64 s[22:23], s[22:23]
; %bb.343:
	s_mov_b32 s26, 0x7f800000
	v_mov_b32_e32 v3, 0x7c
	v_mov_b32_e32 v6, 0x7f
	v_cmp_lt_u32_e32 vcc, s26, v5
	v_cndmask_b32_e32 v3, v3, v6, vcc
; %bb.344:
	s_or_b64 exec, exec, s[22:23]
	v_lshrrev_b32_e32 v2, 24, v2
	s_movk_i32 s22, 0x80
	v_and_or_b32 v2, v2, s22, v3
	global_store_byte v[0:1], v2, off
.LBB158_345:
	s_mov_b64 s[26:27], 0
	s_mov_b64 s[22:23], -1
.LBB158_346:
	s_andn2_b64 vcc, exec, s[26:27]
	s_cbranch_vccnz .LBB158_354
; %bb.347:
	s_cmp_gt_i32 s31, 14
	s_mov_b64 s[26:27], -1
	s_cbranch_scc0 .LBB158_351
; %bb.348:
	s_cmp_eq_u32 s31, 15
	s_mov_b64 s[2:3], -1
	s_cbranch_scc0 .LBB158_350
; %bb.349:
	v_cvt_f32_i32_sdwa v2, sext(v4) dst_sel:DWORD dst_unused:UNUSED_PAD src0_sel:WORD_0
	s_movk_i32 s2, 0x7fff
	s_mov_b64 s[22:23], -1
	v_bfe_u32 v3, v2, 16, 1
	v_add3_u32 v2, v2, v3, s2
	global_store_short_d16_hi v[0:1], v2, off
	s_mov_b64 s[2:3], 0
.LBB158_350:
	s_mov_b64 s[26:27], 0
.LBB158_351:
	s_and_b64 vcc, exec, s[26:27]
	s_cbranch_vccz .LBB158_354
; %bb.352:
	s_cmp_eq_u32 s31, 11
	s_mov_b64 s[2:3], -1
	s_cbranch_scc0 .LBB158_354
; %bb.353:
	v_cmp_ne_u16_e32 vcc, 0, v4
	v_cndmask_b32_e64 v2, 0, 1, vcc
	s_mov_b64 s[22:23], -1
	s_mov_b64 s[2:3], 0
	global_store_byte v[0:1], v2, off
.LBB158_354:
	s_mov_b64 s[26:27], 0
.LBB158_355:
	s_and_b64 vcc, exec, s[26:27]
	s_cbranch_vccz .LBB158_394
; %bb.356:
	s_and_b32 s26, 0xffff, s30
	s_cmp_lt_i32 s26, 5
	s_mov_b64 s[22:23], -1
	s_cbranch_scc1 .LBB158_377
; %bb.357:
	s_cmp_lt_i32 s26, 8
	s_cbranch_scc1 .LBB158_367
; %bb.358:
	s_cmp_lt_i32 s26, 9
	s_cbranch_scc1 .LBB158_364
; %bb.359:
	s_cmp_gt_i32 s26, 9
	s_cbranch_scc0 .LBB158_361
; %bb.360:
	v_bfe_i32 v2, v4, 0, 16
	v_cvt_f64_i32_e32 v[5:6], v2
	v_mov_b32_e32 v7, 0
	v_mov_b32_e32 v8, v7
	s_mov_b64 s[22:23], 0
	global_store_dwordx4 v[0:1], v[5:8], off
.LBB158_361:
	s_andn2_b64 vcc, exec, s[22:23]
	s_cbranch_vccnz .LBB158_363
; %bb.362:
	v_cvt_f32_i32_sdwa v2, sext(v4) dst_sel:DWORD dst_unused:UNUSED_PAD src0_sel:WORD_0
	v_mov_b32_e32 v3, 0
	global_store_dwordx2 v[0:1], v[2:3], off
.LBB158_363:
	s_mov_b64 s[22:23], 0
.LBB158_364:
	s_andn2_b64 vcc, exec, s[22:23]
	s_cbranch_vccnz .LBB158_366
; %bb.365:
	v_cvt_f16_i16_e32 v2, v4
	global_store_dword v[0:1], v2, off
.LBB158_366:
	s_mov_b64 s[22:23], 0
.LBB158_367:
	s_andn2_b64 vcc, exec, s[22:23]
	s_cbranch_vccnz .LBB158_376
; %bb.368:
	s_cmp_lt_i32 s26, 6
	s_mov_b64 s[22:23], -1
	s_cbranch_scc1 .LBB158_374
; %bb.369:
	s_cmp_gt_i32 s26, 6
	s_cbranch_scc0 .LBB158_371
; %bb.370:
	v_bfe_i32 v2, v4, 0, 16
	v_cvt_f64_i32_e32 v[2:3], v2
	s_mov_b64 s[22:23], 0
	global_store_dwordx2 v[0:1], v[2:3], off
.LBB158_371:
	s_andn2_b64 vcc, exec, s[22:23]
	s_cbranch_vccnz .LBB158_373
; %bb.372:
	v_cvt_f32_i32_sdwa v2, sext(v4) dst_sel:DWORD dst_unused:UNUSED_PAD src0_sel:WORD_0
	global_store_dword v[0:1], v2, off
.LBB158_373:
	s_mov_b64 s[22:23], 0
.LBB158_374:
	s_andn2_b64 vcc, exec, s[22:23]
	s_cbranch_vccnz .LBB158_376
; %bb.375:
	v_cvt_f16_i16_e32 v2, v4
	global_store_short v[0:1], v2, off
.LBB158_376:
	s_mov_b64 s[22:23], 0
.LBB158_377:
	s_andn2_b64 vcc, exec, s[22:23]
	s_cbranch_vccnz .LBB158_393
; %bb.378:
	s_cmp_lt_i32 s26, 2
	s_mov_b64 s[22:23], -1
	s_cbranch_scc1 .LBB158_388
; %bb.379:
	s_cmp_lt_i32 s26, 3
	s_cbranch_scc1 .LBB158_385
; %bb.380:
	s_cmp_gt_i32 s26, 3
	v_bfe_i32 v2, v4, 0, 16
	s_cbranch_scc0 .LBB158_382
; %bb.381:
	v_ashrrev_i32_e32 v3, 31, v2
	s_mov_b64 s[22:23], 0
	global_store_dwordx2 v[0:1], v[2:3], off
.LBB158_382:
	s_andn2_b64 vcc, exec, s[22:23]
	s_cbranch_vccnz .LBB158_384
; %bb.383:
	global_store_dword v[0:1], v2, off
.LBB158_384:
	s_mov_b64 s[22:23], 0
.LBB158_385:
	s_andn2_b64 vcc, exec, s[22:23]
	s_cbranch_vccnz .LBB158_387
; %bb.386:
	global_store_short v[0:1], v4, off
.LBB158_387:
	s_mov_b64 s[22:23], 0
.LBB158_388:
	s_andn2_b64 vcc, exec, s[22:23]
	s_cbranch_vccnz .LBB158_393
; %bb.389:
	s_cmp_gt_i32 s26, 0
	s_mov_b64 s[22:23], -1
	s_cbranch_scc0 .LBB158_391
; %bb.390:
	s_mov_b64 s[22:23], 0
	global_store_byte v[0:1], v4, off
.LBB158_391:
	s_andn2_b64 vcc, exec, s[22:23]
	s_cbranch_vccnz .LBB158_393
; %bb.392:
	global_store_byte v[0:1], v4, off
.LBB158_393:
	s_mov_b64 s[22:23], -1
.LBB158_394:
	s_andn2_b64 vcc, exec, s[22:23]
	s_cbranch_vccnz .LBB158_396
; %bb.395:
	v_add_u32_e32 v9, 0x80, v9
	s_mov_b64 s[26:27], -1
	s_branch .LBB158_504
.LBB158_396:
	s_mov_b64 s[26:27], 0
                                        ; implicit-def: $vgpr9
	s_branch .LBB158_504
.LBB158_397:
	s_mov_b64 s[20:21], -1
                                        ; implicit-def: $vgpr2
.LBB158_398:
	s_mov_b64 s[22:23], 0
.LBB158_399:
	s_and_b64 vcc, exec, s[22:23]
	s_cbranch_vccz .LBB158_403
; %bb.400:
	s_cmp_eq_u32 s27, 29
	s_cbranch_scc0 .LBB158_402
; %bb.401:
	global_load_dwordx2 v[2:3], v[0:1], off
	s_mov_b64 s[2:3], -1
	s_mov_b64 s[20:21], 0
	s_branch .LBB158_403
.LBB158_402:
	s_mov_b64 s[20:21], -1
                                        ; implicit-def: $vgpr2
.LBB158_403:
	s_mov_b64 s[22:23], 0
.LBB158_404:
	s_and_b64 vcc, exec, s[22:23]
	s_cbranch_vccz .LBB158_420
; %bb.405:
	s_cmp_lt_i32 s27, 27
	s_cbranch_scc1 .LBB158_408
; %bb.406:
	s_cmp_gt_i32 s27, 27
	s_cbranch_scc0 .LBB158_409
; %bb.407:
	global_load_dword v2, v[0:1], off
	s_mov_b64 s[2:3], 0
	s_branch .LBB158_410
.LBB158_408:
	s_mov_b64 s[2:3], -1
                                        ; implicit-def: $vgpr2
	s_branch .LBB158_413
.LBB158_409:
	s_mov_b64 s[2:3], -1
                                        ; implicit-def: $vgpr2
.LBB158_410:
	s_andn2_b64 vcc, exec, s[2:3]
	s_cbranch_vccnz .LBB158_412
; %bb.411:
	global_load_ushort v2, v[0:1], off
.LBB158_412:
	s_mov_b64 s[2:3], 0
.LBB158_413:
	s_andn2_b64 vcc, exec, s[2:3]
	s_cbranch_vccnz .LBB158_419
; %bb.414:
	global_load_ubyte v3, v[0:1], off
	s_movk_i32 s2, 0x7f
	s_mov_b64 s[22:23], 0
	s_waitcnt vmcnt(0)
	v_cmp_lt_i16_e32 vcc, s2, v3
	s_and_saveexec_b64 s[2:3], vcc
	s_xor_b64 s[2:3], exec, s[2:3]
	s_cbranch_execz .LBB158_431
; %bb.415:
	s_movk_i32 s22, 0x80
	v_cmp_ne_u16_e32 vcc, s22, v3
	s_and_b64 s[22:23], vcc, exec
	s_andn2_saveexec_b64 s[2:3], s[2:3]
	s_cbranch_execnz .LBB158_432
.LBB158_416:
	s_or_b64 exec, exec, s[2:3]
	v_mov_b32_e32 v2, 0
	s_and_saveexec_b64 s[2:3], s[22:23]
	s_cbranch_execz .LBB158_418
.LBB158_417:
	v_lshlrev_b32_e32 v2, 24, v3
	v_and_b32_e32 v3, 0xffff, v3
	v_and_b32_e32 v4, 7, v3
	v_ffbh_u32_e32 v6, v4
	v_min_u32_e32 v6, 32, v6
	v_subrev_u32_e32 v7, 28, v6
	v_bfe_u32 v5, v3, 3, 4
	v_lshlrev_b32_e32 v3, v7, v3
	v_sub_u32_e32 v6, 29, v6
	v_and_b32_e32 v3, 7, v3
	v_cmp_eq_u32_e32 vcc, 0, v5
	v_cndmask_b32_e32 v5, v5, v6, vcc
	v_cndmask_b32_e32 v3, v4, v3, vcc
	v_mov_b32_e32 v4, 0x3b800000
	v_lshlrev_b32_e32 v3, 20, v3
	v_and_b32_e32 v2, 0x80000000, v2
	v_lshl_add_u32 v4, v5, 23, v4
	v_or3_b32 v2, v2, v4, v3
	v_cvt_i32_f32_e32 v2, v2
.LBB158_418:
	s_or_b64 exec, exec, s[2:3]
.LBB158_419:
	s_mov_b64 s[2:3], -1
.LBB158_420:
	s_mov_b64 s[22:23], 0
.LBB158_421:
	s_and_b64 vcc, exec, s[22:23]
	s_cbranch_vccz .LBB158_454
; %bb.422:
	s_cmp_gt_i32 s27, 22
	s_cbranch_scc0 .LBB158_430
; %bb.423:
	s_cmp_lt_i32 s27, 24
	s_cbranch_scc1 .LBB158_433
; %bb.424:
	s_cmp_gt_i32 s27, 24
	s_cbranch_scc0 .LBB158_434
; %bb.425:
	global_load_ubyte v3, v[0:1], off
	s_movk_i32 s2, 0x7f
	s_mov_b64 s[22:23], 0
	s_waitcnt vmcnt(0)
	v_cmp_lt_i16_e32 vcc, s2, v3
	s_and_saveexec_b64 s[2:3], vcc
	s_xor_b64 s[2:3], exec, s[2:3]
	s_cbranch_execz .LBB158_446
; %bb.426:
	s_movk_i32 s22, 0x80
	v_cmp_ne_u16_e32 vcc, s22, v3
	s_and_b64 s[22:23], vcc, exec
	s_andn2_saveexec_b64 s[2:3], s[2:3]
	s_cbranch_execnz .LBB158_447
.LBB158_427:
	s_or_b64 exec, exec, s[2:3]
	v_mov_b32_e32 v2, 0
	s_and_saveexec_b64 s[2:3], s[22:23]
	s_cbranch_execz .LBB158_429
.LBB158_428:
	v_lshlrev_b32_e32 v2, 24, v3
	v_and_b32_e32 v3, 0xffff, v3
	v_and_b32_e32 v4, 3, v3
	v_ffbh_u32_e32 v6, v4
	v_min_u32_e32 v6, 32, v6
	v_subrev_u32_e32 v7, 29, v6
	v_bfe_u32 v5, v3, 2, 5
	v_lshlrev_b32_e32 v3, v7, v3
	v_sub_u32_e32 v6, 30, v6
	v_and_b32_e32 v3, 3, v3
	v_cmp_eq_u32_e32 vcc, 0, v5
	v_cndmask_b32_e32 v5, v5, v6, vcc
	v_cndmask_b32_e32 v3, v4, v3, vcc
	v_mov_b32_e32 v4, 0x37800000
	v_lshlrev_b32_e32 v3, 21, v3
	v_and_b32_e32 v2, 0x80000000, v2
	v_lshl_add_u32 v4, v5, 23, v4
	v_or3_b32 v2, v2, v4, v3
	v_cvt_i32_f32_e32 v2, v2
.LBB158_429:
	s_or_b64 exec, exec, s[2:3]
	s_mov_b64 s[2:3], 0
	s_branch .LBB158_435
.LBB158_430:
	s_mov_b64 s[22:23], -1
                                        ; implicit-def: $vgpr2
	s_branch .LBB158_441
.LBB158_431:
	s_andn2_saveexec_b64 s[2:3], s[2:3]
	s_cbranch_execz .LBB158_416
.LBB158_432:
	v_cmp_ne_u16_e32 vcc, 0, v3
	s_andn2_b64 s[22:23], s[22:23], exec
	s_and_b64 s[28:29], vcc, exec
	s_or_b64 s[22:23], s[22:23], s[28:29]
	s_or_b64 exec, exec, s[2:3]
	v_mov_b32_e32 v2, 0
	s_and_saveexec_b64 s[2:3], s[22:23]
	s_cbranch_execnz .LBB158_417
	s_branch .LBB158_418
.LBB158_433:
	s_mov_b64 s[2:3], -1
                                        ; implicit-def: $vgpr2
	s_branch .LBB158_438
.LBB158_434:
	s_mov_b64 s[2:3], -1
                                        ; implicit-def: $vgpr2
.LBB158_435:
	s_and_b64 vcc, exec, s[2:3]
	s_cbranch_vccz .LBB158_437
; %bb.436:
	global_load_ubyte v2, v[0:1], off
	s_mov_b32 s2, 0x7f800000
	s_waitcnt vmcnt(0)
	v_lshlrev_b32_e32 v2, 24, v2
	v_and_b32_e32 v3, 0x7f000000, v2
	v_ffbh_u32_e32 v4, v3
	v_min_u32_e32 v4, 32, v4
	v_sub_u32_e64 v4, v4, 4 clamp
	v_lshlrev_b32_e32 v6, v4, v3
	v_lshlrev_b32_e32 v4, 23, v4
	v_lshrrev_b32_e32 v6, 4, v6
	v_add_u32_e32 v5, 0x1000000, v3
	v_sub_u32_e32 v4, v6, v4
	v_ashrrev_i32_e32 v5, 8, v5
	v_add_u32_e32 v4, 0x3c000000, v4
	v_and_or_b32 v4, v5, s2, v4
	v_cmp_ne_u32_e32 vcc, 0, v3
	v_cndmask_b32_e32 v3, 0, v4, vcc
	s_brev_b32 s2, 1
	v_and_or_b32 v2, v2, s2, v3
	v_cvt_i32_f32_e32 v2, v2
.LBB158_437:
	s_mov_b64 s[2:3], 0
.LBB158_438:
	s_andn2_b64 vcc, exec, s[2:3]
	s_cbranch_vccnz .LBB158_440
; %bb.439:
	global_load_ubyte v2, v[0:1], off
	s_movk_i32 s2, 0x7f00
	s_brev_b32 s3, 16
	s_waitcnt vmcnt(0)
	v_lshlrev_b16_e32 v3, 8, v2
	v_lshlrev_b32_e32 v2, 25, v2
	v_lshrrev_b32_e32 v4, 4, v2
	v_and_or_b32 v5, v3, s2, 0.5
	v_or_b32_e32 v4, 0x70000000, v4
	v_add_f32_e32 v5, -0.5, v5
	v_mul_f32_e32 v4, 0x7800000, v4
	v_cmp_gt_u32_e32 vcc, s3, v2
	v_bfe_i32 v3, v3, 0, 16
	v_cndmask_b32_e32 v2, v4, v5, vcc
	s_brev_b32 s2, 1
	v_and_or_b32 v2, v3, s2, v2
	v_cvt_i32_f32_e32 v2, v2
.LBB158_440:
	s_mov_b64 s[22:23], 0
	s_mov_b64 s[2:3], -1
.LBB158_441:
	s_andn2_b64 vcc, exec, s[22:23]
	s_cbranch_vccnz .LBB158_454
; %bb.442:
	s_cmp_gt_i32 s27, 14
	s_cbranch_scc0 .LBB158_445
; %bb.443:
	s_cmp_eq_u32 s27, 15
	s_cbranch_scc0 .LBB158_448
; %bb.444:
	global_load_ushort v2, v[0:1], off
	s_mov_b64 s[2:3], -1
	s_mov_b64 s[20:21], 0
	s_waitcnt vmcnt(0)
	v_lshlrev_b32_e32 v2, 16, v2
	v_cvt_i32_f32_e32 v2, v2
	s_branch .LBB158_449
.LBB158_445:
	s_mov_b64 s[22:23], -1
                                        ; implicit-def: $vgpr2
	s_branch .LBB158_450
.LBB158_446:
	s_andn2_saveexec_b64 s[2:3], s[2:3]
	s_cbranch_execz .LBB158_427
.LBB158_447:
	v_cmp_ne_u16_e32 vcc, 0, v3
	s_andn2_b64 s[22:23], s[22:23], exec
	s_and_b64 s[28:29], vcc, exec
	s_or_b64 s[22:23], s[22:23], s[28:29]
	s_or_b64 exec, exec, s[2:3]
	v_mov_b32_e32 v2, 0
	s_and_saveexec_b64 s[2:3], s[22:23]
	s_cbranch_execnz .LBB158_428
	s_branch .LBB158_429
.LBB158_448:
	s_mov_b64 s[20:21], -1
                                        ; implicit-def: $vgpr2
.LBB158_449:
	s_mov_b64 s[22:23], 0
.LBB158_450:
	s_and_b64 vcc, exec, s[22:23]
	s_cbranch_vccz .LBB158_454
; %bb.451:
	s_cmp_eq_u32 s27, 11
	s_cbranch_scc0 .LBB158_453
; %bb.452:
	global_load_ubyte v2, v[0:1], off
	s_mov_b64 s[2:3], -1
	s_mov_b64 s[20:21], 0
	s_waitcnt vmcnt(0)
	v_cmp_ne_u16_e32 vcc, 0, v2
	v_cndmask_b32_e64 v2, 0, 1, vcc
	s_branch .LBB158_454
.LBB158_453:
	s_mov_b64 s[20:21], -1
                                        ; implicit-def: $vgpr2
.LBB158_454:
	s_branch .LBB158_261
.LBB158_455:
	s_and_b32 s22, 0xffff, s26
	s_cmp_lt_i32 s22, 5
	s_cbranch_scc1 .LBB158_460
; %bb.456:
	s_cmp_lt_i32 s22, 8
	s_cbranch_scc1 .LBB158_461
; %bb.457:
	;; [unrolled: 3-line block ×3, first 2 shown]
	s_cmp_gt_i32 s22, 9
	s_cbranch_scc0 .LBB158_463
; %bb.459:
	global_load_dwordx2 v[2:3], v[0:1], off
	s_mov_b64 s[2:3], 0
	s_waitcnt vmcnt(0)
	v_cvt_i32_f64_e32 v2, v[2:3]
	s_branch .LBB158_464
.LBB158_460:
	s_mov_b64 s[2:3], -1
                                        ; implicit-def: $vgpr2
	s_branch .LBB158_482
.LBB158_461:
	s_mov_b64 s[2:3], -1
                                        ; implicit-def: $vgpr2
	s_branch .LBB158_470
.LBB158_462:
	s_mov_b64 s[2:3], -1
                                        ; implicit-def: $vgpr2
	s_branch .LBB158_467
.LBB158_463:
	s_mov_b64 s[2:3], -1
                                        ; implicit-def: $vgpr2
.LBB158_464:
	s_andn2_b64 vcc, exec, s[2:3]
	s_cbranch_vccnz .LBB158_466
; %bb.465:
	global_load_dword v2, v[0:1], off
	s_waitcnt vmcnt(0)
	v_cvt_i32_f32_e32 v2, v2
.LBB158_466:
	s_mov_b64 s[2:3], 0
.LBB158_467:
	s_andn2_b64 vcc, exec, s[2:3]
	s_cbranch_vccnz .LBB158_469
; %bb.468:
	global_load_dword v2, v[0:1], off
	s_waitcnt vmcnt(0)
	v_cvt_i16_f16_e32 v2, v2
.LBB158_469:
	s_mov_b64 s[2:3], 0
.LBB158_470:
	s_andn2_b64 vcc, exec, s[2:3]
	s_cbranch_vccnz .LBB158_481
; %bb.471:
	s_cmp_lt_i32 s22, 6
	s_cbranch_scc1 .LBB158_474
; %bb.472:
	s_cmp_gt_i32 s22, 6
	s_cbranch_scc0 .LBB158_475
; %bb.473:
	global_load_dwordx2 v[2:3], v[0:1], off
	s_mov_b64 s[2:3], 0
	s_waitcnt vmcnt(0)
	v_cvt_i32_f64_e32 v2, v[2:3]
	s_branch .LBB158_476
.LBB158_474:
	s_mov_b64 s[2:3], -1
                                        ; implicit-def: $vgpr2
	s_branch .LBB158_479
.LBB158_475:
	s_mov_b64 s[2:3], -1
                                        ; implicit-def: $vgpr2
.LBB158_476:
	s_andn2_b64 vcc, exec, s[2:3]
	s_cbranch_vccnz .LBB158_478
; %bb.477:
	global_load_dword v2, v[0:1], off
	s_waitcnt vmcnt(0)
	v_cvt_i32_f32_e32 v2, v2
.LBB158_478:
	s_mov_b64 s[2:3], 0
.LBB158_479:
	s_andn2_b64 vcc, exec, s[2:3]
	s_cbranch_vccnz .LBB158_481
; %bb.480:
	global_load_ushort v2, v[0:1], off
	s_waitcnt vmcnt(0)
	v_cvt_i16_f16_e32 v2, v2
.LBB158_481:
	s_mov_b64 s[2:3], 0
.LBB158_482:
	s_andn2_b64 vcc, exec, s[2:3]
	s_cbranch_vccnz .LBB158_502
; %bb.483:
	s_cmp_lt_i32 s22, 2
	s_cbranch_scc1 .LBB158_487
; %bb.484:
	s_cmp_lt_i32 s22, 3
	s_cbranch_scc1 .LBB158_488
; %bb.485:
	s_cmp_gt_i32 s22, 3
	s_cbranch_scc0 .LBB158_489
; %bb.486:
	global_load_dwordx2 v[2:3], v[0:1], off
	s_mov_b64 s[2:3], 0
	s_branch .LBB158_490
.LBB158_487:
	s_mov_b64 s[2:3], -1
                                        ; implicit-def: $vgpr2
	s_branch .LBB158_496
.LBB158_488:
	s_mov_b64 s[2:3], -1
                                        ; implicit-def: $vgpr2
	s_branch .LBB158_493
.LBB158_489:
	s_mov_b64 s[2:3], -1
                                        ; implicit-def: $vgpr2
.LBB158_490:
	s_andn2_b64 vcc, exec, s[2:3]
	s_cbranch_vccnz .LBB158_492
; %bb.491:
	global_load_dword v2, v[0:1], off
.LBB158_492:
	s_mov_b64 s[2:3], 0
.LBB158_493:
	s_andn2_b64 vcc, exec, s[2:3]
	s_cbranch_vccnz .LBB158_495
; %bb.494:
	global_load_ushort v2, v[0:1], off
.LBB158_495:
	s_mov_b64 s[2:3], 0
.LBB158_496:
	s_andn2_b64 vcc, exec, s[2:3]
	s_cbranch_vccnz .LBB158_502
; %bb.497:
	s_cmp_gt_i32 s22, 0
	s_cbranch_scc0 .LBB158_499
; %bb.498:
	global_load_ubyte v2, v[0:1], off
	s_mov_b64 s[2:3], 0
	s_branch .LBB158_500
.LBB158_499:
	s_mov_b64 s[2:3], -1
                                        ; implicit-def: $vgpr2
.LBB158_500:
	s_andn2_b64 vcc, exec, s[2:3]
	s_cbranch_vccnz .LBB158_502
; %bb.501:
	global_load_ubyte v2, v[0:1], off
.LBB158_502:
	s_branch .LBB158_262
.LBB158_503:
	s_mov_b64 s[26:27], 0
                                        ; implicit-def: $vgpr9
	s_mov_b64 s[2:3], s[6:7]
.LBB158_504:
	s_andn2_b64 s[22:23], s[6:7], exec
	s_and_b64 s[2:3], s[2:3], exec
	s_or_b64 s[22:23], s[22:23], s[2:3]
	s_andn2_b64 s[2:3], s[16:17], exec
	s_and_b64 s[20:21], s[20:21], exec
	s_or_b64 s[20:21], s[2:3], s[20:21]
	s_orn2_b64 s[2:3], s[26:27], exec
.LBB158_505:
	s_or_b64 exec, exec, s[24:25]
	s_mov_b64 s[28:29], 0
	s_mov_b64 s[26:27], 0
	;; [unrolled: 1-line block ×3, first 2 shown]
                                        ; implicit-def: $sgpr47
                                        ; implicit-def: $vgpr0_vgpr1
                                        ; implicit-def: $vgpr2
	s_and_saveexec_b64 s[24:25], s[2:3]
	s_cbranch_execz .LBB158_842
; %bb.506:
	v_cmp_gt_i32_e32 vcc, s40, v9
	s_mov_b64 s[36:37], -1
	s_mov_b64 s[2:3], s[20:21]
	s_mov_b64 s[30:31], s[22:23]
	s_and_saveexec_b64 s[26:27], vcc
	s_cbranch_execz .LBB158_760
; %bb.507:
	v_mul_lo_u32 v0, v9, s13
	v_mov_b32_e32 v1, s11
	s_and_b32 s34, s45, 0xff
	s_cmp_lt_i32 s34, 11
	s_waitcnt vmcnt(0)
	v_ashrrev_i32_e32 v2, 31, v0
	v_add_co_u32_e32 v0, vcc, s10, v0
	v_addc_co_u32_e32 v1, vcc, v1, v2, vcc
	s_cbranch_scc1 .LBB158_514
; %bb.508:
	s_and_b32 s35, 0xffff, s34
	s_cmp_gt_i32 s35, 25
	s_cbranch_scc0 .LBB158_515
; %bb.509:
	s_cmp_gt_i32 s35, 28
	s_cbranch_scc0 .LBB158_516
; %bb.510:
	;; [unrolled: 3-line block ×4, first 2 shown]
	s_cmp_eq_u32 s35, 46
	s_mov_b64 s[30:31], 0
	s_cbranch_scc0 .LBB158_523
; %bb.513:
	global_load_dword v2, v[0:1], off
	s_mov_b64 s[2:3], -1
	s_waitcnt vmcnt(0)
	v_lshlrev_b32_e32 v2, 16, v2
	v_cvt_i32_f32_e32 v2, v2
	s_branch .LBB158_524
.LBB158_514:
	s_mov_b64 s[30:31], -1
	s_mov_b64 s[2:3], 0
                                        ; implicit-def: $vgpr2
	s_mov_b64 s[28:29], s[20:21]
	s_branch .LBB158_585
.LBB158_515:
	s_mov_b64 s[30:31], -1
	s_mov_b64 s[2:3], 0
	s_mov_b64 s[28:29], s[20:21]
                                        ; implicit-def: $vgpr2
	s_branch .LBB158_551
.LBB158_516:
	s_mov_b64 s[30:31], -1
	s_mov_b64 s[2:3], 0
	s_mov_b64 s[28:29], s[20:21]
                                        ; implicit-def: $vgpr2
	s_branch .LBB158_534
.LBB158_517:
	s_mov_b64 s[30:31], -1
	s_mov_b64 s[2:3], 0
	s_mov_b64 s[28:29], s[20:21]
                                        ; implicit-def: $vgpr2
	s_branch .LBB158_529
.LBB158_518:
	s_andn2_saveexec_b64 s[28:29], s[28:29]
	s_cbranch_execz .LBB158_307
.LBB158_519:
	s_mov_b32 s34, 0x46000000
	v_add_f32_e64 v3, |v2|, s34
	v_and_b32_e32 v3, 0xff, v3
	v_cmp_ne_u32_e32 vcc, 0, v3
	s_andn2_b64 s[26:27], s[26:27], exec
	s_and_b64 s[34:35], vcc, exec
	s_or_b64 s[26:27], s[26:27], s[34:35]
	s_or_b64 exec, exec, s[28:29]
	v_mov_b32_e32 v5, 0
	s_and_saveexec_b64 s[28:29], s[26:27]
	s_cbranch_execnz .LBB158_308
	s_branch .LBB158_309
.LBB158_520:
	s_mov_b64 s[30:31], -1
	s_mov_b64 s[2:3], 0
	s_mov_b64 s[28:29], s[20:21]
                                        ; implicit-def: $vgpr2
	s_branch .LBB158_524
.LBB158_521:
	s_andn2_saveexec_b64 s[28:29], s[28:29]
	s_cbranch_execz .LBB158_320
.LBB158_522:
	s_mov_b32 s34, 0x42800000
	v_add_f32_e64 v3, |v2|, s34
	v_and_b32_e32 v3, 0xff, v3
	v_cmp_ne_u32_e32 vcc, 0, v3
	s_andn2_b64 s[26:27], s[26:27], exec
	s_and_b64 s[34:35], vcc, exec
	s_or_b64 s[26:27], s[26:27], s[34:35]
	s_or_b64 exec, exec, s[28:29]
	v_mov_b32_e32 v5, 0
	s_and_saveexec_b64 s[28:29], s[26:27]
	s_cbranch_execnz .LBB158_321
	s_branch .LBB158_322
.LBB158_523:
	s_mov_b64 s[28:29], -1
                                        ; implicit-def: $vgpr2
	s_mov_b64 s[2:3], 0
.LBB158_524:
	s_and_b64 vcc, exec, s[30:31]
	s_cbranch_vccz .LBB158_528
; %bb.525:
	s_cmp_eq_u32 s35, 44
	s_cbranch_scc0 .LBB158_527
; %bb.526:
	global_load_ubyte v2, v[0:1], off
	s_mov_b64 s[2:3], -1
	s_mov_b64 s[28:29], 0
	s_waitcnt vmcnt(0)
	v_lshlrev_b32_e32 v3, 23, v2
	v_cvt_i32_f32_e32 v3, v3
	v_cmp_ne_u32_e32 vcc, 0, v2
	v_cndmask_b32_e32 v2, 0, v3, vcc
	s_branch .LBB158_528
.LBB158_527:
	s_mov_b64 s[28:29], -1
                                        ; implicit-def: $vgpr2
.LBB158_528:
	s_mov_b64 s[30:31], 0
.LBB158_529:
	s_and_b64 vcc, exec, s[30:31]
	s_cbranch_vccz .LBB158_533
; %bb.530:
	s_cmp_eq_u32 s35, 29
	s_cbranch_scc0 .LBB158_532
; %bb.531:
	global_load_dwordx2 v[2:3], v[0:1], off
	s_mov_b64 s[2:3], -1
	s_mov_b64 s[28:29], 0
	s_branch .LBB158_533
.LBB158_532:
	s_mov_b64 s[28:29], -1
                                        ; implicit-def: $vgpr2
.LBB158_533:
	s_mov_b64 s[30:31], 0
.LBB158_534:
	s_and_b64 vcc, exec, s[30:31]
	s_cbranch_vccz .LBB158_550
; %bb.535:
	s_cmp_lt_i32 s35, 27
	s_cbranch_scc1 .LBB158_538
; %bb.536:
	s_cmp_gt_i32 s35, 27
	s_cbranch_scc0 .LBB158_539
; %bb.537:
	global_load_dword v2, v[0:1], off
	s_mov_b64 s[2:3], 0
	s_branch .LBB158_540
.LBB158_538:
	s_mov_b64 s[2:3], -1
                                        ; implicit-def: $vgpr2
	s_branch .LBB158_543
.LBB158_539:
	s_mov_b64 s[2:3], -1
                                        ; implicit-def: $vgpr2
.LBB158_540:
	s_andn2_b64 vcc, exec, s[2:3]
	s_cbranch_vccnz .LBB158_542
; %bb.541:
	global_load_ushort v2, v[0:1], off
.LBB158_542:
	s_mov_b64 s[2:3], 0
.LBB158_543:
	s_andn2_b64 vcc, exec, s[2:3]
	s_cbranch_vccnz .LBB158_549
; %bb.544:
	global_load_ubyte v3, v[0:1], off
	s_movk_i32 s2, 0x7f
	s_mov_b64 s[30:31], 0
	s_waitcnt vmcnt(0)
	v_cmp_lt_i16_e32 vcc, s2, v3
	s_and_saveexec_b64 s[2:3], vcc
	s_xor_b64 s[2:3], exec, s[2:3]
	s_cbranch_execz .LBB158_561
; %bb.545:
	s_movk_i32 s30, 0x80
	v_cmp_ne_u16_e32 vcc, s30, v3
	s_and_b64 s[30:31], vcc, exec
	s_andn2_saveexec_b64 s[2:3], s[2:3]
	s_cbranch_execnz .LBB158_562
.LBB158_546:
	s_or_b64 exec, exec, s[2:3]
	v_mov_b32_e32 v2, 0
	s_and_saveexec_b64 s[2:3], s[30:31]
	s_cbranch_execz .LBB158_548
.LBB158_547:
	v_lshlrev_b32_e32 v2, 24, v3
	v_and_b32_e32 v3, 0xffff, v3
	v_and_b32_e32 v4, 7, v3
	v_ffbh_u32_e32 v6, v4
	v_min_u32_e32 v6, 32, v6
	v_subrev_u32_e32 v7, 28, v6
	v_bfe_u32 v5, v3, 3, 4
	v_lshlrev_b32_e32 v3, v7, v3
	v_sub_u32_e32 v6, 29, v6
	v_and_b32_e32 v3, 7, v3
	v_cmp_eq_u32_e32 vcc, 0, v5
	v_cndmask_b32_e32 v5, v5, v6, vcc
	v_cndmask_b32_e32 v3, v4, v3, vcc
	v_mov_b32_e32 v4, 0x3b800000
	v_lshlrev_b32_e32 v3, 20, v3
	v_and_b32_e32 v2, 0x80000000, v2
	v_lshl_add_u32 v4, v5, 23, v4
	v_or3_b32 v2, v2, v4, v3
	v_cvt_i32_f32_e32 v2, v2
.LBB158_548:
	s_or_b64 exec, exec, s[2:3]
.LBB158_549:
	s_mov_b64 s[2:3], -1
.LBB158_550:
	s_mov_b64 s[30:31], 0
.LBB158_551:
	s_and_b64 vcc, exec, s[30:31]
	s_cbranch_vccz .LBB158_584
; %bb.552:
	s_cmp_gt_i32 s35, 22
	s_cbranch_scc0 .LBB158_560
; %bb.553:
	s_cmp_lt_i32 s35, 24
	s_cbranch_scc1 .LBB158_563
; %bb.554:
	s_cmp_gt_i32 s35, 24
	s_cbranch_scc0 .LBB158_564
; %bb.555:
	global_load_ubyte v3, v[0:1], off
	s_movk_i32 s2, 0x7f
	s_mov_b64 s[30:31], 0
	s_waitcnt vmcnt(0)
	v_cmp_lt_i16_e32 vcc, s2, v3
	s_and_saveexec_b64 s[2:3], vcc
	s_xor_b64 s[2:3], exec, s[2:3]
	s_cbranch_execz .LBB158_576
; %bb.556:
	s_movk_i32 s30, 0x80
	v_cmp_ne_u16_e32 vcc, s30, v3
	s_and_b64 s[30:31], vcc, exec
	s_andn2_saveexec_b64 s[2:3], s[2:3]
	s_cbranch_execnz .LBB158_577
.LBB158_557:
	s_or_b64 exec, exec, s[2:3]
	v_mov_b32_e32 v2, 0
	s_and_saveexec_b64 s[2:3], s[30:31]
	s_cbranch_execz .LBB158_559
.LBB158_558:
	v_lshlrev_b32_e32 v2, 24, v3
	v_and_b32_e32 v3, 0xffff, v3
	v_and_b32_e32 v4, 3, v3
	v_ffbh_u32_e32 v6, v4
	v_min_u32_e32 v6, 32, v6
	v_subrev_u32_e32 v7, 29, v6
	v_bfe_u32 v5, v3, 2, 5
	v_lshlrev_b32_e32 v3, v7, v3
	v_sub_u32_e32 v6, 30, v6
	v_and_b32_e32 v3, 3, v3
	v_cmp_eq_u32_e32 vcc, 0, v5
	v_cndmask_b32_e32 v5, v5, v6, vcc
	v_cndmask_b32_e32 v3, v4, v3, vcc
	v_mov_b32_e32 v4, 0x37800000
	v_lshlrev_b32_e32 v3, 21, v3
	v_and_b32_e32 v2, 0x80000000, v2
	v_lshl_add_u32 v4, v5, 23, v4
	v_or3_b32 v2, v2, v4, v3
	v_cvt_i32_f32_e32 v2, v2
.LBB158_559:
	s_or_b64 exec, exec, s[2:3]
	s_mov_b64 s[2:3], 0
	s_branch .LBB158_565
.LBB158_560:
	s_mov_b64 s[30:31], -1
                                        ; implicit-def: $vgpr2
	s_branch .LBB158_571
.LBB158_561:
	s_andn2_saveexec_b64 s[2:3], s[2:3]
	s_cbranch_execz .LBB158_546
.LBB158_562:
	v_cmp_ne_u16_e32 vcc, 0, v3
	s_andn2_b64 s[30:31], s[30:31], exec
	s_and_b64 s[36:37], vcc, exec
	s_or_b64 s[30:31], s[30:31], s[36:37]
	s_or_b64 exec, exec, s[2:3]
	v_mov_b32_e32 v2, 0
	s_and_saveexec_b64 s[2:3], s[30:31]
	s_cbranch_execnz .LBB158_547
	s_branch .LBB158_548
.LBB158_563:
	s_mov_b64 s[2:3], -1
                                        ; implicit-def: $vgpr2
	s_branch .LBB158_568
.LBB158_564:
	s_mov_b64 s[2:3], -1
                                        ; implicit-def: $vgpr2
.LBB158_565:
	s_and_b64 vcc, exec, s[2:3]
	s_cbranch_vccz .LBB158_567
; %bb.566:
	global_load_ubyte v2, v[0:1], off
	s_mov_b32 s2, 0x7f800000
	s_waitcnt vmcnt(0)
	v_lshlrev_b32_e32 v2, 24, v2
	v_and_b32_e32 v3, 0x7f000000, v2
	v_ffbh_u32_e32 v4, v3
	v_min_u32_e32 v4, 32, v4
	v_sub_u32_e64 v4, v4, 4 clamp
	v_lshlrev_b32_e32 v6, v4, v3
	v_lshlrev_b32_e32 v4, 23, v4
	v_lshrrev_b32_e32 v6, 4, v6
	v_add_u32_e32 v5, 0x1000000, v3
	v_sub_u32_e32 v4, v6, v4
	v_ashrrev_i32_e32 v5, 8, v5
	v_add_u32_e32 v4, 0x3c000000, v4
	v_and_or_b32 v4, v5, s2, v4
	v_cmp_ne_u32_e32 vcc, 0, v3
	v_cndmask_b32_e32 v3, 0, v4, vcc
	s_brev_b32 s2, 1
	v_and_or_b32 v2, v2, s2, v3
	v_cvt_i32_f32_e32 v2, v2
.LBB158_567:
	s_mov_b64 s[2:3], 0
.LBB158_568:
	s_andn2_b64 vcc, exec, s[2:3]
	s_cbranch_vccnz .LBB158_570
; %bb.569:
	global_load_ubyte v2, v[0:1], off
	s_movk_i32 s2, 0x7f00
	s_brev_b32 s3, 16
	s_waitcnt vmcnt(0)
	v_lshlrev_b16_e32 v3, 8, v2
	v_lshlrev_b32_e32 v2, 25, v2
	v_lshrrev_b32_e32 v4, 4, v2
	v_and_or_b32 v5, v3, s2, 0.5
	v_or_b32_e32 v4, 0x70000000, v4
	v_add_f32_e32 v5, -0.5, v5
	v_mul_f32_e32 v4, 0x7800000, v4
	v_cmp_gt_u32_e32 vcc, s3, v2
	v_bfe_i32 v3, v3, 0, 16
	v_cndmask_b32_e32 v2, v4, v5, vcc
	s_brev_b32 s2, 1
	v_and_or_b32 v2, v3, s2, v2
	v_cvt_i32_f32_e32 v2, v2
.LBB158_570:
	s_mov_b64 s[30:31], 0
	s_mov_b64 s[2:3], -1
.LBB158_571:
	s_andn2_b64 vcc, exec, s[30:31]
	s_cbranch_vccnz .LBB158_584
; %bb.572:
	s_cmp_gt_i32 s35, 14
	s_cbranch_scc0 .LBB158_575
; %bb.573:
	s_cmp_eq_u32 s35, 15
	s_cbranch_scc0 .LBB158_578
; %bb.574:
	global_load_ushort v2, v[0:1], off
	s_mov_b64 s[2:3], -1
	s_mov_b64 s[28:29], 0
	s_waitcnt vmcnt(0)
	v_lshlrev_b32_e32 v2, 16, v2
	v_cvt_i32_f32_e32 v2, v2
	s_branch .LBB158_579
.LBB158_575:
	s_mov_b64 s[30:31], -1
                                        ; implicit-def: $vgpr2
	s_branch .LBB158_580
.LBB158_576:
	s_andn2_saveexec_b64 s[2:3], s[2:3]
	s_cbranch_execz .LBB158_557
.LBB158_577:
	v_cmp_ne_u16_e32 vcc, 0, v3
	s_andn2_b64 s[30:31], s[30:31], exec
	s_and_b64 s[36:37], vcc, exec
	s_or_b64 s[30:31], s[30:31], s[36:37]
	s_or_b64 exec, exec, s[2:3]
	v_mov_b32_e32 v2, 0
	s_and_saveexec_b64 s[2:3], s[30:31]
	s_cbranch_execnz .LBB158_558
	s_branch .LBB158_559
.LBB158_578:
	s_mov_b64 s[28:29], -1
                                        ; implicit-def: $vgpr2
.LBB158_579:
	s_mov_b64 s[30:31], 0
.LBB158_580:
	s_and_b64 vcc, exec, s[30:31]
	s_cbranch_vccz .LBB158_584
; %bb.581:
	s_cmp_eq_u32 s35, 11
	s_cbranch_scc0 .LBB158_583
; %bb.582:
	global_load_ubyte v2, v[0:1], off
	s_mov_b64 s[2:3], -1
	s_mov_b64 s[28:29], 0
	s_waitcnt vmcnt(0)
	v_cmp_ne_u16_e32 vcc, 0, v2
	v_cndmask_b32_e64 v2, 0, 1, vcc
	s_branch .LBB158_584
.LBB158_583:
	s_mov_b64 s[28:29], -1
                                        ; implicit-def: $vgpr2
.LBB158_584:
	s_mov_b64 s[30:31], 0
.LBB158_585:
	s_and_b64 vcc, exec, s[30:31]
	s_cbranch_vccz .LBB158_634
; %bb.586:
	s_and_b32 s30, 0xffff, s34
	s_cmp_lt_i32 s30, 5
	s_cbranch_scc1 .LBB158_591
; %bb.587:
	s_cmp_lt_i32 s30, 8
	s_cbranch_scc1 .LBB158_592
; %bb.588:
	;; [unrolled: 3-line block ×3, first 2 shown]
	s_cmp_gt_i32 s30, 9
	s_cbranch_scc0 .LBB158_594
; %bb.590:
	global_load_dwordx2 v[2:3], v[0:1], off
	s_mov_b64 s[2:3], 0
	s_waitcnt vmcnt(0)
	v_cvt_i32_f64_e32 v2, v[2:3]
	s_branch .LBB158_595
.LBB158_591:
	s_mov_b64 s[2:3], -1
                                        ; implicit-def: $vgpr2
	s_branch .LBB158_613
.LBB158_592:
	s_mov_b64 s[2:3], -1
                                        ; implicit-def: $vgpr2
	s_branch .LBB158_601
.LBB158_593:
	s_mov_b64 s[2:3], -1
                                        ; implicit-def: $vgpr2
	s_branch .LBB158_598
.LBB158_594:
	s_mov_b64 s[2:3], -1
                                        ; implicit-def: $vgpr2
.LBB158_595:
	s_andn2_b64 vcc, exec, s[2:3]
	s_cbranch_vccnz .LBB158_597
; %bb.596:
	global_load_dword v2, v[0:1], off
	s_waitcnt vmcnt(0)
	v_cvt_i32_f32_e32 v2, v2
.LBB158_597:
	s_mov_b64 s[2:3], 0
.LBB158_598:
	s_andn2_b64 vcc, exec, s[2:3]
	s_cbranch_vccnz .LBB158_600
; %bb.599:
	global_load_dword v2, v[0:1], off
	s_waitcnt vmcnt(0)
	v_cvt_i16_f16_e32 v2, v2
.LBB158_600:
	s_mov_b64 s[2:3], 0
.LBB158_601:
	s_andn2_b64 vcc, exec, s[2:3]
	s_cbranch_vccnz .LBB158_612
; %bb.602:
	s_cmp_lt_i32 s30, 6
	s_cbranch_scc1 .LBB158_605
; %bb.603:
	s_cmp_gt_i32 s30, 6
	s_cbranch_scc0 .LBB158_606
; %bb.604:
	global_load_dwordx2 v[2:3], v[0:1], off
	s_mov_b64 s[2:3], 0
	s_waitcnt vmcnt(0)
	v_cvt_i32_f64_e32 v2, v[2:3]
	s_branch .LBB158_607
.LBB158_605:
	s_mov_b64 s[2:3], -1
                                        ; implicit-def: $vgpr2
	s_branch .LBB158_610
.LBB158_606:
	s_mov_b64 s[2:3], -1
                                        ; implicit-def: $vgpr2
.LBB158_607:
	s_andn2_b64 vcc, exec, s[2:3]
	s_cbranch_vccnz .LBB158_609
; %bb.608:
	global_load_dword v2, v[0:1], off
	s_waitcnt vmcnt(0)
	v_cvt_i32_f32_e32 v2, v2
.LBB158_609:
	s_mov_b64 s[2:3], 0
.LBB158_610:
	s_andn2_b64 vcc, exec, s[2:3]
	s_cbranch_vccnz .LBB158_612
; %bb.611:
	global_load_ushort v2, v[0:1], off
	s_waitcnt vmcnt(0)
	v_cvt_i16_f16_e32 v2, v2
.LBB158_612:
	s_mov_b64 s[2:3], 0
.LBB158_613:
	s_andn2_b64 vcc, exec, s[2:3]
	s_cbranch_vccnz .LBB158_633
; %bb.614:
	s_cmp_lt_i32 s30, 2
	s_cbranch_scc1 .LBB158_618
; %bb.615:
	s_cmp_lt_i32 s30, 3
	s_cbranch_scc1 .LBB158_619
; %bb.616:
	s_cmp_gt_i32 s30, 3
	s_cbranch_scc0 .LBB158_620
; %bb.617:
	global_load_dwordx2 v[2:3], v[0:1], off
	s_mov_b64 s[2:3], 0
	s_branch .LBB158_621
.LBB158_618:
	s_mov_b64 s[2:3], -1
                                        ; implicit-def: $vgpr2
	s_branch .LBB158_627
.LBB158_619:
	s_mov_b64 s[2:3], -1
                                        ; implicit-def: $vgpr2
	s_branch .LBB158_624
.LBB158_620:
	s_mov_b64 s[2:3], -1
                                        ; implicit-def: $vgpr2
.LBB158_621:
	s_andn2_b64 vcc, exec, s[2:3]
	s_cbranch_vccnz .LBB158_623
; %bb.622:
	global_load_dword v2, v[0:1], off
.LBB158_623:
	s_mov_b64 s[2:3], 0
.LBB158_624:
	s_andn2_b64 vcc, exec, s[2:3]
	s_cbranch_vccnz .LBB158_626
; %bb.625:
	global_load_ushort v2, v[0:1], off
.LBB158_626:
	s_mov_b64 s[2:3], 0
.LBB158_627:
	s_andn2_b64 vcc, exec, s[2:3]
	s_cbranch_vccnz .LBB158_633
; %bb.628:
	s_cmp_gt_i32 s30, 0
	s_cbranch_scc0 .LBB158_630
; %bb.629:
	global_load_ubyte v2, v[0:1], off
	s_mov_b64 s[2:3], 0
	s_branch .LBB158_631
.LBB158_630:
	s_mov_b64 s[2:3], -1
                                        ; implicit-def: $vgpr2
.LBB158_631:
	s_andn2_b64 vcc, exec, s[2:3]
	s_cbranch_vccnz .LBB158_633
; %bb.632:
	global_load_ubyte v2, v[0:1], off
.LBB158_633:
	s_mov_b64 s[2:3], -1
.LBB158_634:
	s_andn2_b64 vcc, exec, s[2:3]
	s_cbranch_vccnz .LBB158_642
; %bb.635:
	v_mul_lo_u32 v1, v9, s12
	v_mov_b32_e32 v0, 7
	s_waitcnt vmcnt(0)
	v_ashrrev_i16_sdwa v0, v0, sext(v2) dst_sel:DWORD dst_unused:UNUSED_PAD src0_sel:DWORD src1_sel:BYTE_0
	v_ashrrev_i32_sdwa v2, s46, sext(v2) dst_sel:DWORD dst_unused:UNUSED_PAD src0_sel:DWORD src1_sel:BYTE_0
	v_cndmask_b32_e64 v4, v2, v0, s[0:1]
	v_ashrrev_i32_e32 v2, 31, v1
	v_mov_b32_e32 v3, s9
	s_and_b32 s38, s33, 0xff
	v_add_co_u32_e32 v0, vcc, s8, v1
	s_cmp_lt_i32 s38, 11
	v_addc_co_u32_e32 v1, vcc, v3, v2, vcc
	s_cbranch_scc1 .LBB158_643
; %bb.636:
	s_and_b32 s39, 0xffff, s38
	s_cmp_gt_i32 s39, 25
	s_cbranch_scc0 .LBB158_644
; %bb.637:
	s_cmp_gt_i32 s39, 28
	s_cbranch_scc0 .LBB158_645
; %bb.638:
	;; [unrolled: 3-line block ×4, first 2 shown]
	s_mov_b64 s[34:35], 0
	s_mov_b64 s[2:3], -1
	s_cmp_eq_u32 s39, 46
	s_mov_b64 s[30:31], 0
	s_cbranch_scc0 .LBB158_648
; %bb.641:
	v_cvt_f32_i32_sdwa v2, sext(v4) dst_sel:DWORD dst_unused:UNUSED_PAD src0_sel:WORD_0
	s_movk_i32 s2, 0x7fff
	s_mov_b64 s[30:31], -1
	v_bfe_u32 v3, v2, 16, 1
	v_add3_u32 v2, v2, v3, s2
	v_lshrrev_b32_e32 v2, 16, v2
	global_store_dword v[0:1], v2, off
	s_mov_b64 s[2:3], 0
	s_branch .LBB158_648
.LBB158_642:
	s_mov_b64 s[34:35], 0
                                        ; implicit-def: $vgpr9
	s_mov_b64 s[2:3], s[22:23]
	s_branch .LBB158_759
.LBB158_643:
	s_mov_b64 s[34:35], -1
	s_mov_b64 s[30:31], 0
	s_mov_b64 s[2:3], s[22:23]
	s_branch .LBB158_717
.LBB158_644:
	s_mov_b64 s[34:35], -1
	s_mov_b64 s[30:31], 0
	s_mov_b64 s[2:3], s[22:23]
	s_branch .LBB158_675
.LBB158_645:
	s_mov_b64 s[34:35], -1
	s_mov_b64 s[30:31], 0
	s_mov_b64 s[2:3], s[22:23]
	s_branch .LBB158_658
.LBB158_646:
	s_mov_b64 s[34:35], -1
	s_mov_b64 s[30:31], 0
	s_mov_b64 s[2:3], s[22:23]
	s_branch .LBB158_654
.LBB158_647:
	s_mov_b64 s[34:35], -1
	s_mov_b64 s[30:31], 0
	s_mov_b64 s[2:3], s[22:23]
.LBB158_648:
	s_and_b64 vcc, exec, s[34:35]
	s_cbranch_vccz .LBB158_653
; %bb.649:
	s_cmp_eq_u32 s39, 44
	s_mov_b64 s[2:3], -1
	s_cbranch_scc0 .LBB158_653
; %bb.650:
	v_cvt_f32_i32_sdwa v2, sext(v4) dst_sel:DWORD dst_unused:UNUSED_PAD src0_sel:WORD_0
	s_movk_i32 s2, 0xff
	v_mov_b32_e32 v5, 0xff
	v_bfe_u32 v3, v2, 23, 8
	v_cmp_ne_u32_e32 vcc, s2, v3
	s_and_saveexec_b64 s[30:31], vcc
; %bb.651:
	s_mov_b32 s2, 0x3fffff
	v_lshrrev_b32_e32 v5, 23, v2
	v_and_b32_e32 v6, 0x400000, v2
	v_and_or_b32 v2, v2, s2, v3
	v_cmp_ne_u32_e32 vcc, 0, v6
	v_cmp_ne_u32_e64 s[2:3], 0, v2
	s_and_b64 s[2:3], vcc, s[2:3]
	v_cndmask_b32_e64 v2, 0, 1, s[2:3]
	v_add_u32_e32 v5, v5, v2
; %bb.652:
	s_or_b64 exec, exec, s[30:31]
	s_mov_b64 s[30:31], -1
	s_mov_b64 s[2:3], 0
	global_store_byte v[0:1], v5, off
.LBB158_653:
	s_mov_b64 s[34:35], 0
.LBB158_654:
	s_and_b64 vcc, exec, s[34:35]
	s_cbranch_vccz .LBB158_657
; %bb.655:
	s_cmp_eq_u32 s39, 29
	s_mov_b64 s[2:3], -1
	s_cbranch_scc0 .LBB158_657
; %bb.656:
	v_bfe_i32 v2, v4, 0, 16
	v_ashrrev_i32_e32 v3, 31, v2
	global_store_dwordx2 v[0:1], v[2:3], off
	s_mov_b64 s[30:31], -1
	s_mov_b64 s[2:3], 0
.LBB158_657:
	s_mov_b64 s[34:35], 0
.LBB158_658:
	s_and_b64 vcc, exec, s[34:35]
	s_cbranch_vccz .LBB158_674
; %bb.659:
	s_cmp_lt_i32 s39, 27
	s_mov_b64 s[30:31], -1
	s_cbranch_scc1 .LBB158_665
; %bb.660:
	s_cmp_gt_i32 s39, 27
	s_cbranch_scc0 .LBB158_662
; %bb.661:
	v_bfe_i32 v2, v4, 0, 16
	s_mov_b64 s[30:31], 0
	global_store_dword v[0:1], v2, off
.LBB158_662:
	s_andn2_b64 vcc, exec, s[30:31]
	s_cbranch_vccnz .LBB158_664
; %bb.663:
	global_store_short v[0:1], v4, off
.LBB158_664:
	s_mov_b64 s[30:31], 0
.LBB158_665:
	s_andn2_b64 vcc, exec, s[30:31]
	s_cbranch_vccnz .LBB158_673
; %bb.666:
	v_cvt_f32_i32_sdwa v2, sext(v4) dst_sel:DWORD dst_unused:UNUSED_PAD src0_sel:WORD_0
	s_mov_b32 s30, 0x43800000
	v_mov_b32_e32 v5, 0x80
	v_and_b32_e32 v3, 0x7fffffff, v2
	v_cmp_gt_u32_e32 vcc, s30, v3
	s_and_saveexec_b64 s[30:31], vcc
	s_cbranch_execz .LBB158_672
; %bb.667:
	s_mov_b32 s34, 0x3bffffff
	v_cmp_lt_u32_e32 vcc, s34, v3
	s_mov_b64 s[34:35], 0
                                        ; implicit-def: $vgpr3
	s_and_saveexec_b64 s[36:37], vcc
	s_xor_b64 s[36:37], exec, s[36:37]
	s_cbranch_execz .LBB158_773
; %bb.668:
	v_bfe_u32 v3, v2, 20, 1
	s_mov_b32 s41, 0x487ffff
	v_add3_u32 v3, v2, v3, s41
	s_mov_b64 s[34:35], exec
	v_lshrrev_b32_e32 v3, 20, v3
	s_andn2_saveexec_b64 s[36:37], s[36:37]
	s_cbranch_execnz .LBB158_774
.LBB158_669:
	s_or_b64 exec, exec, s[36:37]
	v_mov_b32_e32 v5, 0
	s_and_saveexec_b64 s[36:37], s[34:35]
.LBB158_670:
	v_lshrrev_b32_e32 v2, 24, v2
	s_movk_i32 s34, 0x80
	v_and_or_b32 v5, v2, s34, v3
.LBB158_671:
	s_or_b64 exec, exec, s[36:37]
.LBB158_672:
	s_or_b64 exec, exec, s[30:31]
	global_store_byte v[0:1], v5, off
.LBB158_673:
	s_mov_b64 s[30:31], -1
.LBB158_674:
	s_mov_b64 s[34:35], 0
.LBB158_675:
	s_and_b64 vcc, exec, s[34:35]
	s_cbranch_vccz .LBB158_716
; %bb.676:
	s_cmp_gt_i32 s39, 22
	s_mov_b64 s[34:35], -1
	s_cbranch_scc0 .LBB158_708
; %bb.677:
	s_cmp_lt_i32 s39, 24
	s_mov_b64 s[30:31], -1
	s_cbranch_scc1 .LBB158_697
; %bb.678:
	s_cmp_gt_i32 s39, 24
	s_cbranch_scc0 .LBB158_686
; %bb.679:
	v_cvt_f32_i32_sdwa v2, sext(v4) dst_sel:DWORD dst_unused:UNUSED_PAD src0_sel:WORD_0
	s_mov_b32 s30, 0x47800000
	v_mov_b32_e32 v5, 0x80
	v_and_b32_e32 v3, 0x7fffffff, v2
	v_cmp_gt_u32_e32 vcc, s30, v3
	s_and_saveexec_b64 s[30:31], vcc
	s_cbranch_execz .LBB158_685
; %bb.680:
	s_mov_b32 s34, 0x37ffffff
	v_cmp_lt_u32_e32 vcc, s34, v3
	s_mov_b64 s[34:35], 0
                                        ; implicit-def: $vgpr3
	s_and_saveexec_b64 s[36:37], vcc
	s_xor_b64 s[36:37], exec, s[36:37]
	s_cbranch_execz .LBB158_776
; %bb.681:
	v_bfe_u32 v3, v2, 21, 1
	s_mov_b32 s41, 0x88fffff
	v_add3_u32 v3, v2, v3, s41
	s_mov_b64 s[34:35], exec
	v_lshrrev_b32_e32 v3, 21, v3
	s_andn2_saveexec_b64 s[36:37], s[36:37]
	s_cbranch_execnz .LBB158_777
.LBB158_682:
	s_or_b64 exec, exec, s[36:37]
	v_mov_b32_e32 v5, 0
	s_and_saveexec_b64 s[36:37], s[34:35]
.LBB158_683:
	v_lshrrev_b32_e32 v2, 24, v2
	s_movk_i32 s34, 0x80
	v_and_or_b32 v5, v2, s34, v3
.LBB158_684:
	s_or_b64 exec, exec, s[36:37]
.LBB158_685:
	s_or_b64 exec, exec, s[30:31]
	s_mov_b64 s[30:31], 0
	global_store_byte v[0:1], v5, off
.LBB158_686:
	s_and_b64 vcc, exec, s[30:31]
	s_cbranch_vccz .LBB158_696
; %bb.687:
	v_cvt_f32_i32_sdwa v2, sext(v4) dst_sel:DWORD dst_unused:UNUSED_PAD src0_sel:WORD_0
	s_mov_b32 s30, 0x43f00000
                                        ; implicit-def: $vgpr3
	v_and_b32_e32 v5, 0x7fffffff, v2
	v_cmp_gt_u32_e32 vcc, s30, v5
	s_and_saveexec_b64 s[30:31], vcc
	s_xor_b64 s[30:31], exec, s[30:31]
	s_cbranch_execz .LBB158_693
; %bb.688:
	s_mov_b32 s34, 0x3c7fffff
	v_cmp_lt_u32_e32 vcc, s34, v5
                                        ; implicit-def: $vgpr3
	s_and_saveexec_b64 s[34:35], vcc
	s_xor_b64 s[34:35], exec, s[34:35]
; %bb.689:
	v_bfe_u32 v3, v2, 20, 1
	s_mov_b32 s36, 0x407ffff
	v_add3_u32 v3, v2, v3, s36
	v_lshrrev_b32_e32 v5, 20, v3
	v_and_b32_e32 v3, 0xff00000, v3
	s_mov_b32 s36, 0x7f00000
	v_mov_b32_e32 v6, 0x7e
	v_cmp_ne_u32_e32 vcc, s36, v3
	v_cndmask_b32_e32 v3, v6, v5, vcc
; %bb.690:
	s_andn2_saveexec_b64 s[34:35], s[34:35]
; %bb.691:
	s_mov_b32 s36, 0x46800000
	v_add_f32_e64 v3, |v2|, s36
; %bb.692:
	s_or_b64 exec, exec, s[34:35]
                                        ; implicit-def: $vgpr5
.LBB158_693:
	s_andn2_saveexec_b64 s[30:31], s[30:31]
; %bb.694:
	s_mov_b32 s34, 0x7f800000
	v_mov_b32_e32 v3, 0x7e
	v_mov_b32_e32 v6, 0x7f
	v_cmp_lt_u32_e32 vcc, s34, v5
	v_cndmask_b32_e32 v3, v3, v6, vcc
; %bb.695:
	s_or_b64 exec, exec, s[30:31]
	v_lshrrev_b32_e32 v2, 24, v2
	s_movk_i32 s30, 0x80
	v_and_or_b32 v2, v2, s30, v3
	global_store_byte v[0:1], v2, off
.LBB158_696:
	s_mov_b64 s[30:31], 0
.LBB158_697:
	s_andn2_b64 vcc, exec, s[30:31]
	s_cbranch_vccnz .LBB158_707
; %bb.698:
	v_cvt_f32_i32_sdwa v2, sext(v4) dst_sel:DWORD dst_unused:UNUSED_PAD src0_sel:WORD_0
	s_mov_b32 s30, 0x47800000
                                        ; implicit-def: $vgpr3
	v_and_b32_e32 v5, 0x7fffffff, v2
	v_cmp_gt_u32_e32 vcc, s30, v5
	s_and_saveexec_b64 s[30:31], vcc
	s_xor_b64 s[30:31], exec, s[30:31]
	s_cbranch_execz .LBB158_704
; %bb.699:
	s_mov_b32 s34, 0x387fffff
	v_cmp_lt_u32_e32 vcc, s34, v5
                                        ; implicit-def: $vgpr3
	s_and_saveexec_b64 s[34:35], vcc
	s_xor_b64 s[34:35], exec, s[34:35]
; %bb.700:
	v_bfe_u32 v3, v2, 21, 1
	s_mov_b32 s36, 0x80fffff
	v_add3_u32 v3, v2, v3, s36
	v_lshrrev_b32_e32 v3, 21, v3
; %bb.701:
	s_andn2_saveexec_b64 s[34:35], s[34:35]
; %bb.702:
	s_mov_b32 s36, 0x43000000
	v_add_f32_e64 v3, |v2|, s36
; %bb.703:
	s_or_b64 exec, exec, s[34:35]
                                        ; implicit-def: $vgpr5
.LBB158_704:
	s_andn2_saveexec_b64 s[30:31], s[30:31]
; %bb.705:
	s_mov_b32 s34, 0x7f800000
	v_mov_b32_e32 v3, 0x7c
	v_mov_b32_e32 v6, 0x7f
	v_cmp_lt_u32_e32 vcc, s34, v5
	v_cndmask_b32_e32 v3, v3, v6, vcc
; %bb.706:
	s_or_b64 exec, exec, s[30:31]
	v_lshrrev_b32_e32 v2, 24, v2
	s_movk_i32 s30, 0x80
	v_and_or_b32 v2, v2, s30, v3
	global_store_byte v[0:1], v2, off
.LBB158_707:
	s_mov_b64 s[34:35], 0
	s_mov_b64 s[30:31], -1
.LBB158_708:
	s_andn2_b64 vcc, exec, s[34:35]
	s_cbranch_vccnz .LBB158_716
; %bb.709:
	s_cmp_gt_i32 s39, 14
	s_mov_b64 s[34:35], -1
	s_cbranch_scc0 .LBB158_713
; %bb.710:
	s_cmp_eq_u32 s39, 15
	s_mov_b64 s[2:3], -1
	s_cbranch_scc0 .LBB158_712
; %bb.711:
	v_cvt_f32_i32_sdwa v2, sext(v4) dst_sel:DWORD dst_unused:UNUSED_PAD src0_sel:WORD_0
	s_movk_i32 s2, 0x7fff
	s_mov_b64 s[30:31], -1
	v_bfe_u32 v3, v2, 16, 1
	v_add3_u32 v2, v2, v3, s2
	global_store_short_d16_hi v[0:1], v2, off
	s_mov_b64 s[2:3], 0
.LBB158_712:
	s_mov_b64 s[34:35], 0
.LBB158_713:
	s_and_b64 vcc, exec, s[34:35]
	s_cbranch_vccz .LBB158_716
; %bb.714:
	s_cmp_eq_u32 s39, 11
	s_mov_b64 s[2:3], -1
	s_cbranch_scc0 .LBB158_716
; %bb.715:
	v_cmp_ne_u16_e32 vcc, 0, v4
	v_cndmask_b32_e64 v2, 0, 1, vcc
	s_mov_b64 s[30:31], -1
	s_mov_b64 s[2:3], 0
	global_store_byte v[0:1], v2, off
.LBB158_716:
	s_mov_b64 s[34:35], 0
.LBB158_717:
	s_and_b64 vcc, exec, s[34:35]
	s_cbranch_vccz .LBB158_756
; %bb.718:
	s_and_b32 s34, 0xffff, s38
	s_cmp_lt_i32 s34, 5
	s_mov_b64 s[30:31], -1
	s_cbranch_scc1 .LBB158_739
; %bb.719:
	s_cmp_lt_i32 s34, 8
	s_cbranch_scc1 .LBB158_729
; %bb.720:
	s_cmp_lt_i32 s34, 9
	s_cbranch_scc1 .LBB158_726
; %bb.721:
	s_cmp_gt_i32 s34, 9
	s_cbranch_scc0 .LBB158_723
; %bb.722:
	v_bfe_i32 v2, v4, 0, 16
	v_cvt_f64_i32_e32 v[5:6], v2
	v_mov_b32_e32 v7, 0
	v_mov_b32_e32 v8, v7
	s_mov_b64 s[30:31], 0
	global_store_dwordx4 v[0:1], v[5:8], off
.LBB158_723:
	s_andn2_b64 vcc, exec, s[30:31]
	s_cbranch_vccnz .LBB158_725
; %bb.724:
	v_cvt_f32_i32_sdwa v2, sext(v4) dst_sel:DWORD dst_unused:UNUSED_PAD src0_sel:WORD_0
	v_mov_b32_e32 v3, 0
	global_store_dwordx2 v[0:1], v[2:3], off
.LBB158_725:
	s_mov_b64 s[30:31], 0
.LBB158_726:
	s_andn2_b64 vcc, exec, s[30:31]
	s_cbranch_vccnz .LBB158_728
; %bb.727:
	v_cvt_f16_i16_e32 v2, v4
	global_store_dword v[0:1], v2, off
.LBB158_728:
	s_mov_b64 s[30:31], 0
.LBB158_729:
	s_andn2_b64 vcc, exec, s[30:31]
	s_cbranch_vccnz .LBB158_738
; %bb.730:
	s_cmp_lt_i32 s34, 6
	s_mov_b64 s[30:31], -1
	s_cbranch_scc1 .LBB158_736
; %bb.731:
	s_cmp_gt_i32 s34, 6
	s_cbranch_scc0 .LBB158_733
; %bb.732:
	v_bfe_i32 v2, v4, 0, 16
	v_cvt_f64_i32_e32 v[2:3], v2
	s_mov_b64 s[30:31], 0
	global_store_dwordx2 v[0:1], v[2:3], off
.LBB158_733:
	s_andn2_b64 vcc, exec, s[30:31]
	s_cbranch_vccnz .LBB158_735
; %bb.734:
	v_cvt_f32_i32_sdwa v2, sext(v4) dst_sel:DWORD dst_unused:UNUSED_PAD src0_sel:WORD_0
	global_store_dword v[0:1], v2, off
.LBB158_735:
	s_mov_b64 s[30:31], 0
.LBB158_736:
	s_andn2_b64 vcc, exec, s[30:31]
	s_cbranch_vccnz .LBB158_738
; %bb.737:
	v_cvt_f16_i16_e32 v2, v4
	global_store_short v[0:1], v2, off
.LBB158_738:
	s_mov_b64 s[30:31], 0
.LBB158_739:
	s_andn2_b64 vcc, exec, s[30:31]
	s_cbranch_vccnz .LBB158_755
; %bb.740:
	s_cmp_lt_i32 s34, 2
	s_mov_b64 s[30:31], -1
	s_cbranch_scc1 .LBB158_750
; %bb.741:
	s_cmp_lt_i32 s34, 3
	s_cbranch_scc1 .LBB158_747
; %bb.742:
	s_cmp_gt_i32 s34, 3
	v_bfe_i32 v2, v4, 0, 16
	s_cbranch_scc0 .LBB158_744
; %bb.743:
	v_ashrrev_i32_e32 v3, 31, v2
	s_mov_b64 s[30:31], 0
	global_store_dwordx2 v[0:1], v[2:3], off
.LBB158_744:
	s_andn2_b64 vcc, exec, s[30:31]
	s_cbranch_vccnz .LBB158_746
; %bb.745:
	global_store_dword v[0:1], v2, off
.LBB158_746:
	s_mov_b64 s[30:31], 0
.LBB158_747:
	s_andn2_b64 vcc, exec, s[30:31]
	s_cbranch_vccnz .LBB158_749
; %bb.748:
	global_store_short v[0:1], v4, off
.LBB158_749:
	s_mov_b64 s[30:31], 0
.LBB158_750:
	s_andn2_b64 vcc, exec, s[30:31]
	s_cbranch_vccnz .LBB158_755
; %bb.751:
	s_cmp_gt_i32 s34, 0
	s_mov_b64 s[30:31], -1
	s_cbranch_scc0 .LBB158_753
; %bb.752:
	s_mov_b64 s[30:31], 0
	global_store_byte v[0:1], v4, off
.LBB158_753:
	s_andn2_b64 vcc, exec, s[30:31]
	s_cbranch_vccnz .LBB158_755
; %bb.754:
	global_store_byte v[0:1], v4, off
.LBB158_755:
	s_mov_b64 s[30:31], -1
.LBB158_756:
	s_andn2_b64 vcc, exec, s[30:31]
	s_cbranch_vccnz .LBB158_758
; %bb.757:
	v_add_u32_e32 v9, 0x80, v9
	s_mov_b64 s[34:35], -1
	s_branch .LBB158_759
.LBB158_758:
	s_mov_b64 s[34:35], 0
                                        ; implicit-def: $vgpr9
.LBB158_759:
	s_andn2_b64 s[30:31], s[22:23], exec
	s_and_b64 s[2:3], s[2:3], exec
	s_or_b64 s[30:31], s[30:31], s[2:3]
	s_andn2_b64 s[2:3], s[20:21], exec
	s_and_b64 s[28:29], s[28:29], exec
	s_or_b64 s[2:3], s[2:3], s[28:29]
	s_orn2_b64 s[36:37], s[34:35], exec
.LBB158_760:
	s_or_b64 exec, exec, s[26:27]
	s_mov_b64 s[28:29], 0
	s_mov_b64 s[34:35], 0
	;; [unrolled: 1-line block ×3, first 2 shown]
                                        ; implicit-def: $sgpr47
                                        ; implicit-def: $vgpr0_vgpr1
                                        ; implicit-def: $vgpr2
	s_and_saveexec_b64 s[26:27], s[36:37]
	s_cbranch_execz .LBB158_841
; %bb.761:
	v_cmp_gt_i32_e32 vcc, s40, v9
	s_mov_b64 s[36:37], 0
	s_mov_b64 s[40:41], s[2:3]
	;; [unrolled: 1-line block ×3, first 2 shown]
                                        ; implicit-def: $sgpr47
                                        ; implicit-def: $vgpr0_vgpr1
                                        ; implicit-def: $vgpr2
	s_and_saveexec_b64 s[28:29], vcc
	s_cbranch_execz .LBB158_840
; %bb.762:
	v_mul_lo_u32 v0, v9, s13
	v_mov_b32_e32 v1, s11
	s_and_b32 s47, s45, 0xff
	s_cmp_lt_i32 s47, 11
	s_waitcnt vmcnt(0)
	v_ashrrev_i32_e32 v2, 31, v0
	v_add_co_u32_e32 v0, vcc, s10, v0
	v_addc_co_u32_e32 v1, vcc, v1, v2, vcc
	s_cbranch_scc1 .LBB158_769
; %bb.763:
	s_and_b32 s42, 0xffff, s47
	s_cmp_gt_i32 s42, 25
	s_cbranch_scc0 .LBB158_770
; %bb.764:
	s_cmp_gt_i32 s42, 28
	s_cbranch_scc0 .LBB158_771
; %bb.765:
	;; [unrolled: 3-line block ×4, first 2 shown]
	s_cmp_eq_u32 s42, 46
	s_mov_b64 s[40:41], 0
	s_cbranch_scc0 .LBB158_778
; %bb.768:
	global_load_dword v2, v[0:1], off
	s_mov_b64 s[38:39], -1
	s_waitcnt vmcnt(0)
	v_lshlrev_b32_e32 v2, 16, v2
	v_cvt_i32_f32_e32 v2, v2
	s_branch .LBB158_780
.LBB158_769:
	s_mov_b64 s[40:41], -1
                                        ; implicit-def: $vgpr2
	s_mov_b64 s[34:35], s[2:3]
	s_branch .LBB158_839
.LBB158_770:
	s_mov_b64 s[40:41], -1
	s_mov_b64 s[34:35], s[2:3]
                                        ; implicit-def: $vgpr2
	s_branch .LBB158_807
.LBB158_771:
	s_mov_b64 s[40:41], -1
	s_mov_b64 s[34:35], s[2:3]
                                        ; implicit-def: $vgpr2
	s_branch .LBB158_790
.LBB158_772:
	s_mov_b64 s[40:41], -1
	s_mov_b64 s[34:35], s[2:3]
                                        ; implicit-def: $vgpr2
	s_branch .LBB158_785
.LBB158_773:
	s_andn2_saveexec_b64 s[36:37], s[36:37]
	s_cbranch_execz .LBB158_669
.LBB158_774:
	s_mov_b32 s41, 0x46000000
	v_add_f32_e64 v3, |v2|, s41
	v_and_b32_e32 v3, 0xff, v3
	v_cmp_ne_u32_e32 vcc, 0, v3
	s_andn2_b64 s[34:35], s[34:35], exec
	s_and_b64 s[42:43], vcc, exec
	s_or_b64 s[34:35], s[34:35], s[42:43]
	s_or_b64 exec, exec, s[36:37]
	v_mov_b32_e32 v5, 0
	s_and_saveexec_b64 s[36:37], s[34:35]
	s_cbranch_execnz .LBB158_670
	s_branch .LBB158_671
.LBB158_775:
	s_mov_b64 s[40:41], -1
	s_mov_b64 s[34:35], s[2:3]
	s_branch .LBB158_779
.LBB158_776:
	s_andn2_saveexec_b64 s[36:37], s[36:37]
	s_cbranch_execz .LBB158_682
.LBB158_777:
	s_mov_b32 s41, 0x42800000
	v_add_f32_e64 v3, |v2|, s41
	v_and_b32_e32 v3, 0xff, v3
	v_cmp_ne_u32_e32 vcc, 0, v3
	s_andn2_b64 s[34:35], s[34:35], exec
	s_and_b64 s[42:43], vcc, exec
	s_or_b64 s[34:35], s[34:35], s[42:43]
	s_or_b64 exec, exec, s[36:37]
	v_mov_b32_e32 v5, 0
	s_and_saveexec_b64 s[36:37], s[34:35]
	s_cbranch_execnz .LBB158_683
	s_branch .LBB158_684
.LBB158_778:
	s_mov_b64 s[34:35], -1
.LBB158_779:
                                        ; implicit-def: $vgpr2
.LBB158_780:
	s_and_b64 vcc, exec, s[40:41]
	s_cbranch_vccz .LBB158_784
; %bb.781:
	s_cmp_eq_u32 s42, 44
	s_cbranch_scc0 .LBB158_783
; %bb.782:
	global_load_ubyte v2, v[0:1], off
	s_mov_b64 s[34:35], 0
	s_mov_b64 s[38:39], -1
	s_waitcnt vmcnt(0)
	v_lshlrev_b32_e32 v3, 23, v2
	v_cvt_i32_f32_e32 v3, v3
	v_cmp_ne_u32_e32 vcc, 0, v2
	v_cndmask_b32_e32 v2, 0, v3, vcc
	s_branch .LBB158_784
.LBB158_783:
	s_mov_b64 s[34:35], -1
                                        ; implicit-def: $vgpr2
.LBB158_784:
	s_mov_b64 s[40:41], 0
.LBB158_785:
	s_and_b64 vcc, exec, s[40:41]
	s_cbranch_vccz .LBB158_789
; %bb.786:
	s_cmp_eq_u32 s42, 29
	s_cbranch_scc0 .LBB158_788
; %bb.787:
	global_load_dwordx2 v[2:3], v[0:1], off
	s_mov_b64 s[34:35], 0
	s_mov_b64 s[38:39], -1
	s_branch .LBB158_789
.LBB158_788:
	s_mov_b64 s[34:35], -1
                                        ; implicit-def: $vgpr2
.LBB158_789:
	s_mov_b64 s[40:41], 0
.LBB158_790:
	s_and_b64 vcc, exec, s[40:41]
	s_cbranch_vccz .LBB158_806
; %bb.791:
	s_cmp_lt_i32 s42, 27
	s_cbranch_scc1 .LBB158_794
; %bb.792:
	s_cmp_gt_i32 s42, 27
	s_cbranch_scc0 .LBB158_795
; %bb.793:
	global_load_dword v2, v[0:1], off
	s_mov_b64 s[38:39], 0
	s_branch .LBB158_796
.LBB158_794:
	s_mov_b64 s[38:39], -1
                                        ; implicit-def: $vgpr2
	s_branch .LBB158_799
.LBB158_795:
	s_mov_b64 s[38:39], -1
                                        ; implicit-def: $vgpr2
.LBB158_796:
	s_andn2_b64 vcc, exec, s[38:39]
	s_cbranch_vccnz .LBB158_798
; %bb.797:
	global_load_ushort v2, v[0:1], off
.LBB158_798:
	s_mov_b64 s[38:39], 0
.LBB158_799:
	s_andn2_b64 vcc, exec, s[38:39]
	s_cbranch_vccnz .LBB158_805
; %bb.800:
	global_load_ubyte v3, v[0:1], off
	s_movk_i32 s38, 0x7f
	s_mov_b64 s[40:41], 0
	s_waitcnt vmcnt(0)
	v_cmp_lt_i16_e32 vcc, s38, v3
	s_and_saveexec_b64 s[38:39], vcc
	s_xor_b64 s[38:39], exec, s[38:39]
	s_cbranch_execz .LBB158_817
; %bb.801:
	s_movk_i32 s40, 0x80
	v_cmp_ne_u16_e32 vcc, s40, v3
	s_and_b64 s[40:41], vcc, exec
	s_andn2_saveexec_b64 s[38:39], s[38:39]
	s_cbranch_execnz .LBB158_818
.LBB158_802:
	s_or_b64 exec, exec, s[38:39]
	v_mov_b32_e32 v2, 0
	s_and_saveexec_b64 s[38:39], s[40:41]
	s_cbranch_execz .LBB158_804
.LBB158_803:
	v_lshlrev_b32_e32 v2, 24, v3
	v_and_b32_e32 v3, 0xffff, v3
	v_and_b32_e32 v4, 7, v3
	v_ffbh_u32_e32 v6, v4
	v_min_u32_e32 v6, 32, v6
	v_subrev_u32_e32 v7, 28, v6
	v_bfe_u32 v5, v3, 3, 4
	v_lshlrev_b32_e32 v3, v7, v3
	v_sub_u32_e32 v6, 29, v6
	v_and_b32_e32 v3, 7, v3
	v_cmp_eq_u32_e32 vcc, 0, v5
	v_cndmask_b32_e32 v5, v5, v6, vcc
	v_cndmask_b32_e32 v3, v4, v3, vcc
	v_mov_b32_e32 v4, 0x3b800000
	v_lshlrev_b32_e32 v3, 20, v3
	v_and_b32_e32 v2, 0x80000000, v2
	v_lshl_add_u32 v4, v5, 23, v4
	v_or3_b32 v2, v2, v4, v3
	v_cvt_i32_f32_e32 v2, v2
.LBB158_804:
	s_or_b64 exec, exec, s[38:39]
.LBB158_805:
	s_mov_b64 s[38:39], -1
.LBB158_806:
	s_mov_b64 s[40:41], 0
.LBB158_807:
	s_and_b64 vcc, exec, s[40:41]
	s_cbranch_vccz .LBB158_838
; %bb.808:
	s_cmp_gt_i32 s42, 22
	s_cbranch_scc0 .LBB158_816
; %bb.809:
	s_cmp_lt_i32 s42, 24
	s_cbranch_scc1 .LBB158_819
; %bb.810:
	s_cmp_gt_i32 s42, 24
	s_cbranch_scc0 .LBB158_820
; %bb.811:
	global_load_ubyte v3, v[0:1], off
	s_movk_i32 s36, 0x7f
	s_mov_b64 s[38:39], 0
	s_waitcnt vmcnt(0)
	v_cmp_lt_i16_e32 vcc, s36, v3
	s_and_saveexec_b64 s[36:37], vcc
	s_xor_b64 s[36:37], exec, s[36:37]
	s_cbranch_execz .LBB158_832
; %bb.812:
	s_movk_i32 s38, 0x80
	v_cmp_ne_u16_e32 vcc, s38, v3
	s_and_b64 s[38:39], vcc, exec
	s_andn2_saveexec_b64 s[36:37], s[36:37]
	s_cbranch_execnz .LBB158_833
.LBB158_813:
	s_or_b64 exec, exec, s[36:37]
	v_mov_b32_e32 v2, 0
	s_and_saveexec_b64 s[36:37], s[38:39]
	s_cbranch_execz .LBB158_815
.LBB158_814:
	v_lshlrev_b32_e32 v2, 24, v3
	v_and_b32_e32 v3, 0xffff, v3
	v_and_b32_e32 v4, 3, v3
	v_ffbh_u32_e32 v6, v4
	v_min_u32_e32 v6, 32, v6
	v_subrev_u32_e32 v7, 29, v6
	v_bfe_u32 v5, v3, 2, 5
	v_lshlrev_b32_e32 v3, v7, v3
	v_sub_u32_e32 v6, 30, v6
	v_and_b32_e32 v3, 3, v3
	v_cmp_eq_u32_e32 vcc, 0, v5
	v_cndmask_b32_e32 v5, v5, v6, vcc
	v_cndmask_b32_e32 v3, v4, v3, vcc
	v_mov_b32_e32 v4, 0x37800000
	v_lshlrev_b32_e32 v3, 21, v3
	v_and_b32_e32 v2, 0x80000000, v2
	v_lshl_add_u32 v4, v5, 23, v4
	v_or3_b32 v2, v2, v4, v3
	v_cvt_i32_f32_e32 v2, v2
.LBB158_815:
	s_or_b64 exec, exec, s[36:37]
	s_mov_b64 s[36:37], 0
	s_branch .LBB158_821
.LBB158_816:
	s_mov_b64 s[36:37], -1
                                        ; implicit-def: $vgpr2
	s_branch .LBB158_827
.LBB158_817:
	s_andn2_saveexec_b64 s[38:39], s[38:39]
	s_cbranch_execz .LBB158_802
.LBB158_818:
	v_cmp_ne_u16_e32 vcc, 0, v3
	s_andn2_b64 s[40:41], s[40:41], exec
	s_and_b64 s[48:49], vcc, exec
	s_or_b64 s[40:41], s[40:41], s[48:49]
	s_or_b64 exec, exec, s[38:39]
	v_mov_b32_e32 v2, 0
	s_and_saveexec_b64 s[38:39], s[40:41]
	s_cbranch_execnz .LBB158_803
	s_branch .LBB158_804
.LBB158_819:
	s_mov_b64 s[36:37], -1
                                        ; implicit-def: $vgpr2
	s_branch .LBB158_824
.LBB158_820:
	s_mov_b64 s[36:37], -1
                                        ; implicit-def: $vgpr2
.LBB158_821:
	s_and_b64 vcc, exec, s[36:37]
	s_cbranch_vccz .LBB158_823
; %bb.822:
	global_load_ubyte v2, v[0:1], off
	s_mov_b32 s36, 0x7f800000
	s_waitcnt vmcnt(0)
	v_lshlrev_b32_e32 v2, 24, v2
	v_and_b32_e32 v3, 0x7f000000, v2
	v_ffbh_u32_e32 v4, v3
	v_min_u32_e32 v4, 32, v4
	v_sub_u32_e64 v4, v4, 4 clamp
	v_lshlrev_b32_e32 v6, v4, v3
	v_lshlrev_b32_e32 v4, 23, v4
	v_lshrrev_b32_e32 v6, 4, v6
	v_add_u32_e32 v5, 0x1000000, v3
	v_sub_u32_e32 v4, v6, v4
	v_ashrrev_i32_e32 v5, 8, v5
	v_add_u32_e32 v4, 0x3c000000, v4
	v_and_or_b32 v4, v5, s36, v4
	v_cmp_ne_u32_e32 vcc, 0, v3
	v_cndmask_b32_e32 v3, 0, v4, vcc
	s_brev_b32 s36, 1
	v_and_or_b32 v2, v2, s36, v3
	v_cvt_i32_f32_e32 v2, v2
.LBB158_823:
	s_mov_b64 s[36:37], 0
.LBB158_824:
	s_andn2_b64 vcc, exec, s[36:37]
	s_cbranch_vccnz .LBB158_826
; %bb.825:
	global_load_ubyte v2, v[0:1], off
	s_movk_i32 s36, 0x7f00
	s_brev_b32 s37, 16
	s_waitcnt vmcnt(0)
	v_lshlrev_b16_e32 v3, 8, v2
	v_lshlrev_b32_e32 v2, 25, v2
	v_lshrrev_b32_e32 v4, 4, v2
	v_and_or_b32 v5, v3, s36, 0.5
	v_or_b32_e32 v4, 0x70000000, v4
	v_add_f32_e32 v5, -0.5, v5
	v_mul_f32_e32 v4, 0x7800000, v4
	v_cmp_gt_u32_e32 vcc, s37, v2
	v_bfe_i32 v3, v3, 0, 16
	v_cndmask_b32_e32 v2, v4, v5, vcc
	s_brev_b32 s36, 1
	v_and_or_b32 v2, v3, s36, v2
	v_cvt_i32_f32_e32 v2, v2
.LBB158_826:
	s_mov_b64 s[36:37], 0
	s_mov_b64 s[38:39], -1
.LBB158_827:
	s_andn2_b64 vcc, exec, s[36:37]
	s_mov_b64 s[36:37], 0
	s_cbranch_vccnz .LBB158_838
; %bb.828:
	s_cmp_gt_i32 s42, 14
	s_cbranch_scc0 .LBB158_831
; %bb.829:
	s_cmp_eq_u32 s42, 15
	s_cbranch_scc0 .LBB158_834
; %bb.830:
	global_load_ushort v2, v[0:1], off
	s_mov_b64 s[34:35], 0
	s_mov_b64 s[38:39], -1
	s_waitcnt vmcnt(0)
	v_lshlrev_b32_e32 v2, 16, v2
	v_cvt_i32_f32_e32 v2, v2
	s_branch .LBB158_835
.LBB158_831:
	s_mov_b64 s[40:41], -1
                                        ; implicit-def: $vgpr2
	s_branch .LBB158_836
.LBB158_832:
	s_andn2_saveexec_b64 s[36:37], s[36:37]
	s_cbranch_execz .LBB158_813
.LBB158_833:
	v_cmp_ne_u16_e32 vcc, 0, v3
	s_andn2_b64 s[38:39], s[38:39], exec
	s_and_b64 s[40:41], vcc, exec
	s_or_b64 s[38:39], s[38:39], s[40:41]
	s_or_b64 exec, exec, s[36:37]
	v_mov_b32_e32 v2, 0
	s_and_saveexec_b64 s[36:37], s[38:39]
	s_cbranch_execnz .LBB158_814
	s_branch .LBB158_815
.LBB158_834:
	s_mov_b64 s[34:35], -1
                                        ; implicit-def: $vgpr2
.LBB158_835:
	s_mov_b64 s[40:41], 0
.LBB158_836:
	s_and_b64 vcc, exec, s[40:41]
	s_cbranch_vccz .LBB158_838
; %bb.837:
	s_cmp_lg_u32 s42, 11
	s_cselect_b64 s[40:41], -1, 0
	s_andn2_b64 s[34:35], s[34:35], exec
	s_and_b64 s[40:41], s[40:41], exec
	s_mov_b64 s[36:37], -1
	s_or_b64 s[34:35], s[34:35], s[40:41]
.LBB158_838:
	s_mov_b64 s[40:41], 0
.LBB158_839:
	s_and_b64 s[42:43], s[40:41], exec
	s_andn2_b64 s[40:41], s[2:3], exec
	s_and_b64 s[34:35], s[34:35], exec
	s_and_b64 s[38:39], s[38:39], exec
	;; [unrolled: 1-line block ×3, first 2 shown]
	s_or_b64 s[40:41], s[40:41], s[34:35]
.LBB158_840:
	s_or_b64 exec, exec, s[28:29]
	s_and_b64 s[28:29], s[36:37], exec
	s_andn2_b64 s[2:3], s[2:3], exec
	s_and_b64 s[36:37], s[40:41], exec
	s_and_b64 s[38:39], s[38:39], exec
	;; [unrolled: 1-line block ×3, first 2 shown]
	s_or_b64 s[2:3], s[2:3], s[36:37]
.LBB158_841:
	s_or_b64 exec, exec, s[26:27]
	s_andn2_b64 s[22:23], s[22:23], exec
	s_and_b64 s[26:27], s[30:31], exec
	s_andn2_b64 s[20:21], s[20:21], exec
	s_and_b64 s[2:3], s[2:3], exec
	s_or_b64 s[22:23], s[22:23], s[26:27]
	s_and_b64 s[30:31], s[38:39], exec
	s_and_b64 s[26:27], s[34:35], exec
	;; [unrolled: 1-line block ×3, first 2 shown]
	s_or_b64 s[20:21], s[20:21], s[2:3]
.LBB158_842:
	s_or_b64 exec, exec, s[24:25]
	s_andn2_b64 s[2:3], s[6:7], exec
	s_and_b64 s[6:7], s[22:23], exec
	s_or_b64 s[6:7], s[2:3], s[6:7]
	s_andn2_b64 s[2:3], s[16:17], exec
	s_and_b64 s[16:17], s[20:21], exec
	s_and_b64 s[24:25], s[30:31], exec
	;; [unrolled: 1-line block ×4, first 2 shown]
	s_or_b64 s[16:17], s[2:3], s[16:17]
	s_or_b64 exec, exec, s[18:19]
	s_mov_b64 s[2:3], 0
	s_and_saveexec_b64 s[18:19], s[16:17]
	s_cbranch_execz .LBB158_258
.LBB158_843:
	s_mov_b64 s[2:3], exec
	s_andn2_b64 s[22:23], s[22:23], exec
	s_trap 2
	s_or_b64 exec, exec, s[18:19]
	s_and_saveexec_b64 s[16:17], s[22:23]
	s_xor_b64 s[16:17], exec, s[16:17]
	s_cbranch_execnz .LBB158_259
.LBB158_844:
	s_or_b64 exec, exec, s[16:17]
	s_and_saveexec_b64 s[16:17], s[26:27]
	s_cbranch_execz .LBB158_890
.LBB158_845:
	s_sext_i32_i16 s18, s47
	s_cmp_lt_i32 s18, 5
	s_cbranch_scc1 .LBB158_850
; %bb.846:
	s_cmp_lt_i32 s18, 8
	s_cbranch_scc1 .LBB158_851
; %bb.847:
	;; [unrolled: 3-line block ×3, first 2 shown]
	s_cmp_gt_i32 s18, 9
	s_cbranch_scc0 .LBB158_853
; %bb.849:
	global_load_dwordx2 v[2:3], v[0:1], off
	s_mov_b64 s[18:19], 0
	s_waitcnt vmcnt(0)
	v_cvt_i32_f64_e32 v2, v[2:3]
	s_branch .LBB158_854
.LBB158_850:
                                        ; implicit-def: $vgpr2
	s_branch .LBB158_871
.LBB158_851:
                                        ; implicit-def: $vgpr2
	s_branch .LBB158_860
.LBB158_852:
	s_mov_b64 s[18:19], -1
                                        ; implicit-def: $vgpr2
	s_branch .LBB158_857
.LBB158_853:
	s_mov_b64 s[18:19], -1
                                        ; implicit-def: $vgpr2
.LBB158_854:
	s_andn2_b64 vcc, exec, s[18:19]
	s_cbranch_vccnz .LBB158_856
; %bb.855:
	global_load_dword v2, v[0:1], off
	s_waitcnt vmcnt(0)
	v_cvt_i32_f32_e32 v2, v2
.LBB158_856:
	s_mov_b64 s[18:19], 0
.LBB158_857:
	s_andn2_b64 vcc, exec, s[18:19]
	s_cbranch_vccnz .LBB158_859
; %bb.858:
	global_load_dword v2, v[0:1], off
	s_waitcnt vmcnt(0)
	v_cvt_i16_f16_e32 v2, v2
.LBB158_859:
	s_cbranch_execnz .LBB158_870
.LBB158_860:
	s_sext_i32_i16 s18, s47
	s_cmp_lt_i32 s18, 6
	s_cbranch_scc1 .LBB158_863
; %bb.861:
	s_cmp_gt_i32 s18, 6
	s_cbranch_scc0 .LBB158_864
; %bb.862:
	global_load_dwordx2 v[2:3], v[0:1], off
	s_mov_b64 s[18:19], 0
	s_waitcnt vmcnt(0)
	v_cvt_i32_f64_e32 v2, v[2:3]
	s_branch .LBB158_865
.LBB158_863:
	s_mov_b64 s[18:19], -1
                                        ; implicit-def: $vgpr2
	s_branch .LBB158_868
.LBB158_864:
	s_mov_b64 s[18:19], -1
                                        ; implicit-def: $vgpr2
.LBB158_865:
	s_andn2_b64 vcc, exec, s[18:19]
	s_cbranch_vccnz .LBB158_867
; %bb.866:
	global_load_dword v2, v[0:1], off
	s_waitcnt vmcnt(0)
	v_cvt_i32_f32_e32 v2, v2
.LBB158_867:
	s_mov_b64 s[18:19], 0
.LBB158_868:
	s_andn2_b64 vcc, exec, s[18:19]
	s_cbranch_vccnz .LBB158_870
; %bb.869:
	global_load_ushort v2, v[0:1], off
	s_waitcnt vmcnt(0)
	v_cvt_i16_f16_e32 v2, v2
.LBB158_870:
	s_cbranch_execnz .LBB158_889
.LBB158_871:
	s_sext_i32_i16 s18, s47
	s_cmp_lt_i32 s18, 2
	s_cbranch_scc1 .LBB158_875
; %bb.872:
	s_cmp_lt_i32 s18, 3
	s_cbranch_scc1 .LBB158_876
; %bb.873:
	s_cmp_gt_i32 s18, 3
	s_cbranch_scc0 .LBB158_877
; %bb.874:
	global_load_dwordx2 v[2:3], v[0:1], off
	s_mov_b64 s[18:19], 0
	s_branch .LBB158_878
.LBB158_875:
                                        ; implicit-def: $vgpr2
	s_branch .LBB158_884
.LBB158_876:
	s_mov_b64 s[18:19], -1
                                        ; implicit-def: $vgpr2
	s_branch .LBB158_881
.LBB158_877:
	s_mov_b64 s[18:19], -1
                                        ; implicit-def: $vgpr2
.LBB158_878:
	s_andn2_b64 vcc, exec, s[18:19]
	s_cbranch_vccnz .LBB158_880
; %bb.879:
	global_load_dword v2, v[0:1], off
.LBB158_880:
	s_mov_b64 s[18:19], 0
.LBB158_881:
	s_andn2_b64 vcc, exec, s[18:19]
	s_cbranch_vccnz .LBB158_883
; %bb.882:
	global_load_ushort v2, v[0:1], off
.LBB158_883:
	s_cbranch_execnz .LBB158_889
.LBB158_884:
	s_sext_i32_i16 s18, s47
	s_cmp_gt_i32 s18, 0
	s_cbranch_scc0 .LBB158_886
; %bb.885:
	global_load_ubyte v2, v[0:1], off
	s_mov_b64 s[18:19], 0
	s_branch .LBB158_887
.LBB158_886:
	s_mov_b64 s[18:19], -1
                                        ; implicit-def: $vgpr2
.LBB158_887:
	s_andn2_b64 vcc, exec, s[18:19]
	s_cbranch_vccnz .LBB158_889
; %bb.888:
	global_load_ubyte v2, v[0:1], off
.LBB158_889:
	s_or_b64 s[24:25], s[24:25], exec
.LBB158_890:
	s_or_b64 exec, exec, s[16:17]
	s_mov_b64 s[20:21], 0
	s_mov_b64 s[18:19], 0
                                        ; implicit-def: $sgpr26
                                        ; implicit-def: $vgpr0_vgpr1
                                        ; implicit-def: $vgpr3
	s_and_saveexec_b64 s[16:17], s[24:25]
	s_cbranch_execz .LBB158_898
; %bb.891:
	v_mul_lo_u32 v1, v9, s12
	v_mov_b32_e32 v0, 7
	s_waitcnt vmcnt(0)
	v_ashrrev_i16_sdwa v0, v0, sext(v2) dst_sel:DWORD dst_unused:UNUSED_PAD src0_sel:DWORD src1_sel:BYTE_0
	v_ashrrev_i32_sdwa v2, s46, sext(v2) dst_sel:DWORD dst_unused:UNUSED_PAD src0_sel:DWORD src1_sel:BYTE_0
	v_cndmask_b32_e64 v3, v2, v0, s[0:1]
	v_ashrrev_i32_e32 v2, 31, v1
	v_mov_b32_e32 v4, s9
	s_and_b32 s26, s33, 0xff
	v_add_co_u32_e32 v0, vcc, s8, v1
	s_cmp_lt_i32 s26, 11
	v_addc_co_u32_e32 v1, vcc, v4, v2, vcc
	s_cbranch_scc1 .LBB158_901
; %bb.892:
	s_and_b32 s27, 0xffff, s26
	s_mov_b64 s[20:21], -1
	s_cmp_gt_i32 s27, 25
	s_mov_b64 s[0:1], s[6:7]
	s_cbranch_scc0 .LBB158_929
; %bb.893:
	s_mov_b64 s[18:19], -1
	s_cmp_gt_i32 s27, 28
	s_mov_b64 s[0:1], s[6:7]
	s_cbranch_scc0 .LBB158_913
; %bb.894:
	s_cmp_gt_i32 s27, 43
	s_mov_b64 s[0:1], s[6:7]
	s_cbranch_scc0 .LBB158_909
; %bb.895:
	;; [unrolled: 4-line block ×3, first 2 shown]
	s_cmp_eq_u32 s27, 46
	s_mov_b64 s[0:1], -1
	s_cbranch_scc0 .LBB158_902
; %bb.897:
	v_cvt_f32_i32_sdwa v2, sext(v3) dst_sel:DWORD dst_unused:UNUSED_PAD src0_sel:WORD_0
	s_movk_i32 s0, 0x7fff
	s_mov_b64 s[18:19], 0
	v_bfe_u32 v4, v2, 16, 1
	v_add3_u32 v2, v2, v4, s0
	v_lshrrev_b32_e32 v2, 16, v2
	global_store_dword v[0:1], v2, off
	s_mov_b64 s[0:1], 0
	s_branch .LBB158_903
.LBB158_898:
	s_or_b64 exec, exec, s[16:17]
	s_and_saveexec_b64 s[0:1], s[6:7]
	s_cbranch_execnz .LBB158_971
.LBB158_899:
	s_or_b64 exec, exec, s[0:1]
	s_and_saveexec_b64 s[0:1], s[20:21]
	s_xor_b64 s[0:1], exec, s[0:1]
	s_cbranch_execz .LBB158_972
.LBB158_900:
	s_waitcnt vmcnt(0)
	v_mov_b32_e32 v2, 0
	v_cmp_ne_u16_sdwa s[6:7], v3, v2 src0_sel:BYTE_0 src1_sel:DWORD
	v_cndmask_b32_e64 v2, 0, 1, s[6:7]
	global_store_byte v[0:1], v2, off
	s_or_b64 exec, exec, s[0:1]
	s_and_saveexec_b64 s[0:1], s[18:19]
	s_xor_b64 s[0:1], exec, s[0:1]
	s_cbranch_execz .LBB158_1010
	s_branch .LBB158_973
.LBB158_901:
	s_mov_b64 s[18:19], -1
	s_mov_b64 s[0:1], s[6:7]
	s_branch .LBB158_970
.LBB158_902:
	s_mov_b64 s[18:19], 0
.LBB158_903:
	s_and_b64 vcc, exec, s[18:19]
	s_cbranch_vccz .LBB158_908
; %bb.904:
	s_cmp_eq_u32 s27, 44
	s_mov_b64 s[0:1], -1
	s_cbranch_scc0 .LBB158_908
; %bb.905:
	v_cvt_f32_i32_sdwa v2, sext(v3) dst_sel:DWORD dst_unused:UNUSED_PAD src0_sel:WORD_0
	s_movk_i32 s0, 0xff
	v_mov_b32_e32 v5, 0xff
	v_bfe_u32 v4, v2, 23, 8
	v_cmp_ne_u32_e32 vcc, s0, v4
	s_and_saveexec_b64 s[18:19], vcc
; %bb.906:
	s_mov_b32 s0, 0x3fffff
	v_lshrrev_b32_e32 v5, 23, v2
	v_and_b32_e32 v6, 0x400000, v2
	v_and_or_b32 v2, v2, s0, v4
	v_cmp_ne_u32_e32 vcc, 0, v6
	v_cmp_ne_u32_e64 s[0:1], 0, v2
	s_and_b64 s[0:1], vcc, s[0:1]
	v_cndmask_b32_e64 v2, 0, 1, s[0:1]
	v_add_u32_e32 v5, v5, v2
; %bb.907:
	s_or_b64 exec, exec, s[18:19]
	s_mov_b64 s[0:1], 0
	global_store_byte v[0:1], v5, off
.LBB158_908:
	s_mov_b64 s[18:19], 0
.LBB158_909:
	s_and_b64 vcc, exec, s[18:19]
	s_cbranch_vccz .LBB158_912
; %bb.910:
	s_cmp_eq_u32 s27, 29
	s_mov_b64 s[0:1], -1
	s_cbranch_scc0 .LBB158_912
; %bb.911:
	v_bfe_i32 v4, v3, 0, 16
	v_ashrrev_i32_e32 v5, 31, v4
	global_store_dwordx2 v[0:1], v[4:5], off
	s_mov_b64 s[0:1], 0
.LBB158_912:
	s_mov_b64 s[18:19], 0
.LBB158_913:
	s_and_b64 vcc, exec, s[18:19]
	s_cbranch_vccz .LBB158_928
; %bb.914:
	s_cmp_lt_i32 s27, 27
	s_mov_b64 s[18:19], -1
	s_cbranch_scc1 .LBB158_920
; %bb.915:
	s_cmp_gt_i32 s27, 27
	s_cbranch_scc0 .LBB158_917
; %bb.916:
	v_bfe_i32 v2, v3, 0, 16
	s_mov_b64 s[18:19], 0
	global_store_dword v[0:1], v2, off
.LBB158_917:
	s_andn2_b64 vcc, exec, s[18:19]
	s_cbranch_vccnz .LBB158_919
; %bb.918:
	global_store_short v[0:1], v3, off
.LBB158_919:
	s_mov_b64 s[18:19], 0
.LBB158_920:
	s_andn2_b64 vcc, exec, s[18:19]
	s_cbranch_vccnz .LBB158_928
; %bb.921:
	v_cvt_f32_i32_sdwa v2, sext(v3) dst_sel:DWORD dst_unused:UNUSED_PAD src0_sel:WORD_0
	s_mov_b32 s18, 0x43800000
	v_mov_b32_e32 v5, 0x80
	v_and_b32_e32 v4, 0x7fffffff, v2
	v_cmp_gt_u32_e32 vcc, s18, v4
	s_and_saveexec_b64 s[18:19], vcc
	s_cbranch_execz .LBB158_927
; %bb.922:
	s_mov_b32 s20, 0x3bffffff
	v_cmp_lt_u32_e32 vcc, s20, v4
	s_mov_b64 s[20:21], 0
                                        ; implicit-def: $vgpr4
	s_and_saveexec_b64 s[22:23], vcc
	s_xor_b64 s[22:23], exec, s[22:23]
	s_cbranch_execz .LBB158_1025
; %bb.923:
	v_bfe_u32 v4, v2, 20, 1
	s_mov_b32 s24, 0x487ffff
	v_add3_u32 v4, v2, v4, s24
	s_mov_b64 s[20:21], exec
	v_lshrrev_b32_e32 v4, 20, v4
	s_andn2_saveexec_b64 s[22:23], s[22:23]
	s_cbranch_execnz .LBB158_1026
.LBB158_924:
	s_or_b64 exec, exec, s[22:23]
	v_mov_b32_e32 v5, 0
	s_and_saveexec_b64 s[22:23], s[20:21]
.LBB158_925:
	v_lshrrev_b32_e32 v2, 24, v2
	s_movk_i32 s20, 0x80
	v_and_or_b32 v5, v2, s20, v4
.LBB158_926:
	s_or_b64 exec, exec, s[22:23]
.LBB158_927:
	s_or_b64 exec, exec, s[18:19]
	global_store_byte v[0:1], v5, off
.LBB158_928:
	s_mov_b64 s[20:21], 0
.LBB158_929:
	s_mov_b64 s[18:19], 0
	s_and_b64 vcc, exec, s[20:21]
	s_cbranch_vccz .LBB158_969
; %bb.930:
	s_cmp_gt_i32 s27, 22
	s_mov_b64 s[20:21], -1
	s_cbranch_scc0 .LBB158_962
; %bb.931:
	s_cmp_lt_i32 s27, 24
	s_cbranch_scc1 .LBB158_951
; %bb.932:
	s_cmp_gt_i32 s27, 24
	s_cbranch_scc0 .LBB158_940
; %bb.933:
	v_cvt_f32_i32_sdwa v2, sext(v3) dst_sel:DWORD dst_unused:UNUSED_PAD src0_sel:WORD_0
	s_mov_b32 s20, 0x47800000
	v_mov_b32_e32 v5, 0x80
	v_and_b32_e32 v4, 0x7fffffff, v2
	v_cmp_gt_u32_e32 vcc, s20, v4
	s_and_saveexec_b64 s[20:21], vcc
	s_cbranch_execz .LBB158_939
; %bb.934:
	s_mov_b32 s22, 0x37ffffff
	v_cmp_lt_u32_e32 vcc, s22, v4
	s_mov_b64 s[22:23], 0
                                        ; implicit-def: $vgpr4
	s_and_saveexec_b64 s[24:25], vcc
	s_xor_b64 s[24:25], exec, s[24:25]
	s_cbranch_execz .LBB158_1146
; %bb.935:
	v_bfe_u32 v4, v2, 21, 1
	s_mov_b32 s28, 0x88fffff
	v_add3_u32 v4, v2, v4, s28
	s_mov_b64 s[22:23], exec
	v_lshrrev_b32_e32 v4, 21, v4
	s_andn2_saveexec_b64 s[24:25], s[24:25]
	s_cbranch_execnz .LBB158_1147
.LBB158_936:
	s_or_b64 exec, exec, s[24:25]
	v_mov_b32_e32 v5, 0
	s_and_saveexec_b64 s[24:25], s[22:23]
.LBB158_937:
	v_lshrrev_b32_e32 v2, 24, v2
	s_movk_i32 s22, 0x80
	v_and_or_b32 v5, v2, s22, v4
.LBB158_938:
	s_or_b64 exec, exec, s[24:25]
.LBB158_939:
	s_or_b64 exec, exec, s[20:21]
	s_mov_b64 s[20:21], 0
	global_store_byte v[0:1], v5, off
.LBB158_940:
	s_and_b64 vcc, exec, s[20:21]
	s_cbranch_vccz .LBB158_950
; %bb.941:
	v_cvt_f32_i32_sdwa v2, sext(v3) dst_sel:DWORD dst_unused:UNUSED_PAD src0_sel:WORD_0
	s_mov_b32 s20, 0x43f00000
                                        ; implicit-def: $vgpr4
	v_and_b32_e32 v5, 0x7fffffff, v2
	v_cmp_gt_u32_e32 vcc, s20, v5
	s_and_saveexec_b64 s[20:21], vcc
	s_xor_b64 s[20:21], exec, s[20:21]
	s_cbranch_execz .LBB158_947
; %bb.942:
	s_mov_b32 s22, 0x3c7fffff
	v_cmp_lt_u32_e32 vcc, s22, v5
                                        ; implicit-def: $vgpr4
	s_and_saveexec_b64 s[22:23], vcc
	s_xor_b64 s[22:23], exec, s[22:23]
; %bb.943:
	v_bfe_u32 v4, v2, 20, 1
	s_mov_b32 s24, 0x407ffff
	v_add3_u32 v4, v2, v4, s24
	v_lshrrev_b32_e32 v5, 20, v4
	v_and_b32_e32 v4, 0xff00000, v4
	s_mov_b32 s24, 0x7f00000
	v_mov_b32_e32 v6, 0x7e
	v_cmp_ne_u32_e32 vcc, s24, v4
	v_cndmask_b32_e32 v4, v6, v5, vcc
; %bb.944:
	s_andn2_saveexec_b64 s[22:23], s[22:23]
; %bb.945:
	s_mov_b32 s24, 0x46800000
	v_add_f32_e64 v4, |v2|, s24
; %bb.946:
	s_or_b64 exec, exec, s[22:23]
                                        ; implicit-def: $vgpr5
.LBB158_947:
	s_andn2_saveexec_b64 s[20:21], s[20:21]
; %bb.948:
	s_mov_b32 s22, 0x7f800000
	v_mov_b32_e32 v4, 0x7e
	v_mov_b32_e32 v6, 0x7f
	v_cmp_lt_u32_e32 vcc, s22, v5
	v_cndmask_b32_e32 v4, v4, v6, vcc
; %bb.949:
	s_or_b64 exec, exec, s[20:21]
	v_lshrrev_b32_e32 v2, 24, v2
	s_movk_i32 s20, 0x80
	v_and_or_b32 v2, v2, s20, v4
	global_store_byte v[0:1], v2, off
.LBB158_950:
	s_mov_b64 s[20:21], 0
.LBB158_951:
	s_andn2_b64 vcc, exec, s[20:21]
	s_cbranch_vccnz .LBB158_961
; %bb.952:
	v_cvt_f32_i32_sdwa v2, sext(v3) dst_sel:DWORD dst_unused:UNUSED_PAD src0_sel:WORD_0
	s_mov_b32 s20, 0x47800000
                                        ; implicit-def: $vgpr4
	v_and_b32_e32 v5, 0x7fffffff, v2
	v_cmp_gt_u32_e32 vcc, s20, v5
	s_and_saveexec_b64 s[20:21], vcc
	s_xor_b64 s[20:21], exec, s[20:21]
	s_cbranch_execz .LBB158_958
; %bb.953:
	s_mov_b32 s22, 0x387fffff
	v_cmp_lt_u32_e32 vcc, s22, v5
                                        ; implicit-def: $vgpr4
	s_and_saveexec_b64 s[22:23], vcc
	s_xor_b64 s[22:23], exec, s[22:23]
; %bb.954:
	v_bfe_u32 v4, v2, 21, 1
	s_mov_b32 s24, 0x80fffff
	v_add3_u32 v4, v2, v4, s24
	v_lshrrev_b32_e32 v4, 21, v4
; %bb.955:
	s_andn2_saveexec_b64 s[22:23], s[22:23]
; %bb.956:
	s_mov_b32 s24, 0x43000000
	v_add_f32_e64 v4, |v2|, s24
; %bb.957:
	s_or_b64 exec, exec, s[22:23]
                                        ; implicit-def: $vgpr5
.LBB158_958:
	s_andn2_saveexec_b64 s[20:21], s[20:21]
; %bb.959:
	s_mov_b32 s22, 0x7f800000
	v_mov_b32_e32 v4, 0x7c
	v_mov_b32_e32 v6, 0x7f
	v_cmp_lt_u32_e32 vcc, s22, v5
	v_cndmask_b32_e32 v4, v4, v6, vcc
; %bb.960:
	s_or_b64 exec, exec, s[20:21]
	v_lshrrev_b32_e32 v2, 24, v2
	s_movk_i32 s20, 0x80
	v_and_or_b32 v2, v2, s20, v4
	global_store_byte v[0:1], v2, off
.LBB158_961:
	s_mov_b64 s[20:21], 0
.LBB158_962:
	s_andn2_b64 vcc, exec, s[20:21]
	s_mov_b64 s[20:21], 0
	s_cbranch_vccnz .LBB158_970
; %bb.963:
	s_cmp_gt_i32 s27, 14
	s_mov_b64 s[22:23], -1
	s_cbranch_scc0 .LBB158_967
; %bb.964:
	s_cmp_eq_u32 s27, 15
	s_mov_b64 s[0:1], -1
	s_cbranch_scc0 .LBB158_966
; %bb.965:
	v_cvt_f32_i32_sdwa v2, sext(v3) dst_sel:DWORD dst_unused:UNUSED_PAD src0_sel:WORD_0
	s_movk_i32 s0, 0x7fff
	v_bfe_u32 v4, v2, 16, 1
	v_add3_u32 v2, v2, v4, s0
	global_store_short_d16_hi v[0:1], v2, off
	s_mov_b64 s[0:1], 0
.LBB158_966:
	s_mov_b64 s[22:23], 0
.LBB158_967:
	s_and_b64 vcc, exec, s[22:23]
	s_cbranch_vccz .LBB158_970
; %bb.968:
	s_cmp_lg_u32 s27, 11
	s_cselect_b64 s[22:23], -1, 0
	s_andn2_b64 s[0:1], s[0:1], exec
	s_and_b64 s[22:23], s[22:23], exec
	s_mov_b64 s[20:21], -1
	s_or_b64 s[0:1], s[0:1], s[22:23]
	s_branch .LBB158_970
.LBB158_969:
	s_mov_b64 s[20:21], 0
.LBB158_970:
	s_andn2_b64 s[6:7], s[6:7], exec
	s_and_b64 s[0:1], s[0:1], exec
	s_and_b64 s[18:19], s[18:19], exec
	;; [unrolled: 1-line block ×3, first 2 shown]
	s_or_b64 s[6:7], s[6:7], s[0:1]
	s_or_b64 exec, exec, s[16:17]
	s_and_saveexec_b64 s[0:1], s[6:7]
	s_cbranch_execz .LBB158_899
.LBB158_971:
	s_or_b64 s[2:3], s[2:3], exec
	s_andn2_b64 s[20:21], s[20:21], exec
	s_trap 2
	s_or_b64 exec, exec, s[0:1]
	s_and_saveexec_b64 s[0:1], s[20:21]
	s_xor_b64 s[0:1], exec, s[0:1]
	s_cbranch_execnz .LBB158_900
.LBB158_972:
	s_or_b64 exec, exec, s[0:1]
	s_and_saveexec_b64 s[0:1], s[18:19]
	s_xor_b64 s[0:1], exec, s[0:1]
	s_cbranch_execz .LBB158_1010
.LBB158_973:
	s_sext_i32_i16 s16, s26
	s_cmp_lt_i32 s16, 5
	s_mov_b64 s[6:7], -1
	s_cbranch_scc1 .LBB158_994
; %bb.974:
	s_cmp_lt_i32 s16, 8
	s_cbranch_scc1 .LBB158_984
; %bb.975:
	s_cmp_lt_i32 s16, 9
	s_cbranch_scc1 .LBB158_981
; %bb.976:
	s_cmp_gt_i32 s16, 9
	s_cbranch_scc0 .LBB158_978
; %bb.977:
	s_waitcnt vmcnt(0)
	v_bfe_i32 v2, v3, 0, 8
	v_bfe_i32 v2, v2, 0, 16
	v_cvt_f64_i32_e32 v[4:5], v2
	v_mov_b32_e32 v6, 0
	v_mov_b32_e32 v7, v6
	s_mov_b64 s[6:7], 0
	global_store_dwordx4 v[0:1], v[4:7], off
.LBB158_978:
	s_andn2_b64 vcc, exec, s[6:7]
	s_cbranch_vccnz .LBB158_980
; %bb.979:
	s_waitcnt vmcnt(0)
	v_bfe_i32 v2, v3, 0, 8
	v_cvt_f32_i32_sdwa v4, sext(v2) dst_sel:DWORD dst_unused:UNUSED_PAD src0_sel:WORD_0
	v_mov_b32_e32 v5, 0
	global_store_dwordx2 v[0:1], v[4:5], off
.LBB158_980:
	s_mov_b64 s[6:7], 0
.LBB158_981:
	s_andn2_b64 vcc, exec, s[6:7]
	s_cbranch_vccnz .LBB158_983
; %bb.982:
	s_waitcnt vmcnt(0)
	v_cvt_f16_i16_sdwa v2, sext(v3) dst_sel:DWORD dst_unused:UNUSED_PAD src0_sel:BYTE_0
	global_store_dword v[0:1], v2, off
.LBB158_983:
	s_mov_b64 s[6:7], 0
.LBB158_984:
	s_andn2_b64 vcc, exec, s[6:7]
	s_cbranch_vccnz .LBB158_993
; %bb.985:
	s_sext_i32_i16 s16, s26
	s_cmp_lt_i32 s16, 6
	s_mov_b64 s[6:7], -1
	s_cbranch_scc1 .LBB158_991
; %bb.986:
	s_cmp_gt_i32 s16, 6
	s_cbranch_scc0 .LBB158_988
; %bb.987:
	s_waitcnt vmcnt(0)
	v_bfe_i32 v2, v3, 0, 8
	v_bfe_i32 v2, v2, 0, 16
	v_cvt_f64_i32_e32 v[4:5], v2
	s_mov_b64 s[6:7], 0
	global_store_dwordx2 v[0:1], v[4:5], off
.LBB158_988:
	s_andn2_b64 vcc, exec, s[6:7]
	s_cbranch_vccnz .LBB158_990
; %bb.989:
	s_waitcnt vmcnt(0)
	v_bfe_i32 v2, v3, 0, 8
	v_cvt_f32_i32_sdwa v2, sext(v2) dst_sel:DWORD dst_unused:UNUSED_PAD src0_sel:WORD_0
	global_store_dword v[0:1], v2, off
.LBB158_990:
	s_mov_b64 s[6:7], 0
.LBB158_991:
	s_andn2_b64 vcc, exec, s[6:7]
	s_cbranch_vccnz .LBB158_993
; %bb.992:
	s_waitcnt vmcnt(0)
	v_cvt_f16_i16_sdwa v2, sext(v3) dst_sel:DWORD dst_unused:UNUSED_PAD src0_sel:BYTE_0
	global_store_short v[0:1], v2, off
.LBB158_993:
	s_mov_b64 s[6:7], 0
.LBB158_994:
	s_andn2_b64 vcc, exec, s[6:7]
	s_cbranch_vccnz .LBB158_1010
; %bb.995:
	s_sext_i32_i16 s16, s26
	s_cmp_lt_i32 s16, 2
	s_mov_b64 s[6:7], -1
	s_cbranch_scc1 .LBB158_1005
; %bb.996:
	s_cmp_lt_i32 s16, 3
	s_cbranch_scc1 .LBB158_1002
; %bb.997:
	s_cmp_gt_i32 s16, 3
	s_cbranch_scc0 .LBB158_999
; %bb.998:
	s_waitcnt vmcnt(0)
	v_bfe_i32 v4, v3, 0, 8
	v_ashrrev_i32_e32 v5, 31, v4
	s_mov_b64 s[6:7], 0
	global_store_dwordx2 v[0:1], v[4:5], off
.LBB158_999:
	s_andn2_b64 vcc, exec, s[6:7]
	s_cbranch_vccnz .LBB158_1001
; %bb.1000:
	s_waitcnt vmcnt(0)
	v_bfe_i32 v2, v3, 0, 8
	global_store_dword v[0:1], v2, off
.LBB158_1001:
	s_mov_b64 s[6:7], 0
.LBB158_1002:
	s_andn2_b64 vcc, exec, s[6:7]
	s_cbranch_vccnz .LBB158_1004
; %bb.1003:
	s_waitcnt vmcnt(0)
	v_bfe_i32 v2, v3, 0, 8
	global_store_short v[0:1], v2, off
.LBB158_1004:
	s_mov_b64 s[6:7], 0
.LBB158_1005:
	s_andn2_b64 vcc, exec, s[6:7]
	s_cbranch_vccnz .LBB158_1010
; %bb.1006:
	s_sext_i32_i16 s6, s26
	s_cmp_gt_i32 s6, 0
	s_mov_b64 s[6:7], -1
	s_cbranch_scc0 .LBB158_1008
; %bb.1007:
	s_mov_b64 s[6:7], 0
	s_waitcnt vmcnt(0)
	global_store_byte v[0:1], v3, off
.LBB158_1008:
	s_andn2_b64 vcc, exec, s[6:7]
	s_cbranch_vccnz .LBB158_1010
; %bb.1009:
	s_waitcnt vmcnt(0)
	global_store_byte v[0:1], v3, off
.LBB158_1010:
	s_or_b64 exec, exec, s[0:1]
	s_and_b64 s[6:7], s[2:3], exec
                                        ; implicit-def: $vgpr9
.LBB158_1011:
	s_or_saveexec_b64 s[4:5], s[4:5]
	s_mov_b64 s[0:1], 0
                                        ; implicit-def: $sgpr22
                                        ; implicit-def: $vgpr0_vgpr1
                                        ; implicit-def: $vgpr2
	s_xor_b64 exec, exec, s[4:5]
	s_cbranch_execz .LBB158_1943
; %bb.1012:
	s_waitcnt vmcnt(0)
	v_mul_lo_u32 v2, s13, v9
	v_mov_b32_e32 v1, s11
	s_and_b32 s20, s45, 0xff
	s_cmp_lt_i32 s20, 11
	v_ashrrev_i32_e32 v3, 31, v2
	v_add_co_u32_e32 v0, vcc, s10, v2
	v_addc_co_u32_e32 v1, vcc, v1, v3, vcc
	s_cbranch_scc1 .LBB158_1019
; %bb.1013:
	s_and_b32 s18, 0xffff, s20
	s_cmp_gt_i32 s18, 25
	s_mov_b64 s[2:3], 0
	s_cbranch_scc0 .LBB158_1021
; %bb.1014:
	s_cmp_gt_i32 s18, 28
	s_cbranch_scc0 .LBB158_1022
; %bb.1015:
	s_cmp_gt_i32 s18, 43
	;; [unrolled: 3-line block ×3, first 2 shown]
	s_cbranch_scc0 .LBB158_1024
; %bb.1017:
	s_cmp_eq_u32 s18, 46
	s_mov_b64 s[16:17], 0
	s_cbranch_scc0 .LBB158_1027
; %bb.1018:
	global_load_dword v3, v[0:1], off
	s_mov_b64 s[14:15], -1
	s_waitcnt vmcnt(0)
	v_lshlrev_b32_e32 v3, 16, v3
	v_cvt_i32_f32_e32 v6, v3
	s_branch .LBB158_1029
.LBB158_1019:
                                        ; implicit-def: $vgpr6
	s_mov_b64 s[16:17], s[6:7]
	s_cbranch_execnz .LBB158_1087
.LBB158_1020:
	s_andn2_b64 vcc, exec, s[14:15]
	s_cbranch_vccz .LBB158_1132
	s_branch .LBB158_1941
.LBB158_1021:
                                        ; implicit-def: $vgpr6
	s_cbranch_execnz .LBB158_1054
	s_branch .LBB158_1083
.LBB158_1022:
                                        ; implicit-def: $vgpr6
	s_cbranch_execz .LBB158_1053
	s_branch .LBB158_1038
.LBB158_1023:
                                        ; implicit-def: $vgpr6
	s_cbranch_execnz .LBB158_1034
	s_branch .LBB158_1037
.LBB158_1024:
	s_mov_b64 s[16:17], -1
	s_branch .LBB158_1028
.LBB158_1025:
	s_andn2_saveexec_b64 s[22:23], s[22:23]
	s_cbranch_execz .LBB158_924
.LBB158_1026:
	s_mov_b32 s24, 0x46000000
	v_add_f32_e64 v4, |v2|, s24
	v_and_b32_e32 v4, 0xff, v4
	v_cmp_ne_u32_e32 vcc, 0, v4
	s_andn2_b64 s[20:21], s[20:21], exec
	s_and_b64 s[24:25], vcc, exec
	s_or_b64 s[20:21], s[20:21], s[24:25]
	s_or_b64 exec, exec, s[22:23]
	v_mov_b32_e32 v5, 0
	s_and_saveexec_b64 s[22:23], s[20:21]
	s_cbranch_execnz .LBB158_925
	s_branch .LBB158_926
.LBB158_1027:
	s_mov_b64 s[0:1], -1
.LBB158_1028:
                                        ; implicit-def: $vgpr6
.LBB158_1029:
	s_and_b64 vcc, exec, s[16:17]
	s_cbranch_vccz .LBB158_1032
; %bb.1030:
	s_cmp_eq_u32 s18, 44
	s_cbranch_scc0 .LBB158_1033
; %bb.1031:
	global_load_ubyte v3, v[0:1], off
	s_mov_b64 s[0:1], 0
	s_mov_b64 s[14:15], -1
	s_waitcnt vmcnt(0)
	v_lshlrev_b32_e32 v4, 23, v3
	v_cvt_i32_f32_e32 v4, v4
	v_cmp_ne_u32_e32 vcc, 0, v3
	v_cndmask_b32_e32 v6, 0, v4, vcc
.LBB158_1032:
	s_branch .LBB158_1037
.LBB158_1033:
	s_mov_b64 s[0:1], -1
                                        ; implicit-def: $vgpr6
	s_branch .LBB158_1037
.LBB158_1034:
	s_cmp_eq_u32 s18, 29
	s_cbranch_scc0 .LBB158_1036
; %bb.1035:
	global_load_dwordx2 v[6:7], v[0:1], off
	s_mov_b64 s[0:1], 0
	s_mov_b64 s[14:15], -1
	s_branch .LBB158_1037
.LBB158_1036:
	s_mov_b64 s[0:1], -1
                                        ; implicit-def: $vgpr6
.LBB158_1037:
	s_branch .LBB158_1053
.LBB158_1038:
	s_cmp_lt_i32 s18, 27
	s_cbranch_scc1 .LBB158_1041
; %bb.1039:
	s_cmp_gt_i32 s18, 27
	s_cbranch_scc0 .LBB158_1042
; %bb.1040:
	global_load_dword v6, v[0:1], off
	s_mov_b64 s[14:15], 0
	s_branch .LBB158_1043
.LBB158_1041:
	s_mov_b64 s[14:15], -1
                                        ; implicit-def: $vgpr6
	s_branch .LBB158_1046
.LBB158_1042:
	s_mov_b64 s[14:15], -1
                                        ; implicit-def: $vgpr6
.LBB158_1043:
	s_andn2_b64 vcc, exec, s[14:15]
	s_cbranch_vccnz .LBB158_1045
; %bb.1044:
	global_load_ushort v6, v[0:1], off
.LBB158_1045:
	s_mov_b64 s[14:15], 0
.LBB158_1046:
	s_andn2_b64 vcc, exec, s[14:15]
	s_cbranch_vccnz .LBB158_1052
; %bb.1047:
	global_load_ubyte v3, v[0:1], off
	s_movk_i32 s14, 0x7f
	s_mov_b64 s[16:17], 0
	s_waitcnt vmcnt(0)
	v_cmp_lt_i16_e32 vcc, s14, v3
	s_and_saveexec_b64 s[14:15], vcc
	s_xor_b64 s[14:15], exec, s[14:15]
	s_cbranch_execz .LBB158_1063
; %bb.1048:
	s_movk_i32 s16, 0x80
	v_cmp_ne_u16_e32 vcc, s16, v3
	s_and_b64 s[16:17], vcc, exec
	s_andn2_saveexec_b64 s[14:15], s[14:15]
	s_cbranch_execnz .LBB158_1064
.LBB158_1049:
	s_or_b64 exec, exec, s[14:15]
	v_mov_b32_e32 v6, 0
	s_and_saveexec_b64 s[14:15], s[16:17]
	s_cbranch_execz .LBB158_1051
.LBB158_1050:
	v_lshlrev_b32_e32 v4, 24, v3
	v_and_b32_e32 v3, 0xffff, v3
	v_and_b32_e32 v5, 7, v3
	v_ffbh_u32_e32 v7, v5
	v_min_u32_e32 v7, 32, v7
	v_subrev_u32_e32 v8, 28, v7
	v_bfe_u32 v6, v3, 3, 4
	v_lshlrev_b32_e32 v3, v8, v3
	v_sub_u32_e32 v7, 29, v7
	v_and_b32_e32 v3, 7, v3
	v_cmp_eq_u32_e32 vcc, 0, v6
	v_cndmask_b32_e32 v6, v6, v7, vcc
	v_cndmask_b32_e32 v3, v5, v3, vcc
	v_mov_b32_e32 v5, 0x3b800000
	v_lshlrev_b32_e32 v3, 20, v3
	v_and_b32_e32 v4, 0x80000000, v4
	v_lshl_add_u32 v5, v6, 23, v5
	v_or3_b32 v3, v4, v5, v3
	v_cvt_i32_f32_e32 v6, v3
.LBB158_1051:
	s_or_b64 exec, exec, s[14:15]
.LBB158_1052:
	s_mov_b64 s[14:15], -1
.LBB158_1053:
	s_branch .LBB158_1083
.LBB158_1054:
	s_cmp_gt_i32 s18, 22
	s_cbranch_scc0 .LBB158_1062
; %bb.1055:
	s_cmp_lt_i32 s18, 24
	s_cbranch_scc1 .LBB158_1065
; %bb.1056:
	s_cmp_gt_i32 s18, 24
	s_cbranch_scc0 .LBB158_1066
; %bb.1057:
	global_load_ubyte v3, v[0:1], off
	s_movk_i32 s2, 0x7f
	s_mov_b64 s[14:15], 0
	s_waitcnt vmcnt(0)
	v_cmp_lt_i16_e32 vcc, s2, v3
	s_and_saveexec_b64 s[2:3], vcc
	s_xor_b64 s[2:3], exec, s[2:3]
	s_cbranch_execz .LBB158_1077
; %bb.1058:
	s_movk_i32 s14, 0x80
	v_cmp_ne_u16_e32 vcc, s14, v3
	s_and_b64 s[14:15], vcc, exec
	s_andn2_saveexec_b64 s[2:3], s[2:3]
	s_cbranch_execnz .LBB158_1078
.LBB158_1059:
	s_or_b64 exec, exec, s[2:3]
	v_mov_b32_e32 v6, 0
	s_and_saveexec_b64 s[2:3], s[14:15]
	s_cbranch_execz .LBB158_1061
.LBB158_1060:
	v_lshlrev_b32_e32 v4, 24, v3
	v_and_b32_e32 v3, 0xffff, v3
	v_and_b32_e32 v5, 3, v3
	v_ffbh_u32_e32 v7, v5
	v_min_u32_e32 v7, 32, v7
	v_subrev_u32_e32 v8, 29, v7
	v_bfe_u32 v6, v3, 2, 5
	v_lshlrev_b32_e32 v3, v8, v3
	v_sub_u32_e32 v7, 30, v7
	v_and_b32_e32 v3, 3, v3
	v_cmp_eq_u32_e32 vcc, 0, v6
	v_cndmask_b32_e32 v6, v6, v7, vcc
	v_cndmask_b32_e32 v3, v5, v3, vcc
	v_mov_b32_e32 v5, 0x37800000
	v_lshlrev_b32_e32 v3, 21, v3
	v_and_b32_e32 v4, 0x80000000, v4
	v_lshl_add_u32 v5, v6, 23, v5
	v_or3_b32 v3, v4, v5, v3
	v_cvt_i32_f32_e32 v6, v3
.LBB158_1061:
	s_or_b64 exec, exec, s[2:3]
	s_mov_b64 s[2:3], 0
	s_branch .LBB158_1067
.LBB158_1062:
                                        ; implicit-def: $vgpr6
	s_mov_b64 s[2:3], 0
	s_branch .LBB158_1073
.LBB158_1063:
	s_andn2_saveexec_b64 s[14:15], s[14:15]
	s_cbranch_execz .LBB158_1049
.LBB158_1064:
	v_cmp_ne_u16_e32 vcc, 0, v3
	s_andn2_b64 s[16:17], s[16:17], exec
	s_and_b64 s[22:23], vcc, exec
	s_or_b64 s[16:17], s[16:17], s[22:23]
	s_or_b64 exec, exec, s[14:15]
	v_mov_b32_e32 v6, 0
	s_and_saveexec_b64 s[14:15], s[16:17]
	s_cbranch_execnz .LBB158_1050
	s_branch .LBB158_1051
.LBB158_1065:
	s_mov_b64 s[2:3], -1
                                        ; implicit-def: $vgpr6
	s_branch .LBB158_1070
.LBB158_1066:
	s_mov_b64 s[2:3], -1
                                        ; implicit-def: $vgpr6
.LBB158_1067:
	s_and_b64 vcc, exec, s[2:3]
	s_cbranch_vccz .LBB158_1069
; %bb.1068:
	global_load_ubyte v3, v[0:1], off
	s_mov_b32 s2, 0x7f800000
	s_waitcnt vmcnt(0)
	v_lshlrev_b32_e32 v3, 24, v3
	v_and_b32_e32 v4, 0x7f000000, v3
	v_ffbh_u32_e32 v5, v4
	v_min_u32_e32 v5, 32, v5
	v_sub_u32_e64 v5, v5, 4 clamp
	v_lshlrev_b32_e32 v7, v5, v4
	v_lshlrev_b32_e32 v5, 23, v5
	v_lshrrev_b32_e32 v7, 4, v7
	v_add_u32_e32 v6, 0x1000000, v4
	v_sub_u32_e32 v5, v7, v5
	v_ashrrev_i32_e32 v6, 8, v6
	v_add_u32_e32 v5, 0x3c000000, v5
	v_and_or_b32 v5, v6, s2, v5
	v_cmp_ne_u32_e32 vcc, 0, v4
	v_cndmask_b32_e32 v4, 0, v5, vcc
	s_brev_b32 s2, 1
	v_and_or_b32 v3, v3, s2, v4
	v_cvt_i32_f32_e32 v6, v3
.LBB158_1069:
	s_mov_b64 s[2:3], 0
.LBB158_1070:
	s_andn2_b64 vcc, exec, s[2:3]
	s_cbranch_vccnz .LBB158_1072
; %bb.1071:
	global_load_ubyte v3, v[0:1], off
	s_movk_i32 s2, 0x7f00
	s_brev_b32 s3, 16
	s_waitcnt vmcnt(0)
	v_lshlrev_b16_e32 v4, 8, v3
	v_lshlrev_b32_e32 v3, 25, v3
	v_lshrrev_b32_e32 v5, 4, v3
	v_and_or_b32 v6, v4, s2, 0.5
	v_or_b32_e32 v5, 0x70000000, v5
	v_add_f32_e32 v6, -0.5, v6
	v_mul_f32_e32 v5, 0x7800000, v5
	v_cmp_gt_u32_e32 vcc, s3, v3
	v_bfe_i32 v4, v4, 0, 16
	v_cndmask_b32_e32 v3, v5, v6, vcc
	s_brev_b32 s2, 1
	v_and_or_b32 v3, v4, s2, v3
	v_cvt_i32_f32_e32 v6, v3
.LBB158_1072:
	s_mov_b64 s[14:15], -1
	s_mov_b64 s[2:3], 0
	s_cbranch_execnz .LBB158_1083
.LBB158_1073:
	s_cmp_gt_i32 s18, 14
	s_cbranch_scc0 .LBB158_1076
; %bb.1074:
	s_cmp_eq_u32 s18, 15
	s_cbranch_scc0 .LBB158_1079
; %bb.1075:
	global_load_ushort v3, v[0:1], off
	s_mov_b64 s[0:1], 0
	s_mov_b64 s[14:15], -1
	s_waitcnt vmcnt(0)
	v_lshlrev_b32_e32 v3, 16, v3
	v_cvt_i32_f32_e32 v6, v3
	s_branch .LBB158_1080
.LBB158_1076:
	s_mov_b64 s[16:17], -1
                                        ; implicit-def: $vgpr6
	s_branch .LBB158_1081
.LBB158_1077:
	s_andn2_saveexec_b64 s[2:3], s[2:3]
	s_cbranch_execz .LBB158_1059
.LBB158_1078:
	v_cmp_ne_u16_e32 vcc, 0, v3
	s_andn2_b64 s[14:15], s[14:15], exec
	s_and_b64 s[16:17], vcc, exec
	s_or_b64 s[14:15], s[14:15], s[16:17]
	s_or_b64 exec, exec, s[2:3]
	v_mov_b32_e32 v6, 0
	s_and_saveexec_b64 s[2:3], s[14:15]
	s_cbranch_execnz .LBB158_1060
	s_branch .LBB158_1061
.LBB158_1079:
	s_mov_b64 s[0:1], -1
                                        ; implicit-def: $vgpr6
.LBB158_1080:
	s_mov_b64 s[16:17], 0
.LBB158_1081:
	s_and_b64 vcc, exec, s[16:17]
	s_cbranch_vccz .LBB158_1083
; %bb.1082:
	s_cmp_lg_u32 s18, 11
	s_mov_b64 s[2:3], -1
	s_cselect_b64 s[0:1], -1, 0
.LBB158_1083:
	s_and_b64 vcc, exec, s[0:1]
	s_mov_b64 s[16:17], s[6:7]
	s_cbranch_vccnz .LBB158_1144
; %bb.1084:
	s_andn2_b64 vcc, exec, s[2:3]
	s_cbranch_vccnz .LBB158_1086
.LBB158_1085:
	global_load_ubyte v3, v[0:1], off
	s_mov_b64 s[14:15], -1
	s_waitcnt vmcnt(0)
	v_cmp_ne_u16_e32 vcc, 0, v3
	v_cndmask_b32_e64 v6, 0, 1, vcc
.LBB158_1086:
	s_branch .LBB158_1020
.LBB158_1087:
	s_and_b32 s2, 0xffff, s20
	s_cmp_lt_i32 s2, 5
	s_cbranch_scc1 .LBB158_1092
; %bb.1088:
	s_cmp_lt_i32 s2, 8
	s_cbranch_scc1 .LBB158_1093
; %bb.1089:
	;; [unrolled: 3-line block ×3, first 2 shown]
	s_cmp_gt_i32 s2, 9
	s_cbranch_scc0 .LBB158_1095
; %bb.1091:
	global_load_dwordx2 v[3:4], v[0:1], off
	s_mov_b64 s[0:1], 0
	s_waitcnt vmcnt(0)
	v_cvt_i32_f64_e32 v6, v[3:4]
	s_branch .LBB158_1096
.LBB158_1092:
                                        ; implicit-def: $vgpr6
	s_branch .LBB158_1113
.LBB158_1093:
                                        ; implicit-def: $vgpr6
	s_branch .LBB158_1102
.LBB158_1094:
	s_mov_b64 s[0:1], -1
                                        ; implicit-def: $vgpr6
	s_branch .LBB158_1099
.LBB158_1095:
	s_mov_b64 s[0:1], -1
                                        ; implicit-def: $vgpr6
.LBB158_1096:
	s_andn2_b64 vcc, exec, s[0:1]
	s_cbranch_vccnz .LBB158_1098
; %bb.1097:
	global_load_dword v3, v[0:1], off
	s_waitcnt vmcnt(0)
	v_cvt_i32_f32_e32 v6, v3
.LBB158_1098:
	s_mov_b64 s[0:1], 0
.LBB158_1099:
	s_andn2_b64 vcc, exec, s[0:1]
	s_cbranch_vccnz .LBB158_1101
; %bb.1100:
	global_load_dword v3, v[0:1], off
	s_waitcnt vmcnt(0)
	v_cvt_i16_f16_e32 v6, v3
.LBB158_1101:
	s_cbranch_execnz .LBB158_1112
.LBB158_1102:
	s_cmp_lt_i32 s2, 6
	s_cbranch_scc1 .LBB158_1105
; %bb.1103:
	s_cmp_gt_i32 s2, 6
	s_cbranch_scc0 .LBB158_1106
; %bb.1104:
	global_load_dwordx2 v[3:4], v[0:1], off
	s_mov_b64 s[0:1], 0
	s_waitcnt vmcnt(0)
	v_cvt_i32_f64_e32 v6, v[3:4]
	s_branch .LBB158_1107
.LBB158_1105:
	s_mov_b64 s[0:1], -1
                                        ; implicit-def: $vgpr6
	s_branch .LBB158_1110
.LBB158_1106:
	s_mov_b64 s[0:1], -1
                                        ; implicit-def: $vgpr6
.LBB158_1107:
	s_andn2_b64 vcc, exec, s[0:1]
	s_cbranch_vccnz .LBB158_1109
; %bb.1108:
	global_load_dword v3, v[0:1], off
	s_waitcnt vmcnt(0)
	v_cvt_i32_f32_e32 v6, v3
.LBB158_1109:
	s_mov_b64 s[0:1], 0
.LBB158_1110:
	s_andn2_b64 vcc, exec, s[0:1]
	s_cbranch_vccnz .LBB158_1112
; %bb.1111:
	global_load_ushort v3, v[0:1], off
	s_waitcnt vmcnt(0)
	v_cvt_i16_f16_e32 v6, v3
.LBB158_1112:
	s_cbranch_execnz .LBB158_1131
.LBB158_1113:
	s_cmp_lt_i32 s2, 2
	s_cbranch_scc1 .LBB158_1117
; %bb.1114:
	s_cmp_lt_i32 s2, 3
	s_cbranch_scc1 .LBB158_1118
; %bb.1115:
	s_cmp_gt_i32 s2, 3
	s_cbranch_scc0 .LBB158_1119
; %bb.1116:
	global_load_dwordx2 v[6:7], v[0:1], off
	s_mov_b64 s[0:1], 0
	s_branch .LBB158_1120
.LBB158_1117:
                                        ; implicit-def: $vgpr6
	s_branch .LBB158_1126
.LBB158_1118:
	s_mov_b64 s[0:1], -1
                                        ; implicit-def: $vgpr6
	s_branch .LBB158_1123
.LBB158_1119:
	s_mov_b64 s[0:1], -1
                                        ; implicit-def: $vgpr6
.LBB158_1120:
	s_andn2_b64 vcc, exec, s[0:1]
	s_cbranch_vccnz .LBB158_1122
; %bb.1121:
	global_load_dword v6, v[0:1], off
.LBB158_1122:
	s_mov_b64 s[0:1], 0
.LBB158_1123:
	s_andn2_b64 vcc, exec, s[0:1]
	s_cbranch_vccnz .LBB158_1125
; %bb.1124:
	global_load_ushort v6, v[0:1], off
.LBB158_1125:
	s_cbranch_execnz .LBB158_1131
.LBB158_1126:
	s_cmp_gt_i32 s2, 0
	s_cbranch_scc0 .LBB158_1128
; %bb.1127:
	global_load_ubyte v6, v[0:1], off
	s_mov_b64 s[0:1], 0
	s_branch .LBB158_1129
.LBB158_1128:
	s_mov_b64 s[0:1], -1
                                        ; implicit-def: $vgpr6
.LBB158_1129:
	s_andn2_b64 vcc, exec, s[0:1]
	s_cbranch_vccnz .LBB158_1131
; %bb.1130:
	global_load_ubyte v6, v[0:1], off
.LBB158_1131:
.LBB158_1132:
	s_lshl_b32 s13, s13, 7
	v_add_u32_e32 v2, s13, v2
	v_ashrrev_i32_e32 v1, 31, v2
	v_mov_b32_e32 v3, s11
	v_add_co_u32_e32 v0, vcc, s10, v2
	s_cmp_lt_i32 s20, 11
	v_addc_co_u32_e32 v1, vcc, v3, v1, vcc
	s_cbranch_scc1 .LBB158_1139
; %bb.1133:
	s_and_b32 s21, 0xffff, s20
	s_cmp_gt_i32 s21, 25
	s_mov_b64 s[2:3], 0
	s_cbranch_scc0 .LBB158_1141
; %bb.1134:
	s_cmp_gt_i32 s21, 28
	s_cbranch_scc0 .LBB158_1142
; %bb.1135:
	s_cmp_gt_i32 s21, 43
	;; [unrolled: 3-line block ×3, first 2 shown]
	s_cbranch_scc0 .LBB158_1145
; %bb.1137:
	s_cmp_eq_u32 s21, 46
	s_mov_b64 s[18:19], 0
	s_cbranch_scc0 .LBB158_1148
; %bb.1138:
	global_load_dword v3, v[0:1], off
	s_mov_b64 s[0:1], 0
	s_mov_b64 s[14:15], -1
	s_waitcnt vmcnt(0)
	v_lshlrev_b32_e32 v3, 16, v3
	v_cvt_i32_f32_e32 v4, v3
	s_branch .LBB158_1149
.LBB158_1139:
	s_mov_b64 s[14:15], 0
                                        ; implicit-def: $vgpr4
	s_cbranch_execnz .LBB158_1210
.LBB158_1140:
	s_andn2_b64 vcc, exec, s[14:15]
	s_cbranch_vccnz .LBB158_1941
	s_branch .LBB158_1257
.LBB158_1141:
	s_mov_b64 s[14:15], 0
	s_mov_b64 s[0:1], 0
                                        ; implicit-def: $vgpr4
	s_cbranch_execnz .LBB158_1176
	s_branch .LBB158_1206
.LBB158_1142:
	s_mov_b64 s[18:19], -1
	s_mov_b64 s[14:15], 0
	s_mov_b64 s[0:1], 0
                                        ; implicit-def: $vgpr4
	s_branch .LBB158_1159
.LBB158_1143:
	s_mov_b64 s[18:19], -1
	s_mov_b64 s[14:15], 0
	s_mov_b64 s[0:1], 0
                                        ; implicit-def: $vgpr4
	s_branch .LBB158_1154
.LBB158_1144:
	s_or_b64 s[16:17], s[6:7], exec
	s_trap 2
	s_cbranch_execz .LBB158_1085
	s_branch .LBB158_1086
.LBB158_1145:
	s_mov_b64 s[18:19], -1
	s_mov_b64 s[14:15], 0
	s_mov_b64 s[0:1], 0
                                        ; implicit-def: $vgpr4
	s_branch .LBB158_1149
.LBB158_1146:
	s_andn2_saveexec_b64 s[24:25], s[24:25]
	s_cbranch_execz .LBB158_936
.LBB158_1147:
	s_mov_b32 s28, 0x42800000
	v_add_f32_e64 v4, |v2|, s28
	v_and_b32_e32 v4, 0xff, v4
	v_cmp_ne_u32_e32 vcc, 0, v4
	s_andn2_b64 s[22:23], s[22:23], exec
	s_and_b64 s[28:29], vcc, exec
	s_or_b64 s[22:23], s[22:23], s[28:29]
	s_or_b64 exec, exec, s[24:25]
	v_mov_b32_e32 v5, 0
	s_and_saveexec_b64 s[24:25], s[22:23]
	s_cbranch_execnz .LBB158_937
	s_branch .LBB158_938
.LBB158_1148:
	s_mov_b64 s[0:1], -1
                                        ; implicit-def: $vgpr4
	s_mov_b64 s[14:15], 0
.LBB158_1149:
	s_and_b64 vcc, exec, s[18:19]
	s_cbranch_vccz .LBB158_1153
; %bb.1150:
	s_cmp_eq_u32 s21, 44
	s_cbranch_scc0 .LBB158_1152
; %bb.1151:
	global_load_ubyte v3, v[0:1], off
	s_mov_b64 s[0:1], 0
	s_mov_b64 s[14:15], -1
	s_waitcnt vmcnt(0)
	v_lshlrev_b32_e32 v4, 23, v3
	v_cvt_i32_f32_e32 v4, v4
	v_cmp_ne_u32_e32 vcc, 0, v3
	v_cndmask_b32_e32 v4, 0, v4, vcc
	s_branch .LBB158_1153
.LBB158_1152:
	s_mov_b64 s[0:1], -1
                                        ; implicit-def: $vgpr4
.LBB158_1153:
	s_mov_b64 s[18:19], 0
.LBB158_1154:
	s_and_b64 vcc, exec, s[18:19]
	s_cbranch_vccz .LBB158_1158
; %bb.1155:
	s_cmp_eq_u32 s21, 29
	s_cbranch_scc0 .LBB158_1157
; %bb.1156:
	global_load_dwordx2 v[4:5], v[0:1], off
	s_mov_b64 s[0:1], 0
	s_mov_b64 s[14:15], -1
	s_branch .LBB158_1158
.LBB158_1157:
	s_mov_b64 s[0:1], -1
                                        ; implicit-def: $vgpr4
.LBB158_1158:
	s_mov_b64 s[18:19], 0
.LBB158_1159:
	s_and_b64 vcc, exec, s[18:19]
	s_cbranch_vccz .LBB158_1175
; %bb.1160:
	s_cmp_lt_i32 s21, 27
	s_cbranch_scc1 .LBB158_1163
; %bb.1161:
	s_cmp_gt_i32 s21, 27
	s_cbranch_scc0 .LBB158_1164
; %bb.1162:
	global_load_dword v4, v[0:1], off
	s_mov_b64 s[14:15], 0
	s_branch .LBB158_1165
.LBB158_1163:
	s_mov_b64 s[14:15], -1
                                        ; implicit-def: $vgpr4
	s_branch .LBB158_1168
.LBB158_1164:
	s_mov_b64 s[14:15], -1
                                        ; implicit-def: $vgpr4
.LBB158_1165:
	s_andn2_b64 vcc, exec, s[14:15]
	s_cbranch_vccnz .LBB158_1167
; %bb.1166:
	global_load_ushort v4, v[0:1], off
.LBB158_1167:
	s_mov_b64 s[14:15], 0
.LBB158_1168:
	s_andn2_b64 vcc, exec, s[14:15]
	s_cbranch_vccnz .LBB158_1174
; %bb.1169:
	global_load_ubyte v3, v[0:1], off
	s_movk_i32 s14, 0x7f
	s_mov_b64 s[18:19], 0
	s_waitcnt vmcnt(0)
	v_cmp_lt_i16_e32 vcc, s14, v3
	s_and_saveexec_b64 s[14:15], vcc
	s_xor_b64 s[14:15], exec, s[14:15]
	s_cbranch_execz .LBB158_1185
; %bb.1170:
	s_movk_i32 s18, 0x80
	v_cmp_ne_u16_e32 vcc, s18, v3
	s_and_b64 s[18:19], vcc, exec
	s_andn2_saveexec_b64 s[14:15], s[14:15]
	s_cbranch_execnz .LBB158_1186
.LBB158_1171:
	s_or_b64 exec, exec, s[14:15]
	v_mov_b32_e32 v4, 0
	s_and_saveexec_b64 s[14:15], s[18:19]
	s_cbranch_execz .LBB158_1173
.LBB158_1172:
	v_lshlrev_b32_e32 v4, 24, v3
	v_and_b32_e32 v3, 0xffff, v3
	v_and_b32_e32 v5, 7, v3
	v_ffbh_u32_e32 v8, v5
	v_min_u32_e32 v8, 32, v8
	v_subrev_u32_e32 v10, 28, v8
	v_bfe_u32 v7, v3, 3, 4
	v_lshlrev_b32_e32 v3, v10, v3
	v_sub_u32_e32 v8, 29, v8
	v_and_b32_e32 v3, 7, v3
	v_cmp_eq_u32_e32 vcc, 0, v7
	v_cndmask_b32_e32 v7, v7, v8, vcc
	v_cndmask_b32_e32 v3, v5, v3, vcc
	v_mov_b32_e32 v5, 0x3b800000
	v_lshlrev_b32_e32 v3, 20, v3
	v_and_b32_e32 v4, 0x80000000, v4
	v_lshl_add_u32 v5, v7, 23, v5
	v_or3_b32 v3, v4, v5, v3
	v_cvt_i32_f32_e32 v4, v3
.LBB158_1173:
	s_or_b64 exec, exec, s[14:15]
.LBB158_1174:
	s_mov_b64 s[14:15], -1
.LBB158_1175:
	s_branch .LBB158_1206
.LBB158_1176:
	s_cmp_gt_i32 s21, 22
	s_cbranch_scc0 .LBB158_1184
; %bb.1177:
	s_cmp_lt_i32 s21, 24
	s_cbranch_scc1 .LBB158_1187
; %bb.1178:
	s_cmp_gt_i32 s21, 24
	s_cbranch_scc0 .LBB158_1188
; %bb.1179:
	global_load_ubyte v3, v[0:1], off
	s_movk_i32 s2, 0x7f
	s_mov_b64 s[14:15], 0
	s_waitcnt vmcnt(0)
	v_cmp_lt_i16_e32 vcc, s2, v3
	s_and_saveexec_b64 s[2:3], vcc
	s_xor_b64 s[2:3], exec, s[2:3]
	s_cbranch_execz .LBB158_1200
; %bb.1180:
	s_movk_i32 s14, 0x80
	v_cmp_ne_u16_e32 vcc, s14, v3
	s_and_b64 s[14:15], vcc, exec
	s_andn2_saveexec_b64 s[2:3], s[2:3]
	s_cbranch_execnz .LBB158_1201
.LBB158_1181:
	s_or_b64 exec, exec, s[2:3]
	v_mov_b32_e32 v4, 0
	s_and_saveexec_b64 s[2:3], s[14:15]
	s_cbranch_execz .LBB158_1183
.LBB158_1182:
	v_lshlrev_b32_e32 v4, 24, v3
	v_and_b32_e32 v3, 0xffff, v3
	v_and_b32_e32 v5, 3, v3
	v_ffbh_u32_e32 v8, v5
	v_min_u32_e32 v8, 32, v8
	v_subrev_u32_e32 v10, 29, v8
	v_bfe_u32 v7, v3, 2, 5
	v_lshlrev_b32_e32 v3, v10, v3
	v_sub_u32_e32 v8, 30, v8
	v_and_b32_e32 v3, 3, v3
	v_cmp_eq_u32_e32 vcc, 0, v7
	v_cndmask_b32_e32 v7, v7, v8, vcc
	v_cndmask_b32_e32 v3, v5, v3, vcc
	v_mov_b32_e32 v5, 0x37800000
	v_lshlrev_b32_e32 v3, 21, v3
	v_and_b32_e32 v4, 0x80000000, v4
	v_lshl_add_u32 v5, v7, 23, v5
	v_or3_b32 v3, v4, v5, v3
	v_cvt_i32_f32_e32 v4, v3
.LBB158_1183:
	s_or_b64 exec, exec, s[2:3]
	s_mov_b64 s[2:3], 0
	s_branch .LBB158_1189
.LBB158_1184:
	s_mov_b64 s[2:3], -1
                                        ; implicit-def: $vgpr4
	s_branch .LBB158_1195
.LBB158_1185:
	s_andn2_saveexec_b64 s[14:15], s[14:15]
	s_cbranch_execz .LBB158_1171
.LBB158_1186:
	v_cmp_ne_u16_e32 vcc, 0, v3
	s_andn2_b64 s[18:19], s[18:19], exec
	s_and_b64 s[22:23], vcc, exec
	s_or_b64 s[18:19], s[18:19], s[22:23]
	s_or_b64 exec, exec, s[14:15]
	v_mov_b32_e32 v4, 0
	s_and_saveexec_b64 s[14:15], s[18:19]
	s_cbranch_execnz .LBB158_1172
	s_branch .LBB158_1173
.LBB158_1187:
	s_mov_b64 s[2:3], -1
                                        ; implicit-def: $vgpr4
	s_branch .LBB158_1192
.LBB158_1188:
	s_mov_b64 s[2:3], -1
                                        ; implicit-def: $vgpr4
.LBB158_1189:
	s_and_b64 vcc, exec, s[2:3]
	s_cbranch_vccz .LBB158_1191
; %bb.1190:
	global_load_ubyte v3, v[0:1], off
	s_mov_b32 s2, 0x7f800000
	s_waitcnt vmcnt(0)
	v_lshlrev_b32_e32 v3, 24, v3
	v_and_b32_e32 v4, 0x7f000000, v3
	v_ffbh_u32_e32 v5, v4
	v_min_u32_e32 v5, 32, v5
	v_sub_u32_e64 v5, v5, 4 clamp
	v_lshlrev_b32_e32 v8, v5, v4
	v_lshlrev_b32_e32 v5, 23, v5
	v_lshrrev_b32_e32 v8, 4, v8
	v_add_u32_e32 v7, 0x1000000, v4
	v_sub_u32_e32 v5, v8, v5
	v_ashrrev_i32_e32 v7, 8, v7
	v_add_u32_e32 v5, 0x3c000000, v5
	v_and_or_b32 v5, v7, s2, v5
	v_cmp_ne_u32_e32 vcc, 0, v4
	v_cndmask_b32_e32 v4, 0, v5, vcc
	s_brev_b32 s2, 1
	v_and_or_b32 v3, v3, s2, v4
	v_cvt_i32_f32_e32 v4, v3
.LBB158_1191:
	s_mov_b64 s[2:3], 0
.LBB158_1192:
	s_andn2_b64 vcc, exec, s[2:3]
	s_cbranch_vccnz .LBB158_1194
; %bb.1193:
	global_load_ubyte v3, v[0:1], off
	s_movk_i32 s2, 0x7f00
	s_brev_b32 s3, 16
	s_waitcnt vmcnt(0)
	v_lshlrev_b16_e32 v4, 8, v3
	v_lshlrev_b32_e32 v3, 25, v3
	v_lshrrev_b32_e32 v5, 4, v3
	v_and_or_b32 v7, v4, s2, 0.5
	v_or_b32_e32 v5, 0x70000000, v5
	v_add_f32_e32 v7, -0.5, v7
	v_mul_f32_e32 v5, 0x7800000, v5
	v_cmp_gt_u32_e32 vcc, s3, v3
	v_bfe_i32 v4, v4, 0, 16
	v_cndmask_b32_e32 v3, v5, v7, vcc
	s_brev_b32 s2, 1
	v_and_or_b32 v3, v4, s2, v3
	v_cvt_i32_f32_e32 v4, v3
.LBB158_1194:
	s_mov_b64 s[2:3], 0
	s_mov_b64 s[14:15], -1
.LBB158_1195:
	s_andn2_b64 vcc, exec, s[2:3]
	s_mov_b64 s[2:3], 0
	s_cbranch_vccnz .LBB158_1206
; %bb.1196:
	s_cmp_gt_i32 s21, 14
	s_cbranch_scc0 .LBB158_1199
; %bb.1197:
	s_cmp_eq_u32 s21, 15
	s_cbranch_scc0 .LBB158_1202
; %bb.1198:
	global_load_ushort v3, v[0:1], off
	s_mov_b64 s[0:1], 0
	s_mov_b64 s[14:15], -1
	s_waitcnt vmcnt(0)
	v_lshlrev_b32_e32 v3, 16, v3
	v_cvt_i32_f32_e32 v4, v3
	s_branch .LBB158_1203
.LBB158_1199:
	s_mov_b64 s[18:19], -1
                                        ; implicit-def: $vgpr4
	s_branch .LBB158_1204
.LBB158_1200:
	s_andn2_saveexec_b64 s[2:3], s[2:3]
	s_cbranch_execz .LBB158_1181
.LBB158_1201:
	v_cmp_ne_u16_e32 vcc, 0, v3
	s_andn2_b64 s[14:15], s[14:15], exec
	s_and_b64 s[18:19], vcc, exec
	s_or_b64 s[14:15], s[14:15], s[18:19]
	s_or_b64 exec, exec, s[2:3]
	v_mov_b32_e32 v4, 0
	s_and_saveexec_b64 s[2:3], s[14:15]
	s_cbranch_execnz .LBB158_1182
	s_branch .LBB158_1183
.LBB158_1202:
	s_mov_b64 s[0:1], -1
                                        ; implicit-def: $vgpr4
.LBB158_1203:
	s_mov_b64 s[18:19], 0
.LBB158_1204:
	s_and_b64 vcc, exec, s[18:19]
	s_cbranch_vccz .LBB158_1206
; %bb.1205:
	s_cmp_lg_u32 s21, 11
	s_mov_b64 s[2:3], -1
	s_cselect_b64 s[0:1], -1, 0
.LBB158_1206:
	s_and_b64 vcc, exec, s[0:1]
	s_cbranch_vccnz .LBB158_1269
; %bb.1207:
	s_andn2_b64 vcc, exec, s[2:3]
	s_cbranch_vccnz .LBB158_1209
.LBB158_1208:
	global_load_ubyte v3, v[0:1], off
	s_mov_b64 s[14:15], -1
	s_waitcnt vmcnt(0)
	v_cmp_ne_u16_e32 vcc, 0, v3
	v_cndmask_b32_e64 v4, 0, 1, vcc
.LBB158_1209:
	s_branch .LBB158_1140
.LBB158_1210:
	s_and_b32 s2, 0xffff, s20
	s_cmp_lt_i32 s2, 5
	s_cbranch_scc1 .LBB158_1215
; %bb.1211:
	s_cmp_lt_i32 s2, 8
	s_cbranch_scc1 .LBB158_1216
; %bb.1212:
	;; [unrolled: 3-line block ×3, first 2 shown]
	s_cmp_gt_i32 s2, 9
	s_cbranch_scc0 .LBB158_1218
; %bb.1214:
	global_load_dwordx2 v[3:4], v[0:1], off
	s_mov_b64 s[0:1], 0
	s_waitcnt vmcnt(0)
	v_cvt_i32_f64_e32 v4, v[3:4]
	s_branch .LBB158_1219
.LBB158_1215:
                                        ; implicit-def: $vgpr4
	s_branch .LBB158_1237
.LBB158_1216:
	s_mov_b64 s[0:1], -1
                                        ; implicit-def: $vgpr4
	s_branch .LBB158_1225
.LBB158_1217:
	s_mov_b64 s[0:1], -1
                                        ; implicit-def: $vgpr4
	s_branch .LBB158_1222
.LBB158_1218:
	s_mov_b64 s[0:1], -1
                                        ; implicit-def: $vgpr4
.LBB158_1219:
	s_andn2_b64 vcc, exec, s[0:1]
	s_cbranch_vccnz .LBB158_1221
; %bb.1220:
	global_load_dword v3, v[0:1], off
	s_waitcnt vmcnt(0)
	v_cvt_i32_f32_e32 v4, v3
.LBB158_1221:
	s_mov_b64 s[0:1], 0
.LBB158_1222:
	s_andn2_b64 vcc, exec, s[0:1]
	s_cbranch_vccnz .LBB158_1224
; %bb.1223:
	global_load_dword v3, v[0:1], off
	s_waitcnt vmcnt(0)
	v_cvt_i16_f16_e32 v4, v3
.LBB158_1224:
	s_mov_b64 s[0:1], 0
.LBB158_1225:
	s_andn2_b64 vcc, exec, s[0:1]
	s_cbranch_vccnz .LBB158_1236
; %bb.1226:
	s_cmp_lt_i32 s2, 6
	s_cbranch_scc1 .LBB158_1229
; %bb.1227:
	s_cmp_gt_i32 s2, 6
	s_cbranch_scc0 .LBB158_1230
; %bb.1228:
	global_load_dwordx2 v[3:4], v[0:1], off
	s_mov_b64 s[0:1], 0
	s_waitcnt vmcnt(0)
	v_cvt_i32_f64_e32 v4, v[3:4]
	s_branch .LBB158_1231
.LBB158_1229:
	s_mov_b64 s[0:1], -1
                                        ; implicit-def: $vgpr4
	s_branch .LBB158_1234
.LBB158_1230:
	s_mov_b64 s[0:1], -1
                                        ; implicit-def: $vgpr4
.LBB158_1231:
	s_andn2_b64 vcc, exec, s[0:1]
	s_cbranch_vccnz .LBB158_1233
; %bb.1232:
	global_load_dword v3, v[0:1], off
	s_waitcnt vmcnt(0)
	v_cvt_i32_f32_e32 v4, v3
.LBB158_1233:
	s_mov_b64 s[0:1], 0
.LBB158_1234:
	s_andn2_b64 vcc, exec, s[0:1]
	s_cbranch_vccnz .LBB158_1236
; %bb.1235:
	global_load_ushort v3, v[0:1], off
	s_waitcnt vmcnt(0)
	v_cvt_i16_f16_e32 v4, v3
.LBB158_1236:
	s_cbranch_execnz .LBB158_1256
.LBB158_1237:
	s_cmp_lt_i32 s2, 2
	s_cbranch_scc1 .LBB158_1241
; %bb.1238:
	s_cmp_lt_i32 s2, 3
	s_cbranch_scc1 .LBB158_1242
; %bb.1239:
	s_cmp_gt_i32 s2, 3
	s_cbranch_scc0 .LBB158_1243
; %bb.1240:
	global_load_dwordx2 v[4:5], v[0:1], off
	s_mov_b64 s[0:1], 0
	s_branch .LBB158_1244
.LBB158_1241:
	s_mov_b64 s[0:1], -1
                                        ; implicit-def: $vgpr4
	s_branch .LBB158_1250
.LBB158_1242:
	s_mov_b64 s[0:1], -1
                                        ; implicit-def: $vgpr4
	s_branch .LBB158_1247
.LBB158_1243:
	s_mov_b64 s[0:1], -1
                                        ; implicit-def: $vgpr4
.LBB158_1244:
	s_andn2_b64 vcc, exec, s[0:1]
	s_cbranch_vccnz .LBB158_1246
; %bb.1245:
	global_load_dword v4, v[0:1], off
.LBB158_1246:
	s_mov_b64 s[0:1], 0
.LBB158_1247:
	s_andn2_b64 vcc, exec, s[0:1]
	s_cbranch_vccnz .LBB158_1249
; %bb.1248:
	global_load_ushort v4, v[0:1], off
.LBB158_1249:
	s_mov_b64 s[0:1], 0
.LBB158_1250:
	s_andn2_b64 vcc, exec, s[0:1]
	s_cbranch_vccnz .LBB158_1256
; %bb.1251:
	s_cmp_gt_i32 s2, 0
	s_cbranch_scc0 .LBB158_1253
; %bb.1252:
	global_load_ubyte v4, v[0:1], off
	s_mov_b64 s[0:1], 0
	s_branch .LBB158_1254
.LBB158_1253:
	s_mov_b64 s[0:1], -1
                                        ; implicit-def: $vgpr4
.LBB158_1254:
	s_andn2_b64 vcc, exec, s[0:1]
	s_cbranch_vccnz .LBB158_1256
; %bb.1255:
	global_load_ubyte v4, v[0:1], off
.LBB158_1256:
.LBB158_1257:
	s_waitcnt vmcnt(0)
	v_add_u32_e32 v5, s13, v2
	v_ashrrev_i32_e32 v1, 31, v5
	v_mov_b32_e32 v2, s11
	v_add_co_u32_e32 v0, vcc, s10, v5
	s_cmp_lt_i32 s20, 11
	v_addc_co_u32_e32 v1, vcc, v2, v1, vcc
	s_cbranch_scc1 .LBB158_1264
; %bb.1258:
	s_and_b32 s21, 0xffff, s20
	s_cmp_gt_i32 s21, 25
	s_mov_b64 s[2:3], 0
	s_cbranch_scc0 .LBB158_1266
; %bb.1259:
	s_cmp_gt_i32 s21, 28
	s_cbranch_scc0 .LBB158_1267
; %bb.1260:
	s_cmp_gt_i32 s21, 43
	;; [unrolled: 3-line block ×3, first 2 shown]
	s_cbranch_scc0 .LBB158_1270
; %bb.1262:
	s_cmp_eq_u32 s21, 46
	s_mov_b64 s[18:19], 0
	s_cbranch_scc0 .LBB158_1271
; %bb.1263:
	global_load_dword v2, v[0:1], off
	s_mov_b64 s[0:1], 0
	s_mov_b64 s[14:15], -1
	s_waitcnt vmcnt(0)
	v_lshlrev_b32_e32 v2, 16, v2
	v_cvt_i32_f32_e32 v2, v2
	s_branch .LBB158_1272
.LBB158_1264:
	s_mov_b64 s[14:15], 0
                                        ; implicit-def: $vgpr2
	s_cbranch_execnz .LBB158_1334
.LBB158_1265:
	s_andn2_b64 vcc, exec, s[14:15]
	s_cbranch_vccnz .LBB158_1941
	s_branch .LBB158_1382
.LBB158_1266:
	s_mov_b64 s[18:19], -1
	s_mov_b64 s[14:15], 0
	s_mov_b64 s[0:1], 0
                                        ; implicit-def: $vgpr2
	s_branch .LBB158_1299
.LBB158_1267:
	s_mov_b64 s[18:19], -1
	s_mov_b64 s[14:15], 0
	s_mov_b64 s[0:1], 0
                                        ; implicit-def: $vgpr2
	s_branch .LBB158_1282
.LBB158_1268:
	s_mov_b64 s[18:19], -1
	s_mov_b64 s[14:15], 0
	s_mov_b64 s[0:1], 0
                                        ; implicit-def: $vgpr2
	s_branch .LBB158_1277
.LBB158_1269:
	s_trap 2
	s_or_b64 s[16:17], s[16:17], exec
	s_cbranch_execz .LBB158_1208
	s_branch .LBB158_1209
.LBB158_1270:
	s_mov_b64 s[18:19], -1
	s_mov_b64 s[14:15], 0
	s_mov_b64 s[0:1], 0
                                        ; implicit-def: $vgpr2
	s_branch .LBB158_1272
.LBB158_1271:
	s_mov_b64 s[0:1], -1
                                        ; implicit-def: $vgpr2
	s_mov_b64 s[14:15], 0
.LBB158_1272:
	s_and_b64 vcc, exec, s[18:19]
	s_cbranch_vccz .LBB158_1276
; %bb.1273:
	s_cmp_eq_u32 s21, 44
	s_cbranch_scc0 .LBB158_1275
; %bb.1274:
	global_load_ubyte v2, v[0:1], off
	s_mov_b64 s[0:1], 0
	s_mov_b64 s[14:15], -1
	s_waitcnt vmcnt(0)
	v_lshlrev_b32_e32 v3, 23, v2
	v_cvt_i32_f32_e32 v3, v3
	v_cmp_ne_u32_e32 vcc, 0, v2
	v_cndmask_b32_e32 v2, 0, v3, vcc
	s_branch .LBB158_1276
.LBB158_1275:
	s_mov_b64 s[0:1], -1
                                        ; implicit-def: $vgpr2
.LBB158_1276:
	s_mov_b64 s[18:19], 0
.LBB158_1277:
	s_and_b64 vcc, exec, s[18:19]
	s_cbranch_vccz .LBB158_1281
; %bb.1278:
	s_cmp_eq_u32 s21, 29
	s_cbranch_scc0 .LBB158_1280
; %bb.1279:
	global_load_dwordx2 v[2:3], v[0:1], off
	s_mov_b64 s[0:1], 0
	s_mov_b64 s[14:15], -1
	s_branch .LBB158_1281
.LBB158_1280:
	s_mov_b64 s[0:1], -1
                                        ; implicit-def: $vgpr2
.LBB158_1281:
	s_mov_b64 s[18:19], 0
.LBB158_1282:
	s_and_b64 vcc, exec, s[18:19]
	s_cbranch_vccz .LBB158_1298
; %bb.1283:
	s_cmp_lt_i32 s21, 27
	s_cbranch_scc1 .LBB158_1286
; %bb.1284:
	s_cmp_gt_i32 s21, 27
	s_cbranch_scc0 .LBB158_1287
; %bb.1285:
	global_load_dword v2, v[0:1], off
	s_mov_b64 s[14:15], 0
	s_branch .LBB158_1288
.LBB158_1286:
	s_mov_b64 s[14:15], -1
                                        ; implicit-def: $vgpr2
	s_branch .LBB158_1291
.LBB158_1287:
	s_mov_b64 s[14:15], -1
                                        ; implicit-def: $vgpr2
.LBB158_1288:
	s_andn2_b64 vcc, exec, s[14:15]
	s_cbranch_vccnz .LBB158_1290
; %bb.1289:
	global_load_ushort v2, v[0:1], off
.LBB158_1290:
	s_mov_b64 s[14:15], 0
.LBB158_1291:
	s_andn2_b64 vcc, exec, s[14:15]
	s_cbranch_vccnz .LBB158_1297
; %bb.1292:
	global_load_ubyte v3, v[0:1], off
	s_movk_i32 s14, 0x7f
	s_mov_b64 s[18:19], 0
	s_waitcnt vmcnt(0)
	v_cmp_lt_i16_e32 vcc, s14, v3
	s_and_saveexec_b64 s[14:15], vcc
	s_xor_b64 s[14:15], exec, s[14:15]
	s_cbranch_execz .LBB158_1309
; %bb.1293:
	s_movk_i32 s18, 0x80
	v_cmp_ne_u16_e32 vcc, s18, v3
	s_and_b64 s[18:19], vcc, exec
	s_andn2_saveexec_b64 s[14:15], s[14:15]
	s_cbranch_execnz .LBB158_1310
.LBB158_1294:
	s_or_b64 exec, exec, s[14:15]
	v_mov_b32_e32 v2, 0
	s_and_saveexec_b64 s[14:15], s[18:19]
	s_cbranch_execz .LBB158_1296
.LBB158_1295:
	v_lshlrev_b32_e32 v2, 24, v3
	v_and_b32_e32 v3, 0xffff, v3
	v_and_b32_e32 v7, 7, v3
	v_ffbh_u32_e32 v10, v7
	v_min_u32_e32 v10, 32, v10
	v_subrev_u32_e32 v11, 28, v10
	v_bfe_u32 v8, v3, 3, 4
	v_lshlrev_b32_e32 v3, v11, v3
	v_sub_u32_e32 v10, 29, v10
	v_and_b32_e32 v3, 7, v3
	v_cmp_eq_u32_e32 vcc, 0, v8
	v_cndmask_b32_e32 v8, v8, v10, vcc
	v_cndmask_b32_e32 v3, v7, v3, vcc
	v_mov_b32_e32 v7, 0x3b800000
	v_lshlrev_b32_e32 v3, 20, v3
	v_and_b32_e32 v2, 0x80000000, v2
	v_lshl_add_u32 v7, v8, 23, v7
	v_or3_b32 v2, v2, v7, v3
	v_cvt_i32_f32_e32 v2, v2
.LBB158_1296:
	s_or_b64 exec, exec, s[14:15]
.LBB158_1297:
	s_mov_b64 s[14:15], -1
.LBB158_1298:
	s_mov_b64 s[18:19], 0
.LBB158_1299:
	s_and_b64 vcc, exec, s[18:19]
	s_cbranch_vccz .LBB158_1330
; %bb.1300:
	s_cmp_gt_i32 s21, 22
	s_cbranch_scc0 .LBB158_1308
; %bb.1301:
	s_cmp_lt_i32 s21, 24
	s_cbranch_scc1 .LBB158_1311
; %bb.1302:
	s_cmp_gt_i32 s21, 24
	s_cbranch_scc0 .LBB158_1312
; %bb.1303:
	global_load_ubyte v3, v[0:1], off
	s_movk_i32 s2, 0x7f
	s_mov_b64 s[14:15], 0
	s_waitcnt vmcnt(0)
	v_cmp_lt_i16_e32 vcc, s2, v3
	s_and_saveexec_b64 s[2:3], vcc
	s_xor_b64 s[2:3], exec, s[2:3]
	s_cbranch_execz .LBB158_1324
; %bb.1304:
	s_movk_i32 s14, 0x80
	v_cmp_ne_u16_e32 vcc, s14, v3
	s_and_b64 s[14:15], vcc, exec
	s_andn2_saveexec_b64 s[2:3], s[2:3]
	s_cbranch_execnz .LBB158_1325
.LBB158_1305:
	s_or_b64 exec, exec, s[2:3]
	v_mov_b32_e32 v2, 0
	s_and_saveexec_b64 s[2:3], s[14:15]
	s_cbranch_execz .LBB158_1307
.LBB158_1306:
	v_lshlrev_b32_e32 v2, 24, v3
	v_and_b32_e32 v3, 0xffff, v3
	v_and_b32_e32 v7, 3, v3
	v_ffbh_u32_e32 v10, v7
	v_min_u32_e32 v10, 32, v10
	v_subrev_u32_e32 v11, 29, v10
	v_bfe_u32 v8, v3, 2, 5
	v_lshlrev_b32_e32 v3, v11, v3
	v_sub_u32_e32 v10, 30, v10
	v_and_b32_e32 v3, 3, v3
	v_cmp_eq_u32_e32 vcc, 0, v8
	v_cndmask_b32_e32 v8, v8, v10, vcc
	v_cndmask_b32_e32 v3, v7, v3, vcc
	v_mov_b32_e32 v7, 0x37800000
	v_lshlrev_b32_e32 v3, 21, v3
	v_and_b32_e32 v2, 0x80000000, v2
	v_lshl_add_u32 v7, v8, 23, v7
	v_or3_b32 v2, v2, v7, v3
	v_cvt_i32_f32_e32 v2, v2
.LBB158_1307:
	s_or_b64 exec, exec, s[2:3]
	s_mov_b64 s[2:3], 0
	s_branch .LBB158_1313
.LBB158_1308:
	s_mov_b64 s[2:3], -1
                                        ; implicit-def: $vgpr2
	s_branch .LBB158_1319
.LBB158_1309:
	s_andn2_saveexec_b64 s[14:15], s[14:15]
	s_cbranch_execz .LBB158_1294
.LBB158_1310:
	v_cmp_ne_u16_e32 vcc, 0, v3
	s_andn2_b64 s[18:19], s[18:19], exec
	s_and_b64 s[22:23], vcc, exec
	s_or_b64 s[18:19], s[18:19], s[22:23]
	s_or_b64 exec, exec, s[14:15]
	v_mov_b32_e32 v2, 0
	s_and_saveexec_b64 s[14:15], s[18:19]
	s_cbranch_execnz .LBB158_1295
	s_branch .LBB158_1296
.LBB158_1311:
	s_mov_b64 s[2:3], -1
                                        ; implicit-def: $vgpr2
	s_branch .LBB158_1316
.LBB158_1312:
	s_mov_b64 s[2:3], -1
                                        ; implicit-def: $vgpr2
.LBB158_1313:
	s_and_b64 vcc, exec, s[2:3]
	s_cbranch_vccz .LBB158_1315
; %bb.1314:
	global_load_ubyte v2, v[0:1], off
	s_mov_b32 s2, 0x7f800000
	s_waitcnt vmcnt(0)
	v_lshlrev_b32_e32 v2, 24, v2
	v_and_b32_e32 v3, 0x7f000000, v2
	v_ffbh_u32_e32 v7, v3
	v_min_u32_e32 v7, 32, v7
	v_sub_u32_e64 v7, v7, 4 clamp
	v_lshlrev_b32_e32 v10, v7, v3
	v_lshlrev_b32_e32 v7, 23, v7
	v_lshrrev_b32_e32 v10, 4, v10
	v_add_u32_e32 v8, 0x1000000, v3
	v_sub_u32_e32 v7, v10, v7
	v_ashrrev_i32_e32 v8, 8, v8
	v_add_u32_e32 v7, 0x3c000000, v7
	v_and_or_b32 v7, v8, s2, v7
	v_cmp_ne_u32_e32 vcc, 0, v3
	v_cndmask_b32_e32 v3, 0, v7, vcc
	s_brev_b32 s2, 1
	v_and_or_b32 v2, v2, s2, v3
	v_cvt_i32_f32_e32 v2, v2
.LBB158_1315:
	s_mov_b64 s[2:3], 0
.LBB158_1316:
	s_andn2_b64 vcc, exec, s[2:3]
	s_cbranch_vccnz .LBB158_1318
; %bb.1317:
	global_load_ubyte v2, v[0:1], off
	s_movk_i32 s2, 0x7f00
	s_brev_b32 s3, 16
	s_waitcnt vmcnt(0)
	v_lshlrev_b16_e32 v3, 8, v2
	v_lshlrev_b32_e32 v2, 25, v2
	v_lshrrev_b32_e32 v7, 4, v2
	v_and_or_b32 v8, v3, s2, 0.5
	v_or_b32_e32 v7, 0x70000000, v7
	v_add_f32_e32 v8, -0.5, v8
	v_mul_f32_e32 v7, 0x7800000, v7
	v_cmp_gt_u32_e32 vcc, s3, v2
	v_bfe_i32 v3, v3, 0, 16
	v_cndmask_b32_e32 v2, v7, v8, vcc
	s_brev_b32 s2, 1
	v_and_or_b32 v2, v3, s2, v2
	v_cvt_i32_f32_e32 v2, v2
.LBB158_1318:
	s_mov_b64 s[2:3], 0
	s_mov_b64 s[14:15], -1
.LBB158_1319:
	s_andn2_b64 vcc, exec, s[2:3]
	s_mov_b64 s[2:3], 0
	s_cbranch_vccnz .LBB158_1330
; %bb.1320:
	s_cmp_gt_i32 s21, 14
	s_cbranch_scc0 .LBB158_1323
; %bb.1321:
	s_cmp_eq_u32 s21, 15
	s_cbranch_scc0 .LBB158_1326
; %bb.1322:
	global_load_ushort v2, v[0:1], off
	s_mov_b64 s[0:1], 0
	s_mov_b64 s[14:15], -1
	s_waitcnt vmcnt(0)
	v_lshlrev_b32_e32 v2, 16, v2
	v_cvt_i32_f32_e32 v2, v2
	s_branch .LBB158_1327
.LBB158_1323:
	s_mov_b64 s[18:19], -1
                                        ; implicit-def: $vgpr2
	s_branch .LBB158_1328
.LBB158_1324:
	s_andn2_saveexec_b64 s[2:3], s[2:3]
	s_cbranch_execz .LBB158_1305
.LBB158_1325:
	v_cmp_ne_u16_e32 vcc, 0, v3
	s_andn2_b64 s[14:15], s[14:15], exec
	s_and_b64 s[18:19], vcc, exec
	s_or_b64 s[14:15], s[14:15], s[18:19]
	s_or_b64 exec, exec, s[2:3]
	v_mov_b32_e32 v2, 0
	s_and_saveexec_b64 s[2:3], s[14:15]
	s_cbranch_execnz .LBB158_1306
	s_branch .LBB158_1307
.LBB158_1326:
	s_mov_b64 s[0:1], -1
                                        ; implicit-def: $vgpr2
.LBB158_1327:
	s_mov_b64 s[18:19], 0
.LBB158_1328:
	s_and_b64 vcc, exec, s[18:19]
	s_cbranch_vccz .LBB158_1330
; %bb.1329:
	s_cmp_lg_u32 s21, 11
	s_mov_b64 s[2:3], -1
	s_cselect_b64 s[0:1], -1, 0
.LBB158_1330:
	s_and_b64 vcc, exec, s[0:1]
	s_cbranch_vccnz .LBB158_1393
; %bb.1331:
	s_andn2_b64 vcc, exec, s[2:3]
	s_cbranch_vccnz .LBB158_1333
.LBB158_1332:
	global_load_ubyte v2, v[0:1], off
	s_mov_b64 s[14:15], -1
	s_waitcnt vmcnt(0)
	v_cmp_ne_u16_e32 vcc, 0, v2
	v_cndmask_b32_e64 v2, 0, 1, vcc
.LBB158_1333:
	s_branch .LBB158_1265
.LBB158_1334:
	s_and_b32 s2, 0xffff, s20
	s_cmp_lt_i32 s2, 5
	s_cbranch_scc1 .LBB158_1339
; %bb.1335:
	s_cmp_lt_i32 s2, 8
	s_cbranch_scc1 .LBB158_1340
; %bb.1336:
	;; [unrolled: 3-line block ×3, first 2 shown]
	s_cmp_gt_i32 s2, 9
	s_cbranch_scc0 .LBB158_1342
; %bb.1338:
	global_load_dwordx2 v[2:3], v[0:1], off
	s_mov_b64 s[0:1], 0
	s_waitcnt vmcnt(0)
	v_cvt_i32_f64_e32 v2, v[2:3]
	s_branch .LBB158_1343
.LBB158_1339:
	s_mov_b64 s[0:1], -1
                                        ; implicit-def: $vgpr2
	s_branch .LBB158_1361
.LBB158_1340:
	s_mov_b64 s[0:1], -1
                                        ; implicit-def: $vgpr2
	s_branch .LBB158_1349
.LBB158_1341:
	s_mov_b64 s[0:1], -1
                                        ; implicit-def: $vgpr2
	s_branch .LBB158_1346
.LBB158_1342:
	s_mov_b64 s[0:1], -1
                                        ; implicit-def: $vgpr2
.LBB158_1343:
	s_andn2_b64 vcc, exec, s[0:1]
	s_cbranch_vccnz .LBB158_1345
; %bb.1344:
	global_load_dword v2, v[0:1], off
	s_waitcnt vmcnt(0)
	v_cvt_i32_f32_e32 v2, v2
.LBB158_1345:
	s_mov_b64 s[0:1], 0
.LBB158_1346:
	s_andn2_b64 vcc, exec, s[0:1]
	s_cbranch_vccnz .LBB158_1348
; %bb.1347:
	global_load_dword v2, v[0:1], off
	s_waitcnt vmcnt(0)
	v_cvt_i16_f16_e32 v2, v2
.LBB158_1348:
	s_mov_b64 s[0:1], 0
.LBB158_1349:
	s_andn2_b64 vcc, exec, s[0:1]
	s_cbranch_vccnz .LBB158_1360
; %bb.1350:
	s_cmp_lt_i32 s2, 6
	s_cbranch_scc1 .LBB158_1353
; %bb.1351:
	s_cmp_gt_i32 s2, 6
	s_cbranch_scc0 .LBB158_1354
; %bb.1352:
	global_load_dwordx2 v[2:3], v[0:1], off
	s_mov_b64 s[0:1], 0
	s_waitcnt vmcnt(0)
	v_cvt_i32_f64_e32 v2, v[2:3]
	s_branch .LBB158_1355
.LBB158_1353:
	s_mov_b64 s[0:1], -1
                                        ; implicit-def: $vgpr2
	s_branch .LBB158_1358
.LBB158_1354:
	s_mov_b64 s[0:1], -1
                                        ; implicit-def: $vgpr2
.LBB158_1355:
	s_andn2_b64 vcc, exec, s[0:1]
	s_cbranch_vccnz .LBB158_1357
; %bb.1356:
	global_load_dword v2, v[0:1], off
	s_waitcnt vmcnt(0)
	v_cvt_i32_f32_e32 v2, v2
.LBB158_1357:
	s_mov_b64 s[0:1], 0
.LBB158_1358:
	s_andn2_b64 vcc, exec, s[0:1]
	s_cbranch_vccnz .LBB158_1360
; %bb.1359:
	global_load_ushort v2, v[0:1], off
	s_waitcnt vmcnt(0)
	v_cvt_i16_f16_e32 v2, v2
.LBB158_1360:
	s_mov_b64 s[0:1], 0
.LBB158_1361:
	s_andn2_b64 vcc, exec, s[0:1]
	s_cbranch_vccnz .LBB158_1381
; %bb.1362:
	s_cmp_lt_i32 s2, 2
	s_cbranch_scc1 .LBB158_1366
; %bb.1363:
	s_cmp_lt_i32 s2, 3
	s_cbranch_scc1 .LBB158_1367
; %bb.1364:
	s_cmp_gt_i32 s2, 3
	s_cbranch_scc0 .LBB158_1368
; %bb.1365:
	global_load_dwordx2 v[2:3], v[0:1], off
	s_mov_b64 s[0:1], 0
	s_branch .LBB158_1369
.LBB158_1366:
	s_mov_b64 s[0:1], -1
                                        ; implicit-def: $vgpr2
	s_branch .LBB158_1375
.LBB158_1367:
	s_mov_b64 s[0:1], -1
                                        ; implicit-def: $vgpr2
	s_branch .LBB158_1372
.LBB158_1368:
	s_mov_b64 s[0:1], -1
                                        ; implicit-def: $vgpr2
.LBB158_1369:
	s_andn2_b64 vcc, exec, s[0:1]
	s_cbranch_vccnz .LBB158_1371
; %bb.1370:
	global_load_dword v2, v[0:1], off
.LBB158_1371:
	s_mov_b64 s[0:1], 0
.LBB158_1372:
	s_andn2_b64 vcc, exec, s[0:1]
	s_cbranch_vccnz .LBB158_1374
; %bb.1373:
	global_load_ushort v2, v[0:1], off
.LBB158_1374:
	s_mov_b64 s[0:1], 0
.LBB158_1375:
	s_andn2_b64 vcc, exec, s[0:1]
	s_cbranch_vccnz .LBB158_1381
; %bb.1376:
	s_cmp_gt_i32 s2, 0
	s_cbranch_scc0 .LBB158_1378
; %bb.1377:
	global_load_ubyte v2, v[0:1], off
	s_mov_b64 s[0:1], 0
	s_branch .LBB158_1379
.LBB158_1378:
	s_mov_b64 s[0:1], -1
                                        ; implicit-def: $vgpr2
.LBB158_1379:
	s_andn2_b64 vcc, exec, s[0:1]
	s_cbranch_vccnz .LBB158_1381
; %bb.1380:
	global_load_ubyte v2, v[0:1], off
.LBB158_1381:
.LBB158_1382:
	v_add_u32_e32 v0, s13, v5
	v_ashrrev_i32_e32 v1, 31, v0
	s_waitcnt vmcnt(0)
	v_mov_b32_e32 v3, s11
	v_add_co_u32_e32 v7, vcc, s10, v0
	s_cmp_lt_i32 s20, 11
	v_addc_co_u32_e32 v8, vcc, v3, v1, vcc
	s_cbranch_scc1 .LBB158_1389
; %bb.1383:
	s_and_b32 s13, 0xffff, s20
	s_cmp_gt_i32 s13, 25
	s_mov_b64 s[2:3], 0
	s_cbranch_scc0 .LBB158_1390
; %bb.1384:
	s_cmp_gt_i32 s13, 28
	s_cbranch_scc0 .LBB158_1391
; %bb.1385:
	s_cmp_gt_i32 s13, 43
	;; [unrolled: 3-line block ×3, first 2 shown]
	s_cbranch_scc0 .LBB158_1394
; %bb.1387:
	s_cmp_eq_u32 s13, 46
	s_mov_b64 s[14:15], 0
	s_cbranch_scc0 .LBB158_1395
; %bb.1388:
	global_load_dword v0, v[7:8], off
	s_mov_b64 s[0:1], 0
	s_mov_b64 s[10:11], -1
	s_waitcnt vmcnt(0)
	v_lshlrev_b32_e32 v0, 16, v0
	v_cvt_i32_f32_e32 v0, v0
	s_branch .LBB158_1396
.LBB158_1389:
	s_mov_b64 s[0:1], -1
	s_mov_b64 s[10:11], 0
                                        ; implicit-def: $vgpr0
	s_branch .LBB158_1458
.LBB158_1390:
	s_mov_b64 s[14:15], -1
	s_mov_b64 s[10:11], 0
	s_mov_b64 s[0:1], 0
                                        ; implicit-def: $vgpr0
	s_branch .LBB158_1423
.LBB158_1391:
	s_mov_b64 s[14:15], -1
	s_mov_b64 s[10:11], 0
	s_mov_b64 s[0:1], 0
                                        ; implicit-def: $vgpr0
	s_branch .LBB158_1406
.LBB158_1392:
	s_mov_b64 s[14:15], -1
	s_mov_b64 s[10:11], 0
	s_mov_b64 s[0:1], 0
                                        ; implicit-def: $vgpr0
	s_branch .LBB158_1401
.LBB158_1393:
	s_trap 2
	s_or_b64 s[16:17], s[16:17], exec
	s_cbranch_execz .LBB158_1332
	s_branch .LBB158_1333
.LBB158_1394:
	s_mov_b64 s[14:15], -1
	s_mov_b64 s[10:11], 0
	s_mov_b64 s[0:1], 0
                                        ; implicit-def: $vgpr0
	s_branch .LBB158_1396
.LBB158_1395:
	s_mov_b64 s[0:1], -1
                                        ; implicit-def: $vgpr0
	s_mov_b64 s[10:11], 0
.LBB158_1396:
	s_and_b64 vcc, exec, s[14:15]
	s_cbranch_vccz .LBB158_1400
; %bb.1397:
	s_cmp_eq_u32 s13, 44
	s_cbranch_scc0 .LBB158_1399
; %bb.1398:
	global_load_ubyte v0, v[7:8], off
	s_mov_b64 s[0:1], 0
	s_mov_b64 s[10:11], -1
	s_waitcnt vmcnt(0)
	v_lshlrev_b32_e32 v1, 23, v0
	v_cvt_i32_f32_e32 v1, v1
	v_cmp_ne_u32_e32 vcc, 0, v0
	v_cndmask_b32_e32 v0, 0, v1, vcc
	s_branch .LBB158_1400
.LBB158_1399:
	s_mov_b64 s[0:1], -1
                                        ; implicit-def: $vgpr0
.LBB158_1400:
	s_mov_b64 s[14:15], 0
.LBB158_1401:
	s_and_b64 vcc, exec, s[14:15]
	s_cbranch_vccz .LBB158_1405
; %bb.1402:
	s_cmp_eq_u32 s13, 29
	s_cbranch_scc0 .LBB158_1404
; %bb.1403:
	global_load_dwordx2 v[0:1], v[7:8], off
	s_mov_b64 s[0:1], 0
	s_mov_b64 s[10:11], -1
	s_branch .LBB158_1405
.LBB158_1404:
	s_mov_b64 s[0:1], -1
                                        ; implicit-def: $vgpr0
.LBB158_1405:
	s_mov_b64 s[14:15], 0
.LBB158_1406:
	s_and_b64 vcc, exec, s[14:15]
	s_cbranch_vccz .LBB158_1422
; %bb.1407:
	s_cmp_lt_i32 s13, 27
	s_cbranch_scc1 .LBB158_1410
; %bb.1408:
	s_cmp_gt_i32 s13, 27
	s_cbranch_scc0 .LBB158_1411
; %bb.1409:
	global_load_dword v0, v[7:8], off
	s_mov_b64 s[10:11], 0
	s_branch .LBB158_1412
.LBB158_1410:
	s_mov_b64 s[10:11], -1
                                        ; implicit-def: $vgpr0
	s_branch .LBB158_1415
.LBB158_1411:
	s_mov_b64 s[10:11], -1
                                        ; implicit-def: $vgpr0
.LBB158_1412:
	s_andn2_b64 vcc, exec, s[10:11]
	s_cbranch_vccnz .LBB158_1414
; %bb.1413:
	global_load_ushort v0, v[7:8], off
.LBB158_1414:
	s_mov_b64 s[10:11], 0
.LBB158_1415:
	s_andn2_b64 vcc, exec, s[10:11]
	s_cbranch_vccnz .LBB158_1421
; %bb.1416:
	global_load_ubyte v1, v[7:8], off
	s_movk_i32 s10, 0x7f
	s_mov_b64 s[14:15], 0
	s_waitcnt vmcnt(0)
	v_cmp_lt_i16_e32 vcc, s10, v1
	s_and_saveexec_b64 s[10:11], vcc
	s_xor_b64 s[10:11], exec, s[10:11]
	s_cbranch_execz .LBB158_1433
; %bb.1417:
	s_movk_i32 s14, 0x80
	v_cmp_ne_u16_e32 vcc, s14, v1
	s_and_b64 s[14:15], vcc, exec
	s_andn2_saveexec_b64 s[10:11], s[10:11]
	s_cbranch_execnz .LBB158_1434
.LBB158_1418:
	s_or_b64 exec, exec, s[10:11]
	v_mov_b32_e32 v0, 0
	s_and_saveexec_b64 s[10:11], s[14:15]
	s_cbranch_execz .LBB158_1420
.LBB158_1419:
	v_lshlrev_b32_e32 v0, 24, v1
	v_and_b32_e32 v1, 0xffff, v1
	v_and_b32_e32 v3, 7, v1
	v_ffbh_u32_e32 v10, v3
	v_min_u32_e32 v10, 32, v10
	v_subrev_u32_e32 v11, 28, v10
	v_bfe_u32 v5, v1, 3, 4
	v_lshlrev_b32_e32 v1, v11, v1
	v_sub_u32_e32 v10, 29, v10
	v_and_b32_e32 v1, 7, v1
	v_cmp_eq_u32_e32 vcc, 0, v5
	v_cndmask_b32_e32 v5, v5, v10, vcc
	v_cndmask_b32_e32 v1, v3, v1, vcc
	v_mov_b32_e32 v3, 0x3b800000
	v_lshlrev_b32_e32 v1, 20, v1
	v_and_b32_e32 v0, 0x80000000, v0
	v_lshl_add_u32 v3, v5, 23, v3
	v_or3_b32 v0, v0, v3, v1
	v_cvt_i32_f32_e32 v0, v0
.LBB158_1420:
	s_or_b64 exec, exec, s[10:11]
.LBB158_1421:
	s_mov_b64 s[10:11], -1
.LBB158_1422:
	s_mov_b64 s[14:15], 0
.LBB158_1423:
	s_and_b64 vcc, exec, s[14:15]
	s_cbranch_vccz .LBB158_1454
; %bb.1424:
	s_cmp_gt_i32 s13, 22
	s_cbranch_scc0 .LBB158_1432
; %bb.1425:
	s_cmp_lt_i32 s13, 24
	s_cbranch_scc1 .LBB158_1435
; %bb.1426:
	s_cmp_gt_i32 s13, 24
	s_cbranch_scc0 .LBB158_1436
; %bb.1427:
	global_load_ubyte v1, v[7:8], off
	s_movk_i32 s2, 0x7f
	s_mov_b64 s[10:11], 0
	s_waitcnt vmcnt(0)
	v_cmp_lt_i16_e32 vcc, s2, v1
	s_and_saveexec_b64 s[2:3], vcc
	s_xor_b64 s[2:3], exec, s[2:3]
	s_cbranch_execz .LBB158_1448
; %bb.1428:
	s_movk_i32 s10, 0x80
	v_cmp_ne_u16_e32 vcc, s10, v1
	s_and_b64 s[10:11], vcc, exec
	s_andn2_saveexec_b64 s[2:3], s[2:3]
	s_cbranch_execnz .LBB158_1449
.LBB158_1429:
	s_or_b64 exec, exec, s[2:3]
	v_mov_b32_e32 v0, 0
	s_and_saveexec_b64 s[2:3], s[10:11]
	s_cbranch_execz .LBB158_1431
.LBB158_1430:
	v_lshlrev_b32_e32 v0, 24, v1
	v_and_b32_e32 v1, 0xffff, v1
	v_and_b32_e32 v3, 3, v1
	v_ffbh_u32_e32 v10, v3
	v_min_u32_e32 v10, 32, v10
	v_subrev_u32_e32 v11, 29, v10
	v_bfe_u32 v5, v1, 2, 5
	v_lshlrev_b32_e32 v1, v11, v1
	v_sub_u32_e32 v10, 30, v10
	v_and_b32_e32 v1, 3, v1
	v_cmp_eq_u32_e32 vcc, 0, v5
	v_cndmask_b32_e32 v5, v5, v10, vcc
	v_cndmask_b32_e32 v1, v3, v1, vcc
	v_mov_b32_e32 v3, 0x37800000
	v_lshlrev_b32_e32 v1, 21, v1
	v_and_b32_e32 v0, 0x80000000, v0
	v_lshl_add_u32 v3, v5, 23, v3
	v_or3_b32 v0, v0, v3, v1
	v_cvt_i32_f32_e32 v0, v0
.LBB158_1431:
	s_or_b64 exec, exec, s[2:3]
	s_mov_b64 s[2:3], 0
	s_branch .LBB158_1437
.LBB158_1432:
	s_mov_b64 s[2:3], -1
                                        ; implicit-def: $vgpr0
	s_branch .LBB158_1443
.LBB158_1433:
	s_andn2_saveexec_b64 s[10:11], s[10:11]
	s_cbranch_execz .LBB158_1418
.LBB158_1434:
	v_cmp_ne_u16_e32 vcc, 0, v1
	s_andn2_b64 s[14:15], s[14:15], exec
	s_and_b64 s[18:19], vcc, exec
	s_or_b64 s[14:15], s[14:15], s[18:19]
	s_or_b64 exec, exec, s[10:11]
	v_mov_b32_e32 v0, 0
	s_and_saveexec_b64 s[10:11], s[14:15]
	s_cbranch_execnz .LBB158_1419
	s_branch .LBB158_1420
.LBB158_1435:
	s_mov_b64 s[2:3], -1
                                        ; implicit-def: $vgpr0
	s_branch .LBB158_1440
.LBB158_1436:
	s_mov_b64 s[2:3], -1
                                        ; implicit-def: $vgpr0
.LBB158_1437:
	s_and_b64 vcc, exec, s[2:3]
	s_cbranch_vccz .LBB158_1439
; %bb.1438:
	global_load_ubyte v0, v[7:8], off
	s_mov_b32 s2, 0x7f800000
	s_waitcnt vmcnt(0)
	v_lshlrev_b32_e32 v0, 24, v0
	v_and_b32_e32 v1, 0x7f000000, v0
	v_ffbh_u32_e32 v3, v1
	v_min_u32_e32 v3, 32, v3
	v_sub_u32_e64 v3, v3, 4 clamp
	v_lshlrev_b32_e32 v10, v3, v1
	v_lshlrev_b32_e32 v3, 23, v3
	v_lshrrev_b32_e32 v10, 4, v10
	v_add_u32_e32 v5, 0x1000000, v1
	v_sub_u32_e32 v3, v10, v3
	v_ashrrev_i32_e32 v5, 8, v5
	v_add_u32_e32 v3, 0x3c000000, v3
	v_and_or_b32 v3, v5, s2, v3
	v_cmp_ne_u32_e32 vcc, 0, v1
	v_cndmask_b32_e32 v1, 0, v3, vcc
	s_brev_b32 s2, 1
	v_and_or_b32 v0, v0, s2, v1
	v_cvt_i32_f32_e32 v0, v0
.LBB158_1439:
	s_mov_b64 s[2:3], 0
.LBB158_1440:
	s_andn2_b64 vcc, exec, s[2:3]
	s_cbranch_vccnz .LBB158_1442
; %bb.1441:
	global_load_ubyte v0, v[7:8], off
	s_movk_i32 s2, 0x7f00
	s_brev_b32 s3, 16
	s_waitcnt vmcnt(0)
	v_lshlrev_b16_e32 v1, 8, v0
	v_lshlrev_b32_e32 v0, 25, v0
	v_lshrrev_b32_e32 v3, 4, v0
	v_and_or_b32 v5, v1, s2, 0.5
	v_or_b32_e32 v3, 0x70000000, v3
	v_add_f32_e32 v5, -0.5, v5
	v_mul_f32_e32 v3, 0x7800000, v3
	v_cmp_gt_u32_e32 vcc, s3, v0
	v_bfe_i32 v1, v1, 0, 16
	v_cndmask_b32_e32 v0, v3, v5, vcc
	s_brev_b32 s2, 1
	v_and_or_b32 v0, v1, s2, v0
	v_cvt_i32_f32_e32 v0, v0
.LBB158_1442:
	s_mov_b64 s[2:3], 0
	s_mov_b64 s[10:11], -1
.LBB158_1443:
	s_andn2_b64 vcc, exec, s[2:3]
	s_mov_b64 s[2:3], 0
	s_cbranch_vccnz .LBB158_1454
; %bb.1444:
	s_cmp_gt_i32 s13, 14
	s_cbranch_scc0 .LBB158_1447
; %bb.1445:
	s_cmp_eq_u32 s13, 15
	s_cbranch_scc0 .LBB158_1450
; %bb.1446:
	global_load_ushort v0, v[7:8], off
	s_mov_b64 s[0:1], 0
	s_mov_b64 s[10:11], -1
	s_waitcnt vmcnt(0)
	v_lshlrev_b32_e32 v0, 16, v0
	v_cvt_i32_f32_e32 v0, v0
	s_branch .LBB158_1451
.LBB158_1447:
	s_mov_b64 s[14:15], -1
                                        ; implicit-def: $vgpr0
	s_branch .LBB158_1452
.LBB158_1448:
	s_andn2_saveexec_b64 s[2:3], s[2:3]
	s_cbranch_execz .LBB158_1429
.LBB158_1449:
	v_cmp_ne_u16_e32 vcc, 0, v1
	s_andn2_b64 s[10:11], s[10:11], exec
	s_and_b64 s[14:15], vcc, exec
	s_or_b64 s[10:11], s[10:11], s[14:15]
	s_or_b64 exec, exec, s[2:3]
	v_mov_b32_e32 v0, 0
	s_and_saveexec_b64 s[2:3], s[10:11]
	s_cbranch_execnz .LBB158_1430
	s_branch .LBB158_1431
.LBB158_1450:
	s_mov_b64 s[0:1], -1
                                        ; implicit-def: $vgpr0
.LBB158_1451:
	s_mov_b64 s[14:15], 0
.LBB158_1452:
	s_and_b64 vcc, exec, s[14:15]
	s_cbranch_vccz .LBB158_1454
; %bb.1453:
	s_cmp_lg_u32 s13, 11
	s_mov_b64 s[2:3], -1
	s_cselect_b64 s[0:1], -1, 0
.LBB158_1454:
	s_and_b64 vcc, exec, s[0:1]
	s_cbranch_vccnz .LBB158_1987
; %bb.1455:
	s_andn2_b64 vcc, exec, s[2:3]
	s_cbranch_vccnz .LBB158_1457
.LBB158_1456:
	global_load_ubyte v0, v[7:8], off
	s_mov_b64 s[10:11], -1
	s_waitcnt vmcnt(0)
	v_cmp_ne_u16_e32 vcc, 0, v0
	v_cndmask_b32_e64 v0, 0, 1, vcc
.LBB158_1457:
	s_mov_b64 s[0:1], 0
.LBB158_1458:
	s_and_b64 vcc, exec, s[0:1]
	s_cbranch_vccz .LBB158_1507
; %bb.1459:
	s_and_b32 s2, 0xffff, s20
	s_cmp_lt_i32 s2, 5
	s_cbranch_scc1 .LBB158_1464
; %bb.1460:
	s_cmp_lt_i32 s2, 8
	s_cbranch_scc1 .LBB158_1465
; %bb.1461:
	;; [unrolled: 3-line block ×3, first 2 shown]
	s_cmp_gt_i32 s2, 9
	s_cbranch_scc0 .LBB158_1467
; %bb.1463:
	global_load_dwordx2 v[0:1], v[7:8], off
	s_mov_b64 s[0:1], 0
	s_waitcnt vmcnt(0)
	v_cvt_i32_f64_e32 v0, v[0:1]
	s_branch .LBB158_1468
.LBB158_1464:
	s_mov_b64 s[0:1], -1
                                        ; implicit-def: $vgpr0
	s_branch .LBB158_1486
.LBB158_1465:
	s_mov_b64 s[0:1], -1
                                        ; implicit-def: $vgpr0
	s_branch .LBB158_1474
.LBB158_1466:
	s_mov_b64 s[0:1], -1
                                        ; implicit-def: $vgpr0
	s_branch .LBB158_1471
.LBB158_1467:
	s_mov_b64 s[0:1], -1
                                        ; implicit-def: $vgpr0
.LBB158_1468:
	s_andn2_b64 vcc, exec, s[0:1]
	s_cbranch_vccnz .LBB158_1470
; %bb.1469:
	global_load_dword v0, v[7:8], off
	s_waitcnt vmcnt(0)
	v_cvt_i32_f32_e32 v0, v0
.LBB158_1470:
	s_mov_b64 s[0:1], 0
.LBB158_1471:
	s_andn2_b64 vcc, exec, s[0:1]
	s_cbranch_vccnz .LBB158_1473
; %bb.1472:
	global_load_dword v0, v[7:8], off
	s_waitcnt vmcnt(0)
	v_cvt_i16_f16_e32 v0, v0
.LBB158_1473:
	s_mov_b64 s[0:1], 0
.LBB158_1474:
	s_andn2_b64 vcc, exec, s[0:1]
	s_cbranch_vccnz .LBB158_1485
; %bb.1475:
	s_cmp_lt_i32 s2, 6
	s_cbranch_scc1 .LBB158_1478
; %bb.1476:
	s_cmp_gt_i32 s2, 6
	s_cbranch_scc0 .LBB158_1479
; %bb.1477:
	global_load_dwordx2 v[0:1], v[7:8], off
	s_mov_b64 s[0:1], 0
	s_waitcnt vmcnt(0)
	v_cvt_i32_f64_e32 v0, v[0:1]
	s_branch .LBB158_1480
.LBB158_1478:
	s_mov_b64 s[0:1], -1
                                        ; implicit-def: $vgpr0
	s_branch .LBB158_1483
.LBB158_1479:
	s_mov_b64 s[0:1], -1
                                        ; implicit-def: $vgpr0
.LBB158_1480:
	s_andn2_b64 vcc, exec, s[0:1]
	s_cbranch_vccnz .LBB158_1482
; %bb.1481:
	global_load_dword v0, v[7:8], off
	s_waitcnt vmcnt(0)
	v_cvt_i32_f32_e32 v0, v0
.LBB158_1482:
	s_mov_b64 s[0:1], 0
.LBB158_1483:
	s_andn2_b64 vcc, exec, s[0:1]
	s_cbranch_vccnz .LBB158_1485
; %bb.1484:
	global_load_ushort v0, v[7:8], off
	s_waitcnt vmcnt(0)
	v_cvt_i16_f16_e32 v0, v0
.LBB158_1485:
	s_mov_b64 s[0:1], 0
.LBB158_1486:
	s_andn2_b64 vcc, exec, s[0:1]
	s_cbranch_vccnz .LBB158_1506
; %bb.1487:
	s_cmp_lt_i32 s2, 2
	s_cbranch_scc1 .LBB158_1491
; %bb.1488:
	s_cmp_lt_i32 s2, 3
	s_cbranch_scc1 .LBB158_1492
; %bb.1489:
	s_cmp_gt_i32 s2, 3
	s_cbranch_scc0 .LBB158_1493
; %bb.1490:
	global_load_dwordx2 v[0:1], v[7:8], off
	s_mov_b64 s[0:1], 0
	s_branch .LBB158_1494
.LBB158_1491:
	s_mov_b64 s[0:1], -1
                                        ; implicit-def: $vgpr0
	s_branch .LBB158_1500
.LBB158_1492:
	s_mov_b64 s[0:1], -1
                                        ; implicit-def: $vgpr0
	s_branch .LBB158_1497
.LBB158_1493:
	s_mov_b64 s[0:1], -1
                                        ; implicit-def: $vgpr0
.LBB158_1494:
	s_andn2_b64 vcc, exec, s[0:1]
	s_cbranch_vccnz .LBB158_1496
; %bb.1495:
	global_load_dword v0, v[7:8], off
.LBB158_1496:
	s_mov_b64 s[0:1], 0
.LBB158_1497:
	s_andn2_b64 vcc, exec, s[0:1]
	s_cbranch_vccnz .LBB158_1499
; %bb.1498:
	global_load_ushort v0, v[7:8], off
.LBB158_1499:
	s_mov_b64 s[0:1], 0
.LBB158_1500:
	s_andn2_b64 vcc, exec, s[0:1]
	s_cbranch_vccnz .LBB158_1506
; %bb.1501:
	s_cmp_gt_i32 s2, 0
	s_cbranch_scc0 .LBB158_1503
; %bb.1502:
	global_load_ubyte v0, v[7:8], off
	s_mov_b64 s[0:1], 0
	s_branch .LBB158_1504
.LBB158_1503:
	s_mov_b64 s[0:1], -1
                                        ; implicit-def: $vgpr0
.LBB158_1504:
	s_andn2_b64 vcc, exec, s[0:1]
	s_cbranch_vccnz .LBB158_1506
; %bb.1505:
	global_load_ubyte v0, v[7:8], off
.LBB158_1506:
	s_mov_b64 s[10:11], -1
.LBB158_1507:
	s_andn2_b64 vcc, exec, s[10:11]
	s_cbranch_vccnz .LBB158_1941
; %bb.1508:
	s_waitcnt vmcnt(0)
	v_mov_b32_e32 v1, 7
	v_ashrrev_i16_sdwa v3, v1, sext(v6) dst_sel:DWORD dst_unused:UNUSED_PAD src0_sel:DWORD src1_sel:BYTE_0
	v_mul_lo_u32 v1, s12, v9
	s_and_b32 s23, s44, 0xff
	s_cmp_gt_u32 s23, 6
	v_ashrrev_i32_sdwa v5, s44, sext(v6) dst_sel:DWORD dst_unused:UNUSED_PAD src0_sel:DWORD src1_sel:BYTE_0
	s_cselect_b64 s[0:1], -1, 0
	v_cndmask_b32_e64 v3, v5, v3, s[0:1]
	v_ashrrev_i32_e32 v6, 31, v1
	v_mov_b32_e32 v7, s9
	s_and_b32 s22, s33, 0xff
	v_add_co_u32_e32 v5, vcc, s8, v1
	s_cmp_lt_i32 s22, 11
	v_addc_co_u32_e32 v6, vcc, v7, v6, vcc
	s_cbranch_scc1 .LBB158_1586
; %bb.1509:
	s_and_b32 s13, 0xffff, s22
	s_mov_b64 s[18:19], -1
	s_mov_b64 s[10:11], 0
	s_cmp_gt_i32 s13, 25
	s_mov_b64 s[14:15], 0
	s_mov_b64 s[2:3], 0
	s_cbranch_scc0 .LBB158_1542
; %bb.1510:
	s_cmp_gt_i32 s13, 28
	s_cbranch_scc0 .LBB158_1525
; %bb.1511:
	s_cmp_gt_i32 s13, 43
	;; [unrolled: 3-line block ×3, first 2 shown]
	s_cbranch_scc0 .LBB158_1515
; %bb.1513:
	s_mov_b64 s[2:3], -1
	s_mov_b64 s[18:19], 0
	s_cmp_eq_u32 s13, 46
	s_cbranch_scc0 .LBB158_1515
; %bb.1514:
	v_cvt_f32_i32_sdwa v7, sext(v3) dst_sel:DWORD dst_unused:UNUSED_PAD src0_sel:WORD_0
	s_movk_i32 s14, 0x7fff
	s_mov_b64 s[2:3], 0
	v_bfe_u32 v8, v7, 16, 1
	v_add3_u32 v7, v7, v8, s14
	v_lshrrev_b32_e32 v7, 16, v7
	global_store_dword v[5:6], v7, off
	s_mov_b64 s[14:15], -1
.LBB158_1515:
	s_and_b64 vcc, exec, s[18:19]
	s_cbranch_vccz .LBB158_1520
; %bb.1516:
	s_cmp_eq_u32 s13, 44
	s_mov_b64 s[2:3], -1
	s_cbranch_scc0 .LBB158_1520
; %bb.1517:
	v_cvt_f32_i32_sdwa v7, sext(v3) dst_sel:DWORD dst_unused:UNUSED_PAD src0_sel:WORD_0
	s_movk_i32 s2, 0xff
	v_mov_b32_e32 v9, 0xff
	v_bfe_u32 v8, v7, 23, 8
	v_cmp_ne_u32_e32 vcc, s2, v8
	s_and_saveexec_b64 s[14:15], vcc
; %bb.1518:
	s_mov_b32 s2, 0x3fffff
	v_lshrrev_b32_e32 v9, 23, v7
	v_and_b32_e32 v10, 0x400000, v7
	v_and_or_b32 v7, v7, s2, v8
	v_cmp_ne_u32_e32 vcc, 0, v10
	v_cmp_ne_u32_e64 s[2:3], 0, v7
	s_and_b64 s[2:3], vcc, s[2:3]
	v_cndmask_b32_e64 v7, 0, 1, s[2:3]
	v_add_u32_e32 v9, v9, v7
; %bb.1519:
	s_or_b64 exec, exec, s[14:15]
	s_mov_b64 s[2:3], 0
	s_mov_b64 s[14:15], -1
	global_store_byte v[5:6], v9, off
.LBB158_1520:
	s_mov_b64 s[18:19], 0
.LBB158_1521:
	s_and_b64 vcc, exec, s[18:19]
	s_cbranch_vccz .LBB158_1524
; %bb.1522:
	s_cmp_eq_u32 s13, 29
	s_mov_b64 s[2:3], -1
	s_cbranch_scc0 .LBB158_1524
; %bb.1523:
	v_bfe_i32 v7, v3, 0, 16
	v_ashrrev_i32_e32 v8, 31, v7
	global_store_dwordx2 v[5:6], v[7:8], off
	s_mov_b64 s[2:3], 0
	s_mov_b64 s[14:15], -1
.LBB158_1524:
	s_mov_b64 s[18:19], 0
.LBB158_1525:
	s_and_b64 vcc, exec, s[18:19]
	s_cbranch_vccz .LBB158_1541
; %bb.1526:
	s_cmp_lt_i32 s13, 27
	s_mov_b64 s[14:15], -1
	s_cbranch_scc1 .LBB158_1532
; %bb.1527:
	s_cmp_gt_i32 s13, 27
	s_cbranch_scc0 .LBB158_1529
; %bb.1528:
	v_bfe_i32 v7, v3, 0, 16
	s_mov_b64 s[14:15], 0
	global_store_dword v[5:6], v7, off
.LBB158_1529:
	s_andn2_b64 vcc, exec, s[14:15]
	s_cbranch_vccnz .LBB158_1531
; %bb.1530:
	global_store_short v[5:6], v3, off
.LBB158_1531:
	s_mov_b64 s[14:15], 0
.LBB158_1532:
	s_andn2_b64 vcc, exec, s[14:15]
	s_cbranch_vccnz .LBB158_1540
; %bb.1533:
	v_cvt_f32_i32_sdwa v7, sext(v3) dst_sel:DWORD dst_unused:UNUSED_PAD src0_sel:WORD_0
	s_mov_b32 s14, 0x43800000
	v_mov_b32_e32 v9, 0x80
	v_and_b32_e32 v8, 0x7fffffff, v7
	v_cmp_gt_u32_e32 vcc, s14, v8
	s_and_saveexec_b64 s[14:15], vcc
	s_cbranch_execz .LBB158_1539
; %bb.1534:
	s_mov_b32 s18, 0x3bffffff
	v_cmp_lt_u32_e32 vcc, s18, v8
	s_mov_b64 s[18:19], 0
                                        ; implicit-def: $vgpr8
	s_and_saveexec_b64 s[20:21], vcc
	s_xor_b64 s[20:21], exec, s[20:21]
	s_cbranch_execz .LBB158_1988
; %bb.1535:
	v_bfe_u32 v8, v7, 20, 1
	s_mov_b32 s24, 0x487ffff
	v_add3_u32 v8, v7, v8, s24
	s_mov_b64 s[18:19], exec
	v_lshrrev_b32_e32 v8, 20, v8
	s_andn2_saveexec_b64 s[20:21], s[20:21]
	s_cbranch_execnz .LBB158_1989
.LBB158_1536:
	s_or_b64 exec, exec, s[20:21]
	v_mov_b32_e32 v9, 0
	s_and_saveexec_b64 s[20:21], s[18:19]
.LBB158_1537:
	v_lshrrev_b32_e32 v7, 24, v7
	s_movk_i32 s18, 0x80
	v_and_or_b32 v9, v7, s18, v8
.LBB158_1538:
	s_or_b64 exec, exec, s[20:21]
.LBB158_1539:
	s_or_b64 exec, exec, s[14:15]
	global_store_byte v[5:6], v9, off
.LBB158_1540:
	s_mov_b64 s[14:15], -1
.LBB158_1541:
	s_mov_b64 s[18:19], 0
.LBB158_1542:
	s_and_b64 vcc, exec, s[18:19]
	s_cbranch_vccz .LBB158_1582
; %bb.1543:
	s_cmp_gt_i32 s13, 22
	s_mov_b64 s[10:11], -1
	s_cbranch_scc0 .LBB158_1575
; %bb.1544:
	s_cmp_lt_i32 s13, 24
	s_cbranch_scc1 .LBB158_1564
; %bb.1545:
	s_cmp_gt_i32 s13, 24
	s_cbranch_scc0 .LBB158_1553
; %bb.1546:
	v_cvt_f32_i32_sdwa v7, sext(v3) dst_sel:DWORD dst_unused:UNUSED_PAD src0_sel:WORD_0
	s_mov_b32 s10, 0x47800000
	v_mov_b32_e32 v9, 0x80
	v_and_b32_e32 v8, 0x7fffffff, v7
	v_cmp_gt_u32_e32 vcc, s10, v8
	s_and_saveexec_b64 s[10:11], vcc
	s_cbranch_execz .LBB158_1552
; %bb.1547:
	s_mov_b32 s14, 0x37ffffff
	v_cmp_lt_u32_e32 vcc, s14, v8
	s_mov_b64 s[14:15], 0
                                        ; implicit-def: $vgpr8
	s_and_saveexec_b64 s[18:19], vcc
	s_xor_b64 s[18:19], exec, s[18:19]
	s_cbranch_execz .LBB158_1991
; %bb.1548:
	v_bfe_u32 v8, v7, 21, 1
	s_mov_b32 s20, 0x88fffff
	v_add3_u32 v8, v7, v8, s20
	s_mov_b64 s[14:15], exec
	v_lshrrev_b32_e32 v8, 21, v8
	s_andn2_saveexec_b64 s[18:19], s[18:19]
	s_cbranch_execnz .LBB158_1992
.LBB158_1549:
	s_or_b64 exec, exec, s[18:19]
	v_mov_b32_e32 v9, 0
	s_and_saveexec_b64 s[18:19], s[14:15]
.LBB158_1550:
	v_lshrrev_b32_e32 v7, 24, v7
	s_movk_i32 s14, 0x80
	v_and_or_b32 v9, v7, s14, v8
.LBB158_1551:
	s_or_b64 exec, exec, s[18:19]
.LBB158_1552:
	s_or_b64 exec, exec, s[10:11]
	s_mov_b64 s[10:11], 0
	global_store_byte v[5:6], v9, off
.LBB158_1553:
	s_and_b64 vcc, exec, s[10:11]
	s_cbranch_vccz .LBB158_1563
; %bb.1554:
	v_cvt_f32_i32_sdwa v7, sext(v3) dst_sel:DWORD dst_unused:UNUSED_PAD src0_sel:WORD_0
	s_mov_b32 s10, 0x43f00000
                                        ; implicit-def: $vgpr8
	v_and_b32_e32 v9, 0x7fffffff, v7
	v_cmp_gt_u32_e32 vcc, s10, v9
	s_and_saveexec_b64 s[10:11], vcc
	s_xor_b64 s[10:11], exec, s[10:11]
	s_cbranch_execz .LBB158_1560
; %bb.1555:
	s_mov_b32 s14, 0x3c7fffff
	v_cmp_lt_u32_e32 vcc, s14, v9
                                        ; implicit-def: $vgpr8
	s_and_saveexec_b64 s[14:15], vcc
	s_xor_b64 s[14:15], exec, s[14:15]
; %bb.1556:
	v_bfe_u32 v8, v7, 20, 1
	s_mov_b32 s18, 0x407ffff
	v_add3_u32 v8, v7, v8, s18
	v_lshrrev_b32_e32 v9, 20, v8
	v_and_b32_e32 v8, 0xff00000, v8
	s_mov_b32 s18, 0x7f00000
	v_mov_b32_e32 v10, 0x7e
	v_cmp_ne_u32_e32 vcc, s18, v8
	v_cndmask_b32_e32 v8, v10, v9, vcc
; %bb.1557:
	s_andn2_saveexec_b64 s[14:15], s[14:15]
; %bb.1558:
	s_mov_b32 s18, 0x46800000
	v_add_f32_e64 v8, |v7|, s18
; %bb.1559:
	s_or_b64 exec, exec, s[14:15]
                                        ; implicit-def: $vgpr9
.LBB158_1560:
	s_andn2_saveexec_b64 s[10:11], s[10:11]
; %bb.1561:
	s_mov_b32 s14, 0x7f800000
	v_mov_b32_e32 v8, 0x7e
	v_mov_b32_e32 v10, 0x7f
	v_cmp_lt_u32_e32 vcc, s14, v9
	v_cndmask_b32_e32 v8, v8, v10, vcc
; %bb.1562:
	s_or_b64 exec, exec, s[10:11]
	v_lshrrev_b32_e32 v7, 24, v7
	s_movk_i32 s10, 0x80
	v_and_or_b32 v7, v7, s10, v8
	global_store_byte v[5:6], v7, off
.LBB158_1563:
	s_mov_b64 s[10:11], 0
.LBB158_1564:
	s_andn2_b64 vcc, exec, s[10:11]
	s_cbranch_vccnz .LBB158_1574
; %bb.1565:
	v_cvt_f32_i32_sdwa v7, sext(v3) dst_sel:DWORD dst_unused:UNUSED_PAD src0_sel:WORD_0
	s_mov_b32 s10, 0x47800000
                                        ; implicit-def: $vgpr8
	v_and_b32_e32 v9, 0x7fffffff, v7
	v_cmp_gt_u32_e32 vcc, s10, v9
	s_and_saveexec_b64 s[10:11], vcc
	s_xor_b64 s[10:11], exec, s[10:11]
	s_cbranch_execz .LBB158_1571
; %bb.1566:
	s_mov_b32 s14, 0x387fffff
	v_cmp_lt_u32_e32 vcc, s14, v9
                                        ; implicit-def: $vgpr8
	s_and_saveexec_b64 s[14:15], vcc
	s_xor_b64 s[14:15], exec, s[14:15]
; %bb.1567:
	v_bfe_u32 v8, v7, 21, 1
	s_mov_b32 s18, 0x80fffff
	v_add3_u32 v8, v7, v8, s18
	v_lshrrev_b32_e32 v8, 21, v8
; %bb.1568:
	s_andn2_saveexec_b64 s[14:15], s[14:15]
; %bb.1569:
	s_mov_b32 s18, 0x43000000
	v_add_f32_e64 v8, |v7|, s18
; %bb.1570:
	s_or_b64 exec, exec, s[14:15]
                                        ; implicit-def: $vgpr9
.LBB158_1571:
	s_andn2_saveexec_b64 s[10:11], s[10:11]
; %bb.1572:
	s_mov_b32 s14, 0x7f800000
	v_mov_b32_e32 v8, 0x7c
	v_mov_b32_e32 v10, 0x7f
	v_cmp_lt_u32_e32 vcc, s14, v9
	v_cndmask_b32_e32 v8, v8, v10, vcc
; %bb.1573:
	s_or_b64 exec, exec, s[10:11]
	v_lshrrev_b32_e32 v7, 24, v7
	s_movk_i32 s10, 0x80
	v_and_or_b32 v7, v7, s10, v8
	global_store_byte v[5:6], v7, off
.LBB158_1574:
	s_mov_b64 s[10:11], 0
	s_mov_b64 s[14:15], -1
.LBB158_1575:
	s_andn2_b64 vcc, exec, s[10:11]
	s_mov_b64 s[10:11], 0
	s_cbranch_vccnz .LBB158_1582
; %bb.1576:
	s_cmp_gt_i32 s13, 14
	s_mov_b64 s[18:19], -1
	s_cbranch_scc0 .LBB158_1580
; %bb.1577:
	s_cmp_eq_u32 s13, 15
	s_mov_b64 s[2:3], -1
	s_cbranch_scc0 .LBB158_1579
; %bb.1578:
	v_cvt_f32_i32_sdwa v7, sext(v3) dst_sel:DWORD dst_unused:UNUSED_PAD src0_sel:WORD_0
	s_movk_i32 s10, 0x7fff
	s_mov_b64 s[2:3], 0
	s_mov_b64 s[14:15], -1
	v_bfe_u32 v8, v7, 16, 1
	v_add3_u32 v7, v7, v8, s10
	global_store_short_d16_hi v[5:6], v7, off
.LBB158_1579:
	s_mov_b64 s[18:19], 0
.LBB158_1580:
	s_mov_b64 s[10:11], 0
	s_and_b64 vcc, exec, s[18:19]
	s_cbranch_vccz .LBB158_1582
; %bb.1581:
	s_cmp_lg_u32 s13, 11
	s_mov_b64 s[10:11], -1
	s_cselect_b64 s[2:3], -1, 0
.LBB158_1582:
	s_and_b64 vcc, exec, s[2:3]
	s_cbranch_vccnz .LBB158_1990
; %bb.1583:
	s_andn2_b64 vcc, exec, s[10:11]
	s_cbranch_vccnz .LBB158_1585
.LBB158_1584:
	v_cmp_ne_u16_e32 vcc, 0, v3
	v_cndmask_b32_e64 v7, 0, 1, vcc
	s_mov_b64 s[14:15], -1
	global_store_byte v[5:6], v7, off
.LBB158_1585:
	s_mov_b64 s[2:3], 0
	s_branch .LBB158_1587
.LBB158_1586:
	s_mov_b64 s[2:3], -1
	s_mov_b64 s[14:15], 0
.LBB158_1587:
	s_and_b64 vcc, exec, s[2:3]
	s_cbranch_vccz .LBB158_1626
; %bb.1588:
	s_and_b32 s10, 0xffff, s22
	s_cmp_lt_i32 s10, 5
	s_mov_b64 s[2:3], -1
	s_cbranch_scc1 .LBB158_1609
; %bb.1589:
	s_cmp_lt_i32 s10, 8
	s_cbranch_scc1 .LBB158_1599
; %bb.1590:
	s_cmp_lt_i32 s10, 9
	s_cbranch_scc1 .LBB158_1596
; %bb.1591:
	s_cmp_gt_i32 s10, 9
	s_cbranch_scc0 .LBB158_1593
; %bb.1592:
	v_bfe_i32 v7, v3, 0, 16
	v_cvt_f64_i32_e32 v[7:8], v7
	v_mov_b32_e32 v9, 0
	v_mov_b32_e32 v10, v9
	s_mov_b64 s[2:3], 0
	global_store_dwordx4 v[5:6], v[7:10], off
.LBB158_1593:
	s_andn2_b64 vcc, exec, s[2:3]
	s_cbranch_vccnz .LBB158_1595
; %bb.1594:
	v_cvt_f32_i32_sdwa v7, sext(v3) dst_sel:DWORD dst_unused:UNUSED_PAD src0_sel:WORD_0
	v_mov_b32_e32 v8, 0
	global_store_dwordx2 v[5:6], v[7:8], off
.LBB158_1595:
	s_mov_b64 s[2:3], 0
.LBB158_1596:
	s_andn2_b64 vcc, exec, s[2:3]
	s_cbranch_vccnz .LBB158_1598
; %bb.1597:
	v_cvt_f16_i16_e32 v7, v3
	global_store_dword v[5:6], v7, off
.LBB158_1598:
	s_mov_b64 s[2:3], 0
.LBB158_1599:
	s_andn2_b64 vcc, exec, s[2:3]
	s_cbranch_vccnz .LBB158_1608
; %bb.1600:
	s_cmp_lt_i32 s10, 6
	s_mov_b64 s[2:3], -1
	s_cbranch_scc1 .LBB158_1606
; %bb.1601:
	s_cmp_gt_i32 s10, 6
	s_cbranch_scc0 .LBB158_1603
; %bb.1602:
	v_bfe_i32 v7, v3, 0, 16
	v_cvt_f64_i32_e32 v[7:8], v7
	s_mov_b64 s[2:3], 0
	global_store_dwordx2 v[5:6], v[7:8], off
.LBB158_1603:
	s_andn2_b64 vcc, exec, s[2:3]
	s_cbranch_vccnz .LBB158_1605
; %bb.1604:
	v_cvt_f32_i32_sdwa v7, sext(v3) dst_sel:DWORD dst_unused:UNUSED_PAD src0_sel:WORD_0
	global_store_dword v[5:6], v7, off
.LBB158_1605:
	s_mov_b64 s[2:3], 0
.LBB158_1606:
	s_andn2_b64 vcc, exec, s[2:3]
	s_cbranch_vccnz .LBB158_1608
; %bb.1607:
	v_cvt_f16_i16_e32 v7, v3
	global_store_short v[5:6], v7, off
.LBB158_1608:
	s_mov_b64 s[2:3], 0
.LBB158_1609:
	s_andn2_b64 vcc, exec, s[2:3]
	s_cbranch_vccnz .LBB158_1625
; %bb.1610:
	s_cmp_lt_i32 s10, 2
	s_mov_b64 s[2:3], -1
	s_cbranch_scc1 .LBB158_1620
; %bb.1611:
	s_cmp_lt_i32 s10, 3
	s_cbranch_scc1 .LBB158_1617
; %bb.1612:
	s_cmp_gt_i32 s10, 3
	v_bfe_i32 v7, v3, 0, 16
	s_cbranch_scc0 .LBB158_1614
; %bb.1613:
	v_ashrrev_i32_e32 v8, 31, v7
	global_store_dwordx2 v[5:6], v[7:8], off
	s_mov_b64 s[2:3], 0
.LBB158_1614:
	s_andn2_b64 vcc, exec, s[2:3]
	s_cbranch_vccnz .LBB158_1616
; %bb.1615:
	global_store_dword v[5:6], v7, off
.LBB158_1616:
	s_mov_b64 s[2:3], 0
.LBB158_1617:
	s_andn2_b64 vcc, exec, s[2:3]
	s_cbranch_vccnz .LBB158_1619
; %bb.1618:
	global_store_short v[5:6], v3, off
.LBB158_1619:
	s_mov_b64 s[2:3], 0
.LBB158_1620:
	s_andn2_b64 vcc, exec, s[2:3]
	s_cbranch_vccnz .LBB158_1625
; %bb.1621:
	s_cmp_gt_i32 s10, 0
	s_mov_b64 s[2:3], -1
	s_cbranch_scc0 .LBB158_1623
; %bb.1622:
	global_store_byte v[5:6], v3, off
	s_mov_b64 s[2:3], 0
.LBB158_1623:
	s_andn2_b64 vcc, exec, s[2:3]
	s_cbranch_vccnz .LBB158_1625
; %bb.1624:
	global_store_byte v[5:6], v3, off
.LBB158_1625:
	s_mov_b64 s[14:15], -1
.LBB158_1626:
	s_andn2_b64 vcc, exec, s[14:15]
	s_cbranch_vccnz .LBB158_1941
; %bb.1627:
	v_mov_b32_e32 v3, 7
	s_lshl_b32 s20, s12, 7
	v_ashrrev_i16_sdwa v3, v3, sext(v4) dst_sel:DWORD dst_unused:UNUSED_PAD src0_sel:DWORD src1_sel:BYTE_0
	v_ashrrev_i32_sdwa v4, s23, sext(v4) dst_sel:DWORD dst_unused:UNUSED_PAD src0_sel:DWORD src1_sel:BYTE_0
	v_add_u32_e32 v1, s20, v1
	v_cndmask_b32_e64 v7, v4, v3, s[0:1]
	v_ashrrev_i32_e32 v4, 31, v1
	v_mov_b32_e32 v5, s9
	v_add_co_u32_e32 v3, vcc, s8, v1
	s_cmp_lt_i32 s22, 11
	v_addc_co_u32_e32 v4, vcc, v5, v4, vcc
	s_cbranch_scc1 .LBB158_1705
; %bb.1628:
	s_and_b32 s21, 0xffff, s22
	s_mov_b64 s[14:15], -1
	s_mov_b64 s[10:11], 0
	s_cmp_gt_i32 s21, 25
	s_mov_b64 s[12:13], 0
	s_mov_b64 s[2:3], 0
	s_cbranch_scc0 .LBB158_1661
; %bb.1629:
	s_cmp_gt_i32 s21, 28
	s_cbranch_scc0 .LBB158_1644
; %bb.1630:
	s_cmp_gt_i32 s21, 43
	;; [unrolled: 3-line block ×3, first 2 shown]
	s_cbranch_scc0 .LBB158_1634
; %bb.1632:
	s_mov_b64 s[2:3], -1
	s_mov_b64 s[14:15], 0
	s_cmp_eq_u32 s21, 46
	s_cbranch_scc0 .LBB158_1634
; %bb.1633:
	v_cvt_f32_i32_sdwa v5, sext(v7) dst_sel:DWORD dst_unused:UNUSED_PAD src0_sel:WORD_0
	s_movk_i32 s12, 0x7fff
	s_mov_b64 s[2:3], 0
	v_bfe_u32 v6, v5, 16, 1
	v_add3_u32 v5, v5, v6, s12
	v_lshrrev_b32_e32 v5, 16, v5
	global_store_dword v[3:4], v5, off
	s_mov_b64 s[12:13], -1
.LBB158_1634:
	s_and_b64 vcc, exec, s[14:15]
	s_cbranch_vccz .LBB158_1639
; %bb.1635:
	s_cmp_eq_u32 s21, 44
	s_mov_b64 s[2:3], -1
	s_cbranch_scc0 .LBB158_1639
; %bb.1636:
	v_cvt_f32_i32_sdwa v5, sext(v7) dst_sel:DWORD dst_unused:UNUSED_PAD src0_sel:WORD_0
	s_movk_i32 s2, 0xff
	v_mov_b32_e32 v8, 0xff
	v_bfe_u32 v6, v5, 23, 8
	v_cmp_ne_u32_e32 vcc, s2, v6
	s_and_saveexec_b64 s[12:13], vcc
; %bb.1637:
	s_mov_b32 s2, 0x3fffff
	v_lshrrev_b32_e32 v8, 23, v5
	v_and_b32_e32 v9, 0x400000, v5
	v_and_or_b32 v5, v5, s2, v6
	v_cmp_ne_u32_e32 vcc, 0, v9
	v_cmp_ne_u32_e64 s[2:3], 0, v5
	s_and_b64 s[2:3], vcc, s[2:3]
	v_cndmask_b32_e64 v5, 0, 1, s[2:3]
	v_add_u32_e32 v8, v8, v5
; %bb.1638:
	s_or_b64 exec, exec, s[12:13]
	s_mov_b64 s[2:3], 0
	s_mov_b64 s[12:13], -1
	global_store_byte v[3:4], v8, off
.LBB158_1639:
	s_mov_b64 s[14:15], 0
.LBB158_1640:
	s_and_b64 vcc, exec, s[14:15]
	s_cbranch_vccz .LBB158_1643
; %bb.1641:
	s_cmp_eq_u32 s21, 29
	s_mov_b64 s[2:3], -1
	s_cbranch_scc0 .LBB158_1643
; %bb.1642:
	v_bfe_i32 v5, v7, 0, 16
	v_ashrrev_i32_e32 v6, 31, v5
	global_store_dwordx2 v[3:4], v[5:6], off
	s_mov_b64 s[2:3], 0
	s_mov_b64 s[12:13], -1
.LBB158_1643:
	s_mov_b64 s[14:15], 0
.LBB158_1644:
	s_and_b64 vcc, exec, s[14:15]
	s_cbranch_vccz .LBB158_1660
; %bb.1645:
	s_cmp_lt_i32 s21, 27
	s_mov_b64 s[12:13], -1
	s_cbranch_scc1 .LBB158_1651
; %bb.1646:
	s_cmp_gt_i32 s21, 27
	s_cbranch_scc0 .LBB158_1648
; %bb.1647:
	v_bfe_i32 v5, v7, 0, 16
	s_mov_b64 s[12:13], 0
	global_store_dword v[3:4], v5, off
.LBB158_1648:
	s_andn2_b64 vcc, exec, s[12:13]
	s_cbranch_vccnz .LBB158_1650
; %bb.1649:
	global_store_short v[3:4], v7, off
.LBB158_1650:
	s_mov_b64 s[12:13], 0
.LBB158_1651:
	s_andn2_b64 vcc, exec, s[12:13]
	s_cbranch_vccnz .LBB158_1659
; %bb.1652:
	v_cvt_f32_i32_sdwa v5, sext(v7) dst_sel:DWORD dst_unused:UNUSED_PAD src0_sel:WORD_0
	s_mov_b32 s12, 0x43800000
	v_mov_b32_e32 v8, 0x80
	v_and_b32_e32 v6, 0x7fffffff, v5
	v_cmp_gt_u32_e32 vcc, s12, v6
	s_and_saveexec_b64 s[12:13], vcc
	s_cbranch_execz .LBB158_1658
; %bb.1653:
	s_mov_b32 s14, 0x3bffffff
	v_cmp_lt_u32_e32 vcc, s14, v6
	s_mov_b64 s[14:15], 0
                                        ; implicit-def: $vgpr6
	s_and_saveexec_b64 s[18:19], vcc
	s_xor_b64 s[18:19], exec, s[18:19]
	s_cbranch_execz .LBB158_1993
; %bb.1654:
	v_bfe_u32 v6, v5, 20, 1
	s_mov_b32 s24, 0x487ffff
	v_add3_u32 v6, v5, v6, s24
	s_mov_b64 s[14:15], exec
	v_lshrrev_b32_e32 v6, 20, v6
	s_andn2_saveexec_b64 s[18:19], s[18:19]
	s_cbranch_execnz .LBB158_1994
.LBB158_1655:
	s_or_b64 exec, exec, s[18:19]
	v_mov_b32_e32 v8, 0
	s_and_saveexec_b64 s[18:19], s[14:15]
.LBB158_1656:
	v_lshrrev_b32_e32 v5, 24, v5
	s_movk_i32 s14, 0x80
	v_and_or_b32 v8, v5, s14, v6
.LBB158_1657:
	s_or_b64 exec, exec, s[18:19]
.LBB158_1658:
	s_or_b64 exec, exec, s[12:13]
	global_store_byte v[3:4], v8, off
.LBB158_1659:
	s_mov_b64 s[12:13], -1
.LBB158_1660:
	s_mov_b64 s[14:15], 0
.LBB158_1661:
	s_and_b64 vcc, exec, s[14:15]
	s_cbranch_vccz .LBB158_1701
; %bb.1662:
	s_cmp_gt_i32 s21, 22
	s_mov_b64 s[10:11], -1
	s_cbranch_scc0 .LBB158_1694
; %bb.1663:
	s_cmp_lt_i32 s21, 24
	s_cbranch_scc1 .LBB158_1683
; %bb.1664:
	s_cmp_gt_i32 s21, 24
	s_cbranch_scc0 .LBB158_1672
; %bb.1665:
	v_cvt_f32_i32_sdwa v5, sext(v7) dst_sel:DWORD dst_unused:UNUSED_PAD src0_sel:WORD_0
	s_mov_b32 s10, 0x47800000
	v_mov_b32_e32 v8, 0x80
	v_and_b32_e32 v6, 0x7fffffff, v5
	v_cmp_gt_u32_e32 vcc, s10, v6
	s_and_saveexec_b64 s[10:11], vcc
	s_cbranch_execz .LBB158_1671
; %bb.1666:
	s_mov_b32 s12, 0x37ffffff
	v_cmp_lt_u32_e32 vcc, s12, v6
	s_mov_b64 s[12:13], 0
                                        ; implicit-def: $vgpr6
	s_and_saveexec_b64 s[14:15], vcc
	s_xor_b64 s[14:15], exec, s[14:15]
	s_cbranch_execz .LBB158_1996
; %bb.1667:
	v_bfe_u32 v6, v5, 21, 1
	s_mov_b32 s18, 0x88fffff
	v_add3_u32 v6, v5, v6, s18
	s_mov_b64 s[12:13], exec
	v_lshrrev_b32_e32 v6, 21, v6
	s_andn2_saveexec_b64 s[14:15], s[14:15]
	s_cbranch_execnz .LBB158_1997
.LBB158_1668:
	s_or_b64 exec, exec, s[14:15]
	v_mov_b32_e32 v8, 0
	s_and_saveexec_b64 s[14:15], s[12:13]
.LBB158_1669:
	v_lshrrev_b32_e32 v5, 24, v5
	s_movk_i32 s12, 0x80
	v_and_or_b32 v8, v5, s12, v6
.LBB158_1670:
	s_or_b64 exec, exec, s[14:15]
.LBB158_1671:
	s_or_b64 exec, exec, s[10:11]
	s_mov_b64 s[10:11], 0
	global_store_byte v[3:4], v8, off
.LBB158_1672:
	s_and_b64 vcc, exec, s[10:11]
	s_cbranch_vccz .LBB158_1682
; %bb.1673:
	v_cvt_f32_i32_sdwa v5, sext(v7) dst_sel:DWORD dst_unused:UNUSED_PAD src0_sel:WORD_0
	s_mov_b32 s10, 0x43f00000
                                        ; implicit-def: $vgpr6
	v_and_b32_e32 v8, 0x7fffffff, v5
	v_cmp_gt_u32_e32 vcc, s10, v8
	s_and_saveexec_b64 s[10:11], vcc
	s_xor_b64 s[10:11], exec, s[10:11]
	s_cbranch_execz .LBB158_1679
; %bb.1674:
	s_mov_b32 s12, 0x3c7fffff
	v_cmp_lt_u32_e32 vcc, s12, v8
                                        ; implicit-def: $vgpr6
	s_and_saveexec_b64 s[12:13], vcc
	s_xor_b64 s[12:13], exec, s[12:13]
; %bb.1675:
	v_bfe_u32 v6, v5, 20, 1
	s_mov_b32 s14, 0x407ffff
	v_add3_u32 v6, v5, v6, s14
	v_lshrrev_b32_e32 v8, 20, v6
	v_and_b32_e32 v6, 0xff00000, v6
	s_mov_b32 s14, 0x7f00000
	v_mov_b32_e32 v9, 0x7e
	v_cmp_ne_u32_e32 vcc, s14, v6
	v_cndmask_b32_e32 v6, v9, v8, vcc
; %bb.1676:
	s_andn2_saveexec_b64 s[12:13], s[12:13]
; %bb.1677:
	s_mov_b32 s14, 0x46800000
	v_add_f32_e64 v6, |v5|, s14
; %bb.1678:
	s_or_b64 exec, exec, s[12:13]
                                        ; implicit-def: $vgpr8
.LBB158_1679:
	s_andn2_saveexec_b64 s[10:11], s[10:11]
; %bb.1680:
	s_mov_b32 s12, 0x7f800000
	v_mov_b32_e32 v6, 0x7e
	v_mov_b32_e32 v9, 0x7f
	v_cmp_lt_u32_e32 vcc, s12, v8
	v_cndmask_b32_e32 v6, v6, v9, vcc
; %bb.1681:
	s_or_b64 exec, exec, s[10:11]
	v_lshrrev_b32_e32 v5, 24, v5
	s_movk_i32 s10, 0x80
	v_and_or_b32 v5, v5, s10, v6
	global_store_byte v[3:4], v5, off
.LBB158_1682:
	s_mov_b64 s[10:11], 0
.LBB158_1683:
	s_andn2_b64 vcc, exec, s[10:11]
	s_cbranch_vccnz .LBB158_1693
; %bb.1684:
	v_cvt_f32_i32_sdwa v5, sext(v7) dst_sel:DWORD dst_unused:UNUSED_PAD src0_sel:WORD_0
	s_mov_b32 s10, 0x47800000
                                        ; implicit-def: $vgpr6
	v_and_b32_e32 v8, 0x7fffffff, v5
	v_cmp_gt_u32_e32 vcc, s10, v8
	s_and_saveexec_b64 s[10:11], vcc
	s_xor_b64 s[10:11], exec, s[10:11]
	s_cbranch_execz .LBB158_1690
; %bb.1685:
	s_mov_b32 s12, 0x387fffff
	v_cmp_lt_u32_e32 vcc, s12, v8
                                        ; implicit-def: $vgpr6
	s_and_saveexec_b64 s[12:13], vcc
	s_xor_b64 s[12:13], exec, s[12:13]
; %bb.1686:
	v_bfe_u32 v6, v5, 21, 1
	s_mov_b32 s14, 0x80fffff
	v_add3_u32 v6, v5, v6, s14
	v_lshrrev_b32_e32 v6, 21, v6
; %bb.1687:
	s_andn2_saveexec_b64 s[12:13], s[12:13]
; %bb.1688:
	s_mov_b32 s14, 0x43000000
	v_add_f32_e64 v6, |v5|, s14
; %bb.1689:
	s_or_b64 exec, exec, s[12:13]
                                        ; implicit-def: $vgpr8
.LBB158_1690:
	s_andn2_saveexec_b64 s[10:11], s[10:11]
; %bb.1691:
	s_mov_b32 s12, 0x7f800000
	v_mov_b32_e32 v6, 0x7c
	v_mov_b32_e32 v9, 0x7f
	v_cmp_lt_u32_e32 vcc, s12, v8
	v_cndmask_b32_e32 v6, v6, v9, vcc
; %bb.1692:
	s_or_b64 exec, exec, s[10:11]
	v_lshrrev_b32_e32 v5, 24, v5
	s_movk_i32 s10, 0x80
	v_and_or_b32 v5, v5, s10, v6
	global_store_byte v[3:4], v5, off
.LBB158_1693:
	s_mov_b64 s[10:11], 0
	s_mov_b64 s[12:13], -1
.LBB158_1694:
	s_andn2_b64 vcc, exec, s[10:11]
	s_mov_b64 s[10:11], 0
	s_cbranch_vccnz .LBB158_1701
; %bb.1695:
	s_cmp_gt_i32 s21, 14
	s_mov_b64 s[14:15], -1
	s_cbranch_scc0 .LBB158_1699
; %bb.1696:
	s_cmp_eq_u32 s21, 15
	s_mov_b64 s[2:3], -1
	s_cbranch_scc0 .LBB158_1698
; %bb.1697:
	v_cvt_f32_i32_sdwa v5, sext(v7) dst_sel:DWORD dst_unused:UNUSED_PAD src0_sel:WORD_0
	s_movk_i32 s10, 0x7fff
	s_mov_b64 s[2:3], 0
	s_mov_b64 s[12:13], -1
	v_bfe_u32 v6, v5, 16, 1
	v_add3_u32 v5, v5, v6, s10
	global_store_short_d16_hi v[3:4], v5, off
.LBB158_1698:
	s_mov_b64 s[14:15], 0
.LBB158_1699:
	s_mov_b64 s[10:11], 0
	s_and_b64 vcc, exec, s[14:15]
	s_cbranch_vccz .LBB158_1701
; %bb.1700:
	s_cmp_lg_u32 s21, 11
	s_mov_b64 s[10:11], -1
	s_cselect_b64 s[2:3], -1, 0
.LBB158_1701:
	s_and_b64 vcc, exec, s[2:3]
	s_cbranch_vccnz .LBB158_1995
; %bb.1702:
	s_andn2_b64 vcc, exec, s[10:11]
	s_cbranch_vccnz .LBB158_1704
.LBB158_1703:
	v_cmp_ne_u16_e32 vcc, 0, v7
	v_cndmask_b32_e64 v5, 0, 1, vcc
	s_mov_b64 s[12:13], -1
	global_store_byte v[3:4], v5, off
.LBB158_1704:
	s_mov_b64 s[2:3], 0
	s_branch .LBB158_1706
.LBB158_1705:
	s_mov_b64 s[2:3], -1
	s_mov_b64 s[12:13], 0
.LBB158_1706:
	s_and_b64 vcc, exec, s[2:3]
	s_cbranch_vccz .LBB158_1745
; %bb.1707:
	s_and_b32 s10, 0xffff, s22
	s_cmp_lt_i32 s10, 5
	s_mov_b64 s[2:3], -1
	s_cbranch_scc1 .LBB158_1728
; %bb.1708:
	s_cmp_lt_i32 s10, 8
	s_cbranch_scc1 .LBB158_1718
; %bb.1709:
	s_cmp_lt_i32 s10, 9
	s_cbranch_scc1 .LBB158_1715
; %bb.1710:
	s_cmp_gt_i32 s10, 9
	s_cbranch_scc0 .LBB158_1712
; %bb.1711:
	v_bfe_i32 v5, v7, 0, 16
	v_cvt_f64_i32_e32 v[8:9], v5
	v_mov_b32_e32 v10, 0
	v_mov_b32_e32 v11, v10
	s_mov_b64 s[2:3], 0
	global_store_dwordx4 v[3:4], v[8:11], off
.LBB158_1712:
	s_andn2_b64 vcc, exec, s[2:3]
	s_cbranch_vccnz .LBB158_1714
; %bb.1713:
	v_cvt_f32_i32_sdwa v5, sext(v7) dst_sel:DWORD dst_unused:UNUSED_PAD src0_sel:WORD_0
	v_mov_b32_e32 v6, 0
	global_store_dwordx2 v[3:4], v[5:6], off
.LBB158_1714:
	s_mov_b64 s[2:3], 0
.LBB158_1715:
	s_andn2_b64 vcc, exec, s[2:3]
	s_cbranch_vccnz .LBB158_1717
; %bb.1716:
	v_cvt_f16_i16_e32 v5, v7
	global_store_dword v[3:4], v5, off
.LBB158_1717:
	s_mov_b64 s[2:3], 0
.LBB158_1718:
	s_andn2_b64 vcc, exec, s[2:3]
	s_cbranch_vccnz .LBB158_1727
; %bb.1719:
	s_cmp_lt_i32 s10, 6
	s_mov_b64 s[2:3], -1
	s_cbranch_scc1 .LBB158_1725
; %bb.1720:
	s_cmp_gt_i32 s10, 6
	s_cbranch_scc0 .LBB158_1722
; %bb.1721:
	v_bfe_i32 v5, v7, 0, 16
	v_cvt_f64_i32_e32 v[5:6], v5
	s_mov_b64 s[2:3], 0
	global_store_dwordx2 v[3:4], v[5:6], off
.LBB158_1722:
	s_andn2_b64 vcc, exec, s[2:3]
	s_cbranch_vccnz .LBB158_1724
; %bb.1723:
	v_cvt_f32_i32_sdwa v5, sext(v7) dst_sel:DWORD dst_unused:UNUSED_PAD src0_sel:WORD_0
	global_store_dword v[3:4], v5, off
.LBB158_1724:
	s_mov_b64 s[2:3], 0
.LBB158_1725:
	s_andn2_b64 vcc, exec, s[2:3]
	s_cbranch_vccnz .LBB158_1727
; %bb.1726:
	v_cvt_f16_i16_e32 v5, v7
	global_store_short v[3:4], v5, off
.LBB158_1727:
	s_mov_b64 s[2:3], 0
.LBB158_1728:
	s_andn2_b64 vcc, exec, s[2:3]
	s_cbranch_vccnz .LBB158_1744
; %bb.1729:
	s_cmp_lt_i32 s10, 2
	s_mov_b64 s[2:3], -1
	s_cbranch_scc1 .LBB158_1739
; %bb.1730:
	s_cmp_lt_i32 s10, 3
	s_cbranch_scc1 .LBB158_1736
; %bb.1731:
	s_cmp_gt_i32 s10, 3
	v_bfe_i32 v5, v7, 0, 16
	s_cbranch_scc0 .LBB158_1733
; %bb.1732:
	v_ashrrev_i32_e32 v6, 31, v5
	global_store_dwordx2 v[3:4], v[5:6], off
	s_mov_b64 s[2:3], 0
.LBB158_1733:
	s_andn2_b64 vcc, exec, s[2:3]
	s_cbranch_vccnz .LBB158_1735
; %bb.1734:
	global_store_dword v[3:4], v5, off
.LBB158_1735:
	s_mov_b64 s[2:3], 0
.LBB158_1736:
	s_andn2_b64 vcc, exec, s[2:3]
	s_cbranch_vccnz .LBB158_1738
; %bb.1737:
	global_store_short v[3:4], v7, off
.LBB158_1738:
	s_mov_b64 s[2:3], 0
.LBB158_1739:
	s_andn2_b64 vcc, exec, s[2:3]
	s_cbranch_vccnz .LBB158_1744
; %bb.1740:
	s_cmp_gt_i32 s10, 0
	s_mov_b64 s[2:3], -1
	s_cbranch_scc0 .LBB158_1742
; %bb.1741:
	global_store_byte v[3:4], v7, off
	s_mov_b64 s[2:3], 0
.LBB158_1742:
	s_andn2_b64 vcc, exec, s[2:3]
	s_cbranch_vccnz .LBB158_1744
; %bb.1743:
	global_store_byte v[3:4], v7, off
.LBB158_1744:
	s_mov_b64 s[12:13], -1
.LBB158_1745:
	s_andn2_b64 vcc, exec, s[12:13]
	s_cbranch_vccnz .LBB158_1941
; %bb.1746:
	v_mov_b32_e32 v3, 7
	v_ashrrev_i16_sdwa v3, v3, sext(v2) dst_sel:DWORD dst_unused:UNUSED_PAD src0_sel:DWORD src1_sel:BYTE_0
	v_ashrrev_i32_sdwa v2, s23, sext(v2) dst_sel:DWORD dst_unused:UNUSED_PAD src0_sel:DWORD src1_sel:BYTE_0
	v_add_u32_e32 v5, s20, v1
	v_cndmask_b32_e64 v6, v2, v3, s[0:1]
	v_ashrrev_i32_e32 v2, 31, v5
	v_mov_b32_e32 v3, s9
	v_add_co_u32_e32 v1, vcc, s8, v5
	s_cmp_lt_i32 s22, 11
	v_addc_co_u32_e32 v2, vcc, v3, v2, vcc
	s_cbranch_scc1 .LBB158_1824
; %bb.1747:
	s_and_b32 s21, 0xffff, s22
	s_mov_b64 s[14:15], -1
	s_mov_b64 s[10:11], 0
	s_cmp_gt_i32 s21, 25
	s_mov_b64 s[12:13], 0
	s_mov_b64 s[2:3], 0
	s_cbranch_scc0 .LBB158_1780
; %bb.1748:
	s_cmp_gt_i32 s21, 28
	s_cbranch_scc0 .LBB158_1763
; %bb.1749:
	s_cmp_gt_i32 s21, 43
	;; [unrolled: 3-line block ×3, first 2 shown]
	s_cbranch_scc0 .LBB158_1753
; %bb.1751:
	s_mov_b64 s[2:3], -1
	s_mov_b64 s[14:15], 0
	s_cmp_eq_u32 s21, 46
	s_cbranch_scc0 .LBB158_1753
; %bb.1752:
	v_cvt_f32_i32_sdwa v3, sext(v6) dst_sel:DWORD dst_unused:UNUSED_PAD src0_sel:WORD_0
	s_movk_i32 s12, 0x7fff
	s_mov_b64 s[2:3], 0
	v_bfe_u32 v4, v3, 16, 1
	v_add3_u32 v3, v3, v4, s12
	v_lshrrev_b32_e32 v3, 16, v3
	global_store_dword v[1:2], v3, off
	s_mov_b64 s[12:13], -1
.LBB158_1753:
	s_and_b64 vcc, exec, s[14:15]
	s_cbranch_vccz .LBB158_1758
; %bb.1754:
	s_cmp_eq_u32 s21, 44
	s_mov_b64 s[2:3], -1
	s_cbranch_scc0 .LBB158_1758
; %bb.1755:
	v_cvt_f32_i32_sdwa v3, sext(v6) dst_sel:DWORD dst_unused:UNUSED_PAD src0_sel:WORD_0
	s_movk_i32 s2, 0xff
	v_mov_b32_e32 v7, 0xff
	v_bfe_u32 v4, v3, 23, 8
	v_cmp_ne_u32_e32 vcc, s2, v4
	s_and_saveexec_b64 s[12:13], vcc
; %bb.1756:
	s_mov_b32 s2, 0x3fffff
	v_lshrrev_b32_e32 v7, 23, v3
	v_and_b32_e32 v8, 0x400000, v3
	v_and_or_b32 v3, v3, s2, v4
	v_cmp_ne_u32_e32 vcc, 0, v8
	v_cmp_ne_u32_e64 s[2:3], 0, v3
	s_and_b64 s[2:3], vcc, s[2:3]
	v_cndmask_b32_e64 v3, 0, 1, s[2:3]
	v_add_u32_e32 v7, v7, v3
; %bb.1757:
	s_or_b64 exec, exec, s[12:13]
	s_mov_b64 s[2:3], 0
	s_mov_b64 s[12:13], -1
	global_store_byte v[1:2], v7, off
.LBB158_1758:
	s_mov_b64 s[14:15], 0
.LBB158_1759:
	s_and_b64 vcc, exec, s[14:15]
	s_cbranch_vccz .LBB158_1762
; %bb.1760:
	s_cmp_eq_u32 s21, 29
	s_mov_b64 s[2:3], -1
	s_cbranch_scc0 .LBB158_1762
; %bb.1761:
	v_bfe_i32 v3, v6, 0, 16
	v_ashrrev_i32_e32 v4, 31, v3
	global_store_dwordx2 v[1:2], v[3:4], off
	s_mov_b64 s[2:3], 0
	s_mov_b64 s[12:13], -1
.LBB158_1762:
	s_mov_b64 s[14:15], 0
.LBB158_1763:
	s_and_b64 vcc, exec, s[14:15]
	s_cbranch_vccz .LBB158_1779
; %bb.1764:
	s_cmp_lt_i32 s21, 27
	s_mov_b64 s[12:13], -1
	s_cbranch_scc1 .LBB158_1770
; %bb.1765:
	s_cmp_gt_i32 s21, 27
	s_cbranch_scc0 .LBB158_1767
; %bb.1766:
	v_bfe_i32 v3, v6, 0, 16
	s_mov_b64 s[12:13], 0
	global_store_dword v[1:2], v3, off
.LBB158_1767:
	s_andn2_b64 vcc, exec, s[12:13]
	s_cbranch_vccnz .LBB158_1769
; %bb.1768:
	global_store_short v[1:2], v6, off
.LBB158_1769:
	s_mov_b64 s[12:13], 0
.LBB158_1770:
	s_andn2_b64 vcc, exec, s[12:13]
	s_cbranch_vccnz .LBB158_1778
; %bb.1771:
	v_cvt_f32_i32_sdwa v3, sext(v6) dst_sel:DWORD dst_unused:UNUSED_PAD src0_sel:WORD_0
	s_mov_b32 s12, 0x43800000
	v_mov_b32_e32 v7, 0x80
	v_and_b32_e32 v4, 0x7fffffff, v3
	v_cmp_gt_u32_e32 vcc, s12, v4
	s_and_saveexec_b64 s[12:13], vcc
	s_cbranch_execz .LBB158_1777
; %bb.1772:
	s_mov_b32 s14, 0x3bffffff
	v_cmp_lt_u32_e32 vcc, s14, v4
	s_mov_b64 s[14:15], 0
                                        ; implicit-def: $vgpr4
	s_and_saveexec_b64 s[18:19], vcc
	s_xor_b64 s[18:19], exec, s[18:19]
	s_cbranch_execz .LBB158_1998
; %bb.1773:
	v_bfe_u32 v4, v3, 20, 1
	s_mov_b32 s24, 0x487ffff
	v_add3_u32 v4, v3, v4, s24
	s_mov_b64 s[14:15], exec
	v_lshrrev_b32_e32 v4, 20, v4
	s_andn2_saveexec_b64 s[18:19], s[18:19]
	s_cbranch_execnz .LBB158_1999
.LBB158_1774:
	s_or_b64 exec, exec, s[18:19]
	v_mov_b32_e32 v7, 0
	s_and_saveexec_b64 s[18:19], s[14:15]
.LBB158_1775:
	v_lshrrev_b32_e32 v3, 24, v3
	s_movk_i32 s14, 0x80
	v_and_or_b32 v7, v3, s14, v4
.LBB158_1776:
	s_or_b64 exec, exec, s[18:19]
.LBB158_1777:
	s_or_b64 exec, exec, s[12:13]
	global_store_byte v[1:2], v7, off
.LBB158_1778:
	s_mov_b64 s[12:13], -1
.LBB158_1779:
	s_mov_b64 s[14:15], 0
.LBB158_1780:
	s_and_b64 vcc, exec, s[14:15]
	s_cbranch_vccz .LBB158_1820
; %bb.1781:
	s_cmp_gt_i32 s21, 22
	s_mov_b64 s[10:11], -1
	s_cbranch_scc0 .LBB158_1813
; %bb.1782:
	s_cmp_lt_i32 s21, 24
	s_cbranch_scc1 .LBB158_1802
; %bb.1783:
	s_cmp_gt_i32 s21, 24
	s_cbranch_scc0 .LBB158_1791
; %bb.1784:
	v_cvt_f32_i32_sdwa v3, sext(v6) dst_sel:DWORD dst_unused:UNUSED_PAD src0_sel:WORD_0
	s_mov_b32 s10, 0x47800000
	v_mov_b32_e32 v7, 0x80
	v_and_b32_e32 v4, 0x7fffffff, v3
	v_cmp_gt_u32_e32 vcc, s10, v4
	s_and_saveexec_b64 s[10:11], vcc
	s_cbranch_execz .LBB158_1790
; %bb.1785:
	s_mov_b32 s12, 0x37ffffff
	v_cmp_lt_u32_e32 vcc, s12, v4
	s_mov_b64 s[12:13], 0
                                        ; implicit-def: $vgpr4
	s_and_saveexec_b64 s[14:15], vcc
	s_xor_b64 s[14:15], exec, s[14:15]
	s_cbranch_execz .LBB158_2001
; %bb.1786:
	v_bfe_u32 v4, v3, 21, 1
	s_mov_b32 s18, 0x88fffff
	v_add3_u32 v4, v3, v4, s18
	s_mov_b64 s[12:13], exec
	v_lshrrev_b32_e32 v4, 21, v4
	s_andn2_saveexec_b64 s[14:15], s[14:15]
	s_cbranch_execnz .LBB158_2002
.LBB158_1787:
	s_or_b64 exec, exec, s[14:15]
	v_mov_b32_e32 v7, 0
	s_and_saveexec_b64 s[14:15], s[12:13]
.LBB158_1788:
	v_lshrrev_b32_e32 v3, 24, v3
	s_movk_i32 s12, 0x80
	v_and_or_b32 v7, v3, s12, v4
.LBB158_1789:
	s_or_b64 exec, exec, s[14:15]
.LBB158_1790:
	s_or_b64 exec, exec, s[10:11]
	s_mov_b64 s[10:11], 0
	global_store_byte v[1:2], v7, off
.LBB158_1791:
	s_and_b64 vcc, exec, s[10:11]
	s_cbranch_vccz .LBB158_1801
; %bb.1792:
	v_cvt_f32_i32_sdwa v3, sext(v6) dst_sel:DWORD dst_unused:UNUSED_PAD src0_sel:WORD_0
	s_mov_b32 s10, 0x43f00000
                                        ; implicit-def: $vgpr4
	v_and_b32_e32 v7, 0x7fffffff, v3
	v_cmp_gt_u32_e32 vcc, s10, v7
	s_and_saveexec_b64 s[10:11], vcc
	s_xor_b64 s[10:11], exec, s[10:11]
	s_cbranch_execz .LBB158_1798
; %bb.1793:
	s_mov_b32 s12, 0x3c7fffff
	v_cmp_lt_u32_e32 vcc, s12, v7
                                        ; implicit-def: $vgpr4
	s_and_saveexec_b64 s[12:13], vcc
	s_xor_b64 s[12:13], exec, s[12:13]
; %bb.1794:
	v_bfe_u32 v4, v3, 20, 1
	s_mov_b32 s14, 0x407ffff
	v_add3_u32 v4, v3, v4, s14
	v_lshrrev_b32_e32 v7, 20, v4
	v_and_b32_e32 v4, 0xff00000, v4
	s_mov_b32 s14, 0x7f00000
	v_mov_b32_e32 v8, 0x7e
	v_cmp_ne_u32_e32 vcc, s14, v4
	v_cndmask_b32_e32 v4, v8, v7, vcc
; %bb.1795:
	s_andn2_saveexec_b64 s[12:13], s[12:13]
; %bb.1796:
	s_mov_b32 s14, 0x46800000
	v_add_f32_e64 v4, |v3|, s14
; %bb.1797:
	s_or_b64 exec, exec, s[12:13]
                                        ; implicit-def: $vgpr7
.LBB158_1798:
	s_andn2_saveexec_b64 s[10:11], s[10:11]
; %bb.1799:
	s_mov_b32 s12, 0x7f800000
	v_mov_b32_e32 v4, 0x7e
	v_mov_b32_e32 v8, 0x7f
	v_cmp_lt_u32_e32 vcc, s12, v7
	v_cndmask_b32_e32 v4, v4, v8, vcc
; %bb.1800:
	s_or_b64 exec, exec, s[10:11]
	v_lshrrev_b32_e32 v3, 24, v3
	s_movk_i32 s10, 0x80
	v_and_or_b32 v3, v3, s10, v4
	global_store_byte v[1:2], v3, off
.LBB158_1801:
	s_mov_b64 s[10:11], 0
.LBB158_1802:
	s_andn2_b64 vcc, exec, s[10:11]
	s_cbranch_vccnz .LBB158_1812
; %bb.1803:
	v_cvt_f32_i32_sdwa v3, sext(v6) dst_sel:DWORD dst_unused:UNUSED_PAD src0_sel:WORD_0
	s_mov_b32 s10, 0x47800000
                                        ; implicit-def: $vgpr4
	v_and_b32_e32 v7, 0x7fffffff, v3
	v_cmp_gt_u32_e32 vcc, s10, v7
	s_and_saveexec_b64 s[10:11], vcc
	s_xor_b64 s[10:11], exec, s[10:11]
	s_cbranch_execz .LBB158_1809
; %bb.1804:
	s_mov_b32 s12, 0x387fffff
	v_cmp_lt_u32_e32 vcc, s12, v7
                                        ; implicit-def: $vgpr4
	s_and_saveexec_b64 s[12:13], vcc
	s_xor_b64 s[12:13], exec, s[12:13]
; %bb.1805:
	v_bfe_u32 v4, v3, 21, 1
	s_mov_b32 s14, 0x80fffff
	v_add3_u32 v4, v3, v4, s14
	v_lshrrev_b32_e32 v4, 21, v4
; %bb.1806:
	s_andn2_saveexec_b64 s[12:13], s[12:13]
; %bb.1807:
	s_mov_b32 s14, 0x43000000
	v_add_f32_e64 v4, |v3|, s14
; %bb.1808:
	s_or_b64 exec, exec, s[12:13]
                                        ; implicit-def: $vgpr7
.LBB158_1809:
	s_andn2_saveexec_b64 s[10:11], s[10:11]
; %bb.1810:
	s_mov_b32 s12, 0x7f800000
	v_mov_b32_e32 v4, 0x7c
	v_mov_b32_e32 v8, 0x7f
	v_cmp_lt_u32_e32 vcc, s12, v7
	v_cndmask_b32_e32 v4, v4, v8, vcc
; %bb.1811:
	s_or_b64 exec, exec, s[10:11]
	v_lshrrev_b32_e32 v3, 24, v3
	s_movk_i32 s10, 0x80
	v_and_or_b32 v3, v3, s10, v4
	global_store_byte v[1:2], v3, off
.LBB158_1812:
	s_mov_b64 s[10:11], 0
	s_mov_b64 s[12:13], -1
.LBB158_1813:
	s_andn2_b64 vcc, exec, s[10:11]
	s_mov_b64 s[10:11], 0
	s_cbranch_vccnz .LBB158_1820
; %bb.1814:
	s_cmp_gt_i32 s21, 14
	s_mov_b64 s[14:15], -1
	s_cbranch_scc0 .LBB158_1818
; %bb.1815:
	s_cmp_eq_u32 s21, 15
	s_mov_b64 s[2:3], -1
	s_cbranch_scc0 .LBB158_1817
; %bb.1816:
	v_cvt_f32_i32_sdwa v3, sext(v6) dst_sel:DWORD dst_unused:UNUSED_PAD src0_sel:WORD_0
	s_movk_i32 s10, 0x7fff
	s_mov_b64 s[2:3], 0
	s_mov_b64 s[12:13], -1
	v_bfe_u32 v4, v3, 16, 1
	v_add3_u32 v3, v3, v4, s10
	global_store_short_d16_hi v[1:2], v3, off
.LBB158_1817:
	s_mov_b64 s[14:15], 0
.LBB158_1818:
	s_mov_b64 s[10:11], 0
	s_and_b64 vcc, exec, s[14:15]
	s_cbranch_vccz .LBB158_1820
; %bb.1819:
	s_cmp_lg_u32 s21, 11
	s_mov_b64 s[10:11], -1
	s_cselect_b64 s[2:3], -1, 0
.LBB158_1820:
	s_and_b64 vcc, exec, s[2:3]
	s_cbranch_vccnz .LBB158_2000
; %bb.1821:
	s_andn2_b64 vcc, exec, s[10:11]
	s_cbranch_vccnz .LBB158_1823
.LBB158_1822:
	v_cmp_ne_u16_e32 vcc, 0, v6
	v_cndmask_b32_e64 v3, 0, 1, vcc
	s_mov_b64 s[12:13], -1
	global_store_byte v[1:2], v3, off
.LBB158_1823:
	s_mov_b64 s[2:3], 0
	s_branch .LBB158_1825
.LBB158_1824:
	s_mov_b64 s[2:3], -1
	s_mov_b64 s[12:13], 0
.LBB158_1825:
	s_and_b64 vcc, exec, s[2:3]
	s_cbranch_vccz .LBB158_1864
; %bb.1826:
	s_and_b32 s10, 0xffff, s22
	s_cmp_lt_i32 s10, 5
	s_mov_b64 s[2:3], -1
	s_cbranch_scc1 .LBB158_1847
; %bb.1827:
	s_cmp_lt_i32 s10, 8
	s_cbranch_scc1 .LBB158_1837
; %bb.1828:
	s_cmp_lt_i32 s10, 9
	s_cbranch_scc1 .LBB158_1834
; %bb.1829:
	s_cmp_gt_i32 s10, 9
	s_cbranch_scc0 .LBB158_1831
; %bb.1830:
	v_bfe_i32 v3, v6, 0, 16
	v_cvt_f64_i32_e32 v[7:8], v3
	v_mov_b32_e32 v9, 0
	v_mov_b32_e32 v10, v9
	s_mov_b64 s[2:3], 0
	global_store_dwordx4 v[1:2], v[7:10], off
.LBB158_1831:
	s_andn2_b64 vcc, exec, s[2:3]
	s_cbranch_vccnz .LBB158_1833
; %bb.1832:
	v_cvt_f32_i32_sdwa v3, sext(v6) dst_sel:DWORD dst_unused:UNUSED_PAD src0_sel:WORD_0
	v_mov_b32_e32 v4, 0
	global_store_dwordx2 v[1:2], v[3:4], off
.LBB158_1833:
	s_mov_b64 s[2:3], 0
.LBB158_1834:
	s_andn2_b64 vcc, exec, s[2:3]
	s_cbranch_vccnz .LBB158_1836
; %bb.1835:
	v_cvt_f16_i16_e32 v3, v6
	global_store_dword v[1:2], v3, off
.LBB158_1836:
	s_mov_b64 s[2:3], 0
.LBB158_1837:
	s_andn2_b64 vcc, exec, s[2:3]
	s_cbranch_vccnz .LBB158_1846
; %bb.1838:
	s_cmp_lt_i32 s10, 6
	s_mov_b64 s[2:3], -1
	s_cbranch_scc1 .LBB158_1844
; %bb.1839:
	s_cmp_gt_i32 s10, 6
	s_cbranch_scc0 .LBB158_1841
; %bb.1840:
	v_bfe_i32 v3, v6, 0, 16
	v_cvt_f64_i32_e32 v[3:4], v3
	s_mov_b64 s[2:3], 0
	global_store_dwordx2 v[1:2], v[3:4], off
.LBB158_1841:
	s_andn2_b64 vcc, exec, s[2:3]
	s_cbranch_vccnz .LBB158_1843
; %bb.1842:
	v_cvt_f32_i32_sdwa v3, sext(v6) dst_sel:DWORD dst_unused:UNUSED_PAD src0_sel:WORD_0
	global_store_dword v[1:2], v3, off
.LBB158_1843:
	s_mov_b64 s[2:3], 0
.LBB158_1844:
	s_andn2_b64 vcc, exec, s[2:3]
	s_cbranch_vccnz .LBB158_1846
; %bb.1845:
	v_cvt_f16_i16_e32 v3, v6
	global_store_short v[1:2], v3, off
.LBB158_1846:
	s_mov_b64 s[2:3], 0
.LBB158_1847:
	s_andn2_b64 vcc, exec, s[2:3]
	s_cbranch_vccnz .LBB158_1863
; %bb.1848:
	s_cmp_lt_i32 s10, 2
	s_mov_b64 s[2:3], -1
	s_cbranch_scc1 .LBB158_1858
; %bb.1849:
	s_cmp_lt_i32 s10, 3
	s_cbranch_scc1 .LBB158_1855
; %bb.1850:
	s_cmp_gt_i32 s10, 3
	v_bfe_i32 v3, v6, 0, 16
	s_cbranch_scc0 .LBB158_1852
; %bb.1851:
	v_ashrrev_i32_e32 v4, 31, v3
	global_store_dwordx2 v[1:2], v[3:4], off
	s_mov_b64 s[2:3], 0
.LBB158_1852:
	s_andn2_b64 vcc, exec, s[2:3]
	s_cbranch_vccnz .LBB158_1854
; %bb.1853:
	global_store_dword v[1:2], v3, off
.LBB158_1854:
	s_mov_b64 s[2:3], 0
.LBB158_1855:
	s_andn2_b64 vcc, exec, s[2:3]
	s_cbranch_vccnz .LBB158_1857
; %bb.1856:
	global_store_short v[1:2], v6, off
.LBB158_1857:
	s_mov_b64 s[2:3], 0
.LBB158_1858:
	s_andn2_b64 vcc, exec, s[2:3]
	s_cbranch_vccnz .LBB158_1863
; %bb.1859:
	s_cmp_gt_i32 s10, 0
	s_mov_b64 s[2:3], -1
	s_cbranch_scc0 .LBB158_1861
; %bb.1860:
	global_store_byte v[1:2], v6, off
	s_mov_b64 s[2:3], 0
.LBB158_1861:
	s_andn2_b64 vcc, exec, s[2:3]
	s_cbranch_vccnz .LBB158_1863
; %bb.1862:
	global_store_byte v[1:2], v6, off
.LBB158_1863:
	s_mov_b64 s[12:13], -1
.LBB158_1864:
	s_andn2_b64 vcc, exec, s[12:13]
	s_cbranch_vccnz .LBB158_1941
; %bb.1865:
	v_mov_b32_e32 v1, 7
	v_ashrrev_i16_sdwa v1, v1, sext(v0) dst_sel:DWORD dst_unused:UNUSED_PAD src0_sel:DWORD src1_sel:BYTE_0
	v_ashrrev_i32_sdwa v0, s23, sext(v0) dst_sel:DWORD dst_unused:UNUSED_PAD src0_sel:DWORD src1_sel:BYTE_0
	v_cndmask_b32_e64 v2, v0, v1, s[0:1]
	v_add_u32_e32 v0, s20, v5
	v_ashrrev_i32_e32 v1, 31, v0
	v_mov_b32_e32 v3, s9
	v_add_co_u32_e32 v0, vcc, s8, v0
	s_cmp_lt_i32 s22, 11
	v_addc_co_u32_e32 v1, vcc, v3, v1, vcc
	s_cbranch_scc1 .LBB158_1986
; %bb.1866:
	s_and_b32 s14, 0xffff, s22
	s_mov_b64 s[8:9], -1
	s_mov_b64 s[2:3], 0
	s_cmp_gt_i32 s14, 25
	s_mov_b64 s[0:1], 0
	s_cbranch_scc0 .LBB158_1899
; %bb.1867:
	s_cmp_gt_i32 s14, 28
	s_cbranch_scc0 .LBB158_1883
; %bb.1868:
	s_cmp_gt_i32 s14, 43
	;; [unrolled: 3-line block ×3, first 2 shown]
	s_cbranch_scc0 .LBB158_1873
; %bb.1870:
	s_cmp_eq_u32 s14, 46
	s_mov_b64 s[0:1], -1
	s_cbranch_scc0 .LBB158_1872
; %bb.1871:
	v_cvt_f32_i32_sdwa v3, sext(v2) dst_sel:DWORD dst_unused:UNUSED_PAD src0_sel:WORD_0
	s_movk_i32 s0, 0x7fff
	v_bfe_u32 v4, v3, 16, 1
	v_add3_u32 v3, v3, v4, s0
	v_lshrrev_b32_e32 v3, 16, v3
	global_store_dword v[0:1], v3, off
	s_mov_b64 s[0:1], 0
.LBB158_1872:
	s_mov_b64 s[8:9], 0
.LBB158_1873:
	s_and_b64 vcc, exec, s[8:9]
	s_cbranch_vccz .LBB158_1878
; %bb.1874:
	s_cmp_eq_u32 s14, 44
	s_mov_b64 s[0:1], -1
	s_cbranch_scc0 .LBB158_1878
; %bb.1875:
	v_cvt_f32_i32_sdwa v3, sext(v2) dst_sel:DWORD dst_unused:UNUSED_PAD src0_sel:WORD_0
	s_movk_i32 s0, 0xff
	v_mov_b32_e32 v5, 0xff
	v_bfe_u32 v4, v3, 23, 8
	v_cmp_ne_u32_e32 vcc, s0, v4
	s_and_saveexec_b64 s[8:9], vcc
; %bb.1876:
	s_mov_b32 s0, 0x3fffff
	v_lshrrev_b32_e32 v5, 23, v3
	v_and_b32_e32 v6, 0x400000, v3
	v_and_or_b32 v3, v3, s0, v4
	v_cmp_ne_u32_e32 vcc, 0, v6
	v_cmp_ne_u32_e64 s[0:1], 0, v3
	s_and_b64 s[0:1], vcc, s[0:1]
	v_cndmask_b32_e64 v3, 0, 1, s[0:1]
	v_add_u32_e32 v5, v5, v3
; %bb.1877:
	s_or_b64 exec, exec, s[8:9]
	s_mov_b64 s[0:1], 0
	global_store_byte v[0:1], v5, off
.LBB158_1878:
	s_mov_b64 s[8:9], 0
.LBB158_1879:
	s_and_b64 vcc, exec, s[8:9]
	s_cbranch_vccz .LBB158_1882
; %bb.1880:
	s_cmp_eq_u32 s14, 29
	s_mov_b64 s[0:1], -1
	s_cbranch_scc0 .LBB158_1882
; %bb.1881:
	v_bfe_i32 v3, v2, 0, 16
	v_ashrrev_i32_e32 v4, 31, v3
	global_store_dwordx2 v[0:1], v[3:4], off
	s_mov_b64 s[0:1], 0
.LBB158_1882:
	s_mov_b64 s[8:9], 0
.LBB158_1883:
	s_and_b64 vcc, exec, s[8:9]
	s_cbranch_vccz .LBB158_1898
; %bb.1884:
	s_cmp_lt_i32 s14, 27
	s_mov_b64 s[8:9], -1
	s_cbranch_scc1 .LBB158_1890
; %bb.1885:
	s_cmp_gt_i32 s14, 27
	s_cbranch_scc0 .LBB158_1887
; %bb.1886:
	v_bfe_i32 v3, v2, 0, 16
	global_store_dword v[0:1], v3, off
	s_mov_b64 s[8:9], 0
.LBB158_1887:
	s_andn2_b64 vcc, exec, s[8:9]
	s_cbranch_vccnz .LBB158_1889
; %bb.1888:
	global_store_short v[0:1], v2, off
.LBB158_1889:
	s_mov_b64 s[8:9], 0
.LBB158_1890:
	s_andn2_b64 vcc, exec, s[8:9]
	s_cbranch_vccnz .LBB158_1898
; %bb.1891:
	v_cvt_f32_i32_sdwa v3, sext(v2) dst_sel:DWORD dst_unused:UNUSED_PAD src0_sel:WORD_0
	s_mov_b32 s8, 0x43800000
	v_mov_b32_e32 v5, 0x80
	v_and_b32_e32 v4, 0x7fffffff, v3
	v_cmp_gt_u32_e32 vcc, s8, v4
	s_and_saveexec_b64 s[8:9], vcc
	s_cbranch_execz .LBB158_1897
; %bb.1892:
	s_mov_b32 s10, 0x3bffffff
	v_cmp_lt_u32_e32 vcc, s10, v4
	s_mov_b64 s[10:11], 0
                                        ; implicit-def: $vgpr4
	s_and_saveexec_b64 s[12:13], vcc
	s_xor_b64 s[12:13], exec, s[12:13]
	s_cbranch_execz .LBB158_2003
; %bb.1893:
	v_bfe_u32 v4, v3, 20, 1
	s_mov_b32 s15, 0x487ffff
	v_add3_u32 v4, v3, v4, s15
	s_mov_b64 s[10:11], exec
	v_lshrrev_b32_e32 v4, 20, v4
	s_andn2_saveexec_b64 s[12:13], s[12:13]
	s_cbranch_execnz .LBB158_2004
.LBB158_1894:
	s_or_b64 exec, exec, s[12:13]
	v_mov_b32_e32 v5, 0
	s_and_saveexec_b64 s[12:13], s[10:11]
.LBB158_1895:
	v_lshrrev_b32_e32 v3, 24, v3
	s_movk_i32 s10, 0x80
	v_and_or_b32 v5, v3, s10, v4
.LBB158_1896:
	s_or_b64 exec, exec, s[12:13]
.LBB158_1897:
	s_or_b64 exec, exec, s[8:9]
	global_store_byte v[0:1], v5, off
.LBB158_1898:
	s_mov_b64 s[8:9], 0
.LBB158_1899:
	s_and_b64 vcc, exec, s[8:9]
	s_cbranch_vccz .LBB158_1939
; %bb.1900:
	s_cmp_gt_i32 s14, 22
	s_mov_b64 s[2:3], -1
	s_cbranch_scc0 .LBB158_1932
; %bb.1901:
	s_cmp_lt_i32 s14, 24
	s_cbranch_scc1 .LBB158_1921
; %bb.1902:
	s_cmp_gt_i32 s14, 24
	s_cbranch_scc0 .LBB158_1910
; %bb.1903:
	v_cvt_f32_i32_sdwa v3, sext(v2) dst_sel:DWORD dst_unused:UNUSED_PAD src0_sel:WORD_0
	s_mov_b32 s2, 0x47800000
	v_mov_b32_e32 v5, 0x80
	v_and_b32_e32 v4, 0x7fffffff, v3
	v_cmp_gt_u32_e32 vcc, s2, v4
	s_and_saveexec_b64 s[2:3], vcc
	s_cbranch_execz .LBB158_1909
; %bb.1904:
	s_mov_b32 s8, 0x37ffffff
	v_cmp_lt_u32_e32 vcc, s8, v4
	s_mov_b64 s[8:9], 0
                                        ; implicit-def: $vgpr4
	s_and_saveexec_b64 s[10:11], vcc
	s_xor_b64 s[10:11], exec, s[10:11]
	s_cbranch_execz .LBB158_2006
; %bb.1905:
	v_bfe_u32 v4, v3, 21, 1
	s_mov_b32 s12, 0x88fffff
	v_add3_u32 v4, v3, v4, s12
	s_mov_b64 s[8:9], exec
	v_lshrrev_b32_e32 v4, 21, v4
	s_andn2_saveexec_b64 s[10:11], s[10:11]
	s_cbranch_execnz .LBB158_2007
.LBB158_1906:
	s_or_b64 exec, exec, s[10:11]
	v_mov_b32_e32 v5, 0
	s_and_saveexec_b64 s[10:11], s[8:9]
.LBB158_1907:
	v_lshrrev_b32_e32 v3, 24, v3
	s_movk_i32 s8, 0x80
	v_and_or_b32 v5, v3, s8, v4
.LBB158_1908:
	s_or_b64 exec, exec, s[10:11]
.LBB158_1909:
	s_or_b64 exec, exec, s[2:3]
	s_mov_b64 s[2:3], 0
	global_store_byte v[0:1], v5, off
.LBB158_1910:
	s_and_b64 vcc, exec, s[2:3]
	s_cbranch_vccz .LBB158_1920
; %bb.1911:
	v_cvt_f32_i32_sdwa v3, sext(v2) dst_sel:DWORD dst_unused:UNUSED_PAD src0_sel:WORD_0
	s_mov_b32 s2, 0x43f00000
                                        ; implicit-def: $vgpr4
	v_and_b32_e32 v5, 0x7fffffff, v3
	v_cmp_gt_u32_e32 vcc, s2, v5
	s_and_saveexec_b64 s[2:3], vcc
	s_xor_b64 s[2:3], exec, s[2:3]
	s_cbranch_execz .LBB158_1917
; %bb.1912:
	s_mov_b32 s8, 0x3c7fffff
	v_cmp_lt_u32_e32 vcc, s8, v5
                                        ; implicit-def: $vgpr4
	s_and_saveexec_b64 s[8:9], vcc
	s_xor_b64 s[8:9], exec, s[8:9]
; %bb.1913:
	v_bfe_u32 v4, v3, 20, 1
	s_mov_b32 s10, 0x407ffff
	v_add3_u32 v4, v3, v4, s10
	v_lshrrev_b32_e32 v5, 20, v4
	v_and_b32_e32 v4, 0xff00000, v4
	s_mov_b32 s10, 0x7f00000
	v_mov_b32_e32 v6, 0x7e
	v_cmp_ne_u32_e32 vcc, s10, v4
	v_cndmask_b32_e32 v4, v6, v5, vcc
; %bb.1914:
	s_andn2_saveexec_b64 s[8:9], s[8:9]
; %bb.1915:
	s_mov_b32 s10, 0x46800000
	v_add_f32_e64 v4, |v3|, s10
; %bb.1916:
	s_or_b64 exec, exec, s[8:9]
                                        ; implicit-def: $vgpr5
.LBB158_1917:
	s_andn2_saveexec_b64 s[2:3], s[2:3]
; %bb.1918:
	s_mov_b32 s8, 0x7f800000
	v_mov_b32_e32 v4, 0x7e
	v_mov_b32_e32 v6, 0x7f
	v_cmp_lt_u32_e32 vcc, s8, v5
	v_cndmask_b32_e32 v4, v4, v6, vcc
; %bb.1919:
	s_or_b64 exec, exec, s[2:3]
	v_lshrrev_b32_e32 v3, 24, v3
	s_movk_i32 s2, 0x80
	v_and_or_b32 v3, v3, s2, v4
	global_store_byte v[0:1], v3, off
.LBB158_1920:
	s_mov_b64 s[2:3], 0
.LBB158_1921:
	s_andn2_b64 vcc, exec, s[2:3]
	s_cbranch_vccnz .LBB158_1931
; %bb.1922:
	v_cvt_f32_i32_sdwa v3, sext(v2) dst_sel:DWORD dst_unused:UNUSED_PAD src0_sel:WORD_0
	s_mov_b32 s2, 0x47800000
                                        ; implicit-def: $vgpr4
	v_and_b32_e32 v5, 0x7fffffff, v3
	v_cmp_gt_u32_e32 vcc, s2, v5
	s_and_saveexec_b64 s[2:3], vcc
	s_xor_b64 s[2:3], exec, s[2:3]
	s_cbranch_execz .LBB158_1928
; %bb.1923:
	s_mov_b32 s8, 0x387fffff
	v_cmp_lt_u32_e32 vcc, s8, v5
                                        ; implicit-def: $vgpr4
	s_and_saveexec_b64 s[8:9], vcc
	s_xor_b64 s[8:9], exec, s[8:9]
; %bb.1924:
	v_bfe_u32 v4, v3, 21, 1
	s_mov_b32 s10, 0x80fffff
	v_add3_u32 v4, v3, v4, s10
	v_lshrrev_b32_e32 v4, 21, v4
; %bb.1925:
	s_andn2_saveexec_b64 s[8:9], s[8:9]
; %bb.1926:
	s_mov_b32 s10, 0x43000000
	v_add_f32_e64 v4, |v3|, s10
; %bb.1927:
	s_or_b64 exec, exec, s[8:9]
                                        ; implicit-def: $vgpr5
.LBB158_1928:
	s_andn2_saveexec_b64 s[2:3], s[2:3]
; %bb.1929:
	s_mov_b32 s8, 0x7f800000
	v_mov_b32_e32 v4, 0x7c
	v_mov_b32_e32 v6, 0x7f
	v_cmp_lt_u32_e32 vcc, s8, v5
	v_cndmask_b32_e32 v4, v4, v6, vcc
; %bb.1930:
	s_or_b64 exec, exec, s[2:3]
	v_lshrrev_b32_e32 v3, 24, v3
	s_movk_i32 s2, 0x80
	v_and_or_b32 v3, v3, s2, v4
	global_store_byte v[0:1], v3, off
.LBB158_1931:
	s_mov_b64 s[2:3], 0
.LBB158_1932:
	s_andn2_b64 vcc, exec, s[2:3]
	s_mov_b64 s[2:3], 0
	s_cbranch_vccnz .LBB158_1939
; %bb.1933:
	s_cmp_gt_i32 s14, 14
	s_mov_b64 s[8:9], -1
	s_cbranch_scc0 .LBB158_1937
; %bb.1934:
	s_cmp_eq_u32 s14, 15
	s_mov_b64 s[0:1], -1
	s_cbranch_scc0 .LBB158_1936
; %bb.1935:
	v_cvt_f32_i32_sdwa v3, sext(v2) dst_sel:DWORD dst_unused:UNUSED_PAD src0_sel:WORD_0
	s_movk_i32 s0, 0x7fff
	v_bfe_u32 v4, v3, 16, 1
	v_add3_u32 v3, v3, v4, s0
	global_store_short_d16_hi v[0:1], v3, off
	s_mov_b64 s[0:1], 0
.LBB158_1936:
	s_mov_b64 s[8:9], 0
.LBB158_1937:
	s_and_b64 vcc, exec, s[8:9]
	s_cbranch_vccz .LBB158_1939
; %bb.1938:
	s_cmp_lg_u32 s14, 11
	s_mov_b64 s[2:3], -1
	s_cselect_b64 s[0:1], -1, 0
.LBB158_1939:
	s_and_b64 vcc, exec, s[0:1]
	s_cbranch_vccnz .LBB158_2005
.LBB158_1940:
	s_mov_b64 s[0:1], 0
	s_branch .LBB158_1942
.LBB158_1941:
	s_mov_b64 s[0:1], 0
	s_mov_b64 s[2:3], 0
                                        ; implicit-def: $sgpr22
                                        ; implicit-def: $vgpr0_vgpr1
                                        ; implicit-def: $vgpr2
.LBB158_1942:
	s_and_b64 s[14:15], s[2:3], exec
	s_andn2_b64 s[2:3], s[6:7], exec
	s_and_b64 s[6:7], s[16:17], exec
	s_and_b64 s[0:1], s[0:1], exec
	s_or_b64 s[6:7], s[2:3], s[6:7]
.LBB158_1943:
	s_or_b64 exec, exec, s[4:5]
	s_and_saveexec_b64 s[2:3], s[6:7]
	s_cbranch_execz .LBB158_1946
; %bb.1944:
	; divergent unreachable
	s_or_b64 exec, exec, s[2:3]
	s_and_saveexec_b64 s[2:3], s[14:15]
	s_xor_b64 s[2:3], exec, s[2:3]
	s_cbranch_execnz .LBB158_1947
.LBB158_1945:
	s_or_b64 exec, exec, s[2:3]
	s_and_saveexec_b64 s[2:3], s[0:1]
	s_cbranch_execnz .LBB158_1948
	s_branch .LBB158_1985
.LBB158_1946:
	s_or_b64 exec, exec, s[2:3]
	s_and_saveexec_b64 s[2:3], s[14:15]
	s_xor_b64 s[2:3], exec, s[2:3]
	s_cbranch_execz .LBB158_1945
.LBB158_1947:
	s_waitcnt vmcnt(0)
	v_mov_b32_e32 v3, 0
	v_cmp_ne_u16_sdwa s[4:5], v2, v3 src0_sel:BYTE_0 src1_sel:DWORD
	v_cndmask_b32_e64 v3, 0, 1, s[4:5]
	global_store_byte v[0:1], v3, off
	s_or_b64 exec, exec, s[2:3]
	s_and_saveexec_b64 s[2:3], s[0:1]
	s_cbranch_execz .LBB158_1985
.LBB158_1948:
	s_sext_i32_i16 s2, s22
	s_cmp_lt_i32 s2, 5
	s_mov_b64 s[0:1], -1
	s_cbranch_scc1 .LBB158_1969
; %bb.1949:
	s_cmp_lt_i32 s2, 8
	s_cbranch_scc1 .LBB158_1959
; %bb.1950:
	s_cmp_lt_i32 s2, 9
	s_cbranch_scc1 .LBB158_1956
; %bb.1951:
	s_cmp_gt_i32 s2, 9
	s_cbranch_scc0 .LBB158_1953
; %bb.1952:
	s_waitcnt vmcnt(0)
	v_bfe_i32 v3, v2, 0, 8
	v_bfe_i32 v3, v3, 0, 16
	v_cvt_f64_i32_e32 v[3:4], v3
	v_mov_b32_e32 v5, 0
	v_mov_b32_e32 v6, v5
	s_mov_b64 s[0:1], 0
	global_store_dwordx4 v[0:1], v[3:6], off
.LBB158_1953:
	s_andn2_b64 vcc, exec, s[0:1]
	s_cbranch_vccnz .LBB158_1955
; %bb.1954:
	s_waitcnt vmcnt(0)
	v_bfe_i32 v3, v2, 0, 8
	v_cvt_f32_i32_sdwa v3, sext(v3) dst_sel:DWORD dst_unused:UNUSED_PAD src0_sel:WORD_0
	v_mov_b32_e32 v4, 0
	global_store_dwordx2 v[0:1], v[3:4], off
.LBB158_1955:
	s_mov_b64 s[0:1], 0
.LBB158_1956:
	s_andn2_b64 vcc, exec, s[0:1]
	s_cbranch_vccnz .LBB158_1958
; %bb.1957:
	s_waitcnt vmcnt(0)
	v_cvt_f16_i16_sdwa v3, sext(v2) dst_sel:DWORD dst_unused:UNUSED_PAD src0_sel:BYTE_0
	global_store_dword v[0:1], v3, off
.LBB158_1958:
	s_mov_b64 s[0:1], 0
.LBB158_1959:
	s_andn2_b64 vcc, exec, s[0:1]
	s_cbranch_vccnz .LBB158_1968
; %bb.1960:
	s_sext_i32_i16 s2, s22
	s_cmp_lt_i32 s2, 6
	s_mov_b64 s[0:1], -1
	s_cbranch_scc1 .LBB158_1966
; %bb.1961:
	s_cmp_gt_i32 s2, 6
	s_cbranch_scc0 .LBB158_1963
; %bb.1962:
	s_waitcnt vmcnt(0)
	v_bfe_i32 v3, v2, 0, 8
	v_bfe_i32 v3, v3, 0, 16
	v_cvt_f64_i32_e32 v[3:4], v3
	s_mov_b64 s[0:1], 0
	global_store_dwordx2 v[0:1], v[3:4], off
.LBB158_1963:
	s_andn2_b64 vcc, exec, s[0:1]
	s_cbranch_vccnz .LBB158_1965
; %bb.1964:
	s_waitcnt vmcnt(0)
	v_bfe_i32 v3, v2, 0, 8
	v_cvt_f32_i32_sdwa v3, sext(v3) dst_sel:DWORD dst_unused:UNUSED_PAD src0_sel:WORD_0
	global_store_dword v[0:1], v3, off
.LBB158_1965:
	s_mov_b64 s[0:1], 0
.LBB158_1966:
	s_andn2_b64 vcc, exec, s[0:1]
	s_cbranch_vccnz .LBB158_1968
; %bb.1967:
	s_waitcnt vmcnt(0)
	v_cvt_f16_i16_sdwa v3, sext(v2) dst_sel:DWORD dst_unused:UNUSED_PAD src0_sel:BYTE_0
	global_store_short v[0:1], v3, off
.LBB158_1968:
	s_mov_b64 s[0:1], 0
.LBB158_1969:
	s_andn2_b64 vcc, exec, s[0:1]
	s_cbranch_vccnz .LBB158_1985
; %bb.1970:
	s_sext_i32_i16 s2, s22
	s_cmp_lt_i32 s2, 2
	s_mov_b64 s[0:1], -1
	s_cbranch_scc1 .LBB158_1980
; %bb.1971:
	s_cmp_lt_i32 s2, 3
	s_cbranch_scc1 .LBB158_1977
; %bb.1972:
	s_cmp_gt_i32 s2, 3
	s_cbranch_scc0 .LBB158_1974
; %bb.1973:
	s_waitcnt vmcnt(0)
	v_bfe_i32 v3, v2, 0, 8
	v_ashrrev_i32_e32 v4, 31, v3
	global_store_dwordx2 v[0:1], v[3:4], off
	s_mov_b64 s[0:1], 0
.LBB158_1974:
	s_andn2_b64 vcc, exec, s[0:1]
	s_cbranch_vccnz .LBB158_1976
; %bb.1975:
	s_waitcnt vmcnt(0)
	v_bfe_i32 v3, v2, 0, 8
	global_store_dword v[0:1], v3, off
.LBB158_1976:
	s_mov_b64 s[0:1], 0
.LBB158_1977:
	s_andn2_b64 vcc, exec, s[0:1]
	s_cbranch_vccnz .LBB158_1979
; %bb.1978:
	s_waitcnt vmcnt(0)
	v_bfe_i32 v3, v2, 0, 8
	global_store_short v[0:1], v3, off
.LBB158_1979:
	s_mov_b64 s[0:1], 0
.LBB158_1980:
	s_andn2_b64 vcc, exec, s[0:1]
	s_cbranch_vccnz .LBB158_1985
; %bb.1981:
	s_sext_i32_i16 s0, s22
	s_cmp_gt_i32 s0, 0
	s_mov_b64 s[0:1], -1
	s_cbranch_scc0 .LBB158_1983
; %bb.1982:
	s_waitcnt vmcnt(0)
	global_store_byte v[0:1], v2, off
	s_mov_b64 s[0:1], 0
.LBB158_1983:
	s_andn2_b64 vcc, exec, s[0:1]
	s_cbranch_vccnz .LBB158_1985
; %bb.1984:
	s_waitcnt vmcnt(0)
	global_store_byte v[0:1], v2, off
	s_endpgm
.LBB158_1985:
	s_endpgm
.LBB158_1986:
	s_mov_b64 s[2:3], 0
	s_mov_b64 s[0:1], -1
	s_branch .LBB158_1942
.LBB158_1987:
	s_trap 2
	s_or_b64 s[16:17], s[16:17], exec
	s_cbranch_execz .LBB158_1456
	s_branch .LBB158_1457
.LBB158_1988:
	s_andn2_saveexec_b64 s[20:21], s[20:21]
	s_cbranch_execz .LBB158_1536
.LBB158_1989:
	s_mov_b32 s24, 0x46000000
	v_add_f32_e64 v8, |v7|, s24
	v_and_b32_e32 v8, 0xff, v8
	v_cmp_ne_u32_e32 vcc, 0, v8
	s_andn2_b64 s[18:19], s[18:19], exec
	s_and_b64 s[24:25], vcc, exec
	s_or_b64 s[18:19], s[18:19], s[24:25]
	s_or_b64 exec, exec, s[20:21]
	v_mov_b32_e32 v9, 0
	s_and_saveexec_b64 s[20:21], s[18:19]
	s_cbranch_execnz .LBB158_1537
	s_branch .LBB158_1538
.LBB158_1990:
	s_trap 2
	s_or_b64 s[16:17], s[16:17], exec
	s_cbranch_execz .LBB158_1584
	s_branch .LBB158_1585
.LBB158_1991:
	s_andn2_saveexec_b64 s[18:19], s[18:19]
	s_cbranch_execz .LBB158_1549
.LBB158_1992:
	s_mov_b32 s20, 0x42800000
	v_add_f32_e64 v8, |v7|, s20
	v_and_b32_e32 v8, 0xff, v8
	v_cmp_ne_u32_e32 vcc, 0, v8
	s_andn2_b64 s[14:15], s[14:15], exec
	s_and_b64 s[20:21], vcc, exec
	s_or_b64 s[14:15], s[14:15], s[20:21]
	s_or_b64 exec, exec, s[18:19]
	v_mov_b32_e32 v9, 0
	s_and_saveexec_b64 s[18:19], s[14:15]
	s_cbranch_execnz .LBB158_1550
	s_branch .LBB158_1551
.LBB158_1993:
	s_andn2_saveexec_b64 s[18:19], s[18:19]
	s_cbranch_execz .LBB158_1655
.LBB158_1994:
	s_mov_b32 s24, 0x46000000
	v_add_f32_e64 v6, |v5|, s24
	v_and_b32_e32 v6, 0xff, v6
	v_cmp_ne_u32_e32 vcc, 0, v6
	s_andn2_b64 s[14:15], s[14:15], exec
	s_and_b64 s[24:25], vcc, exec
	s_or_b64 s[14:15], s[14:15], s[24:25]
	s_or_b64 exec, exec, s[18:19]
	v_mov_b32_e32 v8, 0
	s_and_saveexec_b64 s[18:19], s[14:15]
	s_cbranch_execnz .LBB158_1656
	s_branch .LBB158_1657
.LBB158_1995:
	s_trap 2
	s_or_b64 s[16:17], s[16:17], exec
	s_cbranch_execz .LBB158_1703
	s_branch .LBB158_1704
.LBB158_1996:
	s_andn2_saveexec_b64 s[14:15], s[14:15]
	s_cbranch_execz .LBB158_1668
.LBB158_1997:
	s_mov_b32 s18, 0x42800000
	v_add_f32_e64 v6, |v5|, s18
	v_and_b32_e32 v6, 0xff, v6
	v_cmp_ne_u32_e32 vcc, 0, v6
	s_andn2_b64 s[12:13], s[12:13], exec
	s_and_b64 s[18:19], vcc, exec
	s_or_b64 s[12:13], s[12:13], s[18:19]
	s_or_b64 exec, exec, s[14:15]
	v_mov_b32_e32 v8, 0
	s_and_saveexec_b64 s[14:15], s[12:13]
	s_cbranch_execnz .LBB158_1669
	s_branch .LBB158_1670
.LBB158_1998:
	s_andn2_saveexec_b64 s[18:19], s[18:19]
	s_cbranch_execz .LBB158_1774
.LBB158_1999:
	s_mov_b32 s24, 0x46000000
	v_add_f32_e64 v4, |v3|, s24
	v_and_b32_e32 v4, 0xff, v4
	v_cmp_ne_u32_e32 vcc, 0, v4
	s_andn2_b64 s[14:15], s[14:15], exec
	s_and_b64 s[24:25], vcc, exec
	s_or_b64 s[14:15], s[14:15], s[24:25]
	s_or_b64 exec, exec, s[18:19]
	v_mov_b32_e32 v7, 0
	s_and_saveexec_b64 s[18:19], s[14:15]
	s_cbranch_execnz .LBB158_1775
	s_branch .LBB158_1776
.LBB158_2000:
	s_trap 2
	s_or_b64 s[16:17], s[16:17], exec
	s_cbranch_execz .LBB158_1822
	s_branch .LBB158_1823
.LBB158_2001:
	s_andn2_saveexec_b64 s[14:15], s[14:15]
	s_cbranch_execz .LBB158_1787
.LBB158_2002:
	s_mov_b32 s18, 0x42800000
	v_add_f32_e64 v4, |v3|, s18
	v_and_b32_e32 v4, 0xff, v4
	v_cmp_ne_u32_e32 vcc, 0, v4
	s_andn2_b64 s[12:13], s[12:13], exec
	s_and_b64 s[18:19], vcc, exec
	s_or_b64 s[12:13], s[12:13], s[18:19]
	s_or_b64 exec, exec, s[14:15]
	v_mov_b32_e32 v7, 0
	s_and_saveexec_b64 s[14:15], s[12:13]
	s_cbranch_execnz .LBB158_1788
	s_branch .LBB158_1789
.LBB158_2003:
	s_andn2_saveexec_b64 s[12:13], s[12:13]
	s_cbranch_execz .LBB158_1894
.LBB158_2004:
	s_mov_b32 s15, 0x46000000
	v_add_f32_e64 v4, |v3|, s15
	v_and_b32_e32 v4, 0xff, v4
	v_cmp_ne_u32_e32 vcc, 0, v4
	s_andn2_b64 s[10:11], s[10:11], exec
	s_and_b64 s[18:19], vcc, exec
	s_or_b64 s[10:11], s[10:11], s[18:19]
	s_or_b64 exec, exec, s[12:13]
	v_mov_b32_e32 v5, 0
	s_and_saveexec_b64 s[12:13], s[10:11]
	s_cbranch_execnz .LBB158_1895
	s_branch .LBB158_1896
.LBB158_2005:
	s_mov_b64 s[2:3], 0
	s_or_b64 s[16:17], s[16:17], exec
	s_trap 2
	s_branch .LBB158_1940
.LBB158_2006:
	s_andn2_saveexec_b64 s[10:11], s[10:11]
	s_cbranch_execz .LBB158_1906
.LBB158_2007:
	s_mov_b32 s12, 0x42800000
	v_add_f32_e64 v4, |v3|, s12
	v_and_b32_e32 v4, 0xff, v4
	v_cmp_ne_u32_e32 vcc, 0, v4
	s_andn2_b64 s[8:9], s[8:9], exec
	s_and_b64 s[12:13], vcc, exec
	s_or_b64 s[8:9], s[8:9], s[12:13]
	s_or_b64 exec, exec, s[10:11]
	v_mov_b32_e32 v5, 0
	s_and_saveexec_b64 s[10:11], s[8:9]
	s_cbranch_execnz .LBB158_1907
	s_branch .LBB158_1908
	.section	.rodata,"a",@progbits
	.p2align	6, 0x0
	.amdhsa_kernel _ZN2at6native32elementwise_kernel_manual_unrollILi128ELi4EZNS0_15gpu_kernel_implINS0_13BUnaryFunctorIaaaZZZNS0_18rshift_kernel_cudaERNS_18TensorIteratorBaseEENKUlvE_clEvENKUlvE0_clEvEUlaaE_EEEEvS5_RKT_EUlibE_EEviT1_
		.amdhsa_group_segment_fixed_size 0
		.amdhsa_private_segment_fixed_size 0
		.amdhsa_kernarg_size 40
		.amdhsa_user_sgpr_count 6
		.amdhsa_user_sgpr_private_segment_buffer 1
		.amdhsa_user_sgpr_dispatch_ptr 0
		.amdhsa_user_sgpr_queue_ptr 0
		.amdhsa_user_sgpr_kernarg_segment_ptr 1
		.amdhsa_user_sgpr_dispatch_id 0
		.amdhsa_user_sgpr_flat_scratch_init 0
		.amdhsa_user_sgpr_private_segment_size 0
		.amdhsa_uses_dynamic_stack 0
		.amdhsa_system_sgpr_private_segment_wavefront_offset 0
		.amdhsa_system_sgpr_workgroup_id_x 1
		.amdhsa_system_sgpr_workgroup_id_y 0
		.amdhsa_system_sgpr_workgroup_id_z 0
		.amdhsa_system_sgpr_workgroup_info 0
		.amdhsa_system_vgpr_workitem_id 0
		.amdhsa_next_free_vgpr 12
		.amdhsa_next_free_sgpr 50
		.amdhsa_reserve_vcc 1
		.amdhsa_reserve_flat_scratch 0
		.amdhsa_float_round_mode_32 0
		.amdhsa_float_round_mode_16_64 0
		.amdhsa_float_denorm_mode_32 3
		.amdhsa_float_denorm_mode_16_64 3
		.amdhsa_dx10_clamp 1
		.amdhsa_ieee_mode 1
		.amdhsa_fp16_overflow 0
		.amdhsa_exception_fp_ieee_invalid_op 0
		.amdhsa_exception_fp_denorm_src 0
		.amdhsa_exception_fp_ieee_div_zero 0
		.amdhsa_exception_fp_ieee_overflow 0
		.amdhsa_exception_fp_ieee_underflow 0
		.amdhsa_exception_fp_ieee_inexact 0
		.amdhsa_exception_int_div_zero 0
	.end_amdhsa_kernel
	.section	.text._ZN2at6native32elementwise_kernel_manual_unrollILi128ELi4EZNS0_15gpu_kernel_implINS0_13BUnaryFunctorIaaaZZZNS0_18rshift_kernel_cudaERNS_18TensorIteratorBaseEENKUlvE_clEvENKUlvE0_clEvEUlaaE_EEEEvS5_RKT_EUlibE_EEviT1_,"axG",@progbits,_ZN2at6native32elementwise_kernel_manual_unrollILi128ELi4EZNS0_15gpu_kernel_implINS0_13BUnaryFunctorIaaaZZZNS0_18rshift_kernel_cudaERNS_18TensorIteratorBaseEENKUlvE_clEvENKUlvE0_clEvEUlaaE_EEEEvS5_RKT_EUlibE_EEviT1_,comdat
.Lfunc_end158:
	.size	_ZN2at6native32elementwise_kernel_manual_unrollILi128ELi4EZNS0_15gpu_kernel_implINS0_13BUnaryFunctorIaaaZZZNS0_18rshift_kernel_cudaERNS_18TensorIteratorBaseEENKUlvE_clEvENKUlvE0_clEvEUlaaE_EEEEvS5_RKT_EUlibE_EEviT1_, .Lfunc_end158-_ZN2at6native32elementwise_kernel_manual_unrollILi128ELi4EZNS0_15gpu_kernel_implINS0_13BUnaryFunctorIaaaZZZNS0_18rshift_kernel_cudaERNS_18TensorIteratorBaseEENKUlvE_clEvENKUlvE0_clEvEUlaaE_EEEEvS5_RKT_EUlibE_EEviT1_
                                        ; -- End function
	.set _ZN2at6native32elementwise_kernel_manual_unrollILi128ELi4EZNS0_15gpu_kernel_implINS0_13BUnaryFunctorIaaaZZZNS0_18rshift_kernel_cudaERNS_18TensorIteratorBaseEENKUlvE_clEvENKUlvE0_clEvEUlaaE_EEEEvS5_RKT_EUlibE_EEviT1_.num_vgpr, 12
	.set _ZN2at6native32elementwise_kernel_manual_unrollILi128ELi4EZNS0_15gpu_kernel_implINS0_13BUnaryFunctorIaaaZZZNS0_18rshift_kernel_cudaERNS_18TensorIteratorBaseEENKUlvE_clEvENKUlvE0_clEvEUlaaE_EEEEvS5_RKT_EUlibE_EEviT1_.num_agpr, 0
	.set _ZN2at6native32elementwise_kernel_manual_unrollILi128ELi4EZNS0_15gpu_kernel_implINS0_13BUnaryFunctorIaaaZZZNS0_18rshift_kernel_cudaERNS_18TensorIteratorBaseEENKUlvE_clEvENKUlvE0_clEvEUlaaE_EEEEvS5_RKT_EUlibE_EEviT1_.numbered_sgpr, 50
	.set _ZN2at6native32elementwise_kernel_manual_unrollILi128ELi4EZNS0_15gpu_kernel_implINS0_13BUnaryFunctorIaaaZZZNS0_18rshift_kernel_cudaERNS_18TensorIteratorBaseEENKUlvE_clEvENKUlvE0_clEvEUlaaE_EEEEvS5_RKT_EUlibE_EEviT1_.num_named_barrier, 0
	.set _ZN2at6native32elementwise_kernel_manual_unrollILi128ELi4EZNS0_15gpu_kernel_implINS0_13BUnaryFunctorIaaaZZZNS0_18rshift_kernel_cudaERNS_18TensorIteratorBaseEENKUlvE_clEvENKUlvE0_clEvEUlaaE_EEEEvS5_RKT_EUlibE_EEviT1_.private_seg_size, 0
	.set _ZN2at6native32elementwise_kernel_manual_unrollILi128ELi4EZNS0_15gpu_kernel_implINS0_13BUnaryFunctorIaaaZZZNS0_18rshift_kernel_cudaERNS_18TensorIteratorBaseEENKUlvE_clEvENKUlvE0_clEvEUlaaE_EEEEvS5_RKT_EUlibE_EEviT1_.uses_vcc, 1
	.set _ZN2at6native32elementwise_kernel_manual_unrollILi128ELi4EZNS0_15gpu_kernel_implINS0_13BUnaryFunctorIaaaZZZNS0_18rshift_kernel_cudaERNS_18TensorIteratorBaseEENKUlvE_clEvENKUlvE0_clEvEUlaaE_EEEEvS5_RKT_EUlibE_EEviT1_.uses_flat_scratch, 0
	.set _ZN2at6native32elementwise_kernel_manual_unrollILi128ELi4EZNS0_15gpu_kernel_implINS0_13BUnaryFunctorIaaaZZZNS0_18rshift_kernel_cudaERNS_18TensorIteratorBaseEENKUlvE_clEvENKUlvE0_clEvEUlaaE_EEEEvS5_RKT_EUlibE_EEviT1_.has_dyn_sized_stack, 0
	.set _ZN2at6native32elementwise_kernel_manual_unrollILi128ELi4EZNS0_15gpu_kernel_implINS0_13BUnaryFunctorIaaaZZZNS0_18rshift_kernel_cudaERNS_18TensorIteratorBaseEENKUlvE_clEvENKUlvE0_clEvEUlaaE_EEEEvS5_RKT_EUlibE_EEviT1_.has_recursion, 0
	.set _ZN2at6native32elementwise_kernel_manual_unrollILi128ELi4EZNS0_15gpu_kernel_implINS0_13BUnaryFunctorIaaaZZZNS0_18rshift_kernel_cudaERNS_18TensorIteratorBaseEENKUlvE_clEvENKUlvE0_clEvEUlaaE_EEEEvS5_RKT_EUlibE_EEviT1_.has_indirect_call, 0
	.section	.AMDGPU.csdata,"",@progbits
; Kernel info:
; codeLenInByte = 30264
; TotalNumSgprs: 54
; NumVgprs: 12
; ScratchSize: 0
; MemoryBound: 1
; FloatMode: 240
; IeeeMode: 1
; LDSByteSize: 0 bytes/workgroup (compile time only)
; SGPRBlocks: 6
; VGPRBlocks: 2
; NumSGPRsForWavesPerEU: 54
; NumVGPRsForWavesPerEU: 12
; Occupancy: 10
; WaveLimiterHint : 0
; COMPUTE_PGM_RSRC2:SCRATCH_EN: 0
; COMPUTE_PGM_RSRC2:USER_SGPR: 6
; COMPUTE_PGM_RSRC2:TRAP_HANDLER: 0
; COMPUTE_PGM_RSRC2:TGID_X_EN: 1
; COMPUTE_PGM_RSRC2:TGID_Y_EN: 0
; COMPUTE_PGM_RSRC2:TGID_Z_EN: 0
; COMPUTE_PGM_RSRC2:TIDIG_COMP_CNT: 0
	.section	.text._ZN2at6native32elementwise_kernel_manual_unrollILi128ELi4EZNS0_15gpu_kernel_implINS0_13BUnaryFunctorIaaaZZZNS0_18rshift_kernel_cudaERNS_18TensorIteratorBaseEENKUlvE_clEvENKUlvE0_clEvEUlaaE_EEEEvS5_RKT_EUlibE0_EEviT1_,"axG",@progbits,_ZN2at6native32elementwise_kernel_manual_unrollILi128ELi4EZNS0_15gpu_kernel_implINS0_13BUnaryFunctorIaaaZZZNS0_18rshift_kernel_cudaERNS_18TensorIteratorBaseEENKUlvE_clEvENKUlvE0_clEvEUlaaE_EEEEvS5_RKT_EUlibE0_EEviT1_,comdat
	.globl	_ZN2at6native32elementwise_kernel_manual_unrollILi128ELi4EZNS0_15gpu_kernel_implINS0_13BUnaryFunctorIaaaZZZNS0_18rshift_kernel_cudaERNS_18TensorIteratorBaseEENKUlvE_clEvENKUlvE0_clEvEUlaaE_EEEEvS5_RKT_EUlibE0_EEviT1_ ; -- Begin function _ZN2at6native32elementwise_kernel_manual_unrollILi128ELi4EZNS0_15gpu_kernel_implINS0_13BUnaryFunctorIaaaZZZNS0_18rshift_kernel_cudaERNS_18TensorIteratorBaseEENKUlvE_clEvENKUlvE0_clEvEUlaaE_EEEEvS5_RKT_EUlibE0_EEviT1_
	.p2align	8
	.type	_ZN2at6native32elementwise_kernel_manual_unrollILi128ELi4EZNS0_15gpu_kernel_implINS0_13BUnaryFunctorIaaaZZZNS0_18rshift_kernel_cudaERNS_18TensorIteratorBaseEENKUlvE_clEvENKUlvE0_clEvEUlaaE_EEEEvS5_RKT_EUlibE0_EEviT1_,@function
_ZN2at6native32elementwise_kernel_manual_unrollILi128ELi4EZNS0_15gpu_kernel_implINS0_13BUnaryFunctorIaaaZZZNS0_18rshift_kernel_cudaERNS_18TensorIteratorBaseEENKUlvE_clEvENKUlvE0_clEvEUlaaE_EEEEvS5_RKT_EUlibE0_EEviT1_: ; @_ZN2at6native32elementwise_kernel_manual_unrollILi128ELi4EZNS0_15gpu_kernel_implINS0_13BUnaryFunctorIaaaZZZNS0_18rshift_kernel_cudaERNS_18TensorIteratorBaseEENKUlvE_clEvENKUlvE0_clEvEUlaaE_EEEEvS5_RKT_EUlibE0_EEviT1_
; %bb.0:
	s_load_dword s72, s[4:5], 0x0
	s_load_dword s33, s[4:5], 0x8
	s_add_u32 s34, s4, 8
	s_addc_u32 s35, s5, 0
	v_lshl_or_b32 v8, s6, 9, v0
	v_or_b32_e32 v15, 0x180, v8
	s_waitcnt lgkmcnt(0)
	s_add_i32 s74, s33, -1
	s_cmp_gt_u32 s74, 1
	v_cmp_le_i32_e32 vcc, s72, v15
	s_cselect_b64 s[44:45], -1, 0
	s_mov_b64 s[6:7], 0
	s_mov_b64 s[28:29], 0
	s_and_saveexec_b64 s[0:1], vcc
	s_xor_b64 s[46:47], exec, s[0:1]
	s_cbranch_execz .LBB159_1070
; %bb.1:
	v_mov_b32_e32 v0, 0
	global_load_ushort v1, v0, s[34:35] offset:345
	global_load_sbyte v2, v0, s[34:35] offset:347
	s_cmp_lg_u32 s33, 0
	s_load_dwordx4 s[36:39], s[34:35], 0x4
	s_load_dwordx2 s[48:49], s[34:35], 0x14
	s_load_dwordx4 s[28:31], s[34:35], 0xc4
	s_load_dwordx4 s[24:27], s[34:35], 0x148
	s_cselect_b64 s[54:55], -1, 0
	s_add_u32 s52, s34, 0xc4
	s_addc_u32 s53, s35, 0
	s_min_u32 s78, s74, 15
	s_cmp_gt_u32 s33, 1
	s_cselect_b64 s[50:51], -1, 0
	v_cmp_gt_i32_e32 vcc, s72, v8
	s_mov_b64 s[2:3], -1
	s_mov_b64 s[64:65], 0
	s_mov_b64 s[58:59], 0
	;; [unrolled: 1-line block ×3, first 2 shown]
	s_waitcnt vmcnt(1)
	v_readfirstlane_b32 s0, v1
	s_lshr_b32 s75, s0, 8
	s_and_b32 s76, s0, 0xff
	s_cmp_gt_u32 s76, 6
	s_waitcnt vmcnt(0)
	v_readfirstlane_b32 s77, v2
	s_cselect_b64 s[0:1], -1, 0
	s_and_saveexec_b64 s[60:61], vcc
	s_cbranch_execz .LBB159_262
; %bb.2:
	s_andn2_b64 vcc, exec, s[44:45]
	s_cbranch_vccnz .LBB159_7
; %bb.3:
	s_andn2_b64 vcc, exec, s[54:55]
	s_cbranch_vccnz .LBB159_8
; %bb.4:
	s_add_i32 s59, s78, 1
	s_cmp_eq_u32 s74, 2
	s_cbranch_scc1 .LBB159_9
; %bb.5:
	s_and_b32 s58, s59, 28
	v_mov_b32_e32 v2, 0
	s_mov_b32 s62, 0
	s_mov_b64 s[2:3], s[34:35]
	s_mov_b64 s[56:57], s[52:53]
	v_mov_b32_e32 v0, 0
	v_mov_b32_e32 v1, v8
.LBB159_6:                              ; =>This Inner Loop Header: Depth=1
	s_load_dwordx8 s[16:23], s[2:3], 0x4
	s_load_dwordx4 s[40:43], s[2:3], 0x24
	s_load_dwordx8 s[8:15], s[56:57], 0x0
	s_add_u32 s2, s2, 48
	s_addc_u32 s3, s3, 0
	s_waitcnt lgkmcnt(0)
	v_mul_hi_u32 v3, s17, v1
	s_add_i32 s62, s62, 4
	s_add_u32 s56, s56, 32
	s_addc_u32 s57, s57, 0
	v_add_u32_e32 v3, v1, v3
	v_lshrrev_b32_e32 v3, s18, v3
	v_mul_lo_u32 v4, v3, s16
	v_mul_hi_u32 v5, s20, v3
	s_cmp_lg_u32 s58, s62
	v_sub_u32_e32 v1, v1, v4
	v_add_u32_e32 v4, v3, v5
	v_mul_lo_u32 v5, v1, s8
	v_mul_lo_u32 v6, v1, s9
	v_lshrrev_b32_e32 v1, s21, v4
	v_mul_lo_u32 v4, v1, s19
	v_mul_hi_u32 v7, s23, v1
	v_sub_u32_e32 v3, v3, v4
	v_add_u32_e32 v4, v1, v7
	v_lshrrev_b32_e32 v4, s40, v4
	v_mul_hi_u32 v9, s42, v4
	v_mul_lo_u32 v10, v4, s22
	v_mul_lo_u32 v7, v3, s10
	;; [unrolled: 1-line block ×3, first 2 shown]
	v_sub_u32_e32 v10, v1, v10
	v_add_u32_e32 v1, v4, v9
	v_lshrrev_b32_e32 v1, s43, v1
	v_mul_lo_u32 v9, v1, s41
	v_mul_lo_u32 v11, v10, s12
	;; [unrolled: 1-line block ×3, first 2 shown]
	v_add3_u32 v0, v5, v0, v7
	v_sub_u32_e32 v4, v4, v9
	v_mul_lo_u32 v9, v4, s14
	v_mul_lo_u32 v4, v4, s15
	v_add3_u32 v2, v6, v2, v3
	v_add3_u32 v0, v11, v0, v9
	;; [unrolled: 1-line block ×3, first 2 shown]
	s_cbranch_scc1 .LBB159_6
	s_branch .LBB159_10
.LBB159_7:
                                        ; implicit-def: $vgpr0
                                        ; implicit-def: $vgpr2
	s_andn2_b64 vcc, exec, s[2:3]
	s_cbranch_vccz .LBB159_14
	s_branch .LBB159_16
.LBB159_8:
	v_mov_b32_e32 v0, 0
	v_mov_b32_e32 v2, 0
	s_branch .LBB159_13
.LBB159_9:
	s_mov_b32 s58, 0
	v_mov_b32_e32 v0, 0
	v_mov_b32_e32 v2, 0
	;; [unrolled: 1-line block ×3, first 2 shown]
.LBB159_10:
	s_and_b32 s10, s59, 3
	s_cmp_eq_u32 s10, 0
	s_cbranch_scc1 .LBB159_13
; %bb.11:
	s_lshl_b32 s2, s58, 3
	s_add_u32 s2, s34, s2
	s_addc_u32 s3, s35, 0
	s_add_u32 s2, s2, 0xc4
	s_addc_u32 s3, s3, 0
	s_mul_i32 s8, s58, 12
	s_add_u32 s8, s34, s8
	s_addc_u32 s9, s35, 0
.LBB159_12:                             ; =>This Inner Loop Header: Depth=1
	s_load_dwordx2 s[12:13], s[8:9], 0x4
	s_load_dword s11, s[8:9], 0xc
	s_load_dwordx2 s[14:15], s[2:3], 0x0
	s_add_u32 s8, s8, 12
	s_addc_u32 s9, s9, 0
	s_waitcnt lgkmcnt(0)
	v_mul_hi_u32 v3, s13, v1
	s_add_u32 s2, s2, 8
	s_addc_u32 s3, s3, 0
	s_add_i32 s10, s10, -1
	v_add_u32_e32 v3, v1, v3
	v_lshrrev_b32_e32 v4, s11, v3
	v_mul_lo_u32 v3, v4, s12
	s_cmp_lg_u32 s10, 0
	v_sub_u32_e32 v3, v1, v3
	v_mad_u64_u32 v[0:1], s[12:13], v3, s14, v[0:1]
	v_mad_u64_u32 v[2:3], s[12:13], v3, s15, v[2:3]
	v_mov_b32_e32 v1, v4
	s_cbranch_scc1 .LBB159_12
.LBB159_13:
	s_cbranch_execnz .LBB159_16
.LBB159_14:
	s_waitcnt lgkmcnt(0)
	v_mul_hi_u32 v0, s37, v8
	s_andn2_b64 vcc, exec, s[50:51]
	v_add_u32_e32 v0, v8, v0
	v_lshrrev_b32_e32 v1, s38, v0
	v_mul_lo_u32 v0, v1, s36
	v_sub_u32_e32 v2, v8, v0
	v_mul_lo_u32 v0, v2, s28
	v_mul_lo_u32 v2, v2, s29
	s_cbranch_vccnz .LBB159_16
; %bb.15:
	v_mul_hi_u32 v3, s48, v1
	v_add_u32_e32 v3, v1, v3
	v_lshrrev_b32_e32 v3, s49, v3
	v_mul_lo_u32 v3, v3, s39
	v_sub_u32_e32 v3, v1, v3
	v_mad_u64_u32 v[0:1], s[2:3], v3, s30, v[0:1]
	v_mad_u64_u32 v[2:3], s[2:3], v3, s31, v[2:3]
.LBB159_16:
	s_waitcnt lgkmcnt(0)
	v_mov_b32_e32 v3, s27
	s_and_b32 s12, s77, 0xff
	v_add_co_u32_e32 v1, vcc, s26, v2
	s_cmp_lt_i32 s12, 11
	v_addc_co_u32_e32 v2, vcc, 0, v3, vcc
	s_cbranch_scc1 .LBB159_23
; %bb.17:
	s_and_b32 s13, 0xffff, s12
	s_cmp_gt_i32 s13, 25
	s_cbranch_scc0 .LBB159_32
; %bb.18:
	s_cmp_gt_i32 s13, 28
	s_cbranch_scc0 .LBB159_35
; %bb.19:
	;; [unrolled: 3-line block ×4, first 2 shown]
	s_cmp_eq_u32 s13, 46
	s_mov_b64 s[10:11], 0
	s_cbranch_scc0 .LBB159_41
; %bb.22:
	global_load_dword v3, v[1:2], off
	s_mov_b64 s[2:3], -1
	s_mov_b64 s[8:9], 0
	s_waitcnt vmcnt(0)
	v_lshlrev_b32_e32 v3, 16, v3
	v_cvt_i32_f32_e32 v3, v3
	s_branch .LBB159_43
.LBB159_23:
	s_mov_b64 s[8:9], 0
                                        ; implicit-def: $vgpr3
	s_mov_b64 s[2:3], 0
	s_cbranch_execnz .LBB159_212
.LBB159_24:
	s_andn2_b64 vcc, exec, s[2:3]
	s_cbranch_vccnz .LBB159_259
.LBB159_25:
	v_mov_b32_e32 v1, 7
	s_waitcnt vmcnt(0)
	v_ashrrev_i16_sdwa v1, v1, sext(v3) dst_sel:DWORD dst_unused:UNUSED_PAD src0_sel:DWORD src1_sel:BYTE_0
	v_ashrrev_i32_sdwa v2, s76, sext(v3) dst_sel:DWORD dst_unused:UNUSED_PAD src0_sel:DWORD src1_sel:BYTE_0
	v_cndmask_b32_e64 v4, v2, v1, s[0:1]
	v_mov_b32_e32 v1, s25
	s_and_b32 s16, s75, 0xff
	v_add_co_u32_e32 v0, vcc, s24, v0
	s_cmp_lt_i32 s16, 11
	v_addc_co_u32_e32 v1, vcc, 0, v1, vcc
	s_cbranch_scc1 .LBB159_33
; %bb.26:
	s_and_b32 s17, 0xffff, s16
	s_cmp_gt_i32 s17, 25
	s_cbranch_scc0 .LBB159_36
; %bb.27:
	s_cmp_gt_i32 s17, 28
	s_cbranch_scc0 .LBB159_38
; %bb.28:
	;; [unrolled: 3-line block ×4, first 2 shown]
	s_mov_b64 s[12:13], 0
	s_mov_b64 s[2:3], -1
	s_cmp_eq_u32 s17, 46
	s_mov_b64 s[10:11], 0
	s_cbranch_scc0 .LBB159_47
; %bb.31:
	v_cvt_f32_i32_sdwa v2, sext(v4) dst_sel:DWORD dst_unused:UNUSED_PAD src0_sel:WORD_0
	s_movk_i32 s2, 0x7fff
	s_mov_b64 s[10:11], -1
	v_bfe_u32 v3, v2, 16, 1
	v_add3_u32 v2, v2, v3, s2
	v_lshrrev_b32_e32 v2, 16, v2
	global_store_dword v[0:1], v2, off
	s_mov_b64 s[2:3], 0
	s_branch .LBB159_47
.LBB159_32:
	s_mov_b64 s[8:9], 0
	s_mov_b64 s[2:3], 0
                                        ; implicit-def: $vgpr3
	s_cbranch_execnz .LBB159_179
	s_branch .LBB159_211
.LBB159_33:
	s_mov_b64 s[2:3], 0
	s_mov_b64 s[10:11], 0
	s_cbranch_execnz .LBB159_116
.LBB159_34:
	s_andn2_b64 vcc, exec, s[10:11]
	s_cbranch_vccnz .LBB159_260
	s_branch .LBB159_154
.LBB159_35:
	s_mov_b64 s[10:11], -1
	s_mov_b64 s[8:9], 0
	s_mov_b64 s[2:3], 0
                                        ; implicit-def: $vgpr3
	s_branch .LBB159_162
.LBB159_36:
	s_mov_b64 s[12:13], -1
	s_mov_b64 s[2:3], 0
	s_mov_b64 s[10:11], 0
	s_branch .LBB159_74
.LBB159_37:
	s_mov_b64 s[10:11], -1
	s_mov_b64 s[8:9], 0
	s_mov_b64 s[2:3], 0
                                        ; implicit-def: $vgpr3
	s_branch .LBB159_157
.LBB159_38:
	s_mov_b64 s[12:13], -1
	s_mov_b64 s[2:3], 0
	s_mov_b64 s[10:11], 0
	s_branch .LBB159_57
.LBB159_39:
	s_mov_b64 s[10:11], -1
	s_mov_b64 s[8:9], 0
	s_branch .LBB159_42
.LBB159_40:
	s_mov_b64 s[12:13], -1
	s_mov_b64 s[2:3], 0
	s_mov_b64 s[10:11], 0
	s_branch .LBB159_53
.LBB159_41:
	s_mov_b64 s[8:9], -1
.LBB159_42:
	s_mov_b64 s[2:3], 0
                                        ; implicit-def: $vgpr3
.LBB159_43:
	s_and_b64 vcc, exec, s[10:11]
	s_cbranch_vccz .LBB159_156
; %bb.44:
	s_cmp_eq_u32 s13, 44
	s_cbranch_scc0 .LBB159_155
; %bb.45:
	global_load_ubyte v3, v[1:2], off
	s_mov_b64 s[2:3], -1
	s_mov_b64 s[8:9], 0
	s_waitcnt vmcnt(0)
	v_lshlrev_b32_e32 v4, 23, v3
	v_cvt_i32_f32_e32 v4, v4
	v_cmp_ne_u32_e32 vcc, 0, v3
	v_cndmask_b32_e32 v3, 0, v4, vcc
	s_branch .LBB159_156
.LBB159_46:
	s_mov_b64 s[12:13], -1
	s_mov_b64 s[2:3], 0
	s_mov_b64 s[10:11], 0
.LBB159_47:
	s_and_b64 vcc, exec, s[12:13]
	s_cbranch_vccz .LBB159_52
; %bb.48:
	s_cmp_eq_u32 s17, 44
	s_mov_b64 s[2:3], -1
	s_cbranch_scc0 .LBB159_52
; %bb.49:
	v_cvt_f32_i32_sdwa v2, sext(v4) dst_sel:DWORD dst_unused:UNUSED_PAD src0_sel:WORD_0
	s_movk_i32 s2, 0xff
	v_mov_b32_e32 v5, 0xff
	v_bfe_u32 v3, v2, 23, 8
	v_cmp_ne_u32_e32 vcc, s2, v3
	s_and_saveexec_b64 s[10:11], vcc
; %bb.50:
	s_mov_b32 s2, 0x3fffff
	v_lshrrev_b32_e32 v5, 23, v2
	v_and_b32_e32 v6, 0x400000, v2
	v_and_or_b32 v2, v2, s2, v3
	v_cmp_ne_u32_e32 vcc, 0, v6
	v_cmp_ne_u32_e64 s[2:3], 0, v2
	s_and_b64 s[2:3], vcc, s[2:3]
	v_cndmask_b32_e64 v2, 0, 1, s[2:3]
	v_add_u32_e32 v5, v5, v2
; %bb.51:
	s_or_b64 exec, exec, s[10:11]
	s_mov_b64 s[10:11], -1
	s_mov_b64 s[2:3], 0
	global_store_byte v[0:1], v5, off
.LBB159_52:
	s_mov_b64 s[12:13], 0
.LBB159_53:
	s_and_b64 vcc, exec, s[12:13]
	s_cbranch_vccz .LBB159_56
; %bb.54:
	s_cmp_eq_u32 s17, 29
	s_mov_b64 s[2:3], -1
	s_cbranch_scc0 .LBB159_56
; %bb.55:
	v_bfe_i32 v2, v4, 0, 16
	v_ashrrev_i32_e32 v3, 31, v2
	global_store_dwordx2 v[0:1], v[2:3], off
	s_mov_b64 s[10:11], -1
	s_mov_b64 s[2:3], 0
.LBB159_56:
	s_mov_b64 s[12:13], 0
.LBB159_57:
	s_and_b64 vcc, exec, s[12:13]
	s_cbranch_vccz .LBB159_73
; %bb.58:
	s_cmp_lt_i32 s17, 27
	s_mov_b64 s[10:11], -1
	s_cbranch_scc1 .LBB159_64
; %bb.59:
	s_cmp_gt_i32 s17, 27
	s_cbranch_scc0 .LBB159_61
; %bb.60:
	v_bfe_i32 v2, v4, 0, 16
	s_mov_b64 s[10:11], 0
	global_store_dword v[0:1], v2, off
.LBB159_61:
	s_andn2_b64 vcc, exec, s[10:11]
	s_cbranch_vccnz .LBB159_63
; %bb.62:
	global_store_short v[0:1], v4, off
.LBB159_63:
	s_mov_b64 s[10:11], 0
.LBB159_64:
	s_andn2_b64 vcc, exec, s[10:11]
	s_cbranch_vccnz .LBB159_72
; %bb.65:
	v_cvt_f32_i32_sdwa v2, sext(v4) dst_sel:DWORD dst_unused:UNUSED_PAD src0_sel:WORD_0
	s_mov_b32 s10, 0x43800000
	v_mov_b32_e32 v5, 0x80
	v_and_b32_e32 v3, 0x7fffffff, v2
	v_cmp_gt_u32_e32 vcc, s10, v3
	s_and_saveexec_b64 s[10:11], vcc
	s_cbranch_execz .LBB159_71
; %bb.66:
	s_mov_b32 s12, 0x3bffffff
	v_cmp_lt_u32_e32 vcc, s12, v3
	s_mov_b64 s[12:13], 0
                                        ; implicit-def: $vgpr3
	s_and_saveexec_b64 s[14:15], vcc
	s_xor_b64 s[14:15], exec, s[14:15]
	s_cbranch_execz .LBB159_303
; %bb.67:
	v_bfe_u32 v3, v2, 20, 1
	s_mov_b32 s18, 0x487ffff
	v_add3_u32 v3, v2, v3, s18
	s_mov_b64 s[12:13], exec
	v_lshrrev_b32_e32 v3, 20, v3
	s_andn2_saveexec_b64 s[14:15], s[14:15]
	s_cbranch_execnz .LBB159_304
.LBB159_68:
	s_or_b64 exec, exec, s[14:15]
	v_mov_b32_e32 v5, 0
	s_and_saveexec_b64 s[14:15], s[12:13]
.LBB159_69:
	v_lshrrev_b32_e32 v2, 24, v2
	s_movk_i32 s12, 0x80
	v_and_or_b32 v5, v2, s12, v3
.LBB159_70:
	s_or_b64 exec, exec, s[14:15]
.LBB159_71:
	s_or_b64 exec, exec, s[10:11]
	global_store_byte v[0:1], v5, off
.LBB159_72:
	s_mov_b64 s[10:11], -1
.LBB159_73:
	s_mov_b64 s[12:13], 0
.LBB159_74:
	s_and_b64 vcc, exec, s[12:13]
	s_cbranch_vccz .LBB159_115
; %bb.75:
	s_cmp_gt_i32 s17, 22
	s_mov_b64 s[12:13], -1
	s_cbranch_scc0 .LBB159_107
; %bb.76:
	s_cmp_lt_i32 s17, 24
	s_mov_b64 s[10:11], -1
	s_cbranch_scc1 .LBB159_96
; %bb.77:
	s_cmp_gt_i32 s17, 24
	s_cbranch_scc0 .LBB159_85
; %bb.78:
	v_cvt_f32_i32_sdwa v2, sext(v4) dst_sel:DWORD dst_unused:UNUSED_PAD src0_sel:WORD_0
	s_mov_b32 s10, 0x47800000
	v_mov_b32_e32 v5, 0x80
	v_and_b32_e32 v3, 0x7fffffff, v2
	v_cmp_gt_u32_e32 vcc, s10, v3
	s_and_saveexec_b64 s[10:11], vcc
	s_cbranch_execz .LBB159_84
; %bb.79:
	s_mov_b32 s12, 0x37ffffff
	v_cmp_lt_u32_e32 vcc, s12, v3
	s_mov_b64 s[12:13], 0
                                        ; implicit-def: $vgpr3
	s_and_saveexec_b64 s[14:15], vcc
	s_xor_b64 s[14:15], exec, s[14:15]
	s_cbranch_execz .LBB159_307
; %bb.80:
	v_bfe_u32 v3, v2, 21, 1
	s_mov_b32 s18, 0x88fffff
	v_add3_u32 v3, v2, v3, s18
	s_mov_b64 s[12:13], exec
	v_lshrrev_b32_e32 v3, 21, v3
	s_andn2_saveexec_b64 s[14:15], s[14:15]
	s_cbranch_execnz .LBB159_308
.LBB159_81:
	s_or_b64 exec, exec, s[14:15]
	v_mov_b32_e32 v5, 0
	s_and_saveexec_b64 s[14:15], s[12:13]
.LBB159_82:
	v_lshrrev_b32_e32 v2, 24, v2
	s_movk_i32 s12, 0x80
	v_and_or_b32 v5, v2, s12, v3
.LBB159_83:
	s_or_b64 exec, exec, s[14:15]
.LBB159_84:
	s_or_b64 exec, exec, s[10:11]
	s_mov_b64 s[10:11], 0
	global_store_byte v[0:1], v5, off
.LBB159_85:
	s_and_b64 vcc, exec, s[10:11]
	s_cbranch_vccz .LBB159_95
; %bb.86:
	v_cvt_f32_i32_sdwa v2, sext(v4) dst_sel:DWORD dst_unused:UNUSED_PAD src0_sel:WORD_0
	s_mov_b32 s10, 0x43f00000
                                        ; implicit-def: $vgpr3
	v_and_b32_e32 v5, 0x7fffffff, v2
	v_cmp_gt_u32_e32 vcc, s10, v5
	s_and_saveexec_b64 s[10:11], vcc
	s_xor_b64 s[10:11], exec, s[10:11]
	s_cbranch_execz .LBB159_92
; %bb.87:
	s_mov_b32 s12, 0x3c7fffff
	v_cmp_lt_u32_e32 vcc, s12, v5
                                        ; implicit-def: $vgpr3
	s_and_saveexec_b64 s[12:13], vcc
	s_xor_b64 s[12:13], exec, s[12:13]
; %bb.88:
	v_bfe_u32 v3, v2, 20, 1
	s_mov_b32 s14, 0x407ffff
	v_add3_u32 v3, v2, v3, s14
	v_lshrrev_b32_e32 v5, 20, v3
	v_and_b32_e32 v3, 0xff00000, v3
	s_mov_b32 s14, 0x7f00000
	v_mov_b32_e32 v6, 0x7e
	v_cmp_ne_u32_e32 vcc, s14, v3
	v_cndmask_b32_e32 v3, v6, v5, vcc
; %bb.89:
	s_andn2_saveexec_b64 s[12:13], s[12:13]
; %bb.90:
	s_mov_b32 s14, 0x46800000
	v_add_f32_e64 v3, |v2|, s14
; %bb.91:
	s_or_b64 exec, exec, s[12:13]
                                        ; implicit-def: $vgpr5
.LBB159_92:
	s_andn2_saveexec_b64 s[10:11], s[10:11]
; %bb.93:
	s_mov_b32 s12, 0x7f800000
	v_mov_b32_e32 v3, 0x7e
	v_mov_b32_e32 v6, 0x7f
	v_cmp_lt_u32_e32 vcc, s12, v5
	v_cndmask_b32_e32 v3, v3, v6, vcc
; %bb.94:
	s_or_b64 exec, exec, s[10:11]
	v_lshrrev_b32_e32 v2, 24, v2
	s_movk_i32 s10, 0x80
	v_and_or_b32 v2, v2, s10, v3
	global_store_byte v[0:1], v2, off
.LBB159_95:
	s_mov_b64 s[10:11], 0
.LBB159_96:
	s_andn2_b64 vcc, exec, s[10:11]
	s_cbranch_vccnz .LBB159_106
; %bb.97:
	v_cvt_f32_i32_sdwa v2, sext(v4) dst_sel:DWORD dst_unused:UNUSED_PAD src0_sel:WORD_0
	s_mov_b32 s10, 0x47800000
                                        ; implicit-def: $vgpr3
	v_and_b32_e32 v5, 0x7fffffff, v2
	v_cmp_gt_u32_e32 vcc, s10, v5
	s_and_saveexec_b64 s[10:11], vcc
	s_xor_b64 s[10:11], exec, s[10:11]
	s_cbranch_execz .LBB159_103
; %bb.98:
	s_mov_b32 s12, 0x387fffff
	v_cmp_lt_u32_e32 vcc, s12, v5
                                        ; implicit-def: $vgpr3
	s_and_saveexec_b64 s[12:13], vcc
	s_xor_b64 s[12:13], exec, s[12:13]
; %bb.99:
	v_bfe_u32 v3, v2, 21, 1
	s_mov_b32 s14, 0x80fffff
	v_add3_u32 v3, v2, v3, s14
	v_lshrrev_b32_e32 v3, 21, v3
; %bb.100:
	s_andn2_saveexec_b64 s[12:13], s[12:13]
; %bb.101:
	s_mov_b32 s14, 0x43000000
	v_add_f32_e64 v3, |v2|, s14
; %bb.102:
	s_or_b64 exec, exec, s[12:13]
                                        ; implicit-def: $vgpr5
.LBB159_103:
	s_andn2_saveexec_b64 s[10:11], s[10:11]
; %bb.104:
	s_mov_b32 s12, 0x7f800000
	v_mov_b32_e32 v3, 0x7c
	v_mov_b32_e32 v6, 0x7f
	v_cmp_lt_u32_e32 vcc, s12, v5
	v_cndmask_b32_e32 v3, v3, v6, vcc
; %bb.105:
	s_or_b64 exec, exec, s[10:11]
	v_lshrrev_b32_e32 v2, 24, v2
	s_movk_i32 s10, 0x80
	v_and_or_b32 v2, v2, s10, v3
	global_store_byte v[0:1], v2, off
.LBB159_106:
	s_mov_b64 s[12:13], 0
	s_mov_b64 s[10:11], -1
.LBB159_107:
	s_andn2_b64 vcc, exec, s[12:13]
	s_cbranch_vccnz .LBB159_115
; %bb.108:
	s_cmp_gt_i32 s17, 14
	s_mov_b64 s[12:13], -1
	s_cbranch_scc0 .LBB159_112
; %bb.109:
	s_cmp_eq_u32 s17, 15
	s_mov_b64 s[2:3], -1
	s_cbranch_scc0 .LBB159_111
; %bb.110:
	v_cvt_f32_i32_sdwa v2, sext(v4) dst_sel:DWORD dst_unused:UNUSED_PAD src0_sel:WORD_0
	s_movk_i32 s2, 0x7fff
	s_mov_b64 s[10:11], -1
	v_bfe_u32 v3, v2, 16, 1
	v_add3_u32 v2, v2, v3, s2
	global_store_short_d16_hi v[0:1], v2, off
	s_mov_b64 s[2:3], 0
.LBB159_111:
	s_mov_b64 s[12:13], 0
.LBB159_112:
	s_and_b64 vcc, exec, s[12:13]
	s_cbranch_vccz .LBB159_115
; %bb.113:
	s_cmp_eq_u32 s17, 11
	s_mov_b64 s[2:3], -1
	s_cbranch_scc0 .LBB159_115
; %bb.114:
	v_cmp_ne_u16_e32 vcc, 0, v4
	v_cndmask_b32_e64 v2, 0, 1, vcc
	s_mov_b64 s[10:11], -1
	s_mov_b64 s[2:3], 0
	global_store_byte v[0:1], v2, off
.LBB159_115:
	s_branch .LBB159_34
.LBB159_116:
	s_and_b32 s12, 0xffff, s16
	s_cmp_lt_i32 s12, 5
	s_mov_b64 s[10:11], -1
	s_cbranch_scc1 .LBB159_137
; %bb.117:
	s_cmp_lt_i32 s12, 8
	s_cbranch_scc1 .LBB159_127
; %bb.118:
	s_cmp_lt_i32 s12, 9
	s_cbranch_scc1 .LBB159_124
; %bb.119:
	s_cmp_gt_i32 s12, 9
	s_cbranch_scc0 .LBB159_121
; %bb.120:
	v_bfe_i32 v2, v4, 0, 16
	v_cvt_f64_i32_e32 v[9:10], v2
	v_mov_b32_e32 v11, 0
	v_mov_b32_e32 v12, v11
	s_mov_b64 s[10:11], 0
	global_store_dwordx4 v[0:1], v[9:12], off
.LBB159_121:
	s_andn2_b64 vcc, exec, s[10:11]
	s_cbranch_vccnz .LBB159_123
; %bb.122:
	v_cvt_f32_i32_sdwa v2, sext(v4) dst_sel:DWORD dst_unused:UNUSED_PAD src0_sel:WORD_0
	v_mov_b32_e32 v3, 0
	global_store_dwordx2 v[0:1], v[2:3], off
.LBB159_123:
	s_mov_b64 s[10:11], 0
.LBB159_124:
	s_andn2_b64 vcc, exec, s[10:11]
	s_cbranch_vccnz .LBB159_126
; %bb.125:
	v_cvt_f16_i16_e32 v2, v4
	global_store_dword v[0:1], v2, off
.LBB159_126:
	s_mov_b64 s[10:11], 0
.LBB159_127:
	s_andn2_b64 vcc, exec, s[10:11]
	s_cbranch_vccnz .LBB159_136
; %bb.128:
	s_cmp_lt_i32 s12, 6
	s_mov_b64 s[10:11], -1
	s_cbranch_scc1 .LBB159_134
; %bb.129:
	s_cmp_gt_i32 s12, 6
	s_cbranch_scc0 .LBB159_131
; %bb.130:
	v_bfe_i32 v2, v4, 0, 16
	v_cvt_f64_i32_e32 v[2:3], v2
	s_mov_b64 s[10:11], 0
	global_store_dwordx2 v[0:1], v[2:3], off
.LBB159_131:
	s_andn2_b64 vcc, exec, s[10:11]
	s_cbranch_vccnz .LBB159_133
; %bb.132:
	v_cvt_f32_i32_sdwa v2, sext(v4) dst_sel:DWORD dst_unused:UNUSED_PAD src0_sel:WORD_0
	global_store_dword v[0:1], v2, off
.LBB159_133:
	s_mov_b64 s[10:11], 0
.LBB159_134:
	s_andn2_b64 vcc, exec, s[10:11]
	s_cbranch_vccnz .LBB159_136
; %bb.135:
	v_cvt_f16_i16_e32 v2, v4
	global_store_short v[0:1], v2, off
.LBB159_136:
	s_mov_b64 s[10:11], 0
.LBB159_137:
	s_andn2_b64 vcc, exec, s[10:11]
	s_cbranch_vccnz .LBB159_153
; %bb.138:
	s_cmp_lt_i32 s12, 2
	s_mov_b64 s[10:11], -1
	s_cbranch_scc1 .LBB159_148
; %bb.139:
	s_cmp_lt_i32 s12, 3
	s_cbranch_scc1 .LBB159_145
; %bb.140:
	s_cmp_gt_i32 s12, 3
	v_bfe_i32 v2, v4, 0, 16
	s_cbranch_scc0 .LBB159_142
; %bb.141:
	v_ashrrev_i32_e32 v3, 31, v2
	global_store_dwordx2 v[0:1], v[2:3], off
	s_mov_b64 s[10:11], 0
.LBB159_142:
	s_andn2_b64 vcc, exec, s[10:11]
	s_cbranch_vccnz .LBB159_144
; %bb.143:
	global_store_dword v[0:1], v2, off
.LBB159_144:
	s_mov_b64 s[10:11], 0
.LBB159_145:
	s_andn2_b64 vcc, exec, s[10:11]
	s_cbranch_vccnz .LBB159_147
; %bb.146:
	global_store_short v[0:1], v4, off
.LBB159_147:
	s_mov_b64 s[10:11], 0
.LBB159_148:
	s_andn2_b64 vcc, exec, s[10:11]
	s_cbranch_vccnz .LBB159_153
; %bb.149:
	s_cmp_gt_i32 s12, 0
	s_mov_b64 s[10:11], -1
	s_cbranch_scc0 .LBB159_151
; %bb.150:
	global_store_byte v[0:1], v4, off
	s_mov_b64 s[10:11], 0
.LBB159_151:
	s_andn2_b64 vcc, exec, s[10:11]
	s_cbranch_vccnz .LBB159_153
; %bb.152:
	global_store_byte v[0:1], v4, off
.LBB159_153:
.LBB159_154:
	v_add_u32_e32 v8, 0x80, v8
	s_mov_b64 s[10:11], -1
	s_branch .LBB159_261
.LBB159_155:
	s_mov_b64 s[8:9], -1
                                        ; implicit-def: $vgpr3
.LBB159_156:
	s_mov_b64 s[10:11], 0
.LBB159_157:
	s_and_b64 vcc, exec, s[10:11]
	s_cbranch_vccz .LBB159_161
; %bb.158:
	s_cmp_eq_u32 s13, 29
	s_cbranch_scc0 .LBB159_160
; %bb.159:
	global_load_dwordx2 v[3:4], v[1:2], off
	s_mov_b64 s[2:3], -1
	s_mov_b64 s[8:9], 0
	s_branch .LBB159_161
.LBB159_160:
	s_mov_b64 s[8:9], -1
                                        ; implicit-def: $vgpr3
.LBB159_161:
	s_mov_b64 s[10:11], 0
.LBB159_162:
	s_and_b64 vcc, exec, s[10:11]
	s_cbranch_vccz .LBB159_178
; %bb.163:
	s_cmp_lt_i32 s13, 27
	s_cbranch_scc1 .LBB159_166
; %bb.164:
	s_cmp_gt_i32 s13, 27
	s_cbranch_scc0 .LBB159_167
; %bb.165:
	global_load_dword v3, v[1:2], off
	s_mov_b64 s[2:3], 0
	s_branch .LBB159_168
.LBB159_166:
	s_mov_b64 s[2:3], -1
                                        ; implicit-def: $vgpr3
	s_branch .LBB159_171
.LBB159_167:
	s_mov_b64 s[2:3], -1
                                        ; implicit-def: $vgpr3
.LBB159_168:
	s_andn2_b64 vcc, exec, s[2:3]
	s_cbranch_vccnz .LBB159_170
; %bb.169:
	global_load_ushort v3, v[1:2], off
.LBB159_170:
	s_mov_b64 s[2:3], 0
.LBB159_171:
	s_andn2_b64 vcc, exec, s[2:3]
	s_cbranch_vccnz .LBB159_177
; %bb.172:
	global_load_ubyte v4, v[1:2], off
	s_movk_i32 s2, 0x7f
	s_mov_b64 s[10:11], 0
	s_waitcnt vmcnt(0)
	v_cmp_lt_i16_e32 vcc, s2, v4
	s_and_saveexec_b64 s[2:3], vcc
	s_xor_b64 s[2:3], exec, s[2:3]
	s_cbranch_execz .LBB159_188
; %bb.173:
	s_movk_i32 s10, 0x80
	v_cmp_ne_u16_e32 vcc, s10, v4
	s_and_b64 s[10:11], vcc, exec
	s_andn2_saveexec_b64 s[2:3], s[2:3]
	s_cbranch_execnz .LBB159_189
.LBB159_174:
	s_or_b64 exec, exec, s[2:3]
	v_mov_b32_e32 v3, 0
	s_and_saveexec_b64 s[2:3], s[10:11]
	s_cbranch_execz .LBB159_176
.LBB159_175:
	v_lshlrev_b32_e32 v3, 24, v4
	v_and_b32_e32 v4, 0xffff, v4
	v_and_b32_e32 v5, 7, v4
	v_ffbh_u32_e32 v7, v5
	v_min_u32_e32 v7, 32, v7
	v_subrev_u32_e32 v9, 28, v7
	v_bfe_u32 v6, v4, 3, 4
	v_lshlrev_b32_e32 v4, v9, v4
	v_sub_u32_e32 v7, 29, v7
	v_and_b32_e32 v4, 7, v4
	v_cmp_eq_u32_e32 vcc, 0, v6
	v_cndmask_b32_e32 v6, v6, v7, vcc
	v_cndmask_b32_e32 v4, v5, v4, vcc
	v_mov_b32_e32 v5, 0x3b800000
	v_lshlrev_b32_e32 v4, 20, v4
	v_and_b32_e32 v3, 0x80000000, v3
	v_lshl_add_u32 v5, v6, 23, v5
	v_or3_b32 v3, v3, v5, v4
	v_cvt_i32_f32_e32 v3, v3
.LBB159_176:
	s_or_b64 exec, exec, s[2:3]
.LBB159_177:
	s_mov_b64 s[2:3], -1
.LBB159_178:
	s_branch .LBB159_211
.LBB159_179:
	s_cmp_gt_i32 s13, 22
	s_cbranch_scc0 .LBB159_187
; %bb.180:
	s_cmp_lt_i32 s13, 24
	s_cbranch_scc1 .LBB159_190
; %bb.181:
	s_cmp_gt_i32 s13, 24
	s_cbranch_scc0 .LBB159_191
; %bb.182:
	global_load_ubyte v4, v[1:2], off
	s_movk_i32 s2, 0x7f
	s_mov_b64 s[10:11], 0
	s_waitcnt vmcnt(0)
	v_cmp_lt_i16_e32 vcc, s2, v4
	s_and_saveexec_b64 s[2:3], vcc
	s_xor_b64 s[2:3], exec, s[2:3]
	s_cbranch_execz .LBB159_203
; %bb.183:
	s_movk_i32 s10, 0x80
	v_cmp_ne_u16_e32 vcc, s10, v4
	s_and_b64 s[10:11], vcc, exec
	s_andn2_saveexec_b64 s[2:3], s[2:3]
	s_cbranch_execnz .LBB159_204
.LBB159_184:
	s_or_b64 exec, exec, s[2:3]
	v_mov_b32_e32 v3, 0
	s_and_saveexec_b64 s[2:3], s[10:11]
	s_cbranch_execz .LBB159_186
.LBB159_185:
	v_lshlrev_b32_e32 v3, 24, v4
	v_and_b32_e32 v4, 0xffff, v4
	v_and_b32_e32 v5, 3, v4
	v_ffbh_u32_e32 v7, v5
	v_min_u32_e32 v7, 32, v7
	v_subrev_u32_e32 v9, 29, v7
	v_bfe_u32 v6, v4, 2, 5
	v_lshlrev_b32_e32 v4, v9, v4
	v_sub_u32_e32 v7, 30, v7
	v_and_b32_e32 v4, 3, v4
	v_cmp_eq_u32_e32 vcc, 0, v6
	v_cndmask_b32_e32 v6, v6, v7, vcc
	v_cndmask_b32_e32 v4, v5, v4, vcc
	v_mov_b32_e32 v5, 0x37800000
	v_lshlrev_b32_e32 v4, 21, v4
	v_and_b32_e32 v3, 0x80000000, v3
	v_lshl_add_u32 v5, v6, 23, v5
	v_or3_b32 v3, v3, v5, v4
	v_cvt_i32_f32_e32 v3, v3
.LBB159_186:
	s_or_b64 exec, exec, s[2:3]
	s_mov_b64 s[2:3], 0
	s_branch .LBB159_192
.LBB159_187:
	s_mov_b64 s[10:11], -1
                                        ; implicit-def: $vgpr3
	s_branch .LBB159_198
.LBB159_188:
	s_andn2_saveexec_b64 s[2:3], s[2:3]
	s_cbranch_execz .LBB159_174
.LBB159_189:
	v_cmp_ne_u16_e32 vcc, 0, v4
	s_andn2_b64 s[10:11], s[10:11], exec
	s_and_b64 s[14:15], vcc, exec
	s_or_b64 s[10:11], s[10:11], s[14:15]
	s_or_b64 exec, exec, s[2:3]
	v_mov_b32_e32 v3, 0
	s_and_saveexec_b64 s[2:3], s[10:11]
	s_cbranch_execnz .LBB159_175
	s_branch .LBB159_176
.LBB159_190:
	s_mov_b64 s[2:3], -1
                                        ; implicit-def: $vgpr3
	s_branch .LBB159_195
.LBB159_191:
	s_mov_b64 s[2:3], -1
                                        ; implicit-def: $vgpr3
.LBB159_192:
	s_and_b64 vcc, exec, s[2:3]
	s_cbranch_vccz .LBB159_194
; %bb.193:
	global_load_ubyte v3, v[1:2], off
	s_mov_b32 s2, 0x7f800000
	s_waitcnt vmcnt(0)
	v_lshlrev_b32_e32 v3, 24, v3
	v_and_b32_e32 v4, 0x7f000000, v3
	v_ffbh_u32_e32 v5, v4
	v_min_u32_e32 v5, 32, v5
	v_sub_u32_e64 v5, v5, 4 clamp
	v_lshlrev_b32_e32 v7, v5, v4
	v_lshlrev_b32_e32 v5, 23, v5
	v_lshrrev_b32_e32 v7, 4, v7
	v_add_u32_e32 v6, 0x1000000, v4
	v_sub_u32_e32 v5, v7, v5
	v_ashrrev_i32_e32 v6, 8, v6
	v_add_u32_e32 v5, 0x3c000000, v5
	v_and_or_b32 v5, v6, s2, v5
	v_cmp_ne_u32_e32 vcc, 0, v4
	v_cndmask_b32_e32 v4, 0, v5, vcc
	s_brev_b32 s2, 1
	v_and_or_b32 v3, v3, s2, v4
	v_cvt_i32_f32_e32 v3, v3
.LBB159_194:
	s_mov_b64 s[2:3], 0
.LBB159_195:
	s_andn2_b64 vcc, exec, s[2:3]
	s_cbranch_vccnz .LBB159_197
; %bb.196:
	global_load_ubyte v3, v[1:2], off
	s_movk_i32 s2, 0x7f00
	s_brev_b32 s3, 16
	s_waitcnt vmcnt(0)
	v_lshlrev_b16_e32 v4, 8, v3
	v_lshlrev_b32_e32 v3, 25, v3
	v_lshrrev_b32_e32 v5, 4, v3
	v_and_or_b32 v6, v4, s2, 0.5
	v_or_b32_e32 v5, 0x70000000, v5
	v_add_f32_e32 v6, -0.5, v6
	v_mul_f32_e32 v5, 0x7800000, v5
	v_cmp_gt_u32_e32 vcc, s3, v3
	v_bfe_i32 v4, v4, 0, 16
	v_cndmask_b32_e32 v3, v5, v6, vcc
	s_brev_b32 s2, 1
	v_and_or_b32 v3, v4, s2, v3
	v_cvt_i32_f32_e32 v3, v3
.LBB159_197:
	s_mov_b64 s[10:11], 0
	s_mov_b64 s[2:3], -1
.LBB159_198:
	s_andn2_b64 vcc, exec, s[10:11]
	s_cbranch_vccnz .LBB159_211
; %bb.199:
	s_cmp_gt_i32 s13, 14
	s_cbranch_scc0 .LBB159_202
; %bb.200:
	s_cmp_eq_u32 s13, 15
	s_cbranch_scc0 .LBB159_205
; %bb.201:
	global_load_ushort v3, v[1:2], off
	s_mov_b64 s[2:3], -1
	s_mov_b64 s[8:9], 0
	s_waitcnt vmcnt(0)
	v_lshlrev_b32_e32 v3, 16, v3
	v_cvt_i32_f32_e32 v3, v3
	s_branch .LBB159_206
.LBB159_202:
	s_mov_b64 s[10:11], -1
                                        ; implicit-def: $vgpr3
	s_branch .LBB159_207
.LBB159_203:
	s_andn2_saveexec_b64 s[2:3], s[2:3]
	s_cbranch_execz .LBB159_184
.LBB159_204:
	v_cmp_ne_u16_e32 vcc, 0, v4
	s_andn2_b64 s[10:11], s[10:11], exec
	s_and_b64 s[14:15], vcc, exec
	s_or_b64 s[10:11], s[10:11], s[14:15]
	s_or_b64 exec, exec, s[2:3]
	v_mov_b32_e32 v3, 0
	s_and_saveexec_b64 s[2:3], s[10:11]
	s_cbranch_execnz .LBB159_185
	s_branch .LBB159_186
.LBB159_205:
	s_mov_b64 s[8:9], -1
                                        ; implicit-def: $vgpr3
.LBB159_206:
	s_mov_b64 s[10:11], 0
.LBB159_207:
	s_and_b64 vcc, exec, s[10:11]
	s_cbranch_vccz .LBB159_211
; %bb.208:
	s_cmp_eq_u32 s13, 11
	s_cbranch_scc0 .LBB159_210
; %bb.209:
	global_load_ubyte v3, v[1:2], off
	s_mov_b64 s[2:3], -1
	s_mov_b64 s[8:9], 0
	s_waitcnt vmcnt(0)
	v_cmp_ne_u16_e32 vcc, 0, v3
	v_cndmask_b32_e64 v3, 0, 1, vcc
	s_branch .LBB159_211
.LBB159_210:
	s_mov_b64 s[8:9], -1
                                        ; implicit-def: $vgpr3
.LBB159_211:
	s_branch .LBB159_24
.LBB159_212:
	s_and_b32 s10, 0xffff, s12
	s_cmp_lt_i32 s10, 5
	s_cbranch_scc1 .LBB159_217
; %bb.213:
	s_cmp_lt_i32 s10, 8
	s_cbranch_scc1 .LBB159_218
; %bb.214:
	;; [unrolled: 3-line block ×3, first 2 shown]
	s_cmp_gt_i32 s10, 9
	s_cbranch_scc0 .LBB159_220
; %bb.216:
	global_load_dwordx2 v[3:4], v[1:2], off
	s_mov_b64 s[2:3], 0
	s_waitcnt vmcnt(0)
	v_cvt_i32_f64_e32 v3, v[3:4]
	s_branch .LBB159_221
.LBB159_217:
                                        ; implicit-def: $vgpr3
	s_branch .LBB159_239
.LBB159_218:
	s_mov_b64 s[2:3], -1
                                        ; implicit-def: $vgpr3
	s_branch .LBB159_227
.LBB159_219:
	s_mov_b64 s[2:3], -1
                                        ; implicit-def: $vgpr3
	s_branch .LBB159_224
.LBB159_220:
	s_mov_b64 s[2:3], -1
                                        ; implicit-def: $vgpr3
.LBB159_221:
	s_andn2_b64 vcc, exec, s[2:3]
	s_cbranch_vccnz .LBB159_223
; %bb.222:
	global_load_dword v3, v[1:2], off
	s_waitcnt vmcnt(0)
	v_cvt_i32_f32_e32 v3, v3
.LBB159_223:
	s_mov_b64 s[2:3], 0
.LBB159_224:
	s_andn2_b64 vcc, exec, s[2:3]
	s_cbranch_vccnz .LBB159_226
; %bb.225:
	global_load_dword v3, v[1:2], off
	s_waitcnt vmcnt(0)
	v_cvt_i16_f16_e32 v3, v3
.LBB159_226:
	s_mov_b64 s[2:3], 0
.LBB159_227:
	s_andn2_b64 vcc, exec, s[2:3]
	s_cbranch_vccnz .LBB159_238
; %bb.228:
	s_cmp_lt_i32 s10, 6
	s_cbranch_scc1 .LBB159_231
; %bb.229:
	s_cmp_gt_i32 s10, 6
	s_cbranch_scc0 .LBB159_232
; %bb.230:
	global_load_dwordx2 v[3:4], v[1:2], off
	s_mov_b64 s[2:3], 0
	s_waitcnt vmcnt(0)
	v_cvt_i32_f64_e32 v3, v[3:4]
	s_branch .LBB159_233
.LBB159_231:
	s_mov_b64 s[2:3], -1
                                        ; implicit-def: $vgpr3
	s_branch .LBB159_236
.LBB159_232:
	s_mov_b64 s[2:3], -1
                                        ; implicit-def: $vgpr3
.LBB159_233:
	s_andn2_b64 vcc, exec, s[2:3]
	s_cbranch_vccnz .LBB159_235
; %bb.234:
	global_load_dword v3, v[1:2], off
	s_waitcnt vmcnt(0)
	v_cvt_i32_f32_e32 v3, v3
.LBB159_235:
	s_mov_b64 s[2:3], 0
.LBB159_236:
	s_andn2_b64 vcc, exec, s[2:3]
	s_cbranch_vccnz .LBB159_238
; %bb.237:
	global_load_ushort v3, v[1:2], off
	s_waitcnt vmcnt(0)
	v_cvt_i16_f16_e32 v3, v3
.LBB159_238:
	s_cbranch_execnz .LBB159_258
.LBB159_239:
	s_cmp_lt_i32 s10, 2
	s_cbranch_scc1 .LBB159_243
; %bb.240:
	s_cmp_lt_i32 s10, 3
	s_cbranch_scc1 .LBB159_244
; %bb.241:
	s_cmp_gt_i32 s10, 3
	s_cbranch_scc0 .LBB159_245
; %bb.242:
	global_load_dwordx2 v[3:4], v[1:2], off
	s_mov_b64 s[2:3], 0
	s_branch .LBB159_246
.LBB159_243:
	s_mov_b64 s[2:3], -1
                                        ; implicit-def: $vgpr3
	s_branch .LBB159_252
.LBB159_244:
	s_mov_b64 s[2:3], -1
                                        ; implicit-def: $vgpr3
	s_branch .LBB159_249
.LBB159_245:
	s_mov_b64 s[2:3], -1
                                        ; implicit-def: $vgpr3
.LBB159_246:
	s_andn2_b64 vcc, exec, s[2:3]
	s_cbranch_vccnz .LBB159_248
; %bb.247:
	global_load_dword v3, v[1:2], off
.LBB159_248:
	s_mov_b64 s[2:3], 0
.LBB159_249:
	s_andn2_b64 vcc, exec, s[2:3]
	s_cbranch_vccnz .LBB159_251
; %bb.250:
	global_load_ushort v3, v[1:2], off
.LBB159_251:
	s_mov_b64 s[2:3], 0
.LBB159_252:
	s_andn2_b64 vcc, exec, s[2:3]
	s_cbranch_vccnz .LBB159_258
; %bb.253:
	s_cmp_gt_i32 s10, 0
	s_cbranch_scc0 .LBB159_255
; %bb.254:
	global_load_ubyte v3, v[1:2], off
	s_mov_b64 s[2:3], 0
	s_branch .LBB159_256
.LBB159_255:
	s_mov_b64 s[2:3], -1
                                        ; implicit-def: $vgpr3
.LBB159_256:
	s_andn2_b64 vcc, exec, s[2:3]
	s_cbranch_vccnz .LBB159_258
; %bb.257:
	global_load_ubyte v3, v[1:2], off
.LBB159_258:
	s_branch .LBB159_25
.LBB159_259:
	s_mov_b64 s[2:3], 0
.LBB159_260:
	s_mov_b64 s[10:11], 0
                                        ; implicit-def: $vgpr8
.LBB159_261:
	s_and_b64 s[56:57], s[2:3], exec
	s_and_b64 s[58:59], s[8:9], exec
	s_orn2_b64 s[2:3], s[10:11], exec
.LBB159_262:
	s_or_b64 exec, exec, s[60:61]
	s_mov_b64 s[12:13], 0
	s_mov_b64 s[10:11], 0
                                        ; implicit-def: $sgpr18
                                        ; implicit-def: $vgpr1_vgpr2
                                        ; implicit-def: $vgpr0
                                        ; implicit-def: $vgpr3
	s_and_saveexec_b64 s[60:61], s[2:3]
	s_cbranch_execz .LBB159_269
; %bb.263:
	v_cmp_gt_i32_e32 vcc, s72, v8
	s_mov_b64 s[2:3], -1
	s_mov_b64 s[62:63], s[58:59]
	s_mov_b64 s[64:65], s[56:57]
	s_and_saveexec_b64 s[66:67], vcc
	s_cbranch_execz .LBB159_534
; %bb.264:
	s_andn2_b64 vcc, exec, s[44:45]
	s_cbranch_vccnz .LBB159_272
; %bb.265:
	s_andn2_b64 vcc, exec, s[54:55]
	s_cbranch_vccnz .LBB159_273
; %bb.266:
	s_add_i32 s65, s78, 1
	s_cmp_eq_u32 s74, 2
	s_cbranch_scc1 .LBB159_274
; %bb.267:
	s_and_b32 s64, s65, 28
	v_mov_b32_e32 v2, 0
	s_mov_b32 s68, 0
	s_mov_b64 s[2:3], s[34:35]
	s_mov_b64 s[62:63], s[52:53]
	v_mov_b32_e32 v0, 0
	v_mov_b32_e32 v1, v8
.LBB159_268:                            ; =>This Inner Loop Header: Depth=1
	s_load_dwordx8 s[16:23], s[2:3], 0x4
	s_load_dwordx4 s[40:43], s[2:3], 0x24
	s_load_dwordx8 s[8:15], s[62:63], 0x0
	s_add_u32 s2, s2, 48
	s_addc_u32 s3, s3, 0
	s_waitcnt vmcnt(0) lgkmcnt(0)
	v_mul_hi_u32 v3, s17, v1
	s_add_i32 s68, s68, 4
	s_add_u32 s62, s62, 32
	s_addc_u32 s63, s63, 0
	v_add_u32_e32 v3, v1, v3
	v_lshrrev_b32_e32 v3, s18, v3
	v_mul_lo_u32 v4, v3, s16
	v_mul_hi_u32 v5, s20, v3
	s_cmp_eq_u32 s64, s68
	v_sub_u32_e32 v1, v1, v4
	v_add_u32_e32 v4, v3, v5
	v_mul_lo_u32 v5, v1, s8
	v_mul_lo_u32 v6, v1, s9
	v_lshrrev_b32_e32 v1, s21, v4
	v_mul_lo_u32 v4, v1, s19
	v_mul_hi_u32 v7, s23, v1
	v_sub_u32_e32 v3, v3, v4
	v_add_u32_e32 v4, v1, v7
	v_lshrrev_b32_e32 v4, s40, v4
	v_mul_hi_u32 v9, s42, v4
	v_mul_lo_u32 v10, v4, s22
	v_mul_lo_u32 v7, v3, s10
	;; [unrolled: 1-line block ×3, first 2 shown]
	v_sub_u32_e32 v10, v1, v10
	v_add_u32_e32 v1, v4, v9
	v_lshrrev_b32_e32 v1, s43, v1
	v_mul_lo_u32 v9, v1, s41
	v_mul_lo_u32 v11, v10, s12
	;; [unrolled: 1-line block ×3, first 2 shown]
	v_add3_u32 v0, v5, v0, v7
	v_sub_u32_e32 v4, v4, v9
	v_mul_lo_u32 v9, v4, s14
	v_mul_lo_u32 v4, v4, s15
	v_add3_u32 v2, v6, v2, v3
	v_add3_u32 v0, v11, v0, v9
	;; [unrolled: 1-line block ×3, first 2 shown]
	s_cbranch_scc0 .LBB159_268
	s_branch .LBB159_275
.LBB159_269:
	s_or_b64 exec, exec, s[60:61]
	s_mov_b64 s[2:3], 0
	s_and_saveexec_b64 s[8:9], s[58:59]
	s_cbranch_execnz .LBB159_902
.LBB159_270:
	s_or_b64 exec, exec, s[8:9]
	s_and_saveexec_b64 s[8:9], s[64:65]
	s_xor_b64 s[8:9], exec, s[8:9]
	s_cbranch_execz .LBB159_903
.LBB159_271:
	global_load_ubyte v3, v[1:2], off
	s_or_b64 s[10:11], s[10:11], exec
	s_waitcnt vmcnt(0)
	v_cmp_ne_u16_e32 vcc, 0, v3
	v_cndmask_b32_e64 v3, 0, 1, vcc
	s_or_b64 exec, exec, s[8:9]
	s_and_saveexec_b64 s[8:9], s[12:13]
	s_cbranch_execz .LBB159_949
	s_branch .LBB159_904
.LBB159_272:
                                        ; implicit-def: $vgpr0
                                        ; implicit-def: $vgpr2
	s_andn2_b64 vcc, exec, s[2:3]
	s_cbranch_vccz .LBB159_279
	s_branch .LBB159_281
.LBB159_273:
	v_mov_b32_e32 v0, 0
	v_mov_b32_e32 v2, 0
	s_branch .LBB159_278
.LBB159_274:
	s_mov_b32 s64, 0
	v_mov_b32_e32 v0, 0
	v_mov_b32_e32 v2, 0
	;; [unrolled: 1-line block ×3, first 2 shown]
.LBB159_275:
	s_and_b32 s10, s65, 3
	s_cmp_eq_u32 s10, 0
	s_cbranch_scc1 .LBB159_278
; %bb.276:
	s_lshl_b32 s2, s64, 3
	s_add_u32 s2, s34, s2
	s_addc_u32 s3, s35, 0
	s_add_u32 s2, s2, 0xc4
	s_addc_u32 s3, s3, 0
	s_mul_i32 s8, s64, 12
	s_add_u32 s8, s34, s8
	s_addc_u32 s9, s35, 0
.LBB159_277:                            ; =>This Inner Loop Header: Depth=1
	s_load_dwordx2 s[12:13], s[8:9], 0x4
	s_load_dword s11, s[8:9], 0xc
	s_load_dwordx2 s[14:15], s[2:3], 0x0
	s_add_u32 s8, s8, 12
	s_addc_u32 s9, s9, 0
	s_waitcnt vmcnt(0) lgkmcnt(0)
	v_mul_hi_u32 v3, s13, v1
	s_add_u32 s2, s2, 8
	s_addc_u32 s3, s3, 0
	s_add_i32 s10, s10, -1
	v_add_u32_e32 v3, v1, v3
	v_lshrrev_b32_e32 v4, s11, v3
	v_mul_lo_u32 v3, v4, s12
	s_cmp_lg_u32 s10, 0
	v_sub_u32_e32 v3, v1, v3
	v_mad_u64_u32 v[0:1], s[12:13], v3, s14, v[0:1]
	v_mad_u64_u32 v[2:3], s[12:13], v3, s15, v[2:3]
	v_mov_b32_e32 v1, v4
	s_cbranch_scc1 .LBB159_277
.LBB159_278:
	s_cbranch_execnz .LBB159_281
.LBB159_279:
	s_waitcnt lgkmcnt(0)
	v_mul_hi_u32 v0, s37, v8
	s_andn2_b64 vcc, exec, s[50:51]
	v_add_u32_e32 v0, v8, v0
	v_lshrrev_b32_e32 v1, s38, v0
	v_mul_lo_u32 v0, v1, s36
	v_sub_u32_e32 v2, v8, v0
	v_mul_lo_u32 v0, v2, s28
	v_mul_lo_u32 v2, v2, s29
	s_cbranch_vccnz .LBB159_281
; %bb.280:
	s_waitcnt vmcnt(0)
	v_mul_hi_u32 v3, s48, v1
	v_add_u32_e32 v3, v1, v3
	v_lshrrev_b32_e32 v3, s49, v3
	v_mul_lo_u32 v3, v3, s39
	v_sub_u32_e32 v3, v1, v3
	v_mad_u64_u32 v[0:1], s[2:3], v3, s30, v[0:1]
	v_mad_u64_u32 v[2:3], s[2:3], v3, s31, v[2:3]
.LBB159_281:
	s_waitcnt vmcnt(0) lgkmcnt(0)
	v_mov_b32_e32 v3, s27
	s_and_b32 s12, s77, 0xff
	v_add_co_u32_e32 v1, vcc, s26, v2
	s_cmp_lt_i32 s12, 11
	v_addc_co_u32_e32 v2, vcc, 0, v3, vcc
	s_cbranch_scc1 .LBB159_288
; %bb.282:
	s_and_b32 s13, 0xffff, s12
	s_cmp_gt_i32 s13, 25
	s_cbranch_scc0 .LBB159_297
; %bb.283:
	s_cmp_gt_i32 s13, 28
	s_cbranch_scc0 .LBB159_299
; %bb.284:
	;; [unrolled: 3-line block ×4, first 2 shown]
	s_cmp_eq_u32 s13, 46
	s_mov_b64 s[10:11], 0
	s_cbranch_scc0 .LBB159_309
; %bb.287:
	global_load_dword v3, v[1:2], off
	s_mov_b64 s[2:3], -1
	s_mov_b64 s[8:9], 0
	s_waitcnt vmcnt(0)
	v_lshlrev_b32_e32 v3, 16, v3
	v_cvt_i32_f32_e32 v3, v3
	s_branch .LBB159_310
.LBB159_288:
	s_mov_b64 s[2:3], 0
                                        ; implicit-def: $vgpr3
	s_mov_b64 s[8:9], s[58:59]
	s_cbranch_execnz .LBB159_483
.LBB159_289:
	s_andn2_b64 vcc, exec, s[2:3]
	s_cbranch_vccnz .LBB159_531
.LBB159_290:
	v_mov_b32_e32 v1, 7
	s_waitcnt vmcnt(0)
	v_ashrrev_i16_sdwa v1, v1, sext(v3) dst_sel:DWORD dst_unused:UNUSED_PAD src0_sel:DWORD src1_sel:BYTE_0
	v_ashrrev_i32_sdwa v2, s76, sext(v3) dst_sel:DWORD dst_unused:UNUSED_PAD src0_sel:DWORD src1_sel:BYTE_0
	v_cndmask_b32_e64 v4, v2, v1, s[0:1]
	v_mov_b32_e32 v1, s25
	s_and_b32 s16, s75, 0xff
	v_add_co_u32_e32 v0, vcc, s24, v0
	s_cmp_lt_i32 s16, 11
	v_addc_co_u32_e32 v1, vcc, 0, v1, vcc
	s_cbranch_scc1 .LBB159_298
; %bb.291:
	s_and_b32 s17, 0xffff, s16
	s_cmp_gt_i32 s17, 25
	s_cbranch_scc0 .LBB159_300
; %bb.292:
	s_cmp_gt_i32 s17, 28
	s_cbranch_scc0 .LBB159_302
; %bb.293:
	s_cmp_gt_i32 s17, 43
	s_cbranch_scc0 .LBB159_306
; %bb.294:
	s_cmp_gt_i32 s17, 45
	s_cbranch_scc0 .LBB159_313
; %bb.295:
	s_mov_b64 s[12:13], 0
	s_mov_b64 s[2:3], -1
	s_cmp_eq_u32 s17, 46
	s_mov_b64 s[10:11], 0
	s_cbranch_scc0 .LBB159_314
; %bb.296:
	v_cvt_f32_i32_sdwa v2, sext(v4) dst_sel:DWORD dst_unused:UNUSED_PAD src0_sel:WORD_0
	s_movk_i32 s2, 0x7fff
	s_mov_b64 s[10:11], -1
	v_bfe_u32 v3, v2, 16, 1
	v_add3_u32 v2, v2, v3, s2
	v_lshrrev_b32_e32 v2, 16, v2
	global_store_dword v[0:1], v2, off
	s_mov_b64 s[2:3], 0
	s_branch .LBB159_314
.LBB159_297:
	s_mov_b64 s[10:11], -1
	s_mov_b64 s[2:3], 0
	s_mov_b64 s[8:9], s[58:59]
                                        ; implicit-def: $vgpr3
	s_branch .LBB159_449
.LBB159_298:
	s_mov_b64 s[12:13], -1
	s_mov_b64 s[10:11], 0
	s_mov_b64 s[2:3], s[56:57]
	s_branch .LBB159_383
.LBB159_299:
	s_mov_b64 s[10:11], -1
	s_mov_b64 s[2:3], 0
	s_mov_b64 s[8:9], s[58:59]
                                        ; implicit-def: $vgpr3
	s_branch .LBB159_432
.LBB159_300:
	s_mov_b64 s[12:13], -1
	s_mov_b64 s[10:11], 0
	s_mov_b64 s[2:3], s[56:57]
	s_branch .LBB159_341
.LBB159_301:
	s_mov_b64 s[10:11], -1
	s_mov_b64 s[2:3], 0
	s_mov_b64 s[8:9], s[58:59]
                                        ; implicit-def: $vgpr3
	s_branch .LBB159_427
.LBB159_302:
	s_mov_b64 s[12:13], -1
	s_mov_b64 s[10:11], 0
	s_mov_b64 s[2:3], s[56:57]
	s_branch .LBB159_324
.LBB159_303:
	s_andn2_saveexec_b64 s[14:15], s[14:15]
	s_cbranch_execz .LBB159_68
.LBB159_304:
	s_mov_b32 s18, 0x46000000
	v_add_f32_e64 v3, |v2|, s18
	v_and_b32_e32 v3, 0xff, v3
	v_cmp_ne_u32_e32 vcc, 0, v3
	s_andn2_b64 s[12:13], s[12:13], exec
	s_and_b64 s[18:19], vcc, exec
	s_or_b64 s[12:13], s[12:13], s[18:19]
	s_or_b64 exec, exec, s[14:15]
	v_mov_b32_e32 v5, 0
	s_and_saveexec_b64 s[14:15], s[12:13]
	s_cbranch_execnz .LBB159_69
	s_branch .LBB159_70
.LBB159_305:
	s_mov_b64 s[10:11], -1
	s_mov_b64 s[2:3], 0
	s_mov_b64 s[8:9], s[58:59]
                                        ; implicit-def: $vgpr3
	s_branch .LBB159_310
.LBB159_306:
	s_mov_b64 s[12:13], -1
	s_mov_b64 s[10:11], 0
	s_mov_b64 s[2:3], s[56:57]
	s_branch .LBB159_320
.LBB159_307:
	s_andn2_saveexec_b64 s[14:15], s[14:15]
	s_cbranch_execz .LBB159_81
.LBB159_308:
	s_mov_b32 s18, 0x42800000
	v_add_f32_e64 v3, |v2|, s18
	v_and_b32_e32 v3, 0xff, v3
	v_cmp_ne_u32_e32 vcc, 0, v3
	s_andn2_b64 s[12:13], s[12:13], exec
	s_and_b64 s[18:19], vcc, exec
	s_or_b64 s[12:13], s[12:13], s[18:19]
	s_or_b64 exec, exec, s[14:15]
	v_mov_b32_e32 v5, 0
	s_and_saveexec_b64 s[14:15], s[12:13]
	s_cbranch_execnz .LBB159_82
	s_branch .LBB159_83
.LBB159_309:
	s_mov_b64 s[8:9], -1
                                        ; implicit-def: $vgpr3
	s_mov_b64 s[2:3], 0
.LBB159_310:
	s_and_b64 vcc, exec, s[10:11]
	s_cbranch_vccz .LBB159_426
; %bb.311:
	s_cmp_eq_u32 s13, 44
	s_cbranch_scc0 .LBB159_425
; %bb.312:
	global_load_ubyte v3, v[1:2], off
	s_mov_b64 s[2:3], -1
	s_mov_b64 s[8:9], 0
	s_waitcnt vmcnt(0)
	v_lshlrev_b32_e32 v4, 23, v3
	v_cvt_i32_f32_e32 v4, v4
	v_cmp_ne_u32_e32 vcc, 0, v3
	v_cndmask_b32_e32 v3, 0, v4, vcc
	s_branch .LBB159_426
.LBB159_313:
	s_mov_b64 s[12:13], -1
	s_mov_b64 s[10:11], 0
	s_mov_b64 s[2:3], s[56:57]
.LBB159_314:
	s_and_b64 vcc, exec, s[12:13]
	s_cbranch_vccz .LBB159_319
; %bb.315:
	s_cmp_eq_u32 s17, 44
	s_mov_b64 s[2:3], -1
	s_cbranch_scc0 .LBB159_319
; %bb.316:
	v_cvt_f32_i32_sdwa v2, sext(v4) dst_sel:DWORD dst_unused:UNUSED_PAD src0_sel:WORD_0
	s_movk_i32 s2, 0xff
	v_mov_b32_e32 v5, 0xff
	v_bfe_u32 v3, v2, 23, 8
	v_cmp_ne_u32_e32 vcc, s2, v3
	s_and_saveexec_b64 s[10:11], vcc
; %bb.317:
	s_mov_b32 s2, 0x3fffff
	v_lshrrev_b32_e32 v5, 23, v2
	v_and_b32_e32 v6, 0x400000, v2
	v_and_or_b32 v2, v2, s2, v3
	v_cmp_ne_u32_e32 vcc, 0, v6
	v_cmp_ne_u32_e64 s[2:3], 0, v2
	s_and_b64 s[2:3], vcc, s[2:3]
	v_cndmask_b32_e64 v2, 0, 1, s[2:3]
	v_add_u32_e32 v5, v5, v2
; %bb.318:
	s_or_b64 exec, exec, s[10:11]
	s_mov_b64 s[10:11], -1
	s_mov_b64 s[2:3], 0
	global_store_byte v[0:1], v5, off
.LBB159_319:
	s_mov_b64 s[12:13], 0
.LBB159_320:
	s_and_b64 vcc, exec, s[12:13]
	s_cbranch_vccz .LBB159_323
; %bb.321:
	s_cmp_eq_u32 s17, 29
	s_mov_b64 s[2:3], -1
	s_cbranch_scc0 .LBB159_323
; %bb.322:
	v_bfe_i32 v2, v4, 0, 16
	v_ashrrev_i32_e32 v3, 31, v2
	global_store_dwordx2 v[0:1], v[2:3], off
	s_mov_b64 s[10:11], -1
	s_mov_b64 s[2:3], 0
.LBB159_323:
	s_mov_b64 s[12:13], 0
.LBB159_324:
	s_and_b64 vcc, exec, s[12:13]
	s_cbranch_vccz .LBB159_340
; %bb.325:
	s_cmp_lt_i32 s17, 27
	s_mov_b64 s[10:11], -1
	s_cbranch_scc1 .LBB159_331
; %bb.326:
	s_cmp_gt_i32 s17, 27
	s_cbranch_scc0 .LBB159_328
; %bb.327:
	v_bfe_i32 v2, v4, 0, 16
	s_mov_b64 s[10:11], 0
	global_store_dword v[0:1], v2, off
.LBB159_328:
	s_andn2_b64 vcc, exec, s[10:11]
	s_cbranch_vccnz .LBB159_330
; %bb.329:
	global_store_short v[0:1], v4, off
.LBB159_330:
	s_mov_b64 s[10:11], 0
.LBB159_331:
	s_andn2_b64 vcc, exec, s[10:11]
	s_cbranch_vccnz .LBB159_339
; %bb.332:
	v_cvt_f32_i32_sdwa v2, sext(v4) dst_sel:DWORD dst_unused:UNUSED_PAD src0_sel:WORD_0
	s_mov_b32 s10, 0x43800000
	v_mov_b32_e32 v5, 0x80
	v_and_b32_e32 v3, 0x7fffffff, v2
	v_cmp_gt_u32_e32 vcc, s10, v3
	s_and_saveexec_b64 s[10:11], vcc
	s_cbranch_execz .LBB159_338
; %bb.333:
	s_mov_b32 s12, 0x3bffffff
	v_cmp_lt_u32_e32 vcc, s12, v3
	s_mov_b64 s[12:13], 0
                                        ; implicit-def: $vgpr3
	s_and_saveexec_b64 s[14:15], vcc
	s_xor_b64 s[14:15], exec, s[14:15]
	s_cbranch_execz .LBB159_562
; %bb.334:
	v_bfe_u32 v3, v2, 20, 1
	s_mov_b32 s18, 0x487ffff
	v_add3_u32 v3, v2, v3, s18
	s_mov_b64 s[12:13], exec
	v_lshrrev_b32_e32 v3, 20, v3
	s_andn2_saveexec_b64 s[14:15], s[14:15]
	s_cbranch_execnz .LBB159_563
.LBB159_335:
	s_or_b64 exec, exec, s[14:15]
	v_mov_b32_e32 v5, 0
	s_and_saveexec_b64 s[14:15], s[12:13]
.LBB159_336:
	v_lshrrev_b32_e32 v2, 24, v2
	s_movk_i32 s12, 0x80
	v_and_or_b32 v5, v2, s12, v3
.LBB159_337:
	s_or_b64 exec, exec, s[14:15]
.LBB159_338:
	s_or_b64 exec, exec, s[10:11]
	global_store_byte v[0:1], v5, off
.LBB159_339:
	s_mov_b64 s[10:11], -1
.LBB159_340:
	s_mov_b64 s[12:13], 0
.LBB159_341:
	s_and_b64 vcc, exec, s[12:13]
	s_cbranch_vccz .LBB159_382
; %bb.342:
	s_cmp_gt_i32 s17, 22
	s_mov_b64 s[12:13], -1
	s_cbranch_scc0 .LBB159_374
; %bb.343:
	s_cmp_lt_i32 s17, 24
	s_mov_b64 s[10:11], -1
	s_cbranch_scc1 .LBB159_363
; %bb.344:
	s_cmp_gt_i32 s17, 24
	s_cbranch_scc0 .LBB159_352
; %bb.345:
	v_cvt_f32_i32_sdwa v2, sext(v4) dst_sel:DWORD dst_unused:UNUSED_PAD src0_sel:WORD_0
	s_mov_b32 s10, 0x47800000
	v_mov_b32_e32 v5, 0x80
	v_and_b32_e32 v3, 0x7fffffff, v2
	v_cmp_gt_u32_e32 vcc, s10, v3
	s_and_saveexec_b64 s[10:11], vcc
	s_cbranch_execz .LBB159_351
; %bb.346:
	s_mov_b32 s12, 0x37ffffff
	v_cmp_lt_u32_e32 vcc, s12, v3
	s_mov_b64 s[12:13], 0
                                        ; implicit-def: $vgpr3
	s_and_saveexec_b64 s[14:15], vcc
	s_xor_b64 s[14:15], exec, s[14:15]
	s_cbranch_execz .LBB159_565
; %bb.347:
	v_bfe_u32 v3, v2, 21, 1
	s_mov_b32 s18, 0x88fffff
	v_add3_u32 v3, v2, v3, s18
	s_mov_b64 s[12:13], exec
	v_lshrrev_b32_e32 v3, 21, v3
	s_andn2_saveexec_b64 s[14:15], s[14:15]
	s_cbranch_execnz .LBB159_566
.LBB159_348:
	s_or_b64 exec, exec, s[14:15]
	v_mov_b32_e32 v5, 0
	s_and_saveexec_b64 s[14:15], s[12:13]
.LBB159_349:
	v_lshrrev_b32_e32 v2, 24, v2
	s_movk_i32 s12, 0x80
	v_and_or_b32 v5, v2, s12, v3
.LBB159_350:
	s_or_b64 exec, exec, s[14:15]
.LBB159_351:
	s_or_b64 exec, exec, s[10:11]
	s_mov_b64 s[10:11], 0
	global_store_byte v[0:1], v5, off
.LBB159_352:
	s_and_b64 vcc, exec, s[10:11]
	s_cbranch_vccz .LBB159_362
; %bb.353:
	v_cvt_f32_i32_sdwa v2, sext(v4) dst_sel:DWORD dst_unused:UNUSED_PAD src0_sel:WORD_0
	s_mov_b32 s10, 0x43f00000
                                        ; implicit-def: $vgpr3
	v_and_b32_e32 v5, 0x7fffffff, v2
	v_cmp_gt_u32_e32 vcc, s10, v5
	s_and_saveexec_b64 s[10:11], vcc
	s_xor_b64 s[10:11], exec, s[10:11]
	s_cbranch_execz .LBB159_359
; %bb.354:
	s_mov_b32 s12, 0x3c7fffff
	v_cmp_lt_u32_e32 vcc, s12, v5
                                        ; implicit-def: $vgpr3
	s_and_saveexec_b64 s[12:13], vcc
	s_xor_b64 s[12:13], exec, s[12:13]
; %bb.355:
	v_bfe_u32 v3, v2, 20, 1
	s_mov_b32 s14, 0x407ffff
	v_add3_u32 v3, v2, v3, s14
	v_lshrrev_b32_e32 v5, 20, v3
	v_and_b32_e32 v3, 0xff00000, v3
	s_mov_b32 s14, 0x7f00000
	v_mov_b32_e32 v6, 0x7e
	v_cmp_ne_u32_e32 vcc, s14, v3
	v_cndmask_b32_e32 v3, v6, v5, vcc
; %bb.356:
	s_andn2_saveexec_b64 s[12:13], s[12:13]
; %bb.357:
	s_mov_b32 s14, 0x46800000
	v_add_f32_e64 v3, |v2|, s14
; %bb.358:
	s_or_b64 exec, exec, s[12:13]
                                        ; implicit-def: $vgpr5
.LBB159_359:
	s_andn2_saveexec_b64 s[10:11], s[10:11]
; %bb.360:
	s_mov_b32 s12, 0x7f800000
	v_mov_b32_e32 v3, 0x7e
	v_mov_b32_e32 v6, 0x7f
	v_cmp_lt_u32_e32 vcc, s12, v5
	v_cndmask_b32_e32 v3, v3, v6, vcc
; %bb.361:
	s_or_b64 exec, exec, s[10:11]
	v_lshrrev_b32_e32 v2, 24, v2
	s_movk_i32 s10, 0x80
	v_and_or_b32 v2, v2, s10, v3
	global_store_byte v[0:1], v2, off
.LBB159_362:
	s_mov_b64 s[10:11], 0
.LBB159_363:
	s_andn2_b64 vcc, exec, s[10:11]
	s_cbranch_vccnz .LBB159_373
; %bb.364:
	v_cvt_f32_i32_sdwa v2, sext(v4) dst_sel:DWORD dst_unused:UNUSED_PAD src0_sel:WORD_0
	s_mov_b32 s10, 0x47800000
                                        ; implicit-def: $vgpr3
	v_and_b32_e32 v5, 0x7fffffff, v2
	v_cmp_gt_u32_e32 vcc, s10, v5
	s_and_saveexec_b64 s[10:11], vcc
	s_xor_b64 s[10:11], exec, s[10:11]
	s_cbranch_execz .LBB159_370
; %bb.365:
	s_mov_b32 s12, 0x387fffff
	v_cmp_lt_u32_e32 vcc, s12, v5
                                        ; implicit-def: $vgpr3
	s_and_saveexec_b64 s[12:13], vcc
	s_xor_b64 s[12:13], exec, s[12:13]
; %bb.366:
	v_bfe_u32 v3, v2, 21, 1
	s_mov_b32 s14, 0x80fffff
	v_add3_u32 v3, v2, v3, s14
	v_lshrrev_b32_e32 v3, 21, v3
; %bb.367:
	s_andn2_saveexec_b64 s[12:13], s[12:13]
; %bb.368:
	s_mov_b32 s14, 0x43000000
	v_add_f32_e64 v3, |v2|, s14
; %bb.369:
	s_or_b64 exec, exec, s[12:13]
                                        ; implicit-def: $vgpr5
.LBB159_370:
	s_andn2_saveexec_b64 s[10:11], s[10:11]
; %bb.371:
	s_mov_b32 s12, 0x7f800000
	v_mov_b32_e32 v3, 0x7c
	v_mov_b32_e32 v6, 0x7f
	v_cmp_lt_u32_e32 vcc, s12, v5
	v_cndmask_b32_e32 v3, v3, v6, vcc
; %bb.372:
	s_or_b64 exec, exec, s[10:11]
	v_lshrrev_b32_e32 v2, 24, v2
	s_movk_i32 s10, 0x80
	v_and_or_b32 v2, v2, s10, v3
	global_store_byte v[0:1], v2, off
.LBB159_373:
	s_mov_b64 s[12:13], 0
	s_mov_b64 s[10:11], -1
.LBB159_374:
	s_andn2_b64 vcc, exec, s[12:13]
	s_cbranch_vccnz .LBB159_382
; %bb.375:
	s_cmp_gt_i32 s17, 14
	s_mov_b64 s[12:13], -1
	s_cbranch_scc0 .LBB159_379
; %bb.376:
	s_cmp_eq_u32 s17, 15
	s_mov_b64 s[2:3], -1
	s_cbranch_scc0 .LBB159_378
; %bb.377:
	v_cvt_f32_i32_sdwa v2, sext(v4) dst_sel:DWORD dst_unused:UNUSED_PAD src0_sel:WORD_0
	s_movk_i32 s2, 0x7fff
	s_mov_b64 s[10:11], -1
	v_bfe_u32 v3, v2, 16, 1
	v_add3_u32 v2, v2, v3, s2
	global_store_short_d16_hi v[0:1], v2, off
	s_mov_b64 s[2:3], 0
.LBB159_378:
	s_mov_b64 s[12:13], 0
.LBB159_379:
	s_and_b64 vcc, exec, s[12:13]
	s_cbranch_vccz .LBB159_382
; %bb.380:
	s_cmp_eq_u32 s17, 11
	s_mov_b64 s[2:3], -1
	s_cbranch_scc0 .LBB159_382
; %bb.381:
	v_cmp_ne_u16_e32 vcc, 0, v4
	v_cndmask_b32_e64 v2, 0, 1, vcc
	s_mov_b64 s[10:11], -1
	s_mov_b64 s[2:3], 0
	global_store_byte v[0:1], v2, off
.LBB159_382:
	s_mov_b64 s[12:13], 0
.LBB159_383:
	s_and_b64 vcc, exec, s[12:13]
	s_cbranch_vccz .LBB159_422
; %bb.384:
	s_and_b32 s12, 0xffff, s16
	s_cmp_lt_i32 s12, 5
	s_mov_b64 s[10:11], -1
	s_cbranch_scc1 .LBB159_405
; %bb.385:
	s_cmp_lt_i32 s12, 8
	s_cbranch_scc1 .LBB159_395
; %bb.386:
	s_cmp_lt_i32 s12, 9
	s_cbranch_scc1 .LBB159_392
; %bb.387:
	s_cmp_gt_i32 s12, 9
	s_cbranch_scc0 .LBB159_389
; %bb.388:
	v_bfe_i32 v2, v4, 0, 16
	v_cvt_f64_i32_e32 v[9:10], v2
	v_mov_b32_e32 v11, 0
	v_mov_b32_e32 v12, v11
	s_mov_b64 s[10:11], 0
	global_store_dwordx4 v[0:1], v[9:12], off
.LBB159_389:
	s_andn2_b64 vcc, exec, s[10:11]
	s_cbranch_vccnz .LBB159_391
; %bb.390:
	v_cvt_f32_i32_sdwa v2, sext(v4) dst_sel:DWORD dst_unused:UNUSED_PAD src0_sel:WORD_0
	v_mov_b32_e32 v3, 0
	global_store_dwordx2 v[0:1], v[2:3], off
.LBB159_391:
	s_mov_b64 s[10:11], 0
.LBB159_392:
	s_andn2_b64 vcc, exec, s[10:11]
	s_cbranch_vccnz .LBB159_394
; %bb.393:
	v_cvt_f16_i16_e32 v2, v4
	global_store_dword v[0:1], v2, off
.LBB159_394:
	s_mov_b64 s[10:11], 0
.LBB159_395:
	s_andn2_b64 vcc, exec, s[10:11]
	s_cbranch_vccnz .LBB159_404
; %bb.396:
	s_cmp_lt_i32 s12, 6
	s_mov_b64 s[10:11], -1
	s_cbranch_scc1 .LBB159_402
; %bb.397:
	s_cmp_gt_i32 s12, 6
	s_cbranch_scc0 .LBB159_399
; %bb.398:
	v_bfe_i32 v2, v4, 0, 16
	v_cvt_f64_i32_e32 v[2:3], v2
	s_mov_b64 s[10:11], 0
	global_store_dwordx2 v[0:1], v[2:3], off
.LBB159_399:
	s_andn2_b64 vcc, exec, s[10:11]
	s_cbranch_vccnz .LBB159_401
; %bb.400:
	v_cvt_f32_i32_sdwa v2, sext(v4) dst_sel:DWORD dst_unused:UNUSED_PAD src0_sel:WORD_0
	global_store_dword v[0:1], v2, off
.LBB159_401:
	s_mov_b64 s[10:11], 0
.LBB159_402:
	s_andn2_b64 vcc, exec, s[10:11]
	s_cbranch_vccnz .LBB159_404
; %bb.403:
	v_cvt_f16_i16_e32 v2, v4
	global_store_short v[0:1], v2, off
.LBB159_404:
	s_mov_b64 s[10:11], 0
.LBB159_405:
	s_andn2_b64 vcc, exec, s[10:11]
	s_cbranch_vccnz .LBB159_421
; %bb.406:
	s_cmp_lt_i32 s12, 2
	s_mov_b64 s[10:11], -1
	s_cbranch_scc1 .LBB159_416
; %bb.407:
	s_cmp_lt_i32 s12, 3
	s_cbranch_scc1 .LBB159_413
; %bb.408:
	s_cmp_gt_i32 s12, 3
	v_bfe_i32 v2, v4, 0, 16
	s_cbranch_scc0 .LBB159_410
; %bb.409:
	v_ashrrev_i32_e32 v3, 31, v2
	s_mov_b64 s[10:11], 0
	global_store_dwordx2 v[0:1], v[2:3], off
.LBB159_410:
	s_andn2_b64 vcc, exec, s[10:11]
	s_cbranch_vccnz .LBB159_412
; %bb.411:
	global_store_dword v[0:1], v2, off
.LBB159_412:
	s_mov_b64 s[10:11], 0
.LBB159_413:
	s_andn2_b64 vcc, exec, s[10:11]
	s_cbranch_vccnz .LBB159_415
; %bb.414:
	global_store_short v[0:1], v4, off
.LBB159_415:
	s_mov_b64 s[10:11], 0
.LBB159_416:
	s_andn2_b64 vcc, exec, s[10:11]
	s_cbranch_vccnz .LBB159_421
; %bb.417:
	s_cmp_gt_i32 s12, 0
	s_mov_b64 s[10:11], -1
	s_cbranch_scc0 .LBB159_419
; %bb.418:
	s_mov_b64 s[10:11], 0
	global_store_byte v[0:1], v4, off
.LBB159_419:
	s_andn2_b64 vcc, exec, s[10:11]
	s_cbranch_vccnz .LBB159_421
; %bb.420:
	global_store_byte v[0:1], v4, off
.LBB159_421:
	s_mov_b64 s[10:11], -1
.LBB159_422:
	s_andn2_b64 vcc, exec, s[10:11]
	s_cbranch_vccnz .LBB159_424
; %bb.423:
	v_add_u32_e32 v8, 0x80, v8
	s_mov_b64 s[10:11], -1
	s_branch .LBB159_533
.LBB159_424:
	s_mov_b64 s[10:11], 0
	s_branch .LBB159_532
.LBB159_425:
	s_mov_b64 s[8:9], -1
                                        ; implicit-def: $vgpr3
.LBB159_426:
	s_mov_b64 s[10:11], 0
.LBB159_427:
	s_and_b64 vcc, exec, s[10:11]
	s_cbranch_vccz .LBB159_431
; %bb.428:
	s_cmp_eq_u32 s13, 29
	s_cbranch_scc0 .LBB159_430
; %bb.429:
	global_load_dwordx2 v[3:4], v[1:2], off
	s_mov_b64 s[2:3], -1
	s_mov_b64 s[8:9], 0
	s_branch .LBB159_431
.LBB159_430:
	s_mov_b64 s[8:9], -1
                                        ; implicit-def: $vgpr3
.LBB159_431:
	s_mov_b64 s[10:11], 0
.LBB159_432:
	s_and_b64 vcc, exec, s[10:11]
	s_cbranch_vccz .LBB159_448
; %bb.433:
	s_cmp_lt_i32 s13, 27
	s_cbranch_scc1 .LBB159_436
; %bb.434:
	s_cmp_gt_i32 s13, 27
	s_cbranch_scc0 .LBB159_437
; %bb.435:
	global_load_dword v3, v[1:2], off
	s_mov_b64 s[2:3], 0
	s_branch .LBB159_438
.LBB159_436:
	s_mov_b64 s[2:3], -1
                                        ; implicit-def: $vgpr3
	s_branch .LBB159_441
.LBB159_437:
	s_mov_b64 s[2:3], -1
                                        ; implicit-def: $vgpr3
.LBB159_438:
	s_andn2_b64 vcc, exec, s[2:3]
	s_cbranch_vccnz .LBB159_440
; %bb.439:
	global_load_ushort v3, v[1:2], off
.LBB159_440:
	s_mov_b64 s[2:3], 0
.LBB159_441:
	s_andn2_b64 vcc, exec, s[2:3]
	s_cbranch_vccnz .LBB159_447
; %bb.442:
	global_load_ubyte v4, v[1:2], off
	s_movk_i32 s2, 0x7f
	s_mov_b64 s[10:11], 0
	s_waitcnt vmcnt(0)
	v_cmp_lt_i16_e32 vcc, s2, v4
	s_and_saveexec_b64 s[2:3], vcc
	s_xor_b64 s[2:3], exec, s[2:3]
	s_cbranch_execz .LBB159_459
; %bb.443:
	s_movk_i32 s10, 0x80
	v_cmp_ne_u16_e32 vcc, s10, v4
	s_and_b64 s[10:11], vcc, exec
	s_andn2_saveexec_b64 s[2:3], s[2:3]
	s_cbranch_execnz .LBB159_460
.LBB159_444:
	s_or_b64 exec, exec, s[2:3]
	v_mov_b32_e32 v3, 0
	s_and_saveexec_b64 s[2:3], s[10:11]
	s_cbranch_execz .LBB159_446
.LBB159_445:
	v_lshlrev_b32_e32 v3, 24, v4
	v_and_b32_e32 v4, 0xffff, v4
	v_and_b32_e32 v5, 7, v4
	v_ffbh_u32_e32 v7, v5
	v_min_u32_e32 v7, 32, v7
	v_subrev_u32_e32 v9, 28, v7
	v_bfe_u32 v6, v4, 3, 4
	v_lshlrev_b32_e32 v4, v9, v4
	v_sub_u32_e32 v7, 29, v7
	v_and_b32_e32 v4, 7, v4
	v_cmp_eq_u32_e32 vcc, 0, v6
	v_cndmask_b32_e32 v6, v6, v7, vcc
	v_cndmask_b32_e32 v4, v5, v4, vcc
	v_mov_b32_e32 v5, 0x3b800000
	v_lshlrev_b32_e32 v4, 20, v4
	v_and_b32_e32 v3, 0x80000000, v3
	v_lshl_add_u32 v5, v6, 23, v5
	v_or3_b32 v3, v3, v5, v4
	v_cvt_i32_f32_e32 v3, v3
.LBB159_446:
	s_or_b64 exec, exec, s[2:3]
.LBB159_447:
	s_mov_b64 s[2:3], -1
.LBB159_448:
	s_mov_b64 s[10:11], 0
.LBB159_449:
	s_and_b64 vcc, exec, s[10:11]
	s_cbranch_vccz .LBB159_482
; %bb.450:
	s_cmp_gt_i32 s13, 22
	s_cbranch_scc0 .LBB159_458
; %bb.451:
	s_cmp_lt_i32 s13, 24
	s_cbranch_scc1 .LBB159_461
; %bb.452:
	s_cmp_gt_i32 s13, 24
	s_cbranch_scc0 .LBB159_462
; %bb.453:
	global_load_ubyte v4, v[1:2], off
	s_movk_i32 s2, 0x7f
	s_mov_b64 s[10:11], 0
	s_waitcnt vmcnt(0)
	v_cmp_lt_i16_e32 vcc, s2, v4
	s_and_saveexec_b64 s[2:3], vcc
	s_xor_b64 s[2:3], exec, s[2:3]
	s_cbranch_execz .LBB159_474
; %bb.454:
	s_movk_i32 s10, 0x80
	v_cmp_ne_u16_e32 vcc, s10, v4
	s_and_b64 s[10:11], vcc, exec
	s_andn2_saveexec_b64 s[2:3], s[2:3]
	s_cbranch_execnz .LBB159_475
.LBB159_455:
	s_or_b64 exec, exec, s[2:3]
	v_mov_b32_e32 v3, 0
	s_and_saveexec_b64 s[2:3], s[10:11]
	s_cbranch_execz .LBB159_457
.LBB159_456:
	v_lshlrev_b32_e32 v3, 24, v4
	v_and_b32_e32 v4, 0xffff, v4
	v_and_b32_e32 v5, 3, v4
	v_ffbh_u32_e32 v7, v5
	v_min_u32_e32 v7, 32, v7
	v_subrev_u32_e32 v9, 29, v7
	v_bfe_u32 v6, v4, 2, 5
	v_lshlrev_b32_e32 v4, v9, v4
	v_sub_u32_e32 v7, 30, v7
	v_and_b32_e32 v4, 3, v4
	v_cmp_eq_u32_e32 vcc, 0, v6
	v_cndmask_b32_e32 v6, v6, v7, vcc
	v_cndmask_b32_e32 v4, v5, v4, vcc
	v_mov_b32_e32 v5, 0x37800000
	v_lshlrev_b32_e32 v4, 21, v4
	v_and_b32_e32 v3, 0x80000000, v3
	v_lshl_add_u32 v5, v6, 23, v5
	v_or3_b32 v3, v3, v5, v4
	v_cvt_i32_f32_e32 v3, v3
.LBB159_457:
	s_or_b64 exec, exec, s[2:3]
	s_mov_b64 s[2:3], 0
	s_branch .LBB159_463
.LBB159_458:
	s_mov_b64 s[10:11], -1
                                        ; implicit-def: $vgpr3
	s_branch .LBB159_469
.LBB159_459:
	s_andn2_saveexec_b64 s[2:3], s[2:3]
	s_cbranch_execz .LBB159_444
.LBB159_460:
	v_cmp_ne_u16_e32 vcc, 0, v4
	s_andn2_b64 s[10:11], s[10:11], exec
	s_and_b64 s[14:15], vcc, exec
	s_or_b64 s[10:11], s[10:11], s[14:15]
	s_or_b64 exec, exec, s[2:3]
	v_mov_b32_e32 v3, 0
	s_and_saveexec_b64 s[2:3], s[10:11]
	s_cbranch_execnz .LBB159_445
	s_branch .LBB159_446
.LBB159_461:
	s_mov_b64 s[2:3], -1
                                        ; implicit-def: $vgpr3
	s_branch .LBB159_466
.LBB159_462:
	s_mov_b64 s[2:3], -1
                                        ; implicit-def: $vgpr3
.LBB159_463:
	s_and_b64 vcc, exec, s[2:3]
	s_cbranch_vccz .LBB159_465
; %bb.464:
	global_load_ubyte v3, v[1:2], off
	s_mov_b32 s2, 0x7f800000
	s_waitcnt vmcnt(0)
	v_lshlrev_b32_e32 v3, 24, v3
	v_and_b32_e32 v4, 0x7f000000, v3
	v_ffbh_u32_e32 v5, v4
	v_min_u32_e32 v5, 32, v5
	v_sub_u32_e64 v5, v5, 4 clamp
	v_lshlrev_b32_e32 v7, v5, v4
	v_lshlrev_b32_e32 v5, 23, v5
	v_lshrrev_b32_e32 v7, 4, v7
	v_add_u32_e32 v6, 0x1000000, v4
	v_sub_u32_e32 v5, v7, v5
	v_ashrrev_i32_e32 v6, 8, v6
	v_add_u32_e32 v5, 0x3c000000, v5
	v_and_or_b32 v5, v6, s2, v5
	v_cmp_ne_u32_e32 vcc, 0, v4
	v_cndmask_b32_e32 v4, 0, v5, vcc
	s_brev_b32 s2, 1
	v_and_or_b32 v3, v3, s2, v4
	v_cvt_i32_f32_e32 v3, v3
.LBB159_465:
	s_mov_b64 s[2:3], 0
.LBB159_466:
	s_andn2_b64 vcc, exec, s[2:3]
	s_cbranch_vccnz .LBB159_468
; %bb.467:
	global_load_ubyte v3, v[1:2], off
	s_movk_i32 s2, 0x7f00
	s_brev_b32 s3, 16
	s_waitcnt vmcnt(0)
	v_lshlrev_b16_e32 v4, 8, v3
	v_lshlrev_b32_e32 v3, 25, v3
	v_lshrrev_b32_e32 v5, 4, v3
	v_and_or_b32 v6, v4, s2, 0.5
	v_or_b32_e32 v5, 0x70000000, v5
	v_add_f32_e32 v6, -0.5, v6
	v_mul_f32_e32 v5, 0x7800000, v5
	v_cmp_gt_u32_e32 vcc, s3, v3
	v_bfe_i32 v4, v4, 0, 16
	v_cndmask_b32_e32 v3, v5, v6, vcc
	s_brev_b32 s2, 1
	v_and_or_b32 v3, v4, s2, v3
	v_cvt_i32_f32_e32 v3, v3
.LBB159_468:
	s_mov_b64 s[10:11], 0
	s_mov_b64 s[2:3], -1
.LBB159_469:
	s_andn2_b64 vcc, exec, s[10:11]
	s_cbranch_vccnz .LBB159_482
; %bb.470:
	s_cmp_gt_i32 s13, 14
	s_cbranch_scc0 .LBB159_473
; %bb.471:
	s_cmp_eq_u32 s13, 15
	s_cbranch_scc0 .LBB159_476
; %bb.472:
	global_load_ushort v3, v[1:2], off
	s_mov_b64 s[2:3], -1
	s_mov_b64 s[8:9], 0
	s_waitcnt vmcnt(0)
	v_lshlrev_b32_e32 v3, 16, v3
	v_cvt_i32_f32_e32 v3, v3
	s_branch .LBB159_477
.LBB159_473:
	s_mov_b64 s[10:11], -1
                                        ; implicit-def: $vgpr3
	s_branch .LBB159_478
.LBB159_474:
	s_andn2_saveexec_b64 s[2:3], s[2:3]
	s_cbranch_execz .LBB159_455
.LBB159_475:
	v_cmp_ne_u16_e32 vcc, 0, v4
	s_andn2_b64 s[10:11], s[10:11], exec
	s_and_b64 s[14:15], vcc, exec
	s_or_b64 s[10:11], s[10:11], s[14:15]
	s_or_b64 exec, exec, s[2:3]
	v_mov_b32_e32 v3, 0
	s_and_saveexec_b64 s[2:3], s[10:11]
	s_cbranch_execnz .LBB159_456
	s_branch .LBB159_457
.LBB159_476:
	s_mov_b64 s[8:9], -1
                                        ; implicit-def: $vgpr3
.LBB159_477:
	s_mov_b64 s[10:11], 0
.LBB159_478:
	s_and_b64 vcc, exec, s[10:11]
	s_cbranch_vccz .LBB159_482
; %bb.479:
	s_cmp_eq_u32 s13, 11
	s_cbranch_scc0 .LBB159_481
; %bb.480:
	global_load_ubyte v3, v[1:2], off
	s_mov_b64 s[2:3], -1
	s_mov_b64 s[8:9], 0
	s_waitcnt vmcnt(0)
	v_cmp_ne_u16_e32 vcc, 0, v3
	v_cndmask_b32_e64 v3, 0, 1, vcc
	s_branch .LBB159_482
.LBB159_481:
	s_mov_b64 s[8:9], -1
                                        ; implicit-def: $vgpr3
.LBB159_482:
	s_branch .LBB159_289
.LBB159_483:
	s_and_b32 s10, 0xffff, s12
	s_cmp_lt_i32 s10, 5
	s_cbranch_scc1 .LBB159_488
; %bb.484:
	s_cmp_lt_i32 s10, 8
	s_cbranch_scc1 .LBB159_489
; %bb.485:
	;; [unrolled: 3-line block ×3, first 2 shown]
	s_cmp_gt_i32 s10, 9
	s_cbranch_scc0 .LBB159_491
; %bb.487:
	global_load_dwordx2 v[3:4], v[1:2], off
	s_mov_b64 s[2:3], 0
	s_waitcnt vmcnt(0)
	v_cvt_i32_f64_e32 v3, v[3:4]
	s_branch .LBB159_492
.LBB159_488:
	s_mov_b64 s[2:3], -1
                                        ; implicit-def: $vgpr3
	s_branch .LBB159_510
.LBB159_489:
	s_mov_b64 s[2:3], -1
                                        ; implicit-def: $vgpr3
	s_branch .LBB159_498
.LBB159_490:
	s_mov_b64 s[2:3], -1
                                        ; implicit-def: $vgpr3
	s_branch .LBB159_495
.LBB159_491:
	s_mov_b64 s[2:3], -1
                                        ; implicit-def: $vgpr3
.LBB159_492:
	s_andn2_b64 vcc, exec, s[2:3]
	s_cbranch_vccnz .LBB159_494
; %bb.493:
	global_load_dword v3, v[1:2], off
	s_waitcnt vmcnt(0)
	v_cvt_i32_f32_e32 v3, v3
.LBB159_494:
	s_mov_b64 s[2:3], 0
.LBB159_495:
	s_andn2_b64 vcc, exec, s[2:3]
	s_cbranch_vccnz .LBB159_497
; %bb.496:
	global_load_dword v3, v[1:2], off
	s_waitcnt vmcnt(0)
	v_cvt_i16_f16_e32 v3, v3
.LBB159_497:
	s_mov_b64 s[2:3], 0
.LBB159_498:
	s_andn2_b64 vcc, exec, s[2:3]
	s_cbranch_vccnz .LBB159_509
; %bb.499:
	s_cmp_lt_i32 s10, 6
	s_cbranch_scc1 .LBB159_502
; %bb.500:
	s_cmp_gt_i32 s10, 6
	s_cbranch_scc0 .LBB159_503
; %bb.501:
	global_load_dwordx2 v[3:4], v[1:2], off
	s_mov_b64 s[2:3], 0
	s_waitcnt vmcnt(0)
	v_cvt_i32_f64_e32 v3, v[3:4]
	s_branch .LBB159_504
.LBB159_502:
	s_mov_b64 s[2:3], -1
                                        ; implicit-def: $vgpr3
	s_branch .LBB159_507
.LBB159_503:
	s_mov_b64 s[2:3], -1
                                        ; implicit-def: $vgpr3
.LBB159_504:
	s_andn2_b64 vcc, exec, s[2:3]
	s_cbranch_vccnz .LBB159_506
; %bb.505:
	global_load_dword v3, v[1:2], off
	s_waitcnt vmcnt(0)
	v_cvt_i32_f32_e32 v3, v3
.LBB159_506:
	s_mov_b64 s[2:3], 0
.LBB159_507:
	s_andn2_b64 vcc, exec, s[2:3]
	s_cbranch_vccnz .LBB159_509
; %bb.508:
	global_load_ushort v3, v[1:2], off
	s_waitcnt vmcnt(0)
	v_cvt_i16_f16_e32 v3, v3
.LBB159_509:
	s_mov_b64 s[2:3], 0
.LBB159_510:
	s_andn2_b64 vcc, exec, s[2:3]
	s_cbranch_vccnz .LBB159_530
; %bb.511:
	s_cmp_lt_i32 s10, 2
	s_cbranch_scc1 .LBB159_515
; %bb.512:
	s_cmp_lt_i32 s10, 3
	s_cbranch_scc1 .LBB159_516
; %bb.513:
	s_cmp_gt_i32 s10, 3
	s_cbranch_scc0 .LBB159_517
; %bb.514:
	global_load_dwordx2 v[3:4], v[1:2], off
	s_mov_b64 s[2:3], 0
	s_branch .LBB159_518
.LBB159_515:
	s_mov_b64 s[2:3], -1
                                        ; implicit-def: $vgpr3
	s_branch .LBB159_524
.LBB159_516:
	s_mov_b64 s[2:3], -1
                                        ; implicit-def: $vgpr3
	s_branch .LBB159_521
.LBB159_517:
	s_mov_b64 s[2:3], -1
                                        ; implicit-def: $vgpr3
.LBB159_518:
	s_andn2_b64 vcc, exec, s[2:3]
	s_cbranch_vccnz .LBB159_520
; %bb.519:
	global_load_dword v3, v[1:2], off
.LBB159_520:
	s_mov_b64 s[2:3], 0
.LBB159_521:
	s_andn2_b64 vcc, exec, s[2:3]
	s_cbranch_vccnz .LBB159_523
; %bb.522:
	global_load_ushort v3, v[1:2], off
.LBB159_523:
	s_mov_b64 s[2:3], 0
.LBB159_524:
	s_andn2_b64 vcc, exec, s[2:3]
	s_cbranch_vccnz .LBB159_530
; %bb.525:
	s_cmp_gt_i32 s10, 0
	s_cbranch_scc0 .LBB159_527
; %bb.526:
	global_load_ubyte v3, v[1:2], off
	s_mov_b64 s[2:3], 0
	s_branch .LBB159_528
.LBB159_527:
	s_mov_b64 s[2:3], -1
                                        ; implicit-def: $vgpr3
.LBB159_528:
	s_andn2_b64 vcc, exec, s[2:3]
	s_cbranch_vccnz .LBB159_530
; %bb.529:
	global_load_ubyte v3, v[1:2], off
.LBB159_530:
	s_branch .LBB159_290
.LBB159_531:
	s_mov_b64 s[10:11], 0
	s_mov_b64 s[2:3], s[56:57]
.LBB159_532:
                                        ; implicit-def: $vgpr8
.LBB159_533:
	s_andn2_b64 s[12:13], s[56:57], exec
	s_and_b64 s[2:3], s[2:3], exec
	s_or_b64 s[64:65], s[12:13], s[2:3]
	s_andn2_b64 s[2:3], s[58:59], exec
	s_and_b64 s[8:9], s[8:9], exec
	s_or_b64 s[62:63], s[2:3], s[8:9]
	s_orn2_b64 s[2:3], s[10:11], exec
.LBB159_534:
	s_or_b64 exec, exec, s[66:67]
	s_mov_b64 s[8:9], 0
	s_mov_b64 s[12:13], 0
	;; [unrolled: 1-line block ×3, first 2 shown]
                                        ; implicit-def: $sgpr18
                                        ; implicit-def: $vgpr1_vgpr2
                                        ; implicit-def: $vgpr0
                                        ; implicit-def: $vgpr3
	s_and_saveexec_b64 s[66:67], s[2:3]
	s_cbranch_execz .LBB159_901
; %bb.535:
	v_cmp_gt_i32_e32 vcc, s72, v8
	s_mov_b64 s[10:11], -1
	s_mov_b64 s[2:3], s[62:63]
	s_mov_b64 s[70:71], s[64:65]
	s_and_saveexec_b64 s[68:69], vcc
	s_cbranch_execz .LBB159_805
; %bb.536:
	s_andn2_b64 vcc, exec, s[44:45]
	s_cbranch_vccnz .LBB159_541
; %bb.537:
	s_andn2_b64 vcc, exec, s[54:55]
	s_cbranch_vccnz .LBB159_542
; %bb.538:
	s_add_i32 s79, s78, 1
	s_cmp_eq_u32 s74, 2
	s_cbranch_scc1 .LBB159_543
; %bb.539:
	s_and_b32 s73, s79, 28
	v_mov_b32_e32 v2, 0
	s_mov_b32 s80, 0
	s_mov_b64 s[2:3], s[34:35]
	s_mov_b64 s[70:71], s[52:53]
	v_mov_b32_e32 v0, 0
	v_mov_b32_e32 v1, v8
.LBB159_540:                            ; =>This Inner Loop Header: Depth=1
	s_load_dwordx8 s[16:23], s[2:3], 0x4
	s_load_dwordx4 s[40:43], s[2:3], 0x24
	s_load_dwordx8 s[8:15], s[70:71], 0x0
	s_add_u32 s2, s2, 48
	s_addc_u32 s3, s3, 0
	s_waitcnt vmcnt(0) lgkmcnt(0)
	v_mul_hi_u32 v3, s17, v1
	s_add_i32 s80, s80, 4
	s_add_u32 s70, s70, 32
	s_addc_u32 s71, s71, 0
	v_add_u32_e32 v3, v1, v3
	v_lshrrev_b32_e32 v3, s18, v3
	v_mul_lo_u32 v4, v3, s16
	v_mul_hi_u32 v5, s20, v3
	s_cmp_eq_u32 s73, s80
	v_sub_u32_e32 v1, v1, v4
	v_add_u32_e32 v4, v3, v5
	v_mul_lo_u32 v5, v1, s8
	v_mul_lo_u32 v6, v1, s9
	v_lshrrev_b32_e32 v1, s21, v4
	v_mul_lo_u32 v4, v1, s19
	v_mul_hi_u32 v7, s23, v1
	v_sub_u32_e32 v3, v3, v4
	v_add_u32_e32 v4, v1, v7
	v_lshrrev_b32_e32 v4, s40, v4
	v_mul_hi_u32 v9, s42, v4
	v_mul_lo_u32 v10, v4, s22
	v_mul_lo_u32 v7, v3, s10
	;; [unrolled: 1-line block ×3, first 2 shown]
	v_sub_u32_e32 v10, v1, v10
	v_add_u32_e32 v1, v4, v9
	v_lshrrev_b32_e32 v1, s43, v1
	v_mul_lo_u32 v9, v1, s41
	v_mul_lo_u32 v11, v10, s12
	v_mul_lo_u32 v10, v10, s13
	v_add3_u32 v0, v5, v0, v7
	v_sub_u32_e32 v4, v4, v9
	v_mul_lo_u32 v9, v4, s14
	v_mul_lo_u32 v4, v4, s15
	v_add3_u32 v2, v6, v2, v3
	v_add3_u32 v0, v11, v0, v9
	;; [unrolled: 1-line block ×3, first 2 shown]
	s_cbranch_scc0 .LBB159_540
	s_branch .LBB159_544
.LBB159_541:
	s_mov_b64 s[2:3], -1
                                        ; implicit-def: $vgpr0
                                        ; implicit-def: $vgpr2
	s_branch .LBB159_548
.LBB159_542:
	v_mov_b32_e32 v0, 0
	v_mov_b32_e32 v2, 0
	s_branch .LBB159_547
.LBB159_543:
	s_mov_b32 s73, 0
	v_mov_b32_e32 v0, 0
	v_mov_b32_e32 v2, 0
	;; [unrolled: 1-line block ×3, first 2 shown]
.LBB159_544:
	s_and_b32 s10, s79, 3
	s_cmp_eq_u32 s10, 0
	s_cbranch_scc1 .LBB159_547
; %bb.545:
	s_lshl_b32 s2, s73, 3
	s_add_u32 s2, s34, s2
	s_addc_u32 s3, s35, 0
	s_add_u32 s2, s2, 0xc4
	s_addc_u32 s3, s3, 0
	s_mul_i32 s8, s73, 12
	s_add_u32 s8, s34, s8
	s_addc_u32 s9, s35, 0
.LBB159_546:                            ; =>This Inner Loop Header: Depth=1
	s_load_dwordx2 s[12:13], s[8:9], 0x4
	s_load_dword s11, s[8:9], 0xc
	s_load_dwordx2 s[14:15], s[2:3], 0x0
	s_add_u32 s8, s8, 12
	s_addc_u32 s9, s9, 0
	s_waitcnt vmcnt(0) lgkmcnt(0)
	v_mul_hi_u32 v3, s13, v1
	s_add_u32 s2, s2, 8
	s_addc_u32 s3, s3, 0
	s_add_i32 s10, s10, -1
	v_add_u32_e32 v3, v1, v3
	v_lshrrev_b32_e32 v4, s11, v3
	v_mul_lo_u32 v3, v4, s12
	s_cmp_lg_u32 s10, 0
	v_sub_u32_e32 v3, v1, v3
	v_mad_u64_u32 v[0:1], s[12:13], v3, s14, v[0:1]
	v_mad_u64_u32 v[2:3], s[12:13], v3, s15, v[2:3]
	v_mov_b32_e32 v1, v4
	s_cbranch_scc1 .LBB159_546
.LBB159_547:
	s_mov_b64 s[2:3], 0
.LBB159_548:
	s_andn2_b64 vcc, exec, s[2:3]
	s_cbranch_vccnz .LBB159_551
; %bb.549:
	s_waitcnt lgkmcnt(0)
	v_mul_hi_u32 v0, s37, v8
	s_andn2_b64 vcc, exec, s[50:51]
	v_add_u32_e32 v0, v8, v0
	v_lshrrev_b32_e32 v1, s38, v0
	v_mul_lo_u32 v0, v1, s36
	v_sub_u32_e32 v2, v8, v0
	v_mul_lo_u32 v0, v2, s28
	v_mul_lo_u32 v2, v2, s29
	s_cbranch_vccnz .LBB159_551
; %bb.550:
	s_waitcnt vmcnt(0)
	v_mul_hi_u32 v3, s48, v1
	v_add_u32_e32 v3, v1, v3
	v_lshrrev_b32_e32 v3, s49, v3
	v_mul_lo_u32 v3, v3, s39
	v_sub_u32_e32 v3, v1, v3
	v_mad_u64_u32 v[0:1], s[2:3], v3, s30, v[0:1]
	v_mad_u64_u32 v[2:3], s[2:3], v3, s31, v[2:3]
.LBB159_551:
	s_waitcnt vmcnt(0) lgkmcnt(0)
	v_mov_b32_e32 v3, s27
	s_and_b32 s12, s77, 0xff
	v_add_co_u32_e32 v1, vcc, s26, v2
	s_cmp_lt_i32 s12, 11
	v_addc_co_u32_e32 v2, vcc, 0, v3, vcc
	s_cbranch_scc1 .LBB159_558
; %bb.552:
	s_and_b32 s13, 0xffff, s12
	s_cmp_gt_i32 s13, 25
	s_cbranch_scc0 .LBB159_559
; %bb.553:
	s_cmp_gt_i32 s13, 28
	s_cbranch_scc0 .LBB159_560
; %bb.554:
	;; [unrolled: 3-line block ×4, first 2 shown]
	s_cmp_eq_u32 s13, 46
	s_mov_b64 s[10:11], 0
	s_cbranch_scc0 .LBB159_567
; %bb.557:
	global_load_dword v3, v[1:2], off
	s_mov_b64 s[2:3], -1
	s_mov_b64 s[8:9], 0
	s_waitcnt vmcnt(0)
	v_lshlrev_b32_e32 v3, 16, v3
	v_cvt_i32_f32_e32 v3, v3
	s_branch .LBB159_568
.LBB159_558:
	s_mov_b64 s[10:11], -1
	s_mov_b64 s[2:3], 0
                                        ; implicit-def: $vgpr3
	s_mov_b64 s[8:9], s[62:63]
	s_branch .LBB159_629
.LBB159_559:
	s_mov_b64 s[10:11], -1
	s_mov_b64 s[2:3], 0
	s_mov_b64 s[8:9], s[62:63]
                                        ; implicit-def: $vgpr3
	s_branch .LBB159_595
.LBB159_560:
	s_mov_b64 s[10:11], -1
	s_mov_b64 s[2:3], 0
	s_mov_b64 s[8:9], s[62:63]
                                        ; implicit-def: $vgpr3
	s_branch .LBB159_578
.LBB159_561:
	s_mov_b64 s[10:11], -1
	s_mov_b64 s[2:3], 0
	s_mov_b64 s[8:9], s[62:63]
                                        ; implicit-def: $vgpr3
	s_branch .LBB159_573
.LBB159_562:
	s_andn2_saveexec_b64 s[14:15], s[14:15]
	s_cbranch_execz .LBB159_335
.LBB159_563:
	s_mov_b32 s18, 0x46000000
	v_add_f32_e64 v3, |v2|, s18
	v_and_b32_e32 v3, 0xff, v3
	v_cmp_ne_u32_e32 vcc, 0, v3
	s_andn2_b64 s[12:13], s[12:13], exec
	s_and_b64 s[18:19], vcc, exec
	s_or_b64 s[12:13], s[12:13], s[18:19]
	s_or_b64 exec, exec, s[14:15]
	v_mov_b32_e32 v5, 0
	s_and_saveexec_b64 s[14:15], s[12:13]
	s_cbranch_execnz .LBB159_336
	s_branch .LBB159_337
.LBB159_564:
	s_mov_b64 s[10:11], -1
	s_mov_b64 s[2:3], 0
	s_mov_b64 s[8:9], s[62:63]
                                        ; implicit-def: $vgpr3
	s_branch .LBB159_568
.LBB159_565:
	s_andn2_saveexec_b64 s[14:15], s[14:15]
	s_cbranch_execz .LBB159_348
.LBB159_566:
	s_mov_b32 s18, 0x42800000
	v_add_f32_e64 v3, |v2|, s18
	v_and_b32_e32 v3, 0xff, v3
	v_cmp_ne_u32_e32 vcc, 0, v3
	s_andn2_b64 s[12:13], s[12:13], exec
	s_and_b64 s[18:19], vcc, exec
	s_or_b64 s[12:13], s[12:13], s[18:19]
	s_or_b64 exec, exec, s[14:15]
	v_mov_b32_e32 v5, 0
	s_and_saveexec_b64 s[14:15], s[12:13]
	s_cbranch_execnz .LBB159_349
	s_branch .LBB159_350
.LBB159_567:
	s_mov_b64 s[8:9], -1
                                        ; implicit-def: $vgpr3
	s_mov_b64 s[2:3], 0
.LBB159_568:
	s_and_b64 vcc, exec, s[10:11]
	s_cbranch_vccz .LBB159_572
; %bb.569:
	s_cmp_eq_u32 s13, 44
	s_cbranch_scc0 .LBB159_571
; %bb.570:
	global_load_ubyte v3, v[1:2], off
	s_mov_b64 s[2:3], -1
	s_mov_b64 s[8:9], 0
	s_waitcnt vmcnt(0)
	v_lshlrev_b32_e32 v4, 23, v3
	v_cvt_i32_f32_e32 v4, v4
	v_cmp_ne_u32_e32 vcc, 0, v3
	v_cndmask_b32_e32 v3, 0, v4, vcc
	s_branch .LBB159_572
.LBB159_571:
	s_mov_b64 s[8:9], -1
                                        ; implicit-def: $vgpr3
.LBB159_572:
	s_mov_b64 s[10:11], 0
.LBB159_573:
	s_and_b64 vcc, exec, s[10:11]
	s_cbranch_vccz .LBB159_577
; %bb.574:
	s_cmp_eq_u32 s13, 29
	s_cbranch_scc0 .LBB159_576
; %bb.575:
	global_load_dwordx2 v[3:4], v[1:2], off
	s_mov_b64 s[2:3], -1
	s_mov_b64 s[8:9], 0
	s_branch .LBB159_577
.LBB159_576:
	s_mov_b64 s[8:9], -1
                                        ; implicit-def: $vgpr3
.LBB159_577:
	s_mov_b64 s[10:11], 0
.LBB159_578:
	s_and_b64 vcc, exec, s[10:11]
	s_cbranch_vccz .LBB159_594
; %bb.579:
	s_cmp_lt_i32 s13, 27
	s_cbranch_scc1 .LBB159_582
; %bb.580:
	s_cmp_gt_i32 s13, 27
	s_cbranch_scc0 .LBB159_583
; %bb.581:
	global_load_dword v3, v[1:2], off
	s_mov_b64 s[2:3], 0
	s_branch .LBB159_584
.LBB159_582:
	s_mov_b64 s[2:3], -1
                                        ; implicit-def: $vgpr3
	s_branch .LBB159_587
.LBB159_583:
	s_mov_b64 s[2:3], -1
                                        ; implicit-def: $vgpr3
.LBB159_584:
	s_andn2_b64 vcc, exec, s[2:3]
	s_cbranch_vccnz .LBB159_586
; %bb.585:
	global_load_ushort v3, v[1:2], off
.LBB159_586:
	s_mov_b64 s[2:3], 0
.LBB159_587:
	s_andn2_b64 vcc, exec, s[2:3]
	s_cbranch_vccnz .LBB159_593
; %bb.588:
	global_load_ubyte v4, v[1:2], off
	s_movk_i32 s2, 0x7f
	s_mov_b64 s[10:11], 0
	s_waitcnt vmcnt(0)
	v_cmp_lt_i16_e32 vcc, s2, v4
	s_and_saveexec_b64 s[2:3], vcc
	s_xor_b64 s[2:3], exec, s[2:3]
	s_cbranch_execz .LBB159_605
; %bb.589:
	s_movk_i32 s10, 0x80
	v_cmp_ne_u16_e32 vcc, s10, v4
	s_and_b64 s[10:11], vcc, exec
	s_andn2_saveexec_b64 s[2:3], s[2:3]
	s_cbranch_execnz .LBB159_606
.LBB159_590:
	s_or_b64 exec, exec, s[2:3]
	v_mov_b32_e32 v3, 0
	s_and_saveexec_b64 s[2:3], s[10:11]
	s_cbranch_execz .LBB159_592
.LBB159_591:
	v_lshlrev_b32_e32 v3, 24, v4
	v_and_b32_e32 v4, 0xffff, v4
	v_and_b32_e32 v5, 7, v4
	v_ffbh_u32_e32 v7, v5
	v_min_u32_e32 v7, 32, v7
	v_subrev_u32_e32 v9, 28, v7
	v_bfe_u32 v6, v4, 3, 4
	v_lshlrev_b32_e32 v4, v9, v4
	v_sub_u32_e32 v7, 29, v7
	v_and_b32_e32 v4, 7, v4
	v_cmp_eq_u32_e32 vcc, 0, v6
	v_cndmask_b32_e32 v6, v6, v7, vcc
	v_cndmask_b32_e32 v4, v5, v4, vcc
	v_mov_b32_e32 v5, 0x3b800000
	v_lshlrev_b32_e32 v4, 20, v4
	v_and_b32_e32 v3, 0x80000000, v3
	v_lshl_add_u32 v5, v6, 23, v5
	v_or3_b32 v3, v3, v5, v4
	v_cvt_i32_f32_e32 v3, v3
.LBB159_592:
	s_or_b64 exec, exec, s[2:3]
.LBB159_593:
	s_mov_b64 s[2:3], -1
.LBB159_594:
	s_mov_b64 s[10:11], 0
.LBB159_595:
	s_and_b64 vcc, exec, s[10:11]
	s_cbranch_vccz .LBB159_628
; %bb.596:
	s_cmp_gt_i32 s13, 22
	s_cbranch_scc0 .LBB159_604
; %bb.597:
	s_cmp_lt_i32 s13, 24
	s_cbranch_scc1 .LBB159_607
; %bb.598:
	s_cmp_gt_i32 s13, 24
	s_cbranch_scc0 .LBB159_608
; %bb.599:
	global_load_ubyte v4, v[1:2], off
	s_movk_i32 s2, 0x7f
	s_mov_b64 s[10:11], 0
	s_waitcnt vmcnt(0)
	v_cmp_lt_i16_e32 vcc, s2, v4
	s_and_saveexec_b64 s[2:3], vcc
	s_xor_b64 s[2:3], exec, s[2:3]
	s_cbranch_execz .LBB159_620
; %bb.600:
	s_movk_i32 s10, 0x80
	v_cmp_ne_u16_e32 vcc, s10, v4
	s_and_b64 s[10:11], vcc, exec
	s_andn2_saveexec_b64 s[2:3], s[2:3]
	s_cbranch_execnz .LBB159_621
.LBB159_601:
	s_or_b64 exec, exec, s[2:3]
	v_mov_b32_e32 v3, 0
	s_and_saveexec_b64 s[2:3], s[10:11]
	s_cbranch_execz .LBB159_603
.LBB159_602:
	v_lshlrev_b32_e32 v3, 24, v4
	v_and_b32_e32 v4, 0xffff, v4
	v_and_b32_e32 v5, 3, v4
	v_ffbh_u32_e32 v7, v5
	v_min_u32_e32 v7, 32, v7
	v_subrev_u32_e32 v9, 29, v7
	v_bfe_u32 v6, v4, 2, 5
	v_lshlrev_b32_e32 v4, v9, v4
	v_sub_u32_e32 v7, 30, v7
	v_and_b32_e32 v4, 3, v4
	v_cmp_eq_u32_e32 vcc, 0, v6
	v_cndmask_b32_e32 v6, v6, v7, vcc
	v_cndmask_b32_e32 v4, v5, v4, vcc
	v_mov_b32_e32 v5, 0x37800000
	v_lshlrev_b32_e32 v4, 21, v4
	v_and_b32_e32 v3, 0x80000000, v3
	v_lshl_add_u32 v5, v6, 23, v5
	v_or3_b32 v3, v3, v5, v4
	v_cvt_i32_f32_e32 v3, v3
.LBB159_603:
	s_or_b64 exec, exec, s[2:3]
	s_mov_b64 s[2:3], 0
	s_branch .LBB159_609
.LBB159_604:
	s_mov_b64 s[10:11], -1
                                        ; implicit-def: $vgpr3
	s_branch .LBB159_615
.LBB159_605:
	s_andn2_saveexec_b64 s[2:3], s[2:3]
	s_cbranch_execz .LBB159_590
.LBB159_606:
	v_cmp_ne_u16_e32 vcc, 0, v4
	s_andn2_b64 s[10:11], s[10:11], exec
	s_and_b64 s[14:15], vcc, exec
	s_or_b64 s[10:11], s[10:11], s[14:15]
	s_or_b64 exec, exec, s[2:3]
	v_mov_b32_e32 v3, 0
	s_and_saveexec_b64 s[2:3], s[10:11]
	s_cbranch_execnz .LBB159_591
	s_branch .LBB159_592
.LBB159_607:
	s_mov_b64 s[2:3], -1
                                        ; implicit-def: $vgpr3
	s_branch .LBB159_612
.LBB159_608:
	s_mov_b64 s[2:3], -1
                                        ; implicit-def: $vgpr3
.LBB159_609:
	s_and_b64 vcc, exec, s[2:3]
	s_cbranch_vccz .LBB159_611
; %bb.610:
	global_load_ubyte v3, v[1:2], off
	s_mov_b32 s2, 0x7f800000
	s_waitcnt vmcnt(0)
	v_lshlrev_b32_e32 v3, 24, v3
	v_and_b32_e32 v4, 0x7f000000, v3
	v_ffbh_u32_e32 v5, v4
	v_min_u32_e32 v5, 32, v5
	v_sub_u32_e64 v5, v5, 4 clamp
	v_lshlrev_b32_e32 v7, v5, v4
	v_lshlrev_b32_e32 v5, 23, v5
	v_lshrrev_b32_e32 v7, 4, v7
	v_add_u32_e32 v6, 0x1000000, v4
	v_sub_u32_e32 v5, v7, v5
	v_ashrrev_i32_e32 v6, 8, v6
	v_add_u32_e32 v5, 0x3c000000, v5
	v_and_or_b32 v5, v6, s2, v5
	v_cmp_ne_u32_e32 vcc, 0, v4
	v_cndmask_b32_e32 v4, 0, v5, vcc
	s_brev_b32 s2, 1
	v_and_or_b32 v3, v3, s2, v4
	v_cvt_i32_f32_e32 v3, v3
.LBB159_611:
	s_mov_b64 s[2:3], 0
.LBB159_612:
	s_andn2_b64 vcc, exec, s[2:3]
	s_cbranch_vccnz .LBB159_614
; %bb.613:
	global_load_ubyte v3, v[1:2], off
	s_movk_i32 s2, 0x7f00
	s_brev_b32 s3, 16
	s_waitcnt vmcnt(0)
	v_lshlrev_b16_e32 v4, 8, v3
	v_lshlrev_b32_e32 v3, 25, v3
	v_lshrrev_b32_e32 v5, 4, v3
	v_and_or_b32 v6, v4, s2, 0.5
	v_or_b32_e32 v5, 0x70000000, v5
	v_add_f32_e32 v6, -0.5, v6
	v_mul_f32_e32 v5, 0x7800000, v5
	v_cmp_gt_u32_e32 vcc, s3, v3
	v_bfe_i32 v4, v4, 0, 16
	v_cndmask_b32_e32 v3, v5, v6, vcc
	s_brev_b32 s2, 1
	v_and_or_b32 v3, v4, s2, v3
	v_cvt_i32_f32_e32 v3, v3
.LBB159_614:
	s_mov_b64 s[10:11], 0
	s_mov_b64 s[2:3], -1
.LBB159_615:
	s_andn2_b64 vcc, exec, s[10:11]
	s_cbranch_vccnz .LBB159_628
; %bb.616:
	s_cmp_gt_i32 s13, 14
	s_cbranch_scc0 .LBB159_619
; %bb.617:
	s_cmp_eq_u32 s13, 15
	s_cbranch_scc0 .LBB159_622
; %bb.618:
	global_load_ushort v3, v[1:2], off
	s_mov_b64 s[2:3], -1
	s_mov_b64 s[8:9], 0
	s_waitcnt vmcnt(0)
	v_lshlrev_b32_e32 v3, 16, v3
	v_cvt_i32_f32_e32 v3, v3
	s_branch .LBB159_623
.LBB159_619:
	s_mov_b64 s[10:11], -1
                                        ; implicit-def: $vgpr3
	s_branch .LBB159_624
.LBB159_620:
	s_andn2_saveexec_b64 s[2:3], s[2:3]
	s_cbranch_execz .LBB159_601
.LBB159_621:
	v_cmp_ne_u16_e32 vcc, 0, v4
	s_andn2_b64 s[10:11], s[10:11], exec
	s_and_b64 s[14:15], vcc, exec
	s_or_b64 s[10:11], s[10:11], s[14:15]
	s_or_b64 exec, exec, s[2:3]
	v_mov_b32_e32 v3, 0
	s_and_saveexec_b64 s[2:3], s[10:11]
	s_cbranch_execnz .LBB159_602
	s_branch .LBB159_603
.LBB159_622:
	s_mov_b64 s[8:9], -1
                                        ; implicit-def: $vgpr3
.LBB159_623:
	s_mov_b64 s[10:11], 0
.LBB159_624:
	s_and_b64 vcc, exec, s[10:11]
	s_cbranch_vccz .LBB159_628
; %bb.625:
	s_cmp_eq_u32 s13, 11
	s_cbranch_scc0 .LBB159_627
; %bb.626:
	global_load_ubyte v3, v[1:2], off
	s_mov_b64 s[2:3], -1
	s_mov_b64 s[8:9], 0
	s_waitcnt vmcnt(0)
	v_cmp_ne_u16_e32 vcc, 0, v3
	v_cndmask_b32_e64 v3, 0, 1, vcc
	s_branch .LBB159_628
.LBB159_627:
	s_mov_b64 s[8:9], -1
                                        ; implicit-def: $vgpr3
.LBB159_628:
	s_mov_b64 s[10:11], 0
.LBB159_629:
	s_and_b64 vcc, exec, s[10:11]
	s_cbranch_vccz .LBB159_678
; %bb.630:
	s_and_b32 s10, 0xffff, s12
	s_cmp_lt_i32 s10, 5
	s_cbranch_scc1 .LBB159_635
; %bb.631:
	s_cmp_lt_i32 s10, 8
	s_cbranch_scc1 .LBB159_636
; %bb.632:
	;; [unrolled: 3-line block ×3, first 2 shown]
	s_cmp_gt_i32 s10, 9
	s_cbranch_scc0 .LBB159_638
; %bb.634:
	global_load_dwordx2 v[3:4], v[1:2], off
	s_mov_b64 s[2:3], 0
	s_waitcnt vmcnt(0)
	v_cvt_i32_f64_e32 v3, v[3:4]
	s_branch .LBB159_639
.LBB159_635:
	s_mov_b64 s[2:3], -1
                                        ; implicit-def: $vgpr3
	s_branch .LBB159_657
.LBB159_636:
	s_mov_b64 s[2:3], -1
                                        ; implicit-def: $vgpr3
	s_branch .LBB159_645
.LBB159_637:
	s_mov_b64 s[2:3], -1
                                        ; implicit-def: $vgpr3
	s_branch .LBB159_642
.LBB159_638:
	s_mov_b64 s[2:3], -1
                                        ; implicit-def: $vgpr3
.LBB159_639:
	s_andn2_b64 vcc, exec, s[2:3]
	s_cbranch_vccnz .LBB159_641
; %bb.640:
	global_load_dword v3, v[1:2], off
	s_waitcnt vmcnt(0)
	v_cvt_i32_f32_e32 v3, v3
.LBB159_641:
	s_mov_b64 s[2:3], 0
.LBB159_642:
	s_andn2_b64 vcc, exec, s[2:3]
	s_cbranch_vccnz .LBB159_644
; %bb.643:
	global_load_dword v3, v[1:2], off
	s_waitcnt vmcnt(0)
	v_cvt_i16_f16_e32 v3, v3
.LBB159_644:
	s_mov_b64 s[2:3], 0
.LBB159_645:
	s_andn2_b64 vcc, exec, s[2:3]
	s_cbranch_vccnz .LBB159_656
; %bb.646:
	s_cmp_lt_i32 s10, 6
	s_cbranch_scc1 .LBB159_649
; %bb.647:
	s_cmp_gt_i32 s10, 6
	s_cbranch_scc0 .LBB159_650
; %bb.648:
	global_load_dwordx2 v[3:4], v[1:2], off
	s_mov_b64 s[2:3], 0
	s_waitcnt vmcnt(0)
	v_cvt_i32_f64_e32 v3, v[3:4]
	s_branch .LBB159_651
.LBB159_649:
	s_mov_b64 s[2:3], -1
                                        ; implicit-def: $vgpr3
	s_branch .LBB159_654
.LBB159_650:
	s_mov_b64 s[2:3], -1
                                        ; implicit-def: $vgpr3
.LBB159_651:
	s_andn2_b64 vcc, exec, s[2:3]
	s_cbranch_vccnz .LBB159_653
; %bb.652:
	global_load_dword v3, v[1:2], off
	s_waitcnt vmcnt(0)
	v_cvt_i32_f32_e32 v3, v3
.LBB159_653:
	s_mov_b64 s[2:3], 0
.LBB159_654:
	s_andn2_b64 vcc, exec, s[2:3]
	s_cbranch_vccnz .LBB159_656
; %bb.655:
	global_load_ushort v3, v[1:2], off
	s_waitcnt vmcnt(0)
	v_cvt_i16_f16_e32 v3, v3
.LBB159_656:
	s_mov_b64 s[2:3], 0
.LBB159_657:
	s_andn2_b64 vcc, exec, s[2:3]
	s_cbranch_vccnz .LBB159_677
; %bb.658:
	s_cmp_lt_i32 s10, 2
	s_cbranch_scc1 .LBB159_662
; %bb.659:
	s_cmp_lt_i32 s10, 3
	s_cbranch_scc1 .LBB159_663
; %bb.660:
	s_cmp_gt_i32 s10, 3
	s_cbranch_scc0 .LBB159_664
; %bb.661:
	global_load_dwordx2 v[3:4], v[1:2], off
	s_mov_b64 s[2:3], 0
	s_branch .LBB159_665
.LBB159_662:
	s_mov_b64 s[2:3], -1
                                        ; implicit-def: $vgpr3
	s_branch .LBB159_671
.LBB159_663:
	s_mov_b64 s[2:3], -1
                                        ; implicit-def: $vgpr3
	s_branch .LBB159_668
.LBB159_664:
	s_mov_b64 s[2:3], -1
                                        ; implicit-def: $vgpr3
.LBB159_665:
	s_andn2_b64 vcc, exec, s[2:3]
	s_cbranch_vccnz .LBB159_667
; %bb.666:
	global_load_dword v3, v[1:2], off
.LBB159_667:
	s_mov_b64 s[2:3], 0
.LBB159_668:
	s_andn2_b64 vcc, exec, s[2:3]
	s_cbranch_vccnz .LBB159_670
; %bb.669:
	global_load_ushort v3, v[1:2], off
.LBB159_670:
	s_mov_b64 s[2:3], 0
.LBB159_671:
	s_andn2_b64 vcc, exec, s[2:3]
	s_cbranch_vccnz .LBB159_677
; %bb.672:
	s_cmp_gt_i32 s10, 0
	s_cbranch_scc0 .LBB159_674
; %bb.673:
	global_load_ubyte v3, v[1:2], off
	s_mov_b64 s[2:3], 0
	s_branch .LBB159_675
.LBB159_674:
	s_mov_b64 s[2:3], -1
                                        ; implicit-def: $vgpr3
.LBB159_675:
	s_andn2_b64 vcc, exec, s[2:3]
	s_cbranch_vccnz .LBB159_677
; %bb.676:
	global_load_ubyte v3, v[1:2], off
.LBB159_677:
	s_mov_b64 s[2:3], -1
.LBB159_678:
	s_andn2_b64 vcc, exec, s[2:3]
	s_cbranch_vccnz .LBB159_686
; %bb.679:
	v_mov_b32_e32 v1, 7
	s_waitcnt vmcnt(0)
	v_ashrrev_i16_sdwa v1, v1, sext(v3) dst_sel:DWORD dst_unused:UNUSED_PAD src0_sel:DWORD src1_sel:BYTE_0
	v_ashrrev_i32_sdwa v2, s76, sext(v3) dst_sel:DWORD dst_unused:UNUSED_PAD src0_sel:DWORD src1_sel:BYTE_0
	v_cndmask_b32_e64 v4, v2, v1, s[0:1]
	v_mov_b32_e32 v1, s25
	s_and_b32 s16, s75, 0xff
	v_add_co_u32_e32 v0, vcc, s24, v0
	s_cmp_lt_i32 s16, 11
	v_addc_co_u32_e32 v1, vcc, 0, v1, vcc
	s_cbranch_scc1 .LBB159_687
; %bb.680:
	s_and_b32 s17, 0xffff, s16
	s_cmp_gt_i32 s17, 25
	s_cbranch_scc0 .LBB159_688
; %bb.681:
	s_cmp_gt_i32 s17, 28
	s_cbranch_scc0 .LBB159_689
; %bb.682:
	;; [unrolled: 3-line block ×4, first 2 shown]
	s_mov_b64 s[12:13], 0
	s_mov_b64 s[2:3], -1
	s_cmp_eq_u32 s17, 46
	s_mov_b64 s[10:11], 0
	s_cbranch_scc0 .LBB159_692
; %bb.685:
	v_cvt_f32_i32_sdwa v2, sext(v4) dst_sel:DWORD dst_unused:UNUSED_PAD src0_sel:WORD_0
	s_movk_i32 s2, 0x7fff
	s_mov_b64 s[10:11], -1
	v_bfe_u32 v3, v2, 16, 1
	v_add3_u32 v2, v2, v3, s2
	v_lshrrev_b32_e32 v2, 16, v2
	global_store_dword v[0:1], v2, off
	s_mov_b64 s[2:3], 0
	s_branch .LBB159_692
.LBB159_686:
	s_mov_b64 s[10:11], 0
	s_mov_b64 s[2:3], s[64:65]
	s_branch .LBB159_803
.LBB159_687:
	s_mov_b64 s[12:13], -1
	s_mov_b64 s[10:11], 0
	s_mov_b64 s[2:3], s[64:65]
	s_branch .LBB159_761
.LBB159_688:
	s_mov_b64 s[12:13], -1
	s_mov_b64 s[10:11], 0
	s_mov_b64 s[2:3], s[64:65]
	s_branch .LBB159_719
.LBB159_689:
	s_mov_b64 s[12:13], -1
	s_mov_b64 s[10:11], 0
	s_mov_b64 s[2:3], s[64:65]
	s_branch .LBB159_702
.LBB159_690:
	s_mov_b64 s[12:13], -1
	s_mov_b64 s[10:11], 0
	s_mov_b64 s[2:3], s[64:65]
	s_branch .LBB159_698
.LBB159_691:
	s_mov_b64 s[12:13], -1
	s_mov_b64 s[10:11], 0
	s_mov_b64 s[2:3], s[64:65]
.LBB159_692:
	s_and_b64 vcc, exec, s[12:13]
	s_cbranch_vccz .LBB159_697
; %bb.693:
	s_cmp_eq_u32 s17, 44
	s_mov_b64 s[2:3], -1
	s_cbranch_scc0 .LBB159_697
; %bb.694:
	v_cvt_f32_i32_sdwa v2, sext(v4) dst_sel:DWORD dst_unused:UNUSED_PAD src0_sel:WORD_0
	s_movk_i32 s2, 0xff
	v_mov_b32_e32 v5, 0xff
	v_bfe_u32 v3, v2, 23, 8
	v_cmp_ne_u32_e32 vcc, s2, v3
	s_and_saveexec_b64 s[10:11], vcc
; %bb.695:
	s_mov_b32 s2, 0x3fffff
	v_lshrrev_b32_e32 v5, 23, v2
	v_and_b32_e32 v6, 0x400000, v2
	v_and_or_b32 v2, v2, s2, v3
	v_cmp_ne_u32_e32 vcc, 0, v6
	v_cmp_ne_u32_e64 s[2:3], 0, v2
	s_and_b64 s[2:3], vcc, s[2:3]
	v_cndmask_b32_e64 v2, 0, 1, s[2:3]
	v_add_u32_e32 v5, v5, v2
; %bb.696:
	s_or_b64 exec, exec, s[10:11]
	s_mov_b64 s[10:11], -1
	s_mov_b64 s[2:3], 0
	global_store_byte v[0:1], v5, off
.LBB159_697:
	s_mov_b64 s[12:13], 0
.LBB159_698:
	s_and_b64 vcc, exec, s[12:13]
	s_cbranch_vccz .LBB159_701
; %bb.699:
	s_cmp_eq_u32 s17, 29
	s_mov_b64 s[2:3], -1
	s_cbranch_scc0 .LBB159_701
; %bb.700:
	v_bfe_i32 v2, v4, 0, 16
	v_ashrrev_i32_e32 v3, 31, v2
	global_store_dwordx2 v[0:1], v[2:3], off
	s_mov_b64 s[10:11], -1
	s_mov_b64 s[2:3], 0
.LBB159_701:
	s_mov_b64 s[12:13], 0
.LBB159_702:
	s_and_b64 vcc, exec, s[12:13]
	s_cbranch_vccz .LBB159_718
; %bb.703:
	s_cmp_lt_i32 s17, 27
	s_mov_b64 s[10:11], -1
	s_cbranch_scc1 .LBB159_709
; %bb.704:
	s_cmp_gt_i32 s17, 27
	s_cbranch_scc0 .LBB159_706
; %bb.705:
	v_bfe_i32 v2, v4, 0, 16
	s_mov_b64 s[10:11], 0
	global_store_dword v[0:1], v2, off
.LBB159_706:
	s_andn2_b64 vcc, exec, s[10:11]
	s_cbranch_vccnz .LBB159_708
; %bb.707:
	global_store_short v[0:1], v4, off
.LBB159_708:
	s_mov_b64 s[10:11], 0
.LBB159_709:
	s_andn2_b64 vcc, exec, s[10:11]
	s_cbranch_vccnz .LBB159_717
; %bb.710:
	v_cvt_f32_i32_sdwa v2, sext(v4) dst_sel:DWORD dst_unused:UNUSED_PAD src0_sel:WORD_0
	s_mov_b32 s10, 0x43800000
	v_mov_b32_e32 v5, 0x80
	v_and_b32_e32 v3, 0x7fffffff, v2
	v_cmp_gt_u32_e32 vcc, s10, v3
	s_and_saveexec_b64 s[10:11], vcc
	s_cbranch_execz .LBB159_716
; %bb.711:
	s_mov_b32 s12, 0x3bffffff
	v_cmp_lt_u32_e32 vcc, s12, v3
	s_mov_b64 s[12:13], 0
                                        ; implicit-def: $vgpr3
	s_and_saveexec_b64 s[14:15], vcc
	s_xor_b64 s[14:15], exec, s[14:15]
	s_cbranch_execz .LBB159_833
; %bb.712:
	v_bfe_u32 v3, v2, 20, 1
	s_mov_b32 s18, 0x487ffff
	v_add3_u32 v3, v2, v3, s18
	s_mov_b64 s[12:13], exec
	v_lshrrev_b32_e32 v3, 20, v3
	s_andn2_saveexec_b64 s[14:15], s[14:15]
	s_cbranch_execnz .LBB159_834
.LBB159_713:
	s_or_b64 exec, exec, s[14:15]
	v_mov_b32_e32 v5, 0
	s_and_saveexec_b64 s[14:15], s[12:13]
.LBB159_714:
	v_lshrrev_b32_e32 v2, 24, v2
	s_movk_i32 s12, 0x80
	v_and_or_b32 v5, v2, s12, v3
.LBB159_715:
	s_or_b64 exec, exec, s[14:15]
.LBB159_716:
	s_or_b64 exec, exec, s[10:11]
	global_store_byte v[0:1], v5, off
.LBB159_717:
	s_mov_b64 s[10:11], -1
.LBB159_718:
	s_mov_b64 s[12:13], 0
.LBB159_719:
	s_and_b64 vcc, exec, s[12:13]
	s_cbranch_vccz .LBB159_760
; %bb.720:
	s_cmp_gt_i32 s17, 22
	s_mov_b64 s[12:13], -1
	s_cbranch_scc0 .LBB159_752
; %bb.721:
	s_cmp_lt_i32 s17, 24
	s_mov_b64 s[10:11], -1
	s_cbranch_scc1 .LBB159_741
; %bb.722:
	s_cmp_gt_i32 s17, 24
	s_cbranch_scc0 .LBB159_730
; %bb.723:
	v_cvt_f32_i32_sdwa v2, sext(v4) dst_sel:DWORD dst_unused:UNUSED_PAD src0_sel:WORD_0
	s_mov_b32 s10, 0x47800000
	v_mov_b32_e32 v5, 0x80
	v_and_b32_e32 v3, 0x7fffffff, v2
	v_cmp_gt_u32_e32 vcc, s10, v3
	s_and_saveexec_b64 s[10:11], vcc
	s_cbranch_execz .LBB159_729
; %bb.724:
	s_mov_b32 s12, 0x37ffffff
	v_cmp_lt_u32_e32 vcc, s12, v3
	s_mov_b64 s[12:13], 0
                                        ; implicit-def: $vgpr3
	s_and_saveexec_b64 s[14:15], vcc
	s_xor_b64 s[14:15], exec, s[14:15]
	s_cbranch_execz .LBB159_836
; %bb.725:
	v_bfe_u32 v3, v2, 21, 1
	s_mov_b32 s18, 0x88fffff
	v_add3_u32 v3, v2, v3, s18
	s_mov_b64 s[12:13], exec
	v_lshrrev_b32_e32 v3, 21, v3
	s_andn2_saveexec_b64 s[14:15], s[14:15]
	s_cbranch_execnz .LBB159_837
.LBB159_726:
	s_or_b64 exec, exec, s[14:15]
	v_mov_b32_e32 v5, 0
	s_and_saveexec_b64 s[14:15], s[12:13]
.LBB159_727:
	v_lshrrev_b32_e32 v2, 24, v2
	s_movk_i32 s12, 0x80
	v_and_or_b32 v5, v2, s12, v3
.LBB159_728:
	s_or_b64 exec, exec, s[14:15]
.LBB159_729:
	s_or_b64 exec, exec, s[10:11]
	s_mov_b64 s[10:11], 0
	global_store_byte v[0:1], v5, off
.LBB159_730:
	s_and_b64 vcc, exec, s[10:11]
	s_cbranch_vccz .LBB159_740
; %bb.731:
	v_cvt_f32_i32_sdwa v2, sext(v4) dst_sel:DWORD dst_unused:UNUSED_PAD src0_sel:WORD_0
	s_mov_b32 s10, 0x43f00000
                                        ; implicit-def: $vgpr3
	v_and_b32_e32 v5, 0x7fffffff, v2
	v_cmp_gt_u32_e32 vcc, s10, v5
	s_and_saveexec_b64 s[10:11], vcc
	s_xor_b64 s[10:11], exec, s[10:11]
	s_cbranch_execz .LBB159_737
; %bb.732:
	s_mov_b32 s12, 0x3c7fffff
	v_cmp_lt_u32_e32 vcc, s12, v5
                                        ; implicit-def: $vgpr3
	s_and_saveexec_b64 s[12:13], vcc
	s_xor_b64 s[12:13], exec, s[12:13]
; %bb.733:
	v_bfe_u32 v3, v2, 20, 1
	s_mov_b32 s14, 0x407ffff
	v_add3_u32 v3, v2, v3, s14
	v_lshrrev_b32_e32 v5, 20, v3
	v_and_b32_e32 v3, 0xff00000, v3
	s_mov_b32 s14, 0x7f00000
	v_mov_b32_e32 v6, 0x7e
	v_cmp_ne_u32_e32 vcc, s14, v3
	v_cndmask_b32_e32 v3, v6, v5, vcc
; %bb.734:
	s_andn2_saveexec_b64 s[12:13], s[12:13]
; %bb.735:
	s_mov_b32 s14, 0x46800000
	v_add_f32_e64 v3, |v2|, s14
; %bb.736:
	s_or_b64 exec, exec, s[12:13]
                                        ; implicit-def: $vgpr5
.LBB159_737:
	s_andn2_saveexec_b64 s[10:11], s[10:11]
; %bb.738:
	s_mov_b32 s12, 0x7f800000
	v_mov_b32_e32 v3, 0x7e
	v_mov_b32_e32 v6, 0x7f
	v_cmp_lt_u32_e32 vcc, s12, v5
	v_cndmask_b32_e32 v3, v3, v6, vcc
; %bb.739:
	s_or_b64 exec, exec, s[10:11]
	v_lshrrev_b32_e32 v2, 24, v2
	s_movk_i32 s10, 0x80
	v_and_or_b32 v2, v2, s10, v3
	global_store_byte v[0:1], v2, off
.LBB159_740:
	s_mov_b64 s[10:11], 0
.LBB159_741:
	s_andn2_b64 vcc, exec, s[10:11]
	s_cbranch_vccnz .LBB159_751
; %bb.742:
	v_cvt_f32_i32_sdwa v2, sext(v4) dst_sel:DWORD dst_unused:UNUSED_PAD src0_sel:WORD_0
	s_mov_b32 s10, 0x47800000
                                        ; implicit-def: $vgpr3
	v_and_b32_e32 v5, 0x7fffffff, v2
	v_cmp_gt_u32_e32 vcc, s10, v5
	s_and_saveexec_b64 s[10:11], vcc
	s_xor_b64 s[10:11], exec, s[10:11]
	s_cbranch_execz .LBB159_748
; %bb.743:
	s_mov_b32 s12, 0x387fffff
	v_cmp_lt_u32_e32 vcc, s12, v5
                                        ; implicit-def: $vgpr3
	s_and_saveexec_b64 s[12:13], vcc
	s_xor_b64 s[12:13], exec, s[12:13]
; %bb.744:
	v_bfe_u32 v3, v2, 21, 1
	s_mov_b32 s14, 0x80fffff
	v_add3_u32 v3, v2, v3, s14
	v_lshrrev_b32_e32 v3, 21, v3
; %bb.745:
	s_andn2_saveexec_b64 s[12:13], s[12:13]
; %bb.746:
	s_mov_b32 s14, 0x43000000
	v_add_f32_e64 v3, |v2|, s14
; %bb.747:
	s_or_b64 exec, exec, s[12:13]
                                        ; implicit-def: $vgpr5
.LBB159_748:
	s_andn2_saveexec_b64 s[10:11], s[10:11]
; %bb.749:
	s_mov_b32 s12, 0x7f800000
	v_mov_b32_e32 v3, 0x7c
	v_mov_b32_e32 v6, 0x7f
	v_cmp_lt_u32_e32 vcc, s12, v5
	v_cndmask_b32_e32 v3, v3, v6, vcc
; %bb.750:
	s_or_b64 exec, exec, s[10:11]
	v_lshrrev_b32_e32 v2, 24, v2
	s_movk_i32 s10, 0x80
	v_and_or_b32 v2, v2, s10, v3
	global_store_byte v[0:1], v2, off
.LBB159_751:
	s_mov_b64 s[12:13], 0
	s_mov_b64 s[10:11], -1
.LBB159_752:
	s_andn2_b64 vcc, exec, s[12:13]
	s_cbranch_vccnz .LBB159_760
; %bb.753:
	s_cmp_gt_i32 s17, 14
	s_mov_b64 s[12:13], -1
	s_cbranch_scc0 .LBB159_757
; %bb.754:
	s_cmp_eq_u32 s17, 15
	s_mov_b64 s[2:3], -1
	s_cbranch_scc0 .LBB159_756
; %bb.755:
	v_cvt_f32_i32_sdwa v2, sext(v4) dst_sel:DWORD dst_unused:UNUSED_PAD src0_sel:WORD_0
	s_movk_i32 s2, 0x7fff
	s_mov_b64 s[10:11], -1
	v_bfe_u32 v3, v2, 16, 1
	v_add3_u32 v2, v2, v3, s2
	global_store_short_d16_hi v[0:1], v2, off
	s_mov_b64 s[2:3], 0
.LBB159_756:
	s_mov_b64 s[12:13], 0
.LBB159_757:
	s_and_b64 vcc, exec, s[12:13]
	s_cbranch_vccz .LBB159_760
; %bb.758:
	s_cmp_eq_u32 s17, 11
	s_mov_b64 s[2:3], -1
	s_cbranch_scc0 .LBB159_760
; %bb.759:
	v_cmp_ne_u16_e32 vcc, 0, v4
	v_cndmask_b32_e64 v2, 0, 1, vcc
	s_mov_b64 s[10:11], -1
	s_mov_b64 s[2:3], 0
	global_store_byte v[0:1], v2, off
.LBB159_760:
	s_mov_b64 s[12:13], 0
.LBB159_761:
	s_and_b64 vcc, exec, s[12:13]
	s_cbranch_vccz .LBB159_800
; %bb.762:
	s_and_b32 s12, 0xffff, s16
	s_cmp_lt_i32 s12, 5
	s_mov_b64 s[10:11], -1
	s_cbranch_scc1 .LBB159_783
; %bb.763:
	s_cmp_lt_i32 s12, 8
	s_cbranch_scc1 .LBB159_773
; %bb.764:
	s_cmp_lt_i32 s12, 9
	s_cbranch_scc1 .LBB159_770
; %bb.765:
	s_cmp_gt_i32 s12, 9
	s_cbranch_scc0 .LBB159_767
; %bb.766:
	v_bfe_i32 v2, v4, 0, 16
	v_cvt_f64_i32_e32 v[9:10], v2
	v_mov_b32_e32 v11, 0
	v_mov_b32_e32 v12, v11
	s_mov_b64 s[10:11], 0
	global_store_dwordx4 v[0:1], v[9:12], off
.LBB159_767:
	s_andn2_b64 vcc, exec, s[10:11]
	s_cbranch_vccnz .LBB159_769
; %bb.768:
	v_cvt_f32_i32_sdwa v2, sext(v4) dst_sel:DWORD dst_unused:UNUSED_PAD src0_sel:WORD_0
	v_mov_b32_e32 v3, 0
	global_store_dwordx2 v[0:1], v[2:3], off
.LBB159_769:
	s_mov_b64 s[10:11], 0
.LBB159_770:
	s_andn2_b64 vcc, exec, s[10:11]
	s_cbranch_vccnz .LBB159_772
; %bb.771:
	v_cvt_f16_i16_e32 v2, v4
	global_store_dword v[0:1], v2, off
.LBB159_772:
	s_mov_b64 s[10:11], 0
.LBB159_773:
	s_andn2_b64 vcc, exec, s[10:11]
	s_cbranch_vccnz .LBB159_782
; %bb.774:
	s_cmp_lt_i32 s12, 6
	s_mov_b64 s[10:11], -1
	s_cbranch_scc1 .LBB159_780
; %bb.775:
	s_cmp_gt_i32 s12, 6
	s_cbranch_scc0 .LBB159_777
; %bb.776:
	v_bfe_i32 v2, v4, 0, 16
	v_cvt_f64_i32_e32 v[2:3], v2
	s_mov_b64 s[10:11], 0
	global_store_dwordx2 v[0:1], v[2:3], off
.LBB159_777:
	s_andn2_b64 vcc, exec, s[10:11]
	s_cbranch_vccnz .LBB159_779
; %bb.778:
	v_cvt_f32_i32_sdwa v2, sext(v4) dst_sel:DWORD dst_unused:UNUSED_PAD src0_sel:WORD_0
	global_store_dword v[0:1], v2, off
.LBB159_779:
	s_mov_b64 s[10:11], 0
.LBB159_780:
	s_andn2_b64 vcc, exec, s[10:11]
	s_cbranch_vccnz .LBB159_782
; %bb.781:
	v_cvt_f16_i16_e32 v2, v4
	global_store_short v[0:1], v2, off
.LBB159_782:
	s_mov_b64 s[10:11], 0
.LBB159_783:
	s_andn2_b64 vcc, exec, s[10:11]
	s_cbranch_vccnz .LBB159_799
; %bb.784:
	s_cmp_lt_i32 s12, 2
	s_mov_b64 s[10:11], -1
	s_cbranch_scc1 .LBB159_794
; %bb.785:
	s_cmp_lt_i32 s12, 3
	s_cbranch_scc1 .LBB159_791
; %bb.786:
	s_cmp_gt_i32 s12, 3
	v_bfe_i32 v2, v4, 0, 16
	s_cbranch_scc0 .LBB159_788
; %bb.787:
	v_ashrrev_i32_e32 v3, 31, v2
	s_mov_b64 s[10:11], 0
	global_store_dwordx2 v[0:1], v[2:3], off
.LBB159_788:
	s_andn2_b64 vcc, exec, s[10:11]
	s_cbranch_vccnz .LBB159_790
; %bb.789:
	global_store_dword v[0:1], v2, off
.LBB159_790:
	s_mov_b64 s[10:11], 0
.LBB159_791:
	s_andn2_b64 vcc, exec, s[10:11]
	s_cbranch_vccnz .LBB159_793
; %bb.792:
	global_store_short v[0:1], v4, off
.LBB159_793:
	s_mov_b64 s[10:11], 0
.LBB159_794:
	s_andn2_b64 vcc, exec, s[10:11]
	s_cbranch_vccnz .LBB159_799
; %bb.795:
	s_cmp_gt_i32 s12, 0
	s_mov_b64 s[10:11], -1
	s_cbranch_scc0 .LBB159_797
; %bb.796:
	s_mov_b64 s[10:11], 0
	global_store_byte v[0:1], v4, off
.LBB159_797:
	s_andn2_b64 vcc, exec, s[10:11]
	s_cbranch_vccnz .LBB159_799
; %bb.798:
	global_store_byte v[0:1], v4, off
.LBB159_799:
	s_mov_b64 s[10:11], -1
.LBB159_800:
	s_andn2_b64 vcc, exec, s[10:11]
	s_cbranch_vccnz .LBB159_802
; %bb.801:
	v_add_u32_e32 v8, 0x80, v8
	s_mov_b64 s[10:11], -1
	s_branch .LBB159_804
.LBB159_802:
	s_mov_b64 s[10:11], 0
.LBB159_803:
                                        ; implicit-def: $vgpr8
.LBB159_804:
	s_andn2_b64 s[12:13], s[64:65], exec
	s_and_b64 s[2:3], s[2:3], exec
	s_or_b64 s[70:71], s[12:13], s[2:3]
	s_andn2_b64 s[2:3], s[62:63], exec
	s_and_b64 s[8:9], s[8:9], exec
	s_or_b64 s[2:3], s[2:3], s[8:9]
	s_orn2_b64 s[10:11], s[10:11], exec
.LBB159_805:
	s_or_b64 exec, exec, s[68:69]
	s_mov_b64 s[8:9], 0
	s_mov_b64 s[12:13], 0
	;; [unrolled: 1-line block ×3, first 2 shown]
                                        ; implicit-def: $sgpr18
                                        ; implicit-def: $vgpr1_vgpr2
                                        ; implicit-def: $vgpr0
                                        ; implicit-def: $vgpr3
	s_and_saveexec_b64 s[68:69], s[10:11]
	s_cbranch_execz .LBB159_900
; %bb.806:
	v_cmp_gt_i32_e32 vcc, s72, v8
	s_mov_b64 s[10:11], 0
	s_mov_b64 s[16:17], s[2:3]
                                        ; implicit-def: $sgpr18
                                        ; implicit-def: $vgpr1_vgpr2
                                        ; implicit-def: $vgpr0
                                        ; implicit-def: $vgpr3
	s_and_saveexec_b64 s[72:73], vcc
	s_cbranch_execz .LBB159_899
; %bb.807:
	s_andn2_b64 vcc, exec, s[44:45]
	s_cbranch_vccnz .LBB159_812
; %bb.808:
	s_andn2_b64 vcc, exec, s[54:55]
	s_cbranch_vccnz .LBB159_813
; %bb.809:
	s_add_i32 s79, s78, 1
	s_cmp_eq_u32 s74, 2
	s_cbranch_scc1 .LBB159_814
; %bb.810:
	s_and_b32 s78, s79, 28
	v_mov_b32_e32 v2, 0
	s_mov_b32 s80, 0
	s_mov_b64 s[54:55], s[34:35]
	v_mov_b32_e32 v0, 0
	v_mov_b32_e32 v1, v8
.LBB159_811:                            ; =>This Inner Loop Header: Depth=1
	s_load_dwordx8 s[16:23], s[54:55], 0x4
	s_load_dwordx4 s[40:43], s[54:55], 0x24
	s_load_dwordx8 s[8:15], s[52:53], 0x0
	s_add_u32 s54, s54, 48
	s_addc_u32 s55, s55, 0
	s_waitcnt vmcnt(0) lgkmcnt(0)
	v_mul_hi_u32 v3, s17, v1
	s_add_i32 s80, s80, 4
	s_add_u32 s52, s52, 32
	s_addc_u32 s53, s53, 0
	v_add_u32_e32 v3, v1, v3
	v_lshrrev_b32_e32 v3, s18, v3
	v_mul_lo_u32 v4, v3, s16
	v_mul_hi_u32 v5, s20, v3
	s_cmp_eq_u32 s78, s80
	v_sub_u32_e32 v1, v1, v4
	v_add_u32_e32 v4, v3, v5
	v_mul_lo_u32 v5, v1, s8
	v_mul_lo_u32 v6, v1, s9
	v_lshrrev_b32_e32 v1, s21, v4
	v_mul_lo_u32 v4, v1, s19
	v_mul_hi_u32 v7, s23, v1
	v_sub_u32_e32 v3, v3, v4
	v_add_u32_e32 v4, v1, v7
	v_lshrrev_b32_e32 v4, s40, v4
	v_mul_hi_u32 v9, s42, v4
	v_mul_lo_u32 v10, v4, s22
	v_mul_lo_u32 v7, v3, s10
	;; [unrolled: 1-line block ×3, first 2 shown]
	v_sub_u32_e32 v10, v1, v10
	v_add_u32_e32 v1, v4, v9
	v_lshrrev_b32_e32 v1, s43, v1
	v_mul_lo_u32 v9, v1, s41
	v_mul_lo_u32 v11, v10, s12
	;; [unrolled: 1-line block ×3, first 2 shown]
	v_add3_u32 v0, v5, v0, v7
	v_sub_u32_e32 v4, v4, v9
	v_mul_lo_u32 v9, v4, s14
	v_mul_lo_u32 v4, v4, s15
	v_add3_u32 v2, v6, v2, v3
	v_add3_u32 v0, v11, v0, v9
	v_add3_u32 v2, v10, v2, v4
	s_cbranch_scc0 .LBB159_811
	s_branch .LBB159_815
.LBB159_812:
	s_mov_b64 s[8:9], -1
                                        ; implicit-def: $vgpr0
                                        ; implicit-def: $vgpr2
	s_branch .LBB159_819
.LBB159_813:
	v_mov_b32_e32 v0, 0
	v_mov_b32_e32 v2, 0
	s_branch .LBB159_818
.LBB159_814:
	s_mov_b32 s78, 0
	v_mov_b32_e32 v0, 0
	v_mov_b32_e32 v2, 0
	;; [unrolled: 1-line block ×3, first 2 shown]
.LBB159_815:
	s_and_b32 s12, s79, 3
	s_cmp_eq_u32 s12, 0
	s_cbranch_scc1 .LBB159_818
; %bb.816:
	s_lshl_b32 s8, s78, 3
	s_add_u32 s8, s34, s8
	s_addc_u32 s9, s35, 0
	s_add_u32 s8, s8, 0xc4
	s_addc_u32 s9, s9, 0
	s_mul_i32 s10, s78, 12
	s_add_u32 s10, s34, s10
	s_addc_u32 s11, s35, 0
.LBB159_817:                            ; =>This Inner Loop Header: Depth=1
	s_load_dwordx2 s[14:15], s[10:11], 0x4
	s_load_dword s13, s[10:11], 0xc
	s_load_dwordx2 s[16:17], s[8:9], 0x0
	s_add_u32 s10, s10, 12
	s_addc_u32 s11, s11, 0
	s_waitcnt vmcnt(0) lgkmcnt(0)
	v_mul_hi_u32 v3, s15, v1
	s_add_u32 s8, s8, 8
	s_addc_u32 s9, s9, 0
	s_add_i32 s12, s12, -1
	v_add_u32_e32 v3, v1, v3
	v_lshrrev_b32_e32 v4, s13, v3
	v_mul_lo_u32 v3, v4, s14
	s_cmp_lg_u32 s12, 0
	v_sub_u32_e32 v3, v1, v3
	v_mad_u64_u32 v[0:1], s[14:15], v3, s16, v[0:1]
	v_mad_u64_u32 v[2:3], s[14:15], v3, s17, v[2:3]
	v_mov_b32_e32 v1, v4
	s_cbranch_scc1 .LBB159_817
.LBB159_818:
	s_mov_b64 s[8:9], 0
.LBB159_819:
	s_andn2_b64 vcc, exec, s[8:9]
	s_cbranch_vccnz .LBB159_822
; %bb.820:
	s_waitcnt lgkmcnt(0)
	v_mul_hi_u32 v0, s37, v8
	s_andn2_b64 vcc, exec, s[50:51]
	v_add_u32_e32 v0, v8, v0
	v_lshrrev_b32_e32 v1, s38, v0
	v_mul_lo_u32 v0, v1, s36
	v_sub_u32_e32 v2, v8, v0
	v_mul_lo_u32 v0, v2, s28
	v_mul_lo_u32 v2, v2, s29
	s_cbranch_vccnz .LBB159_822
; %bb.821:
	s_waitcnt vmcnt(0)
	v_mul_hi_u32 v3, s48, v1
	v_add_u32_e32 v3, v1, v3
	v_lshrrev_b32_e32 v3, s49, v3
	v_mul_lo_u32 v3, v3, s39
	v_sub_u32_e32 v3, v1, v3
	v_mad_u64_u32 v[0:1], s[8:9], v3, s30, v[0:1]
	v_mad_u64_u32 v[2:3], s[8:9], v3, s31, v[2:3]
.LBB159_822:
	s_waitcnt vmcnt(0) lgkmcnt(0)
	v_mov_b32_e32 v3, s27
	s_and_b32 s18, s77, 0xff
	v_add_co_u32_e32 v1, vcc, s26, v2
	s_cmp_lt_i32 s18, 11
	v_addc_co_u32_e32 v2, vcc, 0, v3, vcc
	s_cbranch_scc1 .LBB159_829
; %bb.823:
	s_and_b32 s16, 0xffff, s18
	s_cmp_gt_i32 s16, 25
	s_mov_b64 s[10:11], 0
	s_cbranch_scc0 .LBB159_830
; %bb.824:
	s_cmp_gt_i32 s16, 28
	s_cbranch_scc0 .LBB159_831
; %bb.825:
	s_cmp_gt_i32 s16, 43
	;; [unrolled: 3-line block ×3, first 2 shown]
	s_cbranch_scc0 .LBB159_835
; %bb.827:
	s_cmp_eq_u32 s16, 46
	s_mov_b64 s[14:15], 0
	s_cbranch_scc0 .LBB159_838
; %bb.828:
	global_load_dword v3, v[1:2], off
	s_mov_b64 s[8:9], 0
	s_mov_b64 s[12:13], -1
	s_waitcnt vmcnt(0)
	v_lshlrev_b32_e32 v3, 16, v3
	v_cvt_i32_f32_e32 v3, v3
	s_branch .LBB159_839
.LBB159_829:
	s_mov_b64 s[16:17], -1
	s_mov_b64 s[12:13], 0
	s_mov_b64 s[10:11], 0
	;; [unrolled: 1-line block ×3, first 2 shown]
                                        ; implicit-def: $vgpr3
	s_branch .LBB159_898
.LBB159_830:
	s_mov_b64 s[14:15], -1
	s_mov_b64 s[12:13], 0
	s_mov_b64 s[8:9], s[2:3]
                                        ; implicit-def: $vgpr3
	s_branch .LBB159_866
.LBB159_831:
	s_mov_b64 s[14:15], -1
	s_mov_b64 s[12:13], 0
	s_mov_b64 s[8:9], s[2:3]
                                        ; implicit-def: $vgpr3
	s_branch .LBB159_849
.LBB159_832:
	s_mov_b64 s[14:15], -1
	s_mov_b64 s[12:13], 0
	s_mov_b64 s[8:9], s[2:3]
                                        ; implicit-def: $vgpr3
	s_branch .LBB159_844
.LBB159_833:
	s_andn2_saveexec_b64 s[14:15], s[14:15]
	s_cbranch_execz .LBB159_713
.LBB159_834:
	s_mov_b32 s18, 0x46000000
	v_add_f32_e64 v3, |v2|, s18
	v_and_b32_e32 v3, 0xff, v3
	v_cmp_ne_u32_e32 vcc, 0, v3
	s_andn2_b64 s[12:13], s[12:13], exec
	s_and_b64 s[18:19], vcc, exec
	s_or_b64 s[12:13], s[12:13], s[18:19]
	s_or_b64 exec, exec, s[14:15]
	v_mov_b32_e32 v5, 0
	s_and_saveexec_b64 s[14:15], s[12:13]
	s_cbranch_execnz .LBB159_714
	s_branch .LBB159_715
.LBB159_835:
	s_mov_b64 s[14:15], -1
	s_mov_b64 s[12:13], 0
	s_mov_b64 s[8:9], s[2:3]
                                        ; implicit-def: $vgpr3
	s_branch .LBB159_839
.LBB159_836:
	s_andn2_saveexec_b64 s[14:15], s[14:15]
	s_cbranch_execz .LBB159_726
.LBB159_837:
	s_mov_b32 s18, 0x42800000
	v_add_f32_e64 v3, |v2|, s18
	v_and_b32_e32 v3, 0xff, v3
	v_cmp_ne_u32_e32 vcc, 0, v3
	s_andn2_b64 s[12:13], s[12:13], exec
	s_and_b64 s[18:19], vcc, exec
	s_or_b64 s[12:13], s[12:13], s[18:19]
	s_or_b64 exec, exec, s[14:15]
	v_mov_b32_e32 v5, 0
	s_and_saveexec_b64 s[14:15], s[12:13]
	s_cbranch_execnz .LBB159_727
	s_branch .LBB159_728
.LBB159_838:
	s_mov_b64 s[8:9], -1
                                        ; implicit-def: $vgpr3
	s_mov_b64 s[12:13], 0
.LBB159_839:
	s_and_b64 vcc, exec, s[14:15]
	s_cbranch_vccz .LBB159_843
; %bb.840:
	s_cmp_eq_u32 s16, 44
	s_cbranch_scc0 .LBB159_842
; %bb.841:
	global_load_ubyte v3, v[1:2], off
	s_mov_b64 s[8:9], 0
	s_mov_b64 s[12:13], -1
	s_waitcnt vmcnt(0)
	v_lshlrev_b32_e32 v4, 23, v3
	v_cvt_i32_f32_e32 v4, v4
	v_cmp_ne_u32_e32 vcc, 0, v3
	v_cndmask_b32_e32 v3, 0, v4, vcc
	s_branch .LBB159_843
.LBB159_842:
	s_mov_b64 s[8:9], -1
                                        ; implicit-def: $vgpr3
.LBB159_843:
	s_mov_b64 s[14:15], 0
.LBB159_844:
	s_and_b64 vcc, exec, s[14:15]
	s_cbranch_vccz .LBB159_848
; %bb.845:
	s_cmp_eq_u32 s16, 29
	s_cbranch_scc0 .LBB159_847
; %bb.846:
	global_load_dwordx2 v[3:4], v[1:2], off
	s_mov_b64 s[8:9], 0
	s_mov_b64 s[12:13], -1
	s_branch .LBB159_848
.LBB159_847:
	s_mov_b64 s[8:9], -1
                                        ; implicit-def: $vgpr3
.LBB159_848:
	s_mov_b64 s[14:15], 0
.LBB159_849:
	s_and_b64 vcc, exec, s[14:15]
	s_cbranch_vccz .LBB159_865
; %bb.850:
	s_cmp_lt_i32 s16, 27
	s_cbranch_scc1 .LBB159_853
; %bb.851:
	s_cmp_gt_i32 s16, 27
	s_cbranch_scc0 .LBB159_854
; %bb.852:
	global_load_dword v3, v[1:2], off
	s_mov_b64 s[12:13], 0
	s_branch .LBB159_855
.LBB159_853:
	s_mov_b64 s[12:13], -1
                                        ; implicit-def: $vgpr3
	s_branch .LBB159_858
.LBB159_854:
	s_mov_b64 s[12:13], -1
                                        ; implicit-def: $vgpr3
.LBB159_855:
	s_andn2_b64 vcc, exec, s[12:13]
	s_cbranch_vccnz .LBB159_857
; %bb.856:
	global_load_ushort v3, v[1:2], off
.LBB159_857:
	s_mov_b64 s[12:13], 0
.LBB159_858:
	s_andn2_b64 vcc, exec, s[12:13]
	s_cbranch_vccnz .LBB159_864
; %bb.859:
	global_load_ubyte v4, v[1:2], off
	s_movk_i32 s12, 0x7f
	s_mov_b64 s[14:15], 0
	s_waitcnt vmcnt(0)
	v_cmp_lt_i16_e32 vcc, s12, v4
	s_and_saveexec_b64 s[12:13], vcc
	s_xor_b64 s[12:13], exec, s[12:13]
	s_cbranch_execz .LBB159_876
; %bb.860:
	s_movk_i32 s14, 0x80
	v_cmp_ne_u16_e32 vcc, s14, v4
	s_and_b64 s[14:15], vcc, exec
	s_andn2_saveexec_b64 s[12:13], s[12:13]
	s_cbranch_execnz .LBB159_877
.LBB159_861:
	s_or_b64 exec, exec, s[12:13]
	v_mov_b32_e32 v3, 0
	s_and_saveexec_b64 s[12:13], s[14:15]
	s_cbranch_execz .LBB159_863
.LBB159_862:
	v_lshlrev_b32_e32 v3, 24, v4
	v_and_b32_e32 v4, 0xffff, v4
	v_and_b32_e32 v5, 7, v4
	v_ffbh_u32_e32 v7, v5
	v_min_u32_e32 v7, 32, v7
	v_subrev_u32_e32 v8, 28, v7
	v_bfe_u32 v6, v4, 3, 4
	v_lshlrev_b32_e32 v4, v8, v4
	v_sub_u32_e32 v7, 29, v7
	v_and_b32_e32 v4, 7, v4
	v_cmp_eq_u32_e32 vcc, 0, v6
	v_cndmask_b32_e32 v6, v6, v7, vcc
	v_cndmask_b32_e32 v4, v5, v4, vcc
	v_mov_b32_e32 v5, 0x3b800000
	v_lshlrev_b32_e32 v4, 20, v4
	v_and_b32_e32 v3, 0x80000000, v3
	v_lshl_add_u32 v5, v6, 23, v5
	v_or3_b32 v3, v3, v5, v4
	v_cvt_i32_f32_e32 v3, v3
.LBB159_863:
	s_or_b64 exec, exec, s[12:13]
.LBB159_864:
	s_mov_b64 s[12:13], -1
.LBB159_865:
	s_mov_b64 s[14:15], 0
.LBB159_866:
	s_and_b64 vcc, exec, s[14:15]
	s_cbranch_vccz .LBB159_897
; %bb.867:
	s_cmp_gt_i32 s16, 22
	s_cbranch_scc0 .LBB159_875
; %bb.868:
	s_cmp_lt_i32 s16, 24
	s_cbranch_scc1 .LBB159_878
; %bb.869:
	s_cmp_gt_i32 s16, 24
	s_cbranch_scc0 .LBB159_879
; %bb.870:
	global_load_ubyte v4, v[1:2], off
	s_movk_i32 s10, 0x7f
	s_mov_b64 s[12:13], 0
	s_waitcnt vmcnt(0)
	v_cmp_lt_i16_e32 vcc, s10, v4
	s_and_saveexec_b64 s[10:11], vcc
	s_xor_b64 s[10:11], exec, s[10:11]
	s_cbranch_execz .LBB159_891
; %bb.871:
	s_movk_i32 s12, 0x80
	v_cmp_ne_u16_e32 vcc, s12, v4
	s_and_b64 s[12:13], vcc, exec
	s_andn2_saveexec_b64 s[10:11], s[10:11]
	s_cbranch_execnz .LBB159_892
.LBB159_872:
	s_or_b64 exec, exec, s[10:11]
	v_mov_b32_e32 v3, 0
	s_and_saveexec_b64 s[10:11], s[12:13]
	s_cbranch_execz .LBB159_874
.LBB159_873:
	v_lshlrev_b32_e32 v3, 24, v4
	v_and_b32_e32 v4, 0xffff, v4
	v_and_b32_e32 v5, 3, v4
	v_ffbh_u32_e32 v7, v5
	v_min_u32_e32 v7, 32, v7
	v_subrev_u32_e32 v8, 29, v7
	v_bfe_u32 v6, v4, 2, 5
	v_lshlrev_b32_e32 v4, v8, v4
	v_sub_u32_e32 v7, 30, v7
	v_and_b32_e32 v4, 3, v4
	v_cmp_eq_u32_e32 vcc, 0, v6
	v_cndmask_b32_e32 v6, v6, v7, vcc
	v_cndmask_b32_e32 v4, v5, v4, vcc
	v_mov_b32_e32 v5, 0x37800000
	v_lshlrev_b32_e32 v4, 21, v4
	v_and_b32_e32 v3, 0x80000000, v3
	v_lshl_add_u32 v5, v6, 23, v5
	v_or3_b32 v3, v3, v5, v4
	v_cvt_i32_f32_e32 v3, v3
.LBB159_874:
	s_or_b64 exec, exec, s[10:11]
	s_mov_b64 s[10:11], 0
	s_branch .LBB159_880
.LBB159_875:
	s_mov_b64 s[10:11], -1
                                        ; implicit-def: $vgpr3
	s_branch .LBB159_886
.LBB159_876:
	s_andn2_saveexec_b64 s[12:13], s[12:13]
	s_cbranch_execz .LBB159_861
.LBB159_877:
	v_cmp_ne_u16_e32 vcc, 0, v4
	s_andn2_b64 s[14:15], s[14:15], exec
	s_and_b64 s[20:21], vcc, exec
	s_or_b64 s[14:15], s[14:15], s[20:21]
	s_or_b64 exec, exec, s[12:13]
	v_mov_b32_e32 v3, 0
	s_and_saveexec_b64 s[12:13], s[14:15]
	s_cbranch_execnz .LBB159_862
	s_branch .LBB159_863
.LBB159_878:
	s_mov_b64 s[10:11], -1
                                        ; implicit-def: $vgpr3
	s_branch .LBB159_883
.LBB159_879:
	s_mov_b64 s[10:11], -1
                                        ; implicit-def: $vgpr3
.LBB159_880:
	s_and_b64 vcc, exec, s[10:11]
	s_cbranch_vccz .LBB159_882
; %bb.881:
	global_load_ubyte v3, v[1:2], off
	s_mov_b32 s10, 0x7f800000
	s_waitcnt vmcnt(0)
	v_lshlrev_b32_e32 v3, 24, v3
	v_and_b32_e32 v4, 0x7f000000, v3
	v_ffbh_u32_e32 v5, v4
	v_min_u32_e32 v5, 32, v5
	v_sub_u32_e64 v5, v5, 4 clamp
	v_lshlrev_b32_e32 v7, v5, v4
	v_lshlrev_b32_e32 v5, 23, v5
	v_lshrrev_b32_e32 v7, 4, v7
	v_add_u32_e32 v6, 0x1000000, v4
	v_sub_u32_e32 v5, v7, v5
	v_ashrrev_i32_e32 v6, 8, v6
	v_add_u32_e32 v5, 0x3c000000, v5
	v_and_or_b32 v5, v6, s10, v5
	v_cmp_ne_u32_e32 vcc, 0, v4
	v_cndmask_b32_e32 v4, 0, v5, vcc
	s_brev_b32 s10, 1
	v_and_or_b32 v3, v3, s10, v4
	v_cvt_i32_f32_e32 v3, v3
.LBB159_882:
	s_mov_b64 s[10:11], 0
.LBB159_883:
	s_andn2_b64 vcc, exec, s[10:11]
	s_cbranch_vccnz .LBB159_885
; %bb.884:
	global_load_ubyte v3, v[1:2], off
	s_movk_i32 s10, 0x7f00
	s_brev_b32 s11, 16
	s_waitcnt vmcnt(0)
	v_lshlrev_b16_e32 v4, 8, v3
	v_lshlrev_b32_e32 v3, 25, v3
	v_lshrrev_b32_e32 v5, 4, v3
	v_and_or_b32 v6, v4, s10, 0.5
	v_or_b32_e32 v5, 0x70000000, v5
	v_add_f32_e32 v6, -0.5, v6
	v_mul_f32_e32 v5, 0x7800000, v5
	v_cmp_gt_u32_e32 vcc, s11, v3
	v_bfe_i32 v4, v4, 0, 16
	v_cndmask_b32_e32 v3, v5, v6, vcc
	s_brev_b32 s10, 1
	v_and_or_b32 v3, v4, s10, v3
	v_cvt_i32_f32_e32 v3, v3
.LBB159_885:
	s_mov_b64 s[10:11], 0
	s_mov_b64 s[12:13], -1
.LBB159_886:
	s_andn2_b64 vcc, exec, s[10:11]
	s_mov_b64 s[10:11], 0
	s_cbranch_vccnz .LBB159_897
; %bb.887:
	s_cmp_gt_i32 s16, 14
	s_cbranch_scc0 .LBB159_890
; %bb.888:
	s_cmp_eq_u32 s16, 15
	s_cbranch_scc0 .LBB159_893
; %bb.889:
	global_load_ushort v3, v[1:2], off
	s_mov_b64 s[8:9], 0
	s_mov_b64 s[12:13], -1
	s_waitcnt vmcnt(0)
	v_lshlrev_b32_e32 v3, 16, v3
	v_cvt_i32_f32_e32 v3, v3
	s_branch .LBB159_894
.LBB159_890:
	s_mov_b64 s[14:15], -1
                                        ; implicit-def: $vgpr3
	s_branch .LBB159_895
.LBB159_891:
	s_andn2_saveexec_b64 s[10:11], s[10:11]
	s_cbranch_execz .LBB159_872
.LBB159_892:
	v_cmp_ne_u16_e32 vcc, 0, v4
	s_andn2_b64 s[12:13], s[12:13], exec
	s_and_b64 s[14:15], vcc, exec
	s_or_b64 s[12:13], s[12:13], s[14:15]
	s_or_b64 exec, exec, s[10:11]
	v_mov_b32_e32 v3, 0
	s_and_saveexec_b64 s[10:11], s[12:13]
	s_cbranch_execnz .LBB159_873
	s_branch .LBB159_874
.LBB159_893:
	s_mov_b64 s[8:9], -1
                                        ; implicit-def: $vgpr3
.LBB159_894:
	s_mov_b64 s[14:15], 0
.LBB159_895:
	s_and_b64 vcc, exec, s[14:15]
	s_cbranch_vccz .LBB159_897
; %bb.896:
	s_cmp_lg_u32 s16, 11
	s_cselect_b64 s[14:15], -1, 0
	s_andn2_b64 s[8:9], s[8:9], exec
	s_and_b64 s[14:15], s[14:15], exec
	s_mov_b64 s[10:11], -1
	s_or_b64 s[8:9], s[8:9], s[14:15]
.LBB159_897:
	s_mov_b64 s[16:17], 0
.LBB159_898:
	s_and_b64 s[14:15], s[12:13], exec
	s_and_b64 s[12:13], s[16:17], exec
	s_andn2_b64 s[16:17], s[2:3], exec
	s_and_b64 s[8:9], s[8:9], exec
	s_and_b64 s[10:11], s[10:11], exec
	s_or_b64 s[16:17], s[16:17], s[8:9]
.LBB159_899:
	s_or_b64 exec, exec, s[72:73]
	s_and_b64 s[8:9], s[10:11], exec
	s_andn2_b64 s[2:3], s[2:3], exec
	s_and_b64 s[10:11], s[16:17], exec
	s_and_b64 s[14:15], s[14:15], exec
	;; [unrolled: 1-line block ×3, first 2 shown]
	s_or_b64 s[2:3], s[2:3], s[10:11]
.LBB159_900:
	s_or_b64 exec, exec, s[68:69]
	s_andn2_b64 s[10:11], s[64:65], exec
	s_and_b64 s[16:17], s[70:71], exec
	s_or_b64 s[64:65], s[10:11], s[16:17]
	s_and_b64 s[10:11], s[14:15], exec
	s_andn2_b64 s[14:15], s[62:63], exec
	s_and_b64 s[2:3], s[2:3], exec
	s_and_b64 s[12:13], s[12:13], exec
	;; [unrolled: 1-line block ×3, first 2 shown]
	s_or_b64 s[62:63], s[14:15], s[2:3]
.LBB159_901:
	s_or_b64 exec, exec, s[66:67]
	s_andn2_b64 s[2:3], s[56:57], exec
	s_and_b64 s[14:15], s[64:65], exec
	s_or_b64 s[56:57], s[2:3], s[14:15]
	s_and_b64 s[64:65], s[8:9], exec
	s_andn2_b64 s[2:3], s[58:59], exec
	s_and_b64 s[8:9], s[62:63], exec
	s_and_b64 s[10:11], s[10:11], exec
	;; [unrolled: 1-line block ×3, first 2 shown]
	s_or_b64 s[58:59], s[2:3], s[8:9]
	s_or_b64 exec, exec, s[60:61]
	s_mov_b64 s[2:3], 0
	s_and_saveexec_b64 s[8:9], s[58:59]
	s_cbranch_execz .LBB159_270
.LBB159_902:
	s_mov_b64 s[2:3], exec
	s_andn2_b64 s[64:65], s[64:65], exec
	s_trap 2
	s_or_b64 exec, exec, s[8:9]
	s_and_saveexec_b64 s[8:9], s[64:65]
	s_xor_b64 s[8:9], exec, s[8:9]
	s_cbranch_execnz .LBB159_271
.LBB159_903:
	s_or_b64 exec, exec, s[8:9]
	s_and_saveexec_b64 s[8:9], s[12:13]
	s_cbranch_execz .LBB159_949
.LBB159_904:
	s_sext_i32_i16 s12, s18
	s_cmp_lt_i32 s12, 5
	s_cbranch_scc1 .LBB159_909
; %bb.905:
	s_cmp_lt_i32 s12, 8
	s_cbranch_scc1 .LBB159_910
; %bb.906:
	;; [unrolled: 3-line block ×3, first 2 shown]
	s_cmp_gt_i32 s12, 9
	s_cbranch_scc0 .LBB159_912
; %bb.908:
	global_load_dwordx2 v[3:4], v[1:2], off
	s_mov_b64 s[12:13], 0
	s_waitcnt vmcnt(0)
	v_cvt_i32_f64_e32 v3, v[3:4]
	s_branch .LBB159_913
.LBB159_909:
                                        ; implicit-def: $vgpr3
	s_branch .LBB159_930
.LBB159_910:
                                        ; implicit-def: $vgpr3
	s_branch .LBB159_919
.LBB159_911:
	s_mov_b64 s[12:13], -1
                                        ; implicit-def: $vgpr3
	s_branch .LBB159_916
.LBB159_912:
	s_mov_b64 s[12:13], -1
                                        ; implicit-def: $vgpr3
.LBB159_913:
	s_andn2_b64 vcc, exec, s[12:13]
	s_cbranch_vccnz .LBB159_915
; %bb.914:
	global_load_dword v3, v[1:2], off
	s_waitcnt vmcnt(0)
	v_cvt_i32_f32_e32 v3, v3
.LBB159_915:
	s_mov_b64 s[12:13], 0
.LBB159_916:
	s_andn2_b64 vcc, exec, s[12:13]
	s_cbranch_vccnz .LBB159_918
; %bb.917:
	global_load_dword v3, v[1:2], off
	s_waitcnt vmcnt(0)
	v_cvt_i16_f16_e32 v3, v3
.LBB159_918:
	s_cbranch_execnz .LBB159_929
.LBB159_919:
	s_sext_i32_i16 s12, s18
	s_cmp_lt_i32 s12, 6
	s_cbranch_scc1 .LBB159_922
; %bb.920:
	s_cmp_gt_i32 s12, 6
	s_cbranch_scc0 .LBB159_923
; %bb.921:
	global_load_dwordx2 v[3:4], v[1:2], off
	s_mov_b64 s[12:13], 0
	s_waitcnt vmcnt(0)
	v_cvt_i32_f64_e32 v3, v[3:4]
	s_branch .LBB159_924
.LBB159_922:
	s_mov_b64 s[12:13], -1
                                        ; implicit-def: $vgpr3
	s_branch .LBB159_927
.LBB159_923:
	s_mov_b64 s[12:13], -1
                                        ; implicit-def: $vgpr3
.LBB159_924:
	s_andn2_b64 vcc, exec, s[12:13]
	s_cbranch_vccnz .LBB159_926
; %bb.925:
	global_load_dword v3, v[1:2], off
	s_waitcnt vmcnt(0)
	v_cvt_i32_f32_e32 v3, v3
.LBB159_926:
	s_mov_b64 s[12:13], 0
.LBB159_927:
	s_andn2_b64 vcc, exec, s[12:13]
	s_cbranch_vccnz .LBB159_929
; %bb.928:
	global_load_ushort v3, v[1:2], off
	s_waitcnt vmcnt(0)
	v_cvt_i16_f16_e32 v3, v3
.LBB159_929:
	s_cbranch_execnz .LBB159_948
.LBB159_930:
	s_sext_i32_i16 s12, s18
	s_cmp_lt_i32 s12, 2
	s_cbranch_scc1 .LBB159_934
; %bb.931:
	s_cmp_lt_i32 s12, 3
	s_cbranch_scc1 .LBB159_935
; %bb.932:
	s_cmp_gt_i32 s12, 3
	s_cbranch_scc0 .LBB159_936
; %bb.933:
	global_load_dwordx2 v[3:4], v[1:2], off
	s_mov_b64 s[12:13], 0
	s_branch .LBB159_937
.LBB159_934:
                                        ; implicit-def: $vgpr3
	s_branch .LBB159_943
.LBB159_935:
	s_mov_b64 s[12:13], -1
                                        ; implicit-def: $vgpr3
	s_branch .LBB159_940
.LBB159_936:
	s_mov_b64 s[12:13], -1
                                        ; implicit-def: $vgpr3
.LBB159_937:
	s_andn2_b64 vcc, exec, s[12:13]
	s_cbranch_vccnz .LBB159_939
; %bb.938:
	global_load_dword v3, v[1:2], off
.LBB159_939:
	s_mov_b64 s[12:13], 0
.LBB159_940:
	s_andn2_b64 vcc, exec, s[12:13]
	s_cbranch_vccnz .LBB159_942
; %bb.941:
	global_load_ushort v3, v[1:2], off
.LBB159_942:
	s_cbranch_execnz .LBB159_948
.LBB159_943:
	s_sext_i32_i16 s12, s18
	s_cmp_gt_i32 s12, 0
	s_cbranch_scc0 .LBB159_945
; %bb.944:
	global_load_ubyte v3, v[1:2], off
	s_mov_b64 s[12:13], 0
	s_branch .LBB159_946
.LBB159_945:
	s_mov_b64 s[12:13], -1
                                        ; implicit-def: $vgpr3
.LBB159_946:
	s_andn2_b64 vcc, exec, s[12:13]
	s_cbranch_vccnz .LBB159_948
; %bb.947:
	global_load_ubyte v3, v[1:2], off
.LBB159_948:
	s_or_b64 s[10:11], s[10:11], exec
.LBB159_949:
	s_or_b64 exec, exec, s[8:9]
	s_mov_b64 s[14:15], 0
	s_mov_b64 s[12:13], 0
                                        ; implicit-def: $sgpr18
                                        ; implicit-def: $vgpr1_vgpr2
                                        ; implicit-def: $vgpr4
	s_and_saveexec_b64 s[8:9], s[10:11]
	s_cbranch_execz .LBB159_957
; %bb.950:
	v_mov_b32_e32 v1, 7
	s_waitcnt vmcnt(0)
	v_ashrrev_i16_sdwa v1, v1, sext(v3) dst_sel:DWORD dst_unused:UNUSED_PAD src0_sel:DWORD src1_sel:BYTE_0
	v_ashrrev_i32_sdwa v2, s76, sext(v3) dst_sel:DWORD dst_unused:UNUSED_PAD src0_sel:DWORD src1_sel:BYTE_0
	v_cndmask_b32_e64 v4, v2, v1, s[0:1]
	s_waitcnt lgkmcnt(0)
	v_mov_b32_e32 v2, s25
	s_and_b32 s18, s75, 0xff
	v_add_co_u32_e32 v1, vcc, s24, v0
	s_cmp_lt_i32 s18, 11
	v_addc_co_u32_e32 v2, vcc, 0, v2, vcc
	s_cbranch_scc1 .LBB159_960
; %bb.951:
	s_and_b32 s19, 0xffff, s18
	s_mov_b64 s[12:13], -1
	s_cmp_gt_i32 s19, 25
	s_mov_b64 s[0:1], s[56:57]
	s_cbranch_scc0 .LBB159_988
; %bb.952:
	s_mov_b64 s[10:11], -1
	s_cmp_gt_i32 s19, 28
	s_mov_b64 s[0:1], s[56:57]
	s_cbranch_scc0 .LBB159_972
; %bb.953:
	s_cmp_gt_i32 s19, 43
	s_mov_b64 s[0:1], s[56:57]
	s_cbranch_scc0 .LBB159_968
; %bb.954:
	s_cmp_gt_i32 s19, 45
	s_mov_b64 s[0:1], s[56:57]
	s_cbranch_scc0 .LBB159_962
; %bb.955:
	s_cmp_eq_u32 s19, 46
	s_mov_b64 s[0:1], -1
	s_cbranch_scc0 .LBB159_961
; %bb.956:
	v_cvt_f32_i32_sdwa v0, sext(v4) dst_sel:DWORD dst_unused:UNUSED_PAD src0_sel:WORD_0
	s_movk_i32 s0, 0x7fff
	s_mov_b64 s[10:11], 0
	v_bfe_u32 v3, v0, 16, 1
	v_add3_u32 v0, v0, v3, s0
	v_lshrrev_b32_e32 v0, 16, v0
	global_store_dword v[1:2], v0, off
	s_mov_b64 s[0:1], 0
	s_branch .LBB159_962
.LBB159_957:
	s_or_b64 exec, exec, s[8:9]
	s_and_saveexec_b64 s[0:1], s[56:57]
	s_cbranch_execnz .LBB159_1030
.LBB159_958:
	s_or_b64 exec, exec, s[0:1]
	s_and_saveexec_b64 s[0:1], s[14:15]
	s_xor_b64 s[0:1], exec, s[0:1]
	s_cbranch_execz .LBB159_1031
.LBB159_959:
	v_mov_b32_e32 v0, 0
	s_waitcnt vmcnt(0)
	v_cmp_ne_u16_sdwa s[8:9], v4, v0 src0_sel:BYTE_0 src1_sel:DWORD
	v_cndmask_b32_e64 v0, 0, 1, s[8:9]
	global_store_byte v[1:2], v0, off
	s_or_b64 exec, exec, s[0:1]
	s_and_saveexec_b64 s[0:1], s[12:13]
	s_xor_b64 s[0:1], exec, s[0:1]
	s_cbranch_execz .LBB159_1069
	s_branch .LBB159_1032
.LBB159_960:
	s_mov_b64 s[10:11], -1
	s_mov_b64 s[0:1], s[56:57]
	s_branch .LBB159_1029
.LBB159_961:
	s_mov_b64 s[10:11], 0
.LBB159_962:
	s_and_b64 vcc, exec, s[10:11]
	s_cbranch_vccz .LBB159_967
; %bb.963:
	s_cmp_eq_u32 s19, 44
	s_mov_b64 s[0:1], -1
	s_cbranch_scc0 .LBB159_967
; %bb.964:
	v_cvt_f32_i32_sdwa v0, sext(v4) dst_sel:DWORD dst_unused:UNUSED_PAD src0_sel:WORD_0
	s_movk_i32 s0, 0xff
	v_mov_b32_e32 v5, 0xff
	v_bfe_u32 v3, v0, 23, 8
	v_cmp_ne_u32_e32 vcc, s0, v3
	s_and_saveexec_b64 s[10:11], vcc
; %bb.965:
	s_mov_b32 s0, 0x3fffff
	v_lshrrev_b32_e32 v5, 23, v0
	v_and_b32_e32 v6, 0x400000, v0
	v_and_or_b32 v0, v0, s0, v3
	v_cmp_ne_u32_e32 vcc, 0, v6
	v_cmp_ne_u32_e64 s[0:1], 0, v0
	s_and_b64 s[0:1], vcc, s[0:1]
	v_cndmask_b32_e64 v0, 0, 1, s[0:1]
	v_add_u32_e32 v5, v5, v0
; %bb.966:
	s_or_b64 exec, exec, s[10:11]
	s_mov_b64 s[0:1], 0
	global_store_byte v[1:2], v5, off
.LBB159_967:
	s_mov_b64 s[10:11], 0
.LBB159_968:
	s_and_b64 vcc, exec, s[10:11]
	s_cbranch_vccz .LBB159_971
; %bb.969:
	s_cmp_eq_u32 s19, 29
	s_mov_b64 s[0:1], -1
	s_cbranch_scc0 .LBB159_971
; %bb.970:
	v_bfe_i32 v5, v4, 0, 16
	v_ashrrev_i32_e32 v6, 31, v5
	global_store_dwordx2 v[1:2], v[5:6], off
	s_mov_b64 s[0:1], 0
.LBB159_971:
	s_mov_b64 s[10:11], 0
.LBB159_972:
	s_and_b64 vcc, exec, s[10:11]
	s_cbranch_vccz .LBB159_987
; %bb.973:
	s_cmp_lt_i32 s19, 27
	s_mov_b64 s[10:11], -1
	s_cbranch_scc1 .LBB159_979
; %bb.974:
	s_cmp_gt_i32 s19, 27
	s_cbranch_scc0 .LBB159_976
; %bb.975:
	v_bfe_i32 v0, v4, 0, 16
	s_mov_b64 s[10:11], 0
	global_store_dword v[1:2], v0, off
.LBB159_976:
	s_andn2_b64 vcc, exec, s[10:11]
	s_cbranch_vccnz .LBB159_978
; %bb.977:
	global_store_short v[1:2], v4, off
.LBB159_978:
	s_mov_b64 s[10:11], 0
.LBB159_979:
	s_andn2_b64 vcc, exec, s[10:11]
	s_cbranch_vccnz .LBB159_987
; %bb.980:
	v_cvt_f32_i32_sdwa v0, sext(v4) dst_sel:DWORD dst_unused:UNUSED_PAD src0_sel:WORD_0
	s_mov_b32 s10, 0x43800000
	v_mov_b32_e32 v5, 0x80
	v_and_b32_e32 v3, 0x7fffffff, v0
	v_cmp_gt_u32_e32 vcc, s10, v3
	s_and_saveexec_b64 s[10:11], vcc
	s_cbranch_execz .LBB159_986
; %bb.981:
	s_mov_b32 s12, 0x3bffffff
	v_cmp_lt_u32_e32 vcc, s12, v3
	s_mov_b64 s[12:13], 0
                                        ; implicit-def: $vgpr3
	s_and_saveexec_b64 s[14:15], vcc
	s_xor_b64 s[14:15], exec, s[14:15]
	s_cbranch_execz .LBB159_1140
; %bb.982:
	v_bfe_u32 v3, v0, 20, 1
	s_mov_b32 s16, 0x487ffff
	v_add3_u32 v3, v0, v3, s16
	s_mov_b64 s[12:13], exec
	v_lshrrev_b32_e32 v3, 20, v3
	s_andn2_saveexec_b64 s[14:15], s[14:15]
	s_cbranch_execnz .LBB159_1141
.LBB159_983:
	s_or_b64 exec, exec, s[14:15]
	v_mov_b32_e32 v5, 0
	s_and_saveexec_b64 s[14:15], s[12:13]
.LBB159_984:
	v_lshrrev_b32_e32 v0, 24, v0
	s_movk_i32 s12, 0x80
	v_and_or_b32 v5, v0, s12, v3
.LBB159_985:
	s_or_b64 exec, exec, s[14:15]
.LBB159_986:
	s_or_b64 exec, exec, s[10:11]
	global_store_byte v[1:2], v5, off
.LBB159_987:
	s_mov_b64 s[12:13], 0
.LBB159_988:
	s_mov_b64 s[10:11], 0
	s_and_b64 vcc, exec, s[12:13]
	s_cbranch_vccz .LBB159_1028
; %bb.989:
	s_cmp_gt_i32 s19, 22
	s_mov_b64 s[12:13], -1
	s_cbranch_scc0 .LBB159_1021
; %bb.990:
	s_cmp_lt_i32 s19, 24
	s_cbranch_scc1 .LBB159_1010
; %bb.991:
	s_cmp_gt_i32 s19, 24
	s_cbranch_scc0 .LBB159_999
; %bb.992:
	v_cvt_f32_i32_sdwa v0, sext(v4) dst_sel:DWORD dst_unused:UNUSED_PAD src0_sel:WORD_0
	s_mov_b32 s12, 0x47800000
	v_mov_b32_e32 v5, 0x80
	v_and_b32_e32 v3, 0x7fffffff, v0
	v_cmp_gt_u32_e32 vcc, s12, v3
	s_and_saveexec_b64 s[12:13], vcc
	s_cbranch_execz .LBB159_998
; %bb.993:
	s_mov_b32 s14, 0x37ffffff
	v_cmp_lt_u32_e32 vcc, s14, v3
	s_mov_b64 s[14:15], 0
                                        ; implicit-def: $vgpr3
	s_and_saveexec_b64 s[16:17], vcc
	s_xor_b64 s[16:17], exec, s[16:17]
	s_cbranch_execz .LBB159_1260
; %bb.994:
	v_bfe_u32 v3, v0, 21, 1
	s_mov_b32 s20, 0x88fffff
	v_add3_u32 v3, v0, v3, s20
	s_mov_b64 s[14:15], exec
	v_lshrrev_b32_e32 v3, 21, v3
	s_andn2_saveexec_b64 s[16:17], s[16:17]
	s_cbranch_execnz .LBB159_1261
.LBB159_995:
	s_or_b64 exec, exec, s[16:17]
	v_mov_b32_e32 v5, 0
	s_and_saveexec_b64 s[16:17], s[14:15]
.LBB159_996:
	v_lshrrev_b32_e32 v0, 24, v0
	s_movk_i32 s14, 0x80
	v_and_or_b32 v5, v0, s14, v3
.LBB159_997:
	s_or_b64 exec, exec, s[16:17]
.LBB159_998:
	s_or_b64 exec, exec, s[12:13]
	s_mov_b64 s[12:13], 0
	global_store_byte v[1:2], v5, off
.LBB159_999:
	s_and_b64 vcc, exec, s[12:13]
	s_cbranch_vccz .LBB159_1009
; %bb.1000:
	v_cvt_f32_i32_sdwa v0, sext(v4) dst_sel:DWORD dst_unused:UNUSED_PAD src0_sel:WORD_0
	s_mov_b32 s12, 0x43f00000
                                        ; implicit-def: $vgpr3
	v_and_b32_e32 v5, 0x7fffffff, v0
	v_cmp_gt_u32_e32 vcc, s12, v5
	s_and_saveexec_b64 s[12:13], vcc
	s_xor_b64 s[12:13], exec, s[12:13]
	s_cbranch_execz .LBB159_1006
; %bb.1001:
	s_mov_b32 s14, 0x3c7fffff
	v_cmp_lt_u32_e32 vcc, s14, v5
                                        ; implicit-def: $vgpr3
	s_and_saveexec_b64 s[14:15], vcc
	s_xor_b64 s[14:15], exec, s[14:15]
; %bb.1002:
	v_bfe_u32 v3, v0, 20, 1
	s_mov_b32 s16, 0x407ffff
	v_add3_u32 v3, v0, v3, s16
	v_lshrrev_b32_e32 v5, 20, v3
	v_and_b32_e32 v3, 0xff00000, v3
	s_mov_b32 s16, 0x7f00000
	v_mov_b32_e32 v6, 0x7e
	v_cmp_ne_u32_e32 vcc, s16, v3
	v_cndmask_b32_e32 v3, v6, v5, vcc
; %bb.1003:
	s_andn2_saveexec_b64 s[14:15], s[14:15]
; %bb.1004:
	s_mov_b32 s16, 0x46800000
	v_add_f32_e64 v3, |v0|, s16
; %bb.1005:
	s_or_b64 exec, exec, s[14:15]
                                        ; implicit-def: $vgpr5
.LBB159_1006:
	s_andn2_saveexec_b64 s[12:13], s[12:13]
; %bb.1007:
	s_mov_b32 s14, 0x7f800000
	v_mov_b32_e32 v3, 0x7e
	v_mov_b32_e32 v6, 0x7f
	v_cmp_lt_u32_e32 vcc, s14, v5
	v_cndmask_b32_e32 v3, v3, v6, vcc
; %bb.1008:
	s_or_b64 exec, exec, s[12:13]
	v_lshrrev_b32_e32 v0, 24, v0
	s_movk_i32 s12, 0x80
	v_and_or_b32 v0, v0, s12, v3
	global_store_byte v[1:2], v0, off
.LBB159_1009:
	s_mov_b64 s[12:13], 0
.LBB159_1010:
	s_andn2_b64 vcc, exec, s[12:13]
	s_cbranch_vccnz .LBB159_1020
; %bb.1011:
	v_cvt_f32_i32_sdwa v0, sext(v4) dst_sel:DWORD dst_unused:UNUSED_PAD src0_sel:WORD_0
	s_mov_b32 s12, 0x47800000
                                        ; implicit-def: $vgpr3
	v_and_b32_e32 v5, 0x7fffffff, v0
	v_cmp_gt_u32_e32 vcc, s12, v5
	s_and_saveexec_b64 s[12:13], vcc
	s_xor_b64 s[12:13], exec, s[12:13]
	s_cbranch_execz .LBB159_1017
; %bb.1012:
	s_mov_b32 s14, 0x387fffff
	v_cmp_lt_u32_e32 vcc, s14, v5
                                        ; implicit-def: $vgpr3
	s_and_saveexec_b64 s[14:15], vcc
	s_xor_b64 s[14:15], exec, s[14:15]
; %bb.1013:
	v_bfe_u32 v3, v0, 21, 1
	s_mov_b32 s16, 0x80fffff
	v_add3_u32 v3, v0, v3, s16
	v_lshrrev_b32_e32 v3, 21, v3
; %bb.1014:
	s_andn2_saveexec_b64 s[14:15], s[14:15]
; %bb.1015:
	s_mov_b32 s16, 0x43000000
	v_add_f32_e64 v3, |v0|, s16
; %bb.1016:
	s_or_b64 exec, exec, s[14:15]
                                        ; implicit-def: $vgpr5
.LBB159_1017:
	s_andn2_saveexec_b64 s[12:13], s[12:13]
; %bb.1018:
	s_mov_b32 s14, 0x7f800000
	v_mov_b32_e32 v3, 0x7c
	v_mov_b32_e32 v6, 0x7f
	v_cmp_lt_u32_e32 vcc, s14, v5
	v_cndmask_b32_e32 v3, v3, v6, vcc
; %bb.1019:
	s_or_b64 exec, exec, s[12:13]
	v_lshrrev_b32_e32 v0, 24, v0
	s_movk_i32 s12, 0x80
	v_and_or_b32 v0, v0, s12, v3
	global_store_byte v[1:2], v0, off
.LBB159_1020:
	s_mov_b64 s[12:13], 0
.LBB159_1021:
	s_andn2_b64 vcc, exec, s[12:13]
	s_mov_b64 s[14:15], 0
	s_cbranch_vccnz .LBB159_1029
; %bb.1022:
	s_cmp_gt_i32 s19, 14
	s_mov_b64 s[12:13], -1
	s_cbranch_scc0 .LBB159_1026
; %bb.1023:
	s_cmp_eq_u32 s19, 15
	s_mov_b64 s[0:1], -1
	s_cbranch_scc0 .LBB159_1025
; %bb.1024:
	v_cvt_f32_i32_sdwa v0, sext(v4) dst_sel:DWORD dst_unused:UNUSED_PAD src0_sel:WORD_0
	s_movk_i32 s0, 0x7fff
	v_bfe_u32 v3, v0, 16, 1
	v_add3_u32 v0, v0, v3, s0
	global_store_short_d16_hi v[1:2], v0, off
	s_mov_b64 s[0:1], 0
.LBB159_1025:
	s_mov_b64 s[12:13], 0
.LBB159_1026:
	s_and_b64 vcc, exec, s[12:13]
	s_cbranch_vccz .LBB159_1029
; %bb.1027:
	s_cmp_lg_u32 s19, 11
	s_cselect_b64 s[12:13], -1, 0
	s_andn2_b64 s[0:1], s[0:1], exec
	s_and_b64 s[12:13], s[12:13], exec
	s_mov_b64 s[14:15], -1
	s_or_b64 s[0:1], s[0:1], s[12:13]
	s_branch .LBB159_1029
.LBB159_1028:
	s_mov_b64 s[14:15], 0
.LBB159_1029:
	s_and_b64 s[12:13], s[10:11], exec
	s_andn2_b64 s[10:11], s[56:57], exec
	s_and_b64 s[0:1], s[0:1], exec
	s_and_b64 s[14:15], s[14:15], exec
	s_or_b64 s[56:57], s[10:11], s[0:1]
	s_or_b64 exec, exec, s[8:9]
	s_and_saveexec_b64 s[0:1], s[56:57]
	s_cbranch_execz .LBB159_958
.LBB159_1030:
	s_or_b64 s[2:3], s[2:3], exec
	s_andn2_b64 s[14:15], s[14:15], exec
	s_trap 2
	s_or_b64 exec, exec, s[0:1]
	s_and_saveexec_b64 s[0:1], s[14:15]
	s_xor_b64 s[0:1], exec, s[0:1]
	s_cbranch_execnz .LBB159_959
.LBB159_1031:
	s_or_b64 exec, exec, s[0:1]
	s_and_saveexec_b64 s[0:1], s[12:13]
	s_xor_b64 s[0:1], exec, s[0:1]
	s_cbranch_execz .LBB159_1069
.LBB159_1032:
	s_sext_i32_i16 s10, s18
	s_cmp_lt_i32 s10, 5
	s_mov_b64 s[8:9], -1
	s_cbranch_scc1 .LBB159_1053
; %bb.1033:
	s_cmp_lt_i32 s10, 8
	s_cbranch_scc1 .LBB159_1043
; %bb.1034:
	s_cmp_lt_i32 s10, 9
	s_cbranch_scc1 .LBB159_1040
; %bb.1035:
	s_cmp_gt_i32 s10, 9
	s_cbranch_scc0 .LBB159_1037
; %bb.1036:
	s_waitcnt vmcnt(0)
	v_bfe_i32 v0, v4, 0, 8
	v_bfe_i32 v0, v0, 0, 16
	v_cvt_f64_i32_e32 v[5:6], v0
	v_mov_b32_e32 v7, 0
	v_mov_b32_e32 v8, v7
	s_mov_b64 s[8:9], 0
	global_store_dwordx4 v[1:2], v[5:8], off
.LBB159_1037:
	s_andn2_b64 vcc, exec, s[8:9]
	s_cbranch_vccnz .LBB159_1039
; %bb.1038:
	s_waitcnt vmcnt(0)
	v_bfe_i32 v0, v4, 0, 8
	v_cvt_f32_i32_sdwa v5, sext(v0) dst_sel:DWORD dst_unused:UNUSED_PAD src0_sel:WORD_0
	v_mov_b32_e32 v6, 0
	global_store_dwordx2 v[1:2], v[5:6], off
.LBB159_1039:
	s_mov_b64 s[8:9], 0
.LBB159_1040:
	s_andn2_b64 vcc, exec, s[8:9]
	s_cbranch_vccnz .LBB159_1042
; %bb.1041:
	s_waitcnt vmcnt(0)
	v_cvt_f16_i16_sdwa v0, sext(v4) dst_sel:DWORD dst_unused:UNUSED_PAD src0_sel:BYTE_0
	global_store_dword v[1:2], v0, off
.LBB159_1042:
	s_mov_b64 s[8:9], 0
.LBB159_1043:
	s_andn2_b64 vcc, exec, s[8:9]
	s_cbranch_vccnz .LBB159_1052
; %bb.1044:
	s_sext_i32_i16 s10, s18
	s_cmp_lt_i32 s10, 6
	s_mov_b64 s[8:9], -1
	s_cbranch_scc1 .LBB159_1050
; %bb.1045:
	s_cmp_gt_i32 s10, 6
	s_cbranch_scc0 .LBB159_1047
; %bb.1046:
	s_waitcnt vmcnt(0)
	v_bfe_i32 v0, v4, 0, 8
	v_bfe_i32 v0, v0, 0, 16
	v_cvt_f64_i32_e32 v[5:6], v0
	s_mov_b64 s[8:9], 0
	global_store_dwordx2 v[1:2], v[5:6], off
.LBB159_1047:
	s_andn2_b64 vcc, exec, s[8:9]
	s_cbranch_vccnz .LBB159_1049
; %bb.1048:
	s_waitcnt vmcnt(0)
	v_bfe_i32 v0, v4, 0, 8
	v_cvt_f32_i32_sdwa v0, sext(v0) dst_sel:DWORD dst_unused:UNUSED_PAD src0_sel:WORD_0
	global_store_dword v[1:2], v0, off
.LBB159_1049:
	s_mov_b64 s[8:9], 0
.LBB159_1050:
	s_andn2_b64 vcc, exec, s[8:9]
	s_cbranch_vccnz .LBB159_1052
; %bb.1051:
	s_waitcnt vmcnt(0)
	v_cvt_f16_i16_sdwa v0, sext(v4) dst_sel:DWORD dst_unused:UNUSED_PAD src0_sel:BYTE_0
	global_store_short v[1:2], v0, off
.LBB159_1052:
	s_mov_b64 s[8:9], 0
.LBB159_1053:
	s_andn2_b64 vcc, exec, s[8:9]
	s_cbranch_vccnz .LBB159_1069
; %bb.1054:
	s_sext_i32_i16 s10, s18
	s_cmp_lt_i32 s10, 2
	s_mov_b64 s[8:9], -1
	s_cbranch_scc1 .LBB159_1064
; %bb.1055:
	s_cmp_lt_i32 s10, 3
	s_cbranch_scc1 .LBB159_1061
; %bb.1056:
	s_cmp_gt_i32 s10, 3
	s_cbranch_scc0 .LBB159_1058
; %bb.1057:
	s_waitcnt vmcnt(0)
	v_bfe_i32 v5, v4, 0, 8
	v_ashrrev_i32_e32 v6, 31, v5
	s_mov_b64 s[8:9], 0
	global_store_dwordx2 v[1:2], v[5:6], off
.LBB159_1058:
	s_andn2_b64 vcc, exec, s[8:9]
	s_cbranch_vccnz .LBB159_1060
; %bb.1059:
	s_waitcnt vmcnt(0)
	v_bfe_i32 v0, v4, 0, 8
	global_store_dword v[1:2], v0, off
.LBB159_1060:
	s_mov_b64 s[8:9], 0
.LBB159_1061:
	s_andn2_b64 vcc, exec, s[8:9]
	s_cbranch_vccnz .LBB159_1063
; %bb.1062:
	s_waitcnt vmcnt(0)
	v_bfe_i32 v0, v4, 0, 8
	global_store_short v[1:2], v0, off
.LBB159_1063:
	s_mov_b64 s[8:9], 0
.LBB159_1064:
	s_andn2_b64 vcc, exec, s[8:9]
	s_cbranch_vccnz .LBB159_1069
; %bb.1065:
	s_sext_i32_i16 s8, s18
	s_cmp_gt_i32 s8, 0
	s_mov_b64 s[8:9], -1
	s_cbranch_scc0 .LBB159_1067
; %bb.1066:
	s_mov_b64 s[8:9], 0
	s_waitcnt vmcnt(0)
	global_store_byte v[1:2], v4, off
.LBB159_1067:
	s_andn2_b64 vcc, exec, s[8:9]
	s_cbranch_vccnz .LBB159_1069
; %bb.1068:
	s_waitcnt vmcnt(0)
	global_store_byte v[1:2], v4, off
.LBB159_1069:
	s_or_b64 exec, exec, s[0:1]
	s_waitcnt lgkmcnt(0)
	s_and_b64 s[28:29], s[2:3], exec
                                        ; implicit-def: $vgpr15
                                        ; implicit-def: $vgpr8
.LBB159_1070:
	s_or_saveexec_b64 s[30:31], s[46:47]
	s_mov_b64 s[0:1], 0
                                        ; implicit-def: $vgpr0_vgpr1
                                        ; implicit-def: $sgpr16
                                        ; implicit-def: $vgpr2
	s_xor_b64 exec, exec, s[30:31]
	s_cbranch_execz .LBB159_2057
; %bb.1071:
	v_cndmask_b32_e64 v0, 0, 1, s[44:45]
	v_cmp_ne_u32_e64 s[0:1], 1, v0
	s_andn2_b64 vcc, exec, s[44:45]
	s_cbranch_vccnz .LBB159_1077
; %bb.1072:
	s_cmp_lg_u32 s33, 0
	s_mov_b32 s36, 0
	s_cbranch_scc0 .LBB159_1078
; %bb.1073:
	s_min_u32 s37, s74, 15
	s_add_i32 s37, s37, 1
	s_cmp_eq_u32 s74, 2
	s_cbranch_scc1 .LBB159_1079
; %bb.1074:
	s_and_b32 s36, s37, 28
	s_add_u32 s2, s34, 0xc4
	s_addc_u32 s3, s35, 0
	v_mov_b32_e32 v13, 0
	s_mov_b32 s38, 0
	s_mov_b64 s[6:7], s[34:35]
	v_mov_b32_e32 v6, 0
	v_mov_b32_e32 v0, v8
.LBB159_1075:                           ; =>This Inner Loop Header: Depth=1
	s_load_dwordx8 s[16:23], s[6:7], 0x4
	s_load_dwordx4 s[24:27], s[6:7], 0x24
	s_load_dwordx8 s[8:15], s[2:3], 0x0
	s_add_u32 s6, s6, 48
	s_addc_u32 s7, s7, 0
	s_waitcnt lgkmcnt(0)
	v_mul_hi_u32 v1, s17, v0
	s_add_i32 s38, s38, 4
	s_add_u32 s2, s2, 32
	s_addc_u32 s3, s3, 0
	v_add_u32_e32 v1, v0, v1
	v_lshrrev_b32_e32 v1, s18, v1
	v_mul_lo_u32 v2, v1, s16
	s_waitcnt vmcnt(0)
	v_mul_hi_u32 v3, s20, v1
	s_cmp_lg_u32 s36, s38
	v_sub_u32_e32 v0, v0, v2
	v_add_u32_e32 v2, v1, v3
	v_mul_lo_u32 v3, v0, s8
	v_mul_lo_u32 v4, v0, s9
	v_lshrrev_b32_e32 v0, s21, v2
	v_mul_lo_u32 v2, v0, s19
	v_mul_hi_u32 v5, s23, v0
	v_sub_u32_e32 v1, v1, v2
	v_add_u32_e32 v2, v0, v5
	v_lshrrev_b32_e32 v2, s24, v2
	v_mul_hi_u32 v7, s26, v2
	v_mul_lo_u32 v9, v2, s22
	v_mul_lo_u32 v5, v1, s10
	;; [unrolled: 1-line block ×3, first 2 shown]
	v_sub_u32_e32 v9, v0, v9
	v_add_u32_e32 v0, v2, v7
	v_lshrrev_b32_e32 v0, s27, v0
	v_mul_lo_u32 v7, v0, s25
	v_mul_lo_u32 v10, v9, s12
	;; [unrolled: 1-line block ×3, first 2 shown]
	v_add3_u32 v3, v3, v6, v5
	v_sub_u32_e32 v2, v2, v7
	v_mul_lo_u32 v7, v2, s14
	v_mul_lo_u32 v2, v2, s15
	v_add3_u32 v1, v4, v13, v1
	v_add3_u32 v6, v10, v3, v7
	;; [unrolled: 1-line block ×3, first 2 shown]
	s_cbranch_scc1 .LBB159_1075
; %bb.1076:
	s_and_b32 s8, s37, 3
	s_cmp_eq_u32 s8, 0
	s_cbranch_scc0 .LBB159_1080
	s_branch .LBB159_1082
.LBB159_1077:
                                        ; implicit-def: $vgpr6
                                        ; implicit-def: $vgpr13
	s_branch .LBB159_1083
.LBB159_1078:
	v_mov_b32_e32 v6, 0
	v_mov_b32_e32 v13, 0
	s_branch .LBB159_1082
.LBB159_1079:
	v_mov_b32_e32 v6, 0
	v_mov_b32_e32 v13, 0
	;; [unrolled: 1-line block ×3, first 2 shown]
	s_and_b32 s8, s37, 3
	s_cmp_eq_u32 s8, 0
	s_cbranch_scc1 .LBB159_1082
.LBB159_1080:
	s_lshl_b32 s2, s36, 3
	s_add_u32 s2, s34, s2
	s_addc_u32 s3, s35, 0
	s_add_u32 s2, s2, 0xc4
	s_addc_u32 s3, s3, 0
	s_mul_i32 s6, s36, 12
	s_add_u32 s6, s34, s6
	s_addc_u32 s7, s35, 0
.LBB159_1081:                           ; =>This Inner Loop Header: Depth=1
	s_load_dwordx2 s[10:11], s[6:7], 0x4
	s_load_dword s9, s[6:7], 0xc
	s_load_dwordx2 s[12:13], s[2:3], 0x0
	s_add_u32 s6, s6, 12
	s_addc_u32 s7, s7, 0
	s_waitcnt lgkmcnt(0)
	v_mul_hi_u32 v1, s11, v0
	s_add_u32 s2, s2, 8
	s_addc_u32 s3, s3, 0
	s_add_i32 s8, s8, -1
	v_add_u32_e32 v1, v0, v1
	v_lshrrev_b32_e32 v1, s9, v1
	v_mul_lo_u32 v2, v1, s10
	s_cmp_lg_u32 s8, 0
	v_sub_u32_e32 v0, v0, v2
	v_mad_u64_u32 v[6:7], s[10:11], v0, s12, v[6:7]
	v_mad_u64_u32 v[13:14], s[10:11], v0, s13, v[13:14]
	v_mov_b32_e32 v0, v1
	s_cbranch_scc1 .LBB159_1081
.LBB159_1082:
	s_cbranch_execnz .LBB159_1085
.LBB159_1083:
	s_load_dwordx4 s[8:11], s[34:35], 0x4
	s_load_dwordx2 s[2:3], s[34:35], 0xc4
	s_cmp_lt_u32 s33, 2
	s_waitcnt lgkmcnt(0)
	v_mul_hi_u32 v0, s9, v8
	v_add_u32_e32 v0, v8, v0
	v_lshrrev_b32_e32 v0, s10, v0
	v_mul_lo_u32 v1, v0, s8
	v_sub_u32_e32 v1, v8, v1
	v_mul_lo_u32 v6, v1, s2
	v_mul_lo_u32 v13, v1, s3
	s_cbranch_scc1 .LBB159_1085
; %bb.1084:
	s_load_dwordx4 s[8:11], s[34:35], 0x10
	s_load_dwordx2 s[2:3], s[34:35], 0xcc
	s_waitcnt lgkmcnt(0)
	v_mul_hi_u32 v1, s9, v0
	v_add_u32_e32 v1, v0, v1
	v_lshrrev_b32_e32 v1, s10, v1
	v_mul_lo_u32 v1, v1, s8
	v_sub_u32_e32 v0, v0, v1
	v_mad_u64_u32 v[6:7], s[6:7], v0, s2, v[6:7]
	v_mad_u64_u32 v[13:14], s[2:3], v0, s3, v[13:14]
.LBB159_1085:
	s_and_b64 vcc, exec, s[0:1]
	v_add_u32_e32 v0, 0x80, v8
	s_cbranch_vccnz .LBB159_1091
; %bb.1086:
	s_cmp_lg_u32 s33, 0
	s_mov_b32 s36, 0
	s_cbranch_scc0 .LBB159_1092
; %bb.1087:
	s_min_u32 s37, s74, 15
	s_add_i32 s37, s37, 1
	s_cmp_eq_u32 s74, 2
	s_cbranch_scc1 .LBB159_1093
; %bb.1088:
	s_and_b32 s36, s37, 28
	s_add_u32 s2, s34, 0xc4
	s_addc_u32 s3, s35, 0
	v_mov_b32_e32 v11, 0
	s_mov_b32 s38, 0
	s_mov_b64 s[6:7], s[34:35]
	s_waitcnt vmcnt(0)
	v_mov_b32_e32 v4, 0
	v_mov_b32_e32 v1, v0
.LBB159_1089:                           ; =>This Inner Loop Header: Depth=1
	s_load_dwordx8 s[16:23], s[6:7], 0x4
	s_load_dwordx4 s[24:27], s[6:7], 0x24
	s_load_dwordx8 s[8:15], s[2:3], 0x0
	s_add_u32 s6, s6, 48
	s_addc_u32 s7, s7, 0
	s_waitcnt lgkmcnt(0)
	v_mul_hi_u32 v2, s17, v1
	s_add_i32 s38, s38, 4
	s_add_u32 s2, s2, 32
	s_addc_u32 s3, s3, 0
	v_add_u32_e32 v2, v1, v2
	v_lshrrev_b32_e32 v2, s18, v2
	v_mul_lo_u32 v3, v2, s16
	v_mul_hi_u32 v5, s20, v2
	s_cmp_lg_u32 s36, s38
	v_sub_u32_e32 v1, v1, v3
	v_add_u32_e32 v3, v2, v5
	v_mul_lo_u32 v5, v1, s8
	v_mul_lo_u32 v7, v1, s9
	v_lshrrev_b32_e32 v1, s21, v3
	v_mul_lo_u32 v3, v1, s19
	v_mul_hi_u32 v9, s23, v1
	v_sub_u32_e32 v2, v2, v3
	v_add_u32_e32 v3, v1, v9
	v_lshrrev_b32_e32 v3, s24, v3
	v_mul_hi_u32 v10, s26, v3
	v_mul_lo_u32 v12, v3, s22
	v_mul_lo_u32 v9, v2, s10
	;; [unrolled: 1-line block ×3, first 2 shown]
	v_sub_u32_e32 v12, v1, v12
	v_add_u32_e32 v1, v3, v10
	v_lshrrev_b32_e32 v1, s27, v1
	v_mul_lo_u32 v10, v1, s25
	v_mul_lo_u32 v14, v12, s12
	;; [unrolled: 1-line block ×3, first 2 shown]
	v_add3_u32 v4, v5, v4, v9
	v_sub_u32_e32 v3, v3, v10
	v_mul_lo_u32 v10, v3, s14
	v_mul_lo_u32 v3, v3, s15
	v_add3_u32 v2, v7, v11, v2
	v_add3_u32 v4, v14, v4, v10
	;; [unrolled: 1-line block ×3, first 2 shown]
	s_cbranch_scc1 .LBB159_1089
; %bb.1090:
	s_and_b32 s8, s37, 3
	s_cmp_eq_u32 s8, 0
	s_cbranch_scc0 .LBB159_1094
	s_branch .LBB159_1096
.LBB159_1091:
                                        ; implicit-def: $vgpr4
                                        ; implicit-def: $vgpr11
	s_branch .LBB159_1097
.LBB159_1092:
	s_waitcnt vmcnt(0)
	v_mov_b32_e32 v4, 0
	v_mov_b32_e32 v11, 0
	s_branch .LBB159_1096
.LBB159_1093:
	s_waitcnt vmcnt(0)
	v_mov_b32_e32 v4, 0
	v_mov_b32_e32 v11, 0
	;; [unrolled: 1-line block ×3, first 2 shown]
	s_and_b32 s8, s37, 3
	s_cmp_eq_u32 s8, 0
	s_cbranch_scc1 .LBB159_1096
.LBB159_1094:
	s_lshl_b32 s2, s36, 3
	s_add_u32 s2, s34, s2
	s_addc_u32 s3, s35, 0
	s_add_u32 s2, s2, 0xc4
	s_addc_u32 s3, s3, 0
	s_mul_i32 s6, s36, 12
	s_add_u32 s6, s34, s6
	s_addc_u32 s7, s35, 0
.LBB159_1095:                           ; =>This Inner Loop Header: Depth=1
	s_load_dwordx2 s[10:11], s[6:7], 0x4
	s_load_dword s9, s[6:7], 0xc
	s_load_dwordx2 s[12:13], s[2:3], 0x0
	s_add_u32 s6, s6, 12
	s_addc_u32 s7, s7, 0
	s_waitcnt lgkmcnt(0)
	v_mul_hi_u32 v2, s11, v1
	s_add_u32 s2, s2, 8
	s_addc_u32 s3, s3, 0
	s_add_i32 s8, s8, -1
	v_add_u32_e32 v2, v1, v2
	v_lshrrev_b32_e32 v2, s9, v2
	v_mul_lo_u32 v3, v2, s10
	s_cmp_lg_u32 s8, 0
	v_sub_u32_e32 v1, v1, v3
	v_mad_u64_u32 v[4:5], s[10:11], v1, s12, v[4:5]
	v_mad_u64_u32 v[11:12], s[10:11], v1, s13, v[11:12]
	v_mov_b32_e32 v1, v2
	s_cbranch_scc1 .LBB159_1095
.LBB159_1096:
	s_cbranch_execnz .LBB159_1099
.LBB159_1097:
	s_load_dwordx4 s[8:11], s[34:35], 0x4
	s_load_dwordx2 s[2:3], s[34:35], 0xc4
	s_cmp_lt_u32 s33, 2
	s_waitcnt lgkmcnt(0)
	v_mul_hi_u32 v1, s9, v0
	v_add_u32_e32 v1, v0, v1
	v_lshrrev_b32_e32 v1, s10, v1
	v_mul_lo_u32 v2, v1, s8
	v_sub_u32_e32 v0, v0, v2
	s_waitcnt vmcnt(0)
	v_mul_lo_u32 v4, v0, s2
	v_mul_lo_u32 v11, v0, s3
	s_cbranch_scc1 .LBB159_1099
; %bb.1098:
	s_load_dwordx4 s[8:11], s[34:35], 0x10
	s_load_dwordx2 s[2:3], s[34:35], 0xcc
	s_waitcnt lgkmcnt(0)
	v_mul_hi_u32 v0, s9, v1
	v_add_u32_e32 v0, v1, v0
	v_lshrrev_b32_e32 v0, s10, v0
	v_mul_lo_u32 v0, v0, s8
	v_sub_u32_e32 v0, v1, v0
	v_mad_u64_u32 v[4:5], s[6:7], v0, s2, v[4:5]
	v_mad_u64_u32 v[11:12], s[2:3], v0, s3, v[11:12]
.LBB159_1099:
	s_and_b64 vcc, exec, s[0:1]
	v_add_u32_e32 v0, 0x100, v8
	s_cbranch_vccnz .LBB159_1105
; %bb.1100:
	s_cmp_lg_u32 s33, 0
	s_mov_b32 s36, 0
	s_cbranch_scc0 .LBB159_1106
; %bb.1101:
	s_min_u32 s37, s74, 15
	s_add_i32 s37, s37, 1
	s_cmp_eq_u32 s74, 2
	s_cbranch_scc1 .LBB159_1107
; %bb.1102:
	s_and_b32 s36, s37, 28
	s_add_u32 s2, s34, 0xc4
	s_addc_u32 s3, s35, 0
	v_mov_b32_e32 v9, 0
	s_mov_b32 s38, 0
	s_mov_b64 s[6:7], s[34:35]
	v_mov_b32_e32 v2, 0
	v_mov_b32_e32 v1, v0
.LBB159_1103:                           ; =>This Inner Loop Header: Depth=1
	s_load_dwordx8 s[16:23], s[6:7], 0x4
	s_load_dwordx4 s[24:27], s[6:7], 0x24
	s_load_dwordx8 s[8:15], s[2:3], 0x0
	s_add_u32 s6, s6, 48
	s_addc_u32 s7, s7, 0
	s_waitcnt vmcnt(0) lgkmcnt(0)
	v_mul_hi_u32 v3, s17, v1
	s_add_i32 s38, s38, 4
	s_add_u32 s2, s2, 32
	s_addc_u32 s3, s3, 0
	v_add_u32_e32 v3, v1, v3
	v_lshrrev_b32_e32 v3, s18, v3
	v_mul_lo_u32 v5, v3, s16
	v_mul_hi_u32 v7, s20, v3
	s_cmp_lg_u32 s36, s38
	v_sub_u32_e32 v1, v1, v5
	v_add_u32_e32 v5, v3, v7
	v_mul_lo_u32 v7, v1, s8
	v_mul_lo_u32 v8, v1, s9
	v_lshrrev_b32_e32 v1, s21, v5
	v_mul_lo_u32 v5, v1, s19
	v_mul_hi_u32 v10, s23, v1
	v_sub_u32_e32 v3, v3, v5
	v_add_u32_e32 v5, v1, v10
	v_lshrrev_b32_e32 v5, s24, v5
	v_mul_hi_u32 v12, s26, v5
	v_mul_lo_u32 v14, v5, s22
	v_mul_lo_u32 v10, v3, s10
	;; [unrolled: 1-line block ×3, first 2 shown]
	v_sub_u32_e32 v14, v1, v14
	v_add_u32_e32 v1, v5, v12
	v_lshrrev_b32_e32 v1, s27, v1
	v_mul_lo_u32 v12, v1, s25
	v_mul_lo_u32 v16, v14, s12
	;; [unrolled: 1-line block ×3, first 2 shown]
	v_add3_u32 v2, v7, v2, v10
	v_sub_u32_e32 v5, v5, v12
	v_mul_lo_u32 v12, v5, s14
	v_mul_lo_u32 v5, v5, s15
	v_add3_u32 v3, v8, v9, v3
	v_add3_u32 v2, v16, v2, v12
	;; [unrolled: 1-line block ×3, first 2 shown]
	s_cbranch_scc1 .LBB159_1103
; %bb.1104:
	s_and_b32 s8, s37, 3
	s_cmp_eq_u32 s8, 0
	s_cbranch_scc0 .LBB159_1108
	s_branch .LBB159_1110
.LBB159_1105:
                                        ; implicit-def: $vgpr2
                                        ; implicit-def: $vgpr9
	s_branch .LBB159_1111
.LBB159_1106:
	v_mov_b32_e32 v2, 0
	v_mov_b32_e32 v9, 0
	s_branch .LBB159_1110
.LBB159_1107:
	v_mov_b32_e32 v2, 0
	v_mov_b32_e32 v9, 0
	;; [unrolled: 1-line block ×3, first 2 shown]
	s_and_b32 s8, s37, 3
	s_cmp_eq_u32 s8, 0
	s_cbranch_scc1 .LBB159_1110
.LBB159_1108:
	s_lshl_b32 s2, s36, 3
	s_add_u32 s2, s34, s2
	s_addc_u32 s3, s35, 0
	s_add_u32 s2, s2, 0xc4
	s_addc_u32 s3, s3, 0
	s_mul_i32 s6, s36, 12
	s_add_u32 s6, s34, s6
	s_addc_u32 s7, s35, 0
.LBB159_1109:                           ; =>This Inner Loop Header: Depth=1
	s_load_dwordx2 s[10:11], s[6:7], 0x4
	s_load_dword s9, s[6:7], 0xc
	s_load_dwordx2 s[12:13], s[2:3], 0x0
	s_add_u32 s6, s6, 12
	s_addc_u32 s7, s7, 0
	s_waitcnt vmcnt(0) lgkmcnt(0)
	v_mul_hi_u32 v3, s11, v1
	s_add_u32 s2, s2, 8
	s_addc_u32 s3, s3, 0
	s_add_i32 s8, s8, -1
	v_add_u32_e32 v3, v1, v3
	v_lshrrev_b32_e32 v5, s9, v3
	v_mul_lo_u32 v3, v5, s10
	s_cmp_lg_u32 s8, 0
	v_sub_u32_e32 v1, v1, v3
	v_mad_u64_u32 v[2:3], s[10:11], v1, s12, v[2:3]
	v_mad_u64_u32 v[9:10], s[10:11], v1, s13, v[9:10]
	v_mov_b32_e32 v1, v5
	s_cbranch_scc1 .LBB159_1109
.LBB159_1110:
	s_cbranch_execnz .LBB159_1113
.LBB159_1111:
	s_load_dwordx4 s[8:11], s[34:35], 0x4
	s_load_dwordx2 s[2:3], s[34:35], 0xc4
	s_cmp_lt_u32 s33, 2
	s_waitcnt lgkmcnt(0)
	v_mul_hi_u32 v1, s9, v0
	v_add_u32_e32 v1, v0, v1
	v_lshrrev_b32_e32 v1, s10, v1
	v_mul_lo_u32 v2, v1, s8
	v_sub_u32_e32 v0, v0, v2
	v_mul_lo_u32 v2, v0, s2
	v_mul_lo_u32 v9, v0, s3
	s_cbranch_scc1 .LBB159_1113
; %bb.1112:
	s_load_dwordx4 s[8:11], s[34:35], 0x10
	s_load_dwordx2 s[2:3], s[34:35], 0xcc
	s_waitcnt lgkmcnt(0)
	v_mul_hi_u32 v0, s9, v1
	v_add_u32_e32 v0, v1, v0
	v_lshrrev_b32_e32 v0, s10, v0
	v_mul_lo_u32 v0, v0, s8
	v_sub_u32_e32 v0, v1, v0
	s_waitcnt vmcnt(0)
	v_mad_u64_u32 v[2:3], s[6:7], v0, s2, v[2:3]
	v_mad_u64_u32 v[9:10], s[2:3], v0, s3, v[9:10]
.LBB159_1113:
	s_and_b64 vcc, exec, s[0:1]
	s_cbranch_vccnz .LBB159_1119
; %bb.1114:
	s_cmp_lg_u32 s33, 0
	s_mov_b32 s26, 0
	s_cbranch_scc0 .LBB159_1120
; %bb.1115:
	s_min_u32 s27, s74, 15
	s_add_i32 s27, s27, 1
	s_cmp_eq_u32 s74, 2
	s_cbranch_scc1 .LBB159_1121
; %bb.1116:
	s_and_b32 s26, s27, 28
	s_add_u32 s6, s34, 0xc4
	s_addc_u32 s7, s35, 0
	v_mov_b32_e32 v7, 0
	s_mov_b32 s36, 0
	s_mov_b64 s[24:25], s[34:35]
	v_mov_b32_e32 v0, 0
	v_mov_b32_e32 v1, v15
.LBB159_1117:                           ; =>This Inner Loop Header: Depth=1
	s_load_dwordx8 s[16:23], s[24:25], 0x4
	s_load_dwordx4 s[0:3], s[24:25], 0x24
	s_load_dwordx8 s[8:15], s[6:7], 0x0
	s_add_u32 s24, s24, 48
	s_addc_u32 s25, s25, 0
	s_waitcnt vmcnt(0) lgkmcnt(0)
	v_mul_hi_u32 v3, s17, v1
	s_add_i32 s36, s36, 4
	s_add_u32 s6, s6, 32
	s_addc_u32 s7, s7, 0
	v_add_u32_e32 v3, v1, v3
	v_lshrrev_b32_e32 v3, s18, v3
	v_mul_lo_u32 v5, v3, s16
	v_mul_hi_u32 v8, s20, v3
	s_cmp_lg_u32 s26, s36
	v_sub_u32_e32 v1, v1, v5
	v_add_u32_e32 v5, v3, v8
	v_mul_lo_u32 v8, v1, s8
	v_mul_lo_u32 v10, v1, s9
	v_lshrrev_b32_e32 v1, s21, v5
	v_mul_lo_u32 v5, v1, s19
	v_mul_hi_u32 v12, s23, v1
	v_sub_u32_e32 v3, v3, v5
	v_add_u32_e32 v5, v1, v12
	v_lshrrev_b32_e32 v5, s0, v5
	v_mul_hi_u32 v14, s2, v5
	v_mul_lo_u32 v16, v5, s22
	v_mul_lo_u32 v12, v3, s10
	;; [unrolled: 1-line block ×3, first 2 shown]
	v_sub_u32_e32 v16, v1, v16
	v_add_u32_e32 v1, v5, v14
	v_lshrrev_b32_e32 v1, s3, v1
	v_mul_lo_u32 v14, v1, s1
	v_mul_lo_u32 v17, v16, s12
	;; [unrolled: 1-line block ×3, first 2 shown]
	v_add3_u32 v0, v8, v0, v12
	v_sub_u32_e32 v5, v5, v14
	v_mul_lo_u32 v14, v5, s14
	v_mul_lo_u32 v5, v5, s15
	v_add3_u32 v3, v10, v7, v3
	v_add3_u32 v0, v17, v0, v14
	;; [unrolled: 1-line block ×3, first 2 shown]
	s_cbranch_scc1 .LBB159_1117
; %bb.1118:
	s_and_b32 s6, s27, 3
	s_cmp_eq_u32 s6, 0
	s_cbranch_scc0 .LBB159_1122
	s_branch .LBB159_1124
.LBB159_1119:
                                        ; implicit-def: $vgpr0
                                        ; implicit-def: $vgpr7
	s_branch .LBB159_1125
.LBB159_1120:
	v_mov_b32_e32 v0, 0
	v_mov_b32_e32 v7, 0
	s_branch .LBB159_1124
.LBB159_1121:
	v_mov_b32_e32 v0, 0
	v_mov_b32_e32 v7, 0
	;; [unrolled: 1-line block ×3, first 2 shown]
	s_and_b32 s6, s27, 3
	s_cmp_eq_u32 s6, 0
	s_cbranch_scc1 .LBB159_1124
.LBB159_1122:
	s_lshl_b32 s0, s26, 3
	s_add_u32 s0, s34, s0
	s_addc_u32 s1, s35, 0
	s_add_u32 s0, s0, 0xc4
	s_addc_u32 s1, s1, 0
	s_mul_i32 s2, s26, 12
	s_add_u32 s2, s34, s2
	s_addc_u32 s3, s35, 0
.LBB159_1123:                           ; =>This Inner Loop Header: Depth=1
	s_load_dwordx2 s[8:9], s[2:3], 0x4
	s_load_dword s7, s[2:3], 0xc
	s_load_dwordx2 s[10:11], s[0:1], 0x0
	s_add_u32 s2, s2, 12
	s_addc_u32 s3, s3, 0
	s_waitcnt vmcnt(0) lgkmcnt(0)
	v_mul_hi_u32 v3, s9, v1
	s_add_u32 s0, s0, 8
	s_addc_u32 s1, s1, 0
	s_add_i32 s6, s6, -1
	v_add_u32_e32 v3, v1, v3
	v_lshrrev_b32_e32 v3, s7, v3
	v_mul_lo_u32 v5, v3, s8
	s_cmp_lg_u32 s6, 0
	v_sub_u32_e32 v5, v1, v5
	v_mad_u64_u32 v[0:1], s[8:9], v5, s10, v[0:1]
	v_mad_u64_u32 v[7:8], s[8:9], v5, s11, v[7:8]
	v_mov_b32_e32 v1, v3
	s_cbranch_scc1 .LBB159_1123
.LBB159_1124:
	s_cbranch_execnz .LBB159_1127
.LBB159_1125:
	s_load_dwordx4 s[0:3], s[34:35], 0x4
	s_load_dwordx2 s[6:7], s[34:35], 0xc4
	s_cmp_lt_u32 s33, 2
	s_waitcnt lgkmcnt(0)
	v_mul_hi_u32 v0, s1, v15
	v_add_u32_e32 v0, v15, v0
	v_lshrrev_b32_e32 v1, s2, v0
	v_mul_lo_u32 v0, v1, s0
	s_waitcnt vmcnt(0)
	v_sub_u32_e32 v3, v15, v0
	v_mul_lo_u32 v0, v3, s6
	v_mul_lo_u32 v7, v3, s7
	s_cbranch_scc1 .LBB159_1127
; %bb.1126:
	s_load_dwordx4 s[0:3], s[34:35], 0x10
	s_load_dwordx2 s[6:7], s[34:35], 0xcc
	s_waitcnt lgkmcnt(0)
	v_mul_hi_u32 v3, s1, v1
	v_add_u32_e32 v3, v1, v3
	v_lshrrev_b32_e32 v3, s2, v3
	v_mul_lo_u32 v3, v3, s0
	v_sub_u32_e32 v3, v1, v3
	v_mad_u64_u32 v[0:1], s[0:1], v3, s6, v[0:1]
	v_mad_u64_u32 v[7:8], s[0:1], v3, s7, v[7:8]
.LBB159_1127:
	s_load_dword s16, s[4:5], 0x160
	s_load_dwordx4 s[8:11], s[34:35], 0x148
	s_waitcnt lgkmcnt(0)
	s_lshr_b32 s12, s16, 24
	v_mov_b32_e32 v1, s11
	v_add_co_u32_e32 v15, vcc, s10, v13
	s_cmp_lt_i32 s12, 11
	v_addc_co_u32_e32 v16, vcc, 0, v1, vcc
	s_cbranch_scc1 .LBB159_1134
; %bb.1128:
	s_and_b32 s13, 0xffff, s12
	s_cmp_gt_i32 s13, 25
	s_mov_b64 s[2:3], 0
	s_cbranch_scc0 .LBB159_1136
; %bb.1129:
	s_cmp_gt_i32 s13, 28
	s_cbranch_scc0 .LBB159_1137
; %bb.1130:
	s_cmp_gt_i32 s13, 43
	s_cbranch_scc0 .LBB159_1138
; %bb.1131:
	s_cmp_gt_i32 s13, 45
	s_cbranch_scc0 .LBB159_1139
; %bb.1132:
	s_cmp_eq_u32 s13, 46
	s_mov_b64 s[4:5], 0
	s_cbranch_scc0 .LBB159_1142
; %bb.1133:
	global_load_dword v1, v[15:16], off
	s_mov_b64 s[0:1], 0
	s_mov_b64 s[6:7], -1
	s_waitcnt vmcnt(0)
	v_lshlrev_b32_e32 v1, 16, v1
	v_cvt_i32_f32_e32 v13, v1
	s_branch .LBB159_1143
.LBB159_1134:
	s_mov_b64 s[6:7], 0
                                        ; implicit-def: $vgpr13
	s_mov_b64 s[4:5], s[28:29]
	s_cbranch_execnz .LBB159_1201
.LBB159_1135:
	s_andn2_b64 vcc, exec, s[6:7]
	s_cbranch_vccz .LBB159_1246
	s_branch .LBB159_2055
.LBB159_1136:
	s_mov_b64 s[6:7], 0
	s_mov_b64 s[0:1], 0
                                        ; implicit-def: $vgpr13
	s_cbranch_execnz .LBB159_1168
	s_branch .LBB159_1197
.LBB159_1137:
	s_mov_b64 s[6:7], 0
	s_mov_b64 s[0:1], 0
                                        ; implicit-def: $vgpr13
	s_cbranch_execz .LBB159_1167
	s_branch .LBB159_1152
.LBB159_1138:
	s_mov_b64 s[6:7], 0
	s_mov_b64 s[0:1], 0
                                        ; implicit-def: $vgpr13
	s_cbranch_execnz .LBB159_1148
	s_branch .LBB159_1151
.LBB159_1139:
	s_mov_b64 s[4:5], -1
	s_mov_b64 s[6:7], 0
	s_mov_b64 s[0:1], 0
                                        ; implicit-def: $vgpr13
	s_branch .LBB159_1143
.LBB159_1140:
	s_andn2_saveexec_b64 s[14:15], s[14:15]
	s_cbranch_execz .LBB159_983
.LBB159_1141:
	s_mov_b32 s16, 0x46000000
	v_add_f32_e64 v3, |v0|, s16
	v_and_b32_e32 v3, 0xff, v3
	v_cmp_ne_u32_e32 vcc, 0, v3
	s_andn2_b64 s[12:13], s[12:13], exec
	s_and_b64 s[16:17], vcc, exec
	s_or_b64 s[12:13], s[12:13], s[16:17]
	s_or_b64 exec, exec, s[14:15]
	v_mov_b32_e32 v5, 0
	s_and_saveexec_b64 s[14:15], s[12:13]
	s_cbranch_execnz .LBB159_984
	s_branch .LBB159_985
.LBB159_1142:
	s_mov_b64 s[0:1], -1
                                        ; implicit-def: $vgpr13
	s_mov_b64 s[6:7], 0
.LBB159_1143:
	s_and_b64 vcc, exec, s[4:5]
	s_cbranch_vccz .LBB159_1146
; %bb.1144:
	s_cmp_eq_u32 s13, 44
	s_cbranch_scc0 .LBB159_1147
; %bb.1145:
	global_load_ubyte v1, v[15:16], off
	s_mov_b64 s[0:1], 0
	s_mov_b64 s[6:7], -1
	s_waitcnt vmcnt(0)
	v_lshlrev_b32_e32 v3, 23, v1
	v_cvt_i32_f32_e32 v3, v3
	v_cmp_ne_u32_e32 vcc, 0, v1
	v_cndmask_b32_e32 v13, 0, v3, vcc
.LBB159_1146:
	s_branch .LBB159_1151
.LBB159_1147:
	s_mov_b64 s[0:1], -1
                                        ; implicit-def: $vgpr13
	s_branch .LBB159_1151
.LBB159_1148:
	s_cmp_eq_u32 s13, 29
	s_cbranch_scc0 .LBB159_1150
; %bb.1149:
	global_load_dwordx2 v[13:14], v[15:16], off
	s_mov_b64 s[0:1], 0
	s_mov_b64 s[6:7], -1
	s_branch .LBB159_1151
.LBB159_1150:
	s_mov_b64 s[0:1], -1
                                        ; implicit-def: $vgpr13
.LBB159_1151:
	s_branch .LBB159_1167
.LBB159_1152:
	s_cmp_lt_i32 s13, 27
	s_cbranch_scc1 .LBB159_1155
; %bb.1153:
	s_cmp_gt_i32 s13, 27
	s_cbranch_scc0 .LBB159_1156
; %bb.1154:
	global_load_dword v13, v[15:16], off
	s_mov_b64 s[4:5], 0
	s_branch .LBB159_1157
.LBB159_1155:
	s_mov_b64 s[4:5], -1
                                        ; implicit-def: $vgpr13
	s_branch .LBB159_1160
.LBB159_1156:
	s_mov_b64 s[4:5], -1
                                        ; implicit-def: $vgpr13
.LBB159_1157:
	s_andn2_b64 vcc, exec, s[4:5]
	s_cbranch_vccnz .LBB159_1159
; %bb.1158:
	global_load_ushort v13, v[15:16], off
.LBB159_1159:
	s_mov_b64 s[4:5], 0
.LBB159_1160:
	s_andn2_b64 vcc, exec, s[4:5]
	s_cbranch_vccnz .LBB159_1166
; %bb.1161:
	global_load_ubyte v1, v[15:16], off
	s_movk_i32 s4, 0x7f
	s_mov_b64 s[6:7], 0
	s_waitcnt vmcnt(0)
	v_cmp_lt_i16_e32 vcc, s4, v1
	s_and_saveexec_b64 s[4:5], vcc
	s_xor_b64 s[4:5], exec, s[4:5]
	s_cbranch_execz .LBB159_1177
; %bb.1162:
	s_movk_i32 s6, 0x80
	v_cmp_ne_u16_e32 vcc, s6, v1
	s_and_b64 s[6:7], vcc, exec
	s_andn2_saveexec_b64 s[4:5], s[4:5]
	s_cbranch_execnz .LBB159_1178
.LBB159_1163:
	s_or_b64 exec, exec, s[4:5]
	v_mov_b32_e32 v13, 0
	s_and_saveexec_b64 s[4:5], s[6:7]
	s_cbranch_execz .LBB159_1165
.LBB159_1164:
	v_lshlrev_b32_e32 v3, 24, v1
	v_and_b32_e32 v1, 0xffff, v1
	v_and_b32_e32 v5, 7, v1
	v_ffbh_u32_e32 v10, v5
	v_min_u32_e32 v10, 32, v10
	v_subrev_u32_e32 v12, 28, v10
	v_bfe_u32 v8, v1, 3, 4
	v_lshlrev_b32_e32 v1, v12, v1
	v_sub_u32_e32 v10, 29, v10
	v_and_b32_e32 v1, 7, v1
	v_cmp_eq_u32_e32 vcc, 0, v8
	v_cndmask_b32_e32 v8, v8, v10, vcc
	v_cndmask_b32_e32 v1, v5, v1, vcc
	v_mov_b32_e32 v5, 0x3b800000
	v_lshlrev_b32_e32 v1, 20, v1
	v_and_b32_e32 v3, 0x80000000, v3
	v_lshl_add_u32 v5, v8, 23, v5
	v_or3_b32 v1, v3, v5, v1
	v_cvt_i32_f32_e32 v13, v1
.LBB159_1165:
	s_or_b64 exec, exec, s[4:5]
.LBB159_1166:
	s_mov_b64 s[6:7], -1
.LBB159_1167:
	s_branch .LBB159_1197
.LBB159_1168:
	s_cmp_gt_i32 s13, 22
	s_cbranch_scc0 .LBB159_1176
; %bb.1169:
	s_cmp_lt_i32 s13, 24
	s_cbranch_scc1 .LBB159_1179
; %bb.1170:
	s_cmp_gt_i32 s13, 24
	s_cbranch_scc0 .LBB159_1180
; %bb.1171:
	global_load_ubyte v1, v[15:16], off
	s_movk_i32 s2, 0x7f
	s_mov_b64 s[4:5], 0
	s_waitcnt vmcnt(0)
	v_cmp_lt_i16_e32 vcc, s2, v1
	s_and_saveexec_b64 s[2:3], vcc
	s_xor_b64 s[2:3], exec, s[2:3]
	s_cbranch_execz .LBB159_1191
; %bb.1172:
	s_movk_i32 s4, 0x80
	v_cmp_ne_u16_e32 vcc, s4, v1
	s_and_b64 s[4:5], vcc, exec
	s_andn2_saveexec_b64 s[2:3], s[2:3]
	s_cbranch_execnz .LBB159_1192
.LBB159_1173:
	s_or_b64 exec, exec, s[2:3]
	v_mov_b32_e32 v13, 0
	s_and_saveexec_b64 s[2:3], s[4:5]
	s_cbranch_execz .LBB159_1175
.LBB159_1174:
	v_lshlrev_b32_e32 v3, 24, v1
	v_and_b32_e32 v1, 0xffff, v1
	v_and_b32_e32 v5, 3, v1
	v_ffbh_u32_e32 v10, v5
	v_min_u32_e32 v10, 32, v10
	v_subrev_u32_e32 v12, 29, v10
	v_bfe_u32 v8, v1, 2, 5
	v_lshlrev_b32_e32 v1, v12, v1
	v_sub_u32_e32 v10, 30, v10
	v_and_b32_e32 v1, 3, v1
	v_cmp_eq_u32_e32 vcc, 0, v8
	v_cndmask_b32_e32 v8, v8, v10, vcc
	v_cndmask_b32_e32 v1, v5, v1, vcc
	v_mov_b32_e32 v5, 0x37800000
	v_lshlrev_b32_e32 v1, 21, v1
	v_and_b32_e32 v3, 0x80000000, v3
	v_lshl_add_u32 v5, v8, 23, v5
	v_or3_b32 v1, v3, v5, v1
	v_cvt_i32_f32_e32 v13, v1
.LBB159_1175:
	s_or_b64 exec, exec, s[2:3]
	s_mov_b64 s[2:3], 0
	s_branch .LBB159_1181
.LBB159_1176:
                                        ; implicit-def: $vgpr13
	s_mov_b64 s[2:3], 0
	s_branch .LBB159_1187
.LBB159_1177:
	s_andn2_saveexec_b64 s[4:5], s[4:5]
	s_cbranch_execz .LBB159_1163
.LBB159_1178:
	v_cmp_ne_u16_e32 vcc, 0, v1
	s_andn2_b64 s[6:7], s[6:7], exec
	s_and_b64 s[14:15], vcc, exec
	s_or_b64 s[6:7], s[6:7], s[14:15]
	s_or_b64 exec, exec, s[4:5]
	v_mov_b32_e32 v13, 0
	s_and_saveexec_b64 s[4:5], s[6:7]
	s_cbranch_execnz .LBB159_1164
	s_branch .LBB159_1165
.LBB159_1179:
	s_mov_b64 s[2:3], -1
                                        ; implicit-def: $vgpr13
	s_branch .LBB159_1184
.LBB159_1180:
	s_mov_b64 s[2:3], -1
                                        ; implicit-def: $vgpr13
.LBB159_1181:
	s_and_b64 vcc, exec, s[2:3]
	s_cbranch_vccz .LBB159_1183
; %bb.1182:
	global_load_ubyte v1, v[15:16], off
	s_mov_b32 s2, 0x7f800000
	s_waitcnt vmcnt(0)
	v_lshlrev_b32_e32 v1, 24, v1
	v_and_b32_e32 v3, 0x7f000000, v1
	v_ffbh_u32_e32 v5, v3
	v_min_u32_e32 v5, 32, v5
	v_sub_u32_e64 v5, v5, 4 clamp
	v_lshlrev_b32_e32 v10, v5, v3
	v_lshlrev_b32_e32 v5, 23, v5
	v_lshrrev_b32_e32 v10, 4, v10
	v_add_u32_e32 v8, 0x1000000, v3
	v_sub_u32_e32 v5, v10, v5
	v_ashrrev_i32_e32 v8, 8, v8
	v_add_u32_e32 v5, 0x3c000000, v5
	v_and_or_b32 v5, v8, s2, v5
	v_cmp_ne_u32_e32 vcc, 0, v3
	v_cndmask_b32_e32 v3, 0, v5, vcc
	s_brev_b32 s2, 1
	v_and_or_b32 v1, v1, s2, v3
	v_cvt_i32_f32_e32 v13, v1
.LBB159_1183:
	s_mov_b64 s[2:3], 0
.LBB159_1184:
	s_andn2_b64 vcc, exec, s[2:3]
	s_cbranch_vccnz .LBB159_1186
; %bb.1185:
	global_load_ubyte v1, v[15:16], off
	s_movk_i32 s2, 0x7f00
	s_brev_b32 s3, 16
	s_waitcnt vmcnt(0)
	v_lshlrev_b16_e32 v3, 8, v1
	v_lshlrev_b32_e32 v1, 25, v1
	v_lshrrev_b32_e32 v5, 4, v1
	v_and_or_b32 v8, v3, s2, 0.5
	v_or_b32_e32 v5, 0x70000000, v5
	v_add_f32_e32 v8, -0.5, v8
	v_mul_f32_e32 v5, 0x7800000, v5
	v_cmp_gt_u32_e32 vcc, s3, v1
	v_bfe_i32 v3, v3, 0, 16
	v_cndmask_b32_e32 v1, v5, v8, vcc
	s_brev_b32 s2, 1
	v_and_or_b32 v1, v3, s2, v1
	v_cvt_i32_f32_e32 v13, v1
.LBB159_1186:
	s_mov_b64 s[6:7], -1
	s_mov_b64 s[2:3], 0
	s_cbranch_execnz .LBB159_1197
.LBB159_1187:
	s_cmp_gt_i32 s13, 14
	s_cbranch_scc0 .LBB159_1190
; %bb.1188:
	s_cmp_eq_u32 s13, 15
	s_cbranch_scc0 .LBB159_1193
; %bb.1189:
	global_load_ushort v1, v[15:16], off
	s_mov_b64 s[0:1], 0
	s_mov_b64 s[6:7], -1
	s_waitcnt vmcnt(0)
	v_lshlrev_b32_e32 v1, 16, v1
	v_cvt_i32_f32_e32 v13, v1
	s_branch .LBB159_1194
.LBB159_1190:
	s_mov_b64 s[4:5], -1
                                        ; implicit-def: $vgpr13
	s_branch .LBB159_1195
.LBB159_1191:
	s_andn2_saveexec_b64 s[2:3], s[2:3]
	s_cbranch_execz .LBB159_1173
.LBB159_1192:
	v_cmp_ne_u16_e32 vcc, 0, v1
	s_andn2_b64 s[4:5], s[4:5], exec
	s_and_b64 s[6:7], vcc, exec
	s_or_b64 s[4:5], s[4:5], s[6:7]
	s_or_b64 exec, exec, s[2:3]
	v_mov_b32_e32 v13, 0
	s_and_saveexec_b64 s[2:3], s[4:5]
	s_cbranch_execnz .LBB159_1174
	s_branch .LBB159_1175
.LBB159_1193:
	s_mov_b64 s[0:1], -1
                                        ; implicit-def: $vgpr13
.LBB159_1194:
	s_mov_b64 s[4:5], 0
.LBB159_1195:
	s_and_b64 vcc, exec, s[4:5]
	s_cbranch_vccz .LBB159_1197
; %bb.1196:
	s_cmp_lg_u32 s13, 11
	s_mov_b64 s[2:3], -1
	s_cselect_b64 s[0:1], -1, 0
.LBB159_1197:
	s_and_b64 vcc, exec, s[0:1]
	s_mov_b64 s[4:5], s[28:29]
	s_cbranch_vccnz .LBB159_1258
; %bb.1198:
	s_andn2_b64 vcc, exec, s[2:3]
	s_cbranch_vccnz .LBB159_1200
.LBB159_1199:
	global_load_ubyte v1, v[15:16], off
	s_mov_b64 s[6:7], -1
	s_waitcnt vmcnt(0)
	v_cmp_ne_u16_e32 vcc, 0, v1
	v_cndmask_b32_e64 v13, 0, 1, vcc
.LBB159_1200:
	s_branch .LBB159_1135
.LBB159_1201:
	s_and_b32 s2, 0xffff, s12
	s_cmp_lt_i32 s2, 5
	s_cbranch_scc1 .LBB159_1206
; %bb.1202:
	s_cmp_lt_i32 s2, 8
	s_cbranch_scc1 .LBB159_1207
; %bb.1203:
	;; [unrolled: 3-line block ×3, first 2 shown]
	s_cmp_gt_i32 s2, 9
	s_cbranch_scc0 .LBB159_1209
; %bb.1205:
	global_load_dwordx2 v[12:13], v[15:16], off
	s_mov_b64 s[0:1], 0
	s_waitcnt vmcnt(0)
	v_cvt_i32_f64_e32 v13, v[12:13]
	s_branch .LBB159_1210
.LBB159_1206:
                                        ; implicit-def: $vgpr13
	s_branch .LBB159_1227
.LBB159_1207:
                                        ; implicit-def: $vgpr13
	s_branch .LBB159_1216
.LBB159_1208:
	s_mov_b64 s[0:1], -1
                                        ; implicit-def: $vgpr13
	s_branch .LBB159_1213
.LBB159_1209:
	s_mov_b64 s[0:1], -1
                                        ; implicit-def: $vgpr13
.LBB159_1210:
	s_andn2_b64 vcc, exec, s[0:1]
	s_cbranch_vccnz .LBB159_1212
; %bb.1211:
	global_load_dword v1, v[15:16], off
	s_waitcnt vmcnt(0)
	v_cvt_i32_f32_e32 v13, v1
.LBB159_1212:
	s_mov_b64 s[0:1], 0
.LBB159_1213:
	s_andn2_b64 vcc, exec, s[0:1]
	s_cbranch_vccnz .LBB159_1215
; %bb.1214:
	global_load_dword v1, v[15:16], off
	s_waitcnt vmcnt(0)
	v_cvt_i16_f16_e32 v13, v1
.LBB159_1215:
	s_cbranch_execnz .LBB159_1226
.LBB159_1216:
	s_cmp_lt_i32 s2, 6
	s_cbranch_scc1 .LBB159_1219
; %bb.1217:
	s_cmp_gt_i32 s2, 6
	s_cbranch_scc0 .LBB159_1220
; %bb.1218:
	global_load_dwordx2 v[12:13], v[15:16], off
	s_mov_b64 s[0:1], 0
	s_waitcnt vmcnt(0)
	v_cvt_i32_f64_e32 v13, v[12:13]
	s_branch .LBB159_1221
.LBB159_1219:
	s_mov_b64 s[0:1], -1
                                        ; implicit-def: $vgpr13
	s_branch .LBB159_1224
.LBB159_1220:
	s_mov_b64 s[0:1], -1
                                        ; implicit-def: $vgpr13
.LBB159_1221:
	s_andn2_b64 vcc, exec, s[0:1]
	s_cbranch_vccnz .LBB159_1223
; %bb.1222:
	global_load_dword v1, v[15:16], off
	s_waitcnt vmcnt(0)
	v_cvt_i32_f32_e32 v13, v1
.LBB159_1223:
	s_mov_b64 s[0:1], 0
.LBB159_1224:
	s_andn2_b64 vcc, exec, s[0:1]
	s_cbranch_vccnz .LBB159_1226
; %bb.1225:
	global_load_ushort v1, v[15:16], off
	s_waitcnt vmcnt(0)
	v_cvt_i16_f16_e32 v13, v1
.LBB159_1226:
	s_cbranch_execnz .LBB159_1245
.LBB159_1227:
	s_cmp_lt_i32 s2, 2
	s_cbranch_scc1 .LBB159_1231
; %bb.1228:
	s_cmp_lt_i32 s2, 3
	s_cbranch_scc1 .LBB159_1232
; %bb.1229:
	s_cmp_gt_i32 s2, 3
	s_cbranch_scc0 .LBB159_1233
; %bb.1230:
	global_load_dwordx2 v[13:14], v[15:16], off
	s_mov_b64 s[0:1], 0
	s_branch .LBB159_1234
.LBB159_1231:
                                        ; implicit-def: $vgpr13
	s_branch .LBB159_1240
.LBB159_1232:
	s_mov_b64 s[0:1], -1
                                        ; implicit-def: $vgpr13
	s_branch .LBB159_1237
.LBB159_1233:
	s_mov_b64 s[0:1], -1
                                        ; implicit-def: $vgpr13
.LBB159_1234:
	s_andn2_b64 vcc, exec, s[0:1]
	s_cbranch_vccnz .LBB159_1236
; %bb.1235:
	global_load_dword v13, v[15:16], off
.LBB159_1236:
	s_mov_b64 s[0:1], 0
.LBB159_1237:
	s_andn2_b64 vcc, exec, s[0:1]
	s_cbranch_vccnz .LBB159_1239
; %bb.1238:
	global_load_ushort v13, v[15:16], off
.LBB159_1239:
	s_cbranch_execnz .LBB159_1245
.LBB159_1240:
	s_cmp_gt_i32 s2, 0
	s_cbranch_scc0 .LBB159_1242
; %bb.1241:
	global_load_ubyte v13, v[15:16], off
	s_mov_b64 s[0:1], 0
	s_branch .LBB159_1243
.LBB159_1242:
	s_mov_b64 s[0:1], -1
                                        ; implicit-def: $vgpr13
.LBB159_1243:
	s_andn2_b64 vcc, exec, s[0:1]
	s_cbranch_vccnz .LBB159_1245
; %bb.1244:
	global_load_ubyte v13, v[15:16], off
.LBB159_1245:
.LBB159_1246:
	v_mov_b32_e32 v1, s11
	s_and_b32 s14, 0xffff, s12
	s_waitcnt vmcnt(0)
	v_add_co_u32_e32 v14, vcc, s10, v11
	s_cmp_lt_i32 s14, 11
	v_addc_co_u32_e32 v15, vcc, 0, v1, vcc
	s_cbranch_scc1 .LBB159_1253
; %bb.1247:
	s_cmp_gt_i32 s14, 25
	s_mov_b64 s[2:3], 0
	s_cbranch_scc0 .LBB159_1255
; %bb.1248:
	s_cmp_gt_i32 s14, 28
	s_cbranch_scc0 .LBB159_1256
; %bb.1249:
	s_cmp_gt_i32 s14, 43
	s_cbranch_scc0 .LBB159_1257
; %bb.1250:
	s_cmp_gt_i32 s14, 45
	s_cbranch_scc0 .LBB159_1259
; %bb.1251:
	s_cmp_eq_u32 s14, 46
	s_mov_b64 s[12:13], 0
	s_cbranch_scc0 .LBB159_1262
; %bb.1252:
	global_load_dword v1, v[14:15], off
	s_mov_b64 s[0:1], 0
	s_mov_b64 s[6:7], -1
	s_waitcnt vmcnt(0)
	v_lshlrev_b32_e32 v1, 16, v1
	v_cvt_i32_f32_e32 v11, v1
	s_branch .LBB159_1263
.LBB159_1253:
	s_mov_b64 s[6:7], 0
                                        ; implicit-def: $vgpr11
	s_cbranch_execnz .LBB159_1324
.LBB159_1254:
	s_andn2_b64 vcc, exec, s[6:7]
	s_cbranch_vccnz .LBB159_2055
	s_branch .LBB159_1371
.LBB159_1255:
	s_mov_b64 s[6:7], 0
	s_mov_b64 s[0:1], 0
                                        ; implicit-def: $vgpr11
	s_cbranch_execnz .LBB159_1290
	s_branch .LBB159_1320
.LBB159_1256:
	s_mov_b64 s[12:13], -1
	s_mov_b64 s[6:7], 0
	s_mov_b64 s[0:1], 0
                                        ; implicit-def: $vgpr11
	s_branch .LBB159_1273
.LBB159_1257:
	s_mov_b64 s[12:13], -1
	s_mov_b64 s[6:7], 0
	s_mov_b64 s[0:1], 0
                                        ; implicit-def: $vgpr11
	s_branch .LBB159_1268
.LBB159_1258:
	s_or_b64 s[4:5], s[28:29], exec
	s_trap 2
	s_cbranch_execz .LBB159_1199
	s_branch .LBB159_1200
.LBB159_1259:
	s_mov_b64 s[12:13], -1
	s_mov_b64 s[6:7], 0
	s_mov_b64 s[0:1], 0
                                        ; implicit-def: $vgpr11
	s_branch .LBB159_1263
.LBB159_1260:
	s_andn2_saveexec_b64 s[16:17], s[16:17]
	s_cbranch_execz .LBB159_995
.LBB159_1261:
	s_mov_b32 s20, 0x42800000
	v_add_f32_e64 v3, |v0|, s20
	v_and_b32_e32 v3, 0xff, v3
	v_cmp_ne_u32_e32 vcc, 0, v3
	s_andn2_b64 s[14:15], s[14:15], exec
	s_and_b64 s[20:21], vcc, exec
	s_or_b64 s[14:15], s[14:15], s[20:21]
	s_or_b64 exec, exec, s[16:17]
	v_mov_b32_e32 v5, 0
	s_and_saveexec_b64 s[16:17], s[14:15]
	s_cbranch_execnz .LBB159_996
	s_branch .LBB159_997
.LBB159_1262:
	s_mov_b64 s[0:1], -1
                                        ; implicit-def: $vgpr11
	s_mov_b64 s[6:7], 0
.LBB159_1263:
	s_and_b64 vcc, exec, s[12:13]
	s_cbranch_vccz .LBB159_1267
; %bb.1264:
	s_cmp_eq_u32 s14, 44
	s_cbranch_scc0 .LBB159_1266
; %bb.1265:
	global_load_ubyte v1, v[14:15], off
	s_mov_b64 s[0:1], 0
	s_mov_b64 s[6:7], -1
	s_waitcnt vmcnt(0)
	v_lshlrev_b32_e32 v3, 23, v1
	v_cvt_i32_f32_e32 v3, v3
	v_cmp_ne_u32_e32 vcc, 0, v1
	v_cndmask_b32_e32 v11, 0, v3, vcc
	s_branch .LBB159_1267
.LBB159_1266:
	s_mov_b64 s[0:1], -1
                                        ; implicit-def: $vgpr11
.LBB159_1267:
	s_mov_b64 s[12:13], 0
.LBB159_1268:
	s_and_b64 vcc, exec, s[12:13]
	s_cbranch_vccz .LBB159_1272
; %bb.1269:
	s_cmp_eq_u32 s14, 29
	s_cbranch_scc0 .LBB159_1271
; %bb.1270:
	global_load_dwordx2 v[11:12], v[14:15], off
	s_mov_b64 s[0:1], 0
	s_mov_b64 s[6:7], -1
	s_branch .LBB159_1272
.LBB159_1271:
	s_mov_b64 s[0:1], -1
                                        ; implicit-def: $vgpr11
.LBB159_1272:
	s_mov_b64 s[12:13], 0
.LBB159_1273:
	s_and_b64 vcc, exec, s[12:13]
	s_cbranch_vccz .LBB159_1289
; %bb.1274:
	s_cmp_lt_i32 s14, 27
	s_cbranch_scc1 .LBB159_1277
; %bb.1275:
	s_cmp_gt_i32 s14, 27
	s_cbranch_scc0 .LBB159_1278
; %bb.1276:
	global_load_dword v11, v[14:15], off
	s_mov_b64 s[6:7], 0
	s_branch .LBB159_1279
.LBB159_1277:
	s_mov_b64 s[6:7], -1
                                        ; implicit-def: $vgpr11
	s_branch .LBB159_1282
.LBB159_1278:
	s_mov_b64 s[6:7], -1
                                        ; implicit-def: $vgpr11
.LBB159_1279:
	s_andn2_b64 vcc, exec, s[6:7]
	s_cbranch_vccnz .LBB159_1281
; %bb.1280:
	global_load_ushort v11, v[14:15], off
.LBB159_1281:
	s_mov_b64 s[6:7], 0
.LBB159_1282:
	s_andn2_b64 vcc, exec, s[6:7]
	s_cbranch_vccnz .LBB159_1288
; %bb.1283:
	global_load_ubyte v1, v[14:15], off
	s_movk_i32 s6, 0x7f
	s_mov_b64 s[12:13], 0
	s_waitcnt vmcnt(0)
	v_cmp_lt_i16_e32 vcc, s6, v1
	s_and_saveexec_b64 s[6:7], vcc
	s_xor_b64 s[6:7], exec, s[6:7]
	s_cbranch_execz .LBB159_1299
; %bb.1284:
	s_movk_i32 s12, 0x80
	v_cmp_ne_u16_e32 vcc, s12, v1
	s_and_b64 s[12:13], vcc, exec
	s_andn2_saveexec_b64 s[6:7], s[6:7]
	s_cbranch_execnz .LBB159_1300
.LBB159_1285:
	s_or_b64 exec, exec, s[6:7]
	v_mov_b32_e32 v11, 0
	s_and_saveexec_b64 s[6:7], s[12:13]
	s_cbranch_execz .LBB159_1287
.LBB159_1286:
	v_lshlrev_b32_e32 v3, 24, v1
	v_and_b32_e32 v1, 0xffff, v1
	v_and_b32_e32 v5, 7, v1
	v_ffbh_u32_e32 v10, v5
	v_min_u32_e32 v10, 32, v10
	v_subrev_u32_e32 v11, 28, v10
	v_bfe_u32 v8, v1, 3, 4
	v_lshlrev_b32_e32 v1, v11, v1
	v_sub_u32_e32 v10, 29, v10
	v_and_b32_e32 v1, 7, v1
	v_cmp_eq_u32_e32 vcc, 0, v8
	v_cndmask_b32_e32 v8, v8, v10, vcc
	v_cndmask_b32_e32 v1, v5, v1, vcc
	v_mov_b32_e32 v5, 0x3b800000
	v_lshlrev_b32_e32 v1, 20, v1
	v_and_b32_e32 v3, 0x80000000, v3
	v_lshl_add_u32 v5, v8, 23, v5
	v_or3_b32 v1, v3, v5, v1
	v_cvt_i32_f32_e32 v11, v1
.LBB159_1287:
	s_or_b64 exec, exec, s[6:7]
.LBB159_1288:
	s_mov_b64 s[6:7], -1
.LBB159_1289:
	s_branch .LBB159_1320
.LBB159_1290:
	s_cmp_gt_i32 s14, 22
	s_cbranch_scc0 .LBB159_1298
; %bb.1291:
	s_cmp_lt_i32 s14, 24
	s_cbranch_scc1 .LBB159_1301
; %bb.1292:
	s_cmp_gt_i32 s14, 24
	s_cbranch_scc0 .LBB159_1302
; %bb.1293:
	global_load_ubyte v1, v[14:15], off
	s_movk_i32 s2, 0x7f
	s_mov_b64 s[6:7], 0
	s_waitcnt vmcnt(0)
	v_cmp_lt_i16_e32 vcc, s2, v1
	s_and_saveexec_b64 s[2:3], vcc
	s_xor_b64 s[2:3], exec, s[2:3]
	s_cbranch_execz .LBB159_1314
; %bb.1294:
	s_movk_i32 s6, 0x80
	v_cmp_ne_u16_e32 vcc, s6, v1
	s_and_b64 s[6:7], vcc, exec
	s_andn2_saveexec_b64 s[2:3], s[2:3]
	s_cbranch_execnz .LBB159_1315
.LBB159_1295:
	s_or_b64 exec, exec, s[2:3]
	v_mov_b32_e32 v11, 0
	s_and_saveexec_b64 s[2:3], s[6:7]
	s_cbranch_execz .LBB159_1297
.LBB159_1296:
	v_lshlrev_b32_e32 v3, 24, v1
	v_and_b32_e32 v1, 0xffff, v1
	v_and_b32_e32 v5, 3, v1
	v_ffbh_u32_e32 v10, v5
	v_min_u32_e32 v10, 32, v10
	v_subrev_u32_e32 v11, 29, v10
	v_bfe_u32 v8, v1, 2, 5
	v_lshlrev_b32_e32 v1, v11, v1
	v_sub_u32_e32 v10, 30, v10
	v_and_b32_e32 v1, 3, v1
	v_cmp_eq_u32_e32 vcc, 0, v8
	v_cndmask_b32_e32 v8, v8, v10, vcc
	v_cndmask_b32_e32 v1, v5, v1, vcc
	v_mov_b32_e32 v5, 0x37800000
	v_lshlrev_b32_e32 v1, 21, v1
	v_and_b32_e32 v3, 0x80000000, v3
	v_lshl_add_u32 v5, v8, 23, v5
	v_or3_b32 v1, v3, v5, v1
	v_cvt_i32_f32_e32 v11, v1
.LBB159_1297:
	s_or_b64 exec, exec, s[2:3]
	s_mov_b64 s[2:3], 0
	s_branch .LBB159_1303
.LBB159_1298:
	s_mov_b64 s[2:3], -1
                                        ; implicit-def: $vgpr11
	s_branch .LBB159_1309
.LBB159_1299:
	s_andn2_saveexec_b64 s[6:7], s[6:7]
	s_cbranch_execz .LBB159_1285
.LBB159_1300:
	v_cmp_ne_u16_e32 vcc, 0, v1
	s_andn2_b64 s[12:13], s[12:13], exec
	s_and_b64 s[18:19], vcc, exec
	s_or_b64 s[12:13], s[12:13], s[18:19]
	s_or_b64 exec, exec, s[6:7]
	v_mov_b32_e32 v11, 0
	s_and_saveexec_b64 s[6:7], s[12:13]
	s_cbranch_execnz .LBB159_1286
	s_branch .LBB159_1287
.LBB159_1301:
	s_mov_b64 s[2:3], -1
                                        ; implicit-def: $vgpr11
	s_branch .LBB159_1306
.LBB159_1302:
	s_mov_b64 s[2:3], -1
                                        ; implicit-def: $vgpr11
.LBB159_1303:
	s_and_b64 vcc, exec, s[2:3]
	s_cbranch_vccz .LBB159_1305
; %bb.1304:
	global_load_ubyte v1, v[14:15], off
	s_mov_b32 s2, 0x7f800000
	s_waitcnt vmcnt(0)
	v_lshlrev_b32_e32 v1, 24, v1
	v_and_b32_e32 v3, 0x7f000000, v1
	v_ffbh_u32_e32 v5, v3
	v_min_u32_e32 v5, 32, v5
	v_sub_u32_e64 v5, v5, 4 clamp
	v_lshlrev_b32_e32 v10, v5, v3
	v_lshlrev_b32_e32 v5, 23, v5
	v_lshrrev_b32_e32 v10, 4, v10
	v_add_u32_e32 v8, 0x1000000, v3
	v_sub_u32_e32 v5, v10, v5
	v_ashrrev_i32_e32 v8, 8, v8
	v_add_u32_e32 v5, 0x3c000000, v5
	v_and_or_b32 v5, v8, s2, v5
	v_cmp_ne_u32_e32 vcc, 0, v3
	v_cndmask_b32_e32 v3, 0, v5, vcc
	s_brev_b32 s2, 1
	v_and_or_b32 v1, v1, s2, v3
	v_cvt_i32_f32_e32 v11, v1
.LBB159_1305:
	s_mov_b64 s[2:3], 0
.LBB159_1306:
	s_andn2_b64 vcc, exec, s[2:3]
	s_cbranch_vccnz .LBB159_1308
; %bb.1307:
	global_load_ubyte v1, v[14:15], off
	s_movk_i32 s2, 0x7f00
	s_brev_b32 s3, 16
	s_waitcnt vmcnt(0)
	v_lshlrev_b16_e32 v3, 8, v1
	v_lshlrev_b32_e32 v1, 25, v1
	v_lshrrev_b32_e32 v5, 4, v1
	v_and_or_b32 v8, v3, s2, 0.5
	v_or_b32_e32 v5, 0x70000000, v5
	v_add_f32_e32 v8, -0.5, v8
	v_mul_f32_e32 v5, 0x7800000, v5
	v_cmp_gt_u32_e32 vcc, s3, v1
	v_bfe_i32 v3, v3, 0, 16
	v_cndmask_b32_e32 v1, v5, v8, vcc
	s_brev_b32 s2, 1
	v_and_or_b32 v1, v3, s2, v1
	v_cvt_i32_f32_e32 v11, v1
.LBB159_1308:
	s_mov_b64 s[2:3], 0
	s_mov_b64 s[6:7], -1
.LBB159_1309:
	s_andn2_b64 vcc, exec, s[2:3]
	s_mov_b64 s[2:3], 0
	s_cbranch_vccnz .LBB159_1320
; %bb.1310:
	s_cmp_gt_i32 s14, 14
	s_cbranch_scc0 .LBB159_1313
; %bb.1311:
	s_cmp_eq_u32 s14, 15
	s_cbranch_scc0 .LBB159_1316
; %bb.1312:
	global_load_ushort v1, v[14:15], off
	s_mov_b64 s[0:1], 0
	s_mov_b64 s[6:7], -1
	s_waitcnt vmcnt(0)
	v_lshlrev_b32_e32 v1, 16, v1
	v_cvt_i32_f32_e32 v11, v1
	s_branch .LBB159_1317
.LBB159_1313:
	s_mov_b64 s[12:13], -1
                                        ; implicit-def: $vgpr11
	s_branch .LBB159_1318
.LBB159_1314:
	s_andn2_saveexec_b64 s[2:3], s[2:3]
	s_cbranch_execz .LBB159_1295
.LBB159_1315:
	v_cmp_ne_u16_e32 vcc, 0, v1
	s_andn2_b64 s[6:7], s[6:7], exec
	s_and_b64 s[12:13], vcc, exec
	s_or_b64 s[6:7], s[6:7], s[12:13]
	s_or_b64 exec, exec, s[2:3]
	v_mov_b32_e32 v11, 0
	s_and_saveexec_b64 s[2:3], s[6:7]
	s_cbranch_execnz .LBB159_1296
	s_branch .LBB159_1297
.LBB159_1316:
	s_mov_b64 s[0:1], -1
                                        ; implicit-def: $vgpr11
.LBB159_1317:
	s_mov_b64 s[12:13], 0
.LBB159_1318:
	s_and_b64 vcc, exec, s[12:13]
	s_cbranch_vccz .LBB159_1320
; %bb.1319:
	s_cmp_lg_u32 s14, 11
	s_mov_b64 s[2:3], -1
	s_cselect_b64 s[0:1], -1, 0
.LBB159_1320:
	s_and_b64 vcc, exec, s[0:1]
	s_cbranch_vccnz .LBB159_1383
; %bb.1321:
	s_andn2_b64 vcc, exec, s[2:3]
	s_cbranch_vccnz .LBB159_1323
.LBB159_1322:
	global_load_ubyte v1, v[14:15], off
	s_mov_b64 s[6:7], -1
	s_waitcnt vmcnt(0)
	v_cmp_ne_u16_e32 vcc, 0, v1
	v_cndmask_b32_e64 v11, 0, 1, vcc
.LBB159_1323:
	s_branch .LBB159_1254
.LBB159_1324:
	s_cmp_lt_i32 s14, 5
	s_cbranch_scc1 .LBB159_1329
; %bb.1325:
	s_cmp_lt_i32 s14, 8
	s_cbranch_scc1 .LBB159_1330
; %bb.1326:
	;; [unrolled: 3-line block ×3, first 2 shown]
	s_cmp_gt_i32 s14, 9
	s_cbranch_scc0 .LBB159_1332
; %bb.1328:
	global_load_dwordx2 v[10:11], v[14:15], off
	s_mov_b64 s[0:1], 0
	s_waitcnt vmcnt(0)
	v_cvt_i32_f64_e32 v11, v[10:11]
	s_branch .LBB159_1333
.LBB159_1329:
                                        ; implicit-def: $vgpr11
	s_branch .LBB159_1351
.LBB159_1330:
	s_mov_b64 s[0:1], -1
                                        ; implicit-def: $vgpr11
	s_branch .LBB159_1339
.LBB159_1331:
	s_mov_b64 s[0:1], -1
                                        ; implicit-def: $vgpr11
	s_branch .LBB159_1336
.LBB159_1332:
	s_mov_b64 s[0:1], -1
                                        ; implicit-def: $vgpr11
.LBB159_1333:
	s_andn2_b64 vcc, exec, s[0:1]
	s_cbranch_vccnz .LBB159_1335
; %bb.1334:
	global_load_dword v1, v[14:15], off
	s_waitcnt vmcnt(0)
	v_cvt_i32_f32_e32 v11, v1
.LBB159_1335:
	s_mov_b64 s[0:1], 0
.LBB159_1336:
	s_andn2_b64 vcc, exec, s[0:1]
	s_cbranch_vccnz .LBB159_1338
; %bb.1337:
	global_load_dword v1, v[14:15], off
	s_waitcnt vmcnt(0)
	v_cvt_i16_f16_e32 v11, v1
.LBB159_1338:
	s_mov_b64 s[0:1], 0
.LBB159_1339:
	s_andn2_b64 vcc, exec, s[0:1]
	s_cbranch_vccnz .LBB159_1350
; %bb.1340:
	s_cmp_lt_i32 s14, 6
	s_cbranch_scc1 .LBB159_1343
; %bb.1341:
	s_cmp_gt_i32 s14, 6
	s_cbranch_scc0 .LBB159_1344
; %bb.1342:
	global_load_dwordx2 v[10:11], v[14:15], off
	s_mov_b64 s[0:1], 0
	s_waitcnt vmcnt(0)
	v_cvt_i32_f64_e32 v11, v[10:11]
	s_branch .LBB159_1345
.LBB159_1343:
	s_mov_b64 s[0:1], -1
                                        ; implicit-def: $vgpr11
	s_branch .LBB159_1348
.LBB159_1344:
	s_mov_b64 s[0:1], -1
                                        ; implicit-def: $vgpr11
.LBB159_1345:
	s_andn2_b64 vcc, exec, s[0:1]
	s_cbranch_vccnz .LBB159_1347
; %bb.1346:
	global_load_dword v1, v[14:15], off
	s_waitcnt vmcnt(0)
	v_cvt_i32_f32_e32 v11, v1
.LBB159_1347:
	s_mov_b64 s[0:1], 0
.LBB159_1348:
	s_andn2_b64 vcc, exec, s[0:1]
	s_cbranch_vccnz .LBB159_1350
; %bb.1349:
	global_load_ushort v1, v[14:15], off
	s_waitcnt vmcnt(0)
	v_cvt_i16_f16_e32 v11, v1
.LBB159_1350:
	s_cbranch_execnz .LBB159_1370
.LBB159_1351:
	s_cmp_lt_i32 s14, 2
	s_cbranch_scc1 .LBB159_1355
; %bb.1352:
	s_cmp_lt_i32 s14, 3
	s_cbranch_scc1 .LBB159_1356
; %bb.1353:
	s_cmp_gt_i32 s14, 3
	s_cbranch_scc0 .LBB159_1357
; %bb.1354:
	global_load_dwordx2 v[11:12], v[14:15], off
	s_mov_b64 s[0:1], 0
	s_branch .LBB159_1358
.LBB159_1355:
	s_mov_b64 s[0:1], -1
                                        ; implicit-def: $vgpr11
	s_branch .LBB159_1364
.LBB159_1356:
	s_mov_b64 s[0:1], -1
                                        ; implicit-def: $vgpr11
	s_branch .LBB159_1361
.LBB159_1357:
	s_mov_b64 s[0:1], -1
                                        ; implicit-def: $vgpr11
.LBB159_1358:
	s_andn2_b64 vcc, exec, s[0:1]
	s_cbranch_vccnz .LBB159_1360
; %bb.1359:
	global_load_dword v11, v[14:15], off
.LBB159_1360:
	s_mov_b64 s[0:1], 0
.LBB159_1361:
	s_andn2_b64 vcc, exec, s[0:1]
	s_cbranch_vccnz .LBB159_1363
; %bb.1362:
	global_load_ushort v11, v[14:15], off
.LBB159_1363:
	s_mov_b64 s[0:1], 0
.LBB159_1364:
	s_andn2_b64 vcc, exec, s[0:1]
	s_cbranch_vccnz .LBB159_1370
; %bb.1365:
	s_cmp_gt_i32 s14, 0
	s_cbranch_scc0 .LBB159_1367
; %bb.1366:
	global_load_ubyte v11, v[14:15], off
	s_mov_b64 s[0:1], 0
	s_branch .LBB159_1368
.LBB159_1367:
	s_mov_b64 s[0:1], -1
                                        ; implicit-def: $vgpr11
.LBB159_1368:
	s_andn2_b64 vcc, exec, s[0:1]
	s_cbranch_vccnz .LBB159_1370
; %bb.1369:
	global_load_ubyte v11, v[14:15], off
.LBB159_1370:
.LBB159_1371:
	v_mov_b32_e32 v1, s11
	v_add_co_u32_e32 v14, vcc, s10, v9
	s_cmp_lt_i32 s14, 11
	v_addc_co_u32_e32 v15, vcc, 0, v1, vcc
	s_cbranch_scc1 .LBB159_1378
; %bb.1372:
	s_cmp_gt_i32 s14, 25
	s_mov_b64 s[2:3], 0
	s_cbranch_scc0 .LBB159_1380
; %bb.1373:
	s_cmp_gt_i32 s14, 28
	s_cbranch_scc0 .LBB159_1381
; %bb.1374:
	s_cmp_gt_i32 s14, 43
	;; [unrolled: 3-line block ×3, first 2 shown]
	s_cbranch_scc0 .LBB159_1384
; %bb.1376:
	s_cmp_eq_u32 s14, 46
	s_mov_b64 s[12:13], 0
	s_cbranch_scc0 .LBB159_1385
; %bb.1377:
	global_load_dword v1, v[14:15], off
	s_mov_b64 s[0:1], 0
	s_mov_b64 s[6:7], -1
	s_waitcnt vmcnt(0)
	v_lshlrev_b32_e32 v1, 16, v1
	v_cvt_i32_f32_e32 v9, v1
	s_branch .LBB159_1386
.LBB159_1378:
	s_mov_b64 s[6:7], 0
                                        ; implicit-def: $vgpr9
	s_cbranch_execnz .LBB159_1448
.LBB159_1379:
	s_andn2_b64 vcc, exec, s[6:7]
	s_cbranch_vccnz .LBB159_2055
	s_branch .LBB159_1496
.LBB159_1380:
	s_mov_b64 s[12:13], -1
	s_mov_b64 s[6:7], 0
	s_mov_b64 s[0:1], 0
                                        ; implicit-def: $vgpr9
	s_branch .LBB159_1413
.LBB159_1381:
	s_mov_b64 s[12:13], -1
	s_mov_b64 s[6:7], 0
	s_mov_b64 s[0:1], 0
                                        ; implicit-def: $vgpr9
	s_branch .LBB159_1396
.LBB159_1382:
	s_mov_b64 s[12:13], -1
	s_mov_b64 s[6:7], 0
	s_mov_b64 s[0:1], 0
                                        ; implicit-def: $vgpr9
	s_branch .LBB159_1391
.LBB159_1383:
	s_trap 2
	s_or_b64 s[4:5], s[4:5], exec
	s_cbranch_execz .LBB159_1322
	s_branch .LBB159_1323
.LBB159_1384:
	s_mov_b64 s[12:13], -1
	s_mov_b64 s[6:7], 0
	s_mov_b64 s[0:1], 0
                                        ; implicit-def: $vgpr9
	s_branch .LBB159_1386
.LBB159_1385:
	s_mov_b64 s[0:1], -1
                                        ; implicit-def: $vgpr9
	s_mov_b64 s[6:7], 0
.LBB159_1386:
	s_and_b64 vcc, exec, s[12:13]
	s_cbranch_vccz .LBB159_1390
; %bb.1387:
	s_cmp_eq_u32 s14, 44
	s_cbranch_scc0 .LBB159_1389
; %bb.1388:
	global_load_ubyte v1, v[14:15], off
	s_mov_b64 s[0:1], 0
	s_mov_b64 s[6:7], -1
	s_waitcnt vmcnt(0)
	v_lshlrev_b32_e32 v3, 23, v1
	v_cvt_i32_f32_e32 v3, v3
	v_cmp_ne_u32_e32 vcc, 0, v1
	v_cndmask_b32_e32 v9, 0, v3, vcc
	s_branch .LBB159_1390
.LBB159_1389:
	s_mov_b64 s[0:1], -1
                                        ; implicit-def: $vgpr9
.LBB159_1390:
	s_mov_b64 s[12:13], 0
.LBB159_1391:
	s_and_b64 vcc, exec, s[12:13]
	s_cbranch_vccz .LBB159_1395
; %bb.1392:
	s_cmp_eq_u32 s14, 29
	s_cbranch_scc0 .LBB159_1394
; %bb.1393:
	global_load_dwordx2 v[9:10], v[14:15], off
	s_mov_b64 s[0:1], 0
	s_mov_b64 s[6:7], -1
	s_branch .LBB159_1395
.LBB159_1394:
	s_mov_b64 s[0:1], -1
                                        ; implicit-def: $vgpr9
.LBB159_1395:
	s_mov_b64 s[12:13], 0
.LBB159_1396:
	s_and_b64 vcc, exec, s[12:13]
	s_cbranch_vccz .LBB159_1412
; %bb.1397:
	s_cmp_lt_i32 s14, 27
	s_cbranch_scc1 .LBB159_1400
; %bb.1398:
	s_cmp_gt_i32 s14, 27
	s_cbranch_scc0 .LBB159_1401
; %bb.1399:
	global_load_dword v9, v[14:15], off
	s_mov_b64 s[6:7], 0
	s_branch .LBB159_1402
.LBB159_1400:
	s_mov_b64 s[6:7], -1
                                        ; implicit-def: $vgpr9
	s_branch .LBB159_1405
.LBB159_1401:
	s_mov_b64 s[6:7], -1
                                        ; implicit-def: $vgpr9
.LBB159_1402:
	s_andn2_b64 vcc, exec, s[6:7]
	s_cbranch_vccnz .LBB159_1404
; %bb.1403:
	global_load_ushort v9, v[14:15], off
.LBB159_1404:
	s_mov_b64 s[6:7], 0
.LBB159_1405:
	s_andn2_b64 vcc, exec, s[6:7]
	s_cbranch_vccnz .LBB159_1411
; %bb.1406:
	global_load_ubyte v1, v[14:15], off
	s_movk_i32 s6, 0x7f
	s_mov_b64 s[12:13], 0
	s_waitcnt vmcnt(0)
	v_cmp_lt_i16_e32 vcc, s6, v1
	s_and_saveexec_b64 s[6:7], vcc
	s_xor_b64 s[6:7], exec, s[6:7]
	s_cbranch_execz .LBB159_1423
; %bb.1407:
	s_movk_i32 s12, 0x80
	v_cmp_ne_u16_e32 vcc, s12, v1
	s_and_b64 s[12:13], vcc, exec
	s_andn2_saveexec_b64 s[6:7], s[6:7]
	s_cbranch_execnz .LBB159_1424
.LBB159_1408:
	s_or_b64 exec, exec, s[6:7]
	v_mov_b32_e32 v9, 0
	s_and_saveexec_b64 s[6:7], s[12:13]
	s_cbranch_execz .LBB159_1410
.LBB159_1409:
	v_lshlrev_b32_e32 v3, 24, v1
	v_and_b32_e32 v1, 0xffff, v1
	v_and_b32_e32 v5, 7, v1
	v_ffbh_u32_e32 v9, v5
	v_min_u32_e32 v9, 32, v9
	v_subrev_u32_e32 v10, 28, v9
	v_bfe_u32 v8, v1, 3, 4
	v_lshlrev_b32_e32 v1, v10, v1
	v_sub_u32_e32 v9, 29, v9
	v_and_b32_e32 v1, 7, v1
	v_cmp_eq_u32_e32 vcc, 0, v8
	v_cndmask_b32_e32 v8, v8, v9, vcc
	v_cndmask_b32_e32 v1, v5, v1, vcc
	v_mov_b32_e32 v5, 0x3b800000
	v_lshlrev_b32_e32 v1, 20, v1
	v_and_b32_e32 v3, 0x80000000, v3
	v_lshl_add_u32 v5, v8, 23, v5
	v_or3_b32 v1, v3, v5, v1
	v_cvt_i32_f32_e32 v9, v1
.LBB159_1410:
	s_or_b64 exec, exec, s[6:7]
.LBB159_1411:
	s_mov_b64 s[6:7], -1
.LBB159_1412:
	s_mov_b64 s[12:13], 0
.LBB159_1413:
	s_and_b64 vcc, exec, s[12:13]
	s_cbranch_vccz .LBB159_1444
; %bb.1414:
	s_cmp_gt_i32 s14, 22
	s_cbranch_scc0 .LBB159_1422
; %bb.1415:
	s_cmp_lt_i32 s14, 24
	s_cbranch_scc1 .LBB159_1425
; %bb.1416:
	s_cmp_gt_i32 s14, 24
	s_cbranch_scc0 .LBB159_1426
; %bb.1417:
	global_load_ubyte v1, v[14:15], off
	s_movk_i32 s2, 0x7f
	s_mov_b64 s[6:7], 0
	s_waitcnt vmcnt(0)
	v_cmp_lt_i16_e32 vcc, s2, v1
	s_and_saveexec_b64 s[2:3], vcc
	s_xor_b64 s[2:3], exec, s[2:3]
	s_cbranch_execz .LBB159_1438
; %bb.1418:
	s_movk_i32 s6, 0x80
	v_cmp_ne_u16_e32 vcc, s6, v1
	s_and_b64 s[6:7], vcc, exec
	s_andn2_saveexec_b64 s[2:3], s[2:3]
	s_cbranch_execnz .LBB159_1439
.LBB159_1419:
	s_or_b64 exec, exec, s[2:3]
	v_mov_b32_e32 v9, 0
	s_and_saveexec_b64 s[2:3], s[6:7]
	s_cbranch_execz .LBB159_1421
.LBB159_1420:
	v_lshlrev_b32_e32 v3, 24, v1
	v_and_b32_e32 v1, 0xffff, v1
	v_and_b32_e32 v5, 3, v1
	v_ffbh_u32_e32 v9, v5
	v_min_u32_e32 v9, 32, v9
	v_subrev_u32_e32 v10, 29, v9
	v_bfe_u32 v8, v1, 2, 5
	v_lshlrev_b32_e32 v1, v10, v1
	v_sub_u32_e32 v9, 30, v9
	v_and_b32_e32 v1, 3, v1
	v_cmp_eq_u32_e32 vcc, 0, v8
	v_cndmask_b32_e32 v8, v8, v9, vcc
	v_cndmask_b32_e32 v1, v5, v1, vcc
	v_mov_b32_e32 v5, 0x37800000
	v_lshlrev_b32_e32 v1, 21, v1
	v_and_b32_e32 v3, 0x80000000, v3
	v_lshl_add_u32 v5, v8, 23, v5
	v_or3_b32 v1, v3, v5, v1
	v_cvt_i32_f32_e32 v9, v1
.LBB159_1421:
	s_or_b64 exec, exec, s[2:3]
	s_mov_b64 s[2:3], 0
	s_branch .LBB159_1427
.LBB159_1422:
	s_mov_b64 s[2:3], -1
                                        ; implicit-def: $vgpr9
	s_branch .LBB159_1433
.LBB159_1423:
	s_andn2_saveexec_b64 s[6:7], s[6:7]
	s_cbranch_execz .LBB159_1408
.LBB159_1424:
	v_cmp_ne_u16_e32 vcc, 0, v1
	s_andn2_b64 s[12:13], s[12:13], exec
	s_and_b64 s[18:19], vcc, exec
	s_or_b64 s[12:13], s[12:13], s[18:19]
	s_or_b64 exec, exec, s[6:7]
	v_mov_b32_e32 v9, 0
	s_and_saveexec_b64 s[6:7], s[12:13]
	s_cbranch_execnz .LBB159_1409
	s_branch .LBB159_1410
.LBB159_1425:
	s_mov_b64 s[2:3], -1
                                        ; implicit-def: $vgpr9
	s_branch .LBB159_1430
.LBB159_1426:
	s_mov_b64 s[2:3], -1
                                        ; implicit-def: $vgpr9
.LBB159_1427:
	s_and_b64 vcc, exec, s[2:3]
	s_cbranch_vccz .LBB159_1429
; %bb.1428:
	global_load_ubyte v1, v[14:15], off
	s_mov_b32 s2, 0x7f800000
	s_waitcnt vmcnt(0)
	v_lshlrev_b32_e32 v1, 24, v1
	v_and_b32_e32 v3, 0x7f000000, v1
	v_ffbh_u32_e32 v5, v3
	v_min_u32_e32 v5, 32, v5
	v_sub_u32_e64 v5, v5, 4 clamp
	v_lshlrev_b32_e32 v9, v5, v3
	v_lshlrev_b32_e32 v5, 23, v5
	v_lshrrev_b32_e32 v9, 4, v9
	v_add_u32_e32 v8, 0x1000000, v3
	v_sub_u32_e32 v5, v9, v5
	v_ashrrev_i32_e32 v8, 8, v8
	v_add_u32_e32 v5, 0x3c000000, v5
	v_and_or_b32 v5, v8, s2, v5
	v_cmp_ne_u32_e32 vcc, 0, v3
	v_cndmask_b32_e32 v3, 0, v5, vcc
	s_brev_b32 s2, 1
	v_and_or_b32 v1, v1, s2, v3
	v_cvt_i32_f32_e32 v9, v1
.LBB159_1429:
	s_mov_b64 s[2:3], 0
.LBB159_1430:
	s_andn2_b64 vcc, exec, s[2:3]
	s_cbranch_vccnz .LBB159_1432
; %bb.1431:
	global_load_ubyte v1, v[14:15], off
	s_movk_i32 s2, 0x7f00
	s_brev_b32 s3, 16
	s_waitcnt vmcnt(0)
	v_lshlrev_b16_e32 v3, 8, v1
	v_lshlrev_b32_e32 v1, 25, v1
	v_lshrrev_b32_e32 v5, 4, v1
	v_and_or_b32 v8, v3, s2, 0.5
	v_or_b32_e32 v5, 0x70000000, v5
	v_add_f32_e32 v8, -0.5, v8
	v_mul_f32_e32 v5, 0x7800000, v5
	v_cmp_gt_u32_e32 vcc, s3, v1
	v_bfe_i32 v3, v3, 0, 16
	v_cndmask_b32_e32 v1, v5, v8, vcc
	s_brev_b32 s2, 1
	v_and_or_b32 v1, v3, s2, v1
	v_cvt_i32_f32_e32 v9, v1
.LBB159_1432:
	s_mov_b64 s[2:3], 0
	s_mov_b64 s[6:7], -1
.LBB159_1433:
	s_andn2_b64 vcc, exec, s[2:3]
	s_mov_b64 s[2:3], 0
	s_cbranch_vccnz .LBB159_1444
; %bb.1434:
	s_cmp_gt_i32 s14, 14
	s_cbranch_scc0 .LBB159_1437
; %bb.1435:
	s_cmp_eq_u32 s14, 15
	s_cbranch_scc0 .LBB159_1440
; %bb.1436:
	global_load_ushort v1, v[14:15], off
	s_mov_b64 s[0:1], 0
	s_mov_b64 s[6:7], -1
	s_waitcnt vmcnt(0)
	v_lshlrev_b32_e32 v1, 16, v1
	v_cvt_i32_f32_e32 v9, v1
	s_branch .LBB159_1441
.LBB159_1437:
	s_mov_b64 s[12:13], -1
                                        ; implicit-def: $vgpr9
	s_branch .LBB159_1442
.LBB159_1438:
	s_andn2_saveexec_b64 s[2:3], s[2:3]
	s_cbranch_execz .LBB159_1419
.LBB159_1439:
	v_cmp_ne_u16_e32 vcc, 0, v1
	s_andn2_b64 s[6:7], s[6:7], exec
	s_and_b64 s[12:13], vcc, exec
	s_or_b64 s[6:7], s[6:7], s[12:13]
	s_or_b64 exec, exec, s[2:3]
	v_mov_b32_e32 v9, 0
	s_and_saveexec_b64 s[2:3], s[6:7]
	s_cbranch_execnz .LBB159_1420
	s_branch .LBB159_1421
.LBB159_1440:
	s_mov_b64 s[0:1], -1
                                        ; implicit-def: $vgpr9
.LBB159_1441:
	s_mov_b64 s[12:13], 0
.LBB159_1442:
	s_and_b64 vcc, exec, s[12:13]
	s_cbranch_vccz .LBB159_1444
; %bb.1443:
	s_cmp_lg_u32 s14, 11
	s_mov_b64 s[2:3], -1
	s_cselect_b64 s[0:1], -1, 0
.LBB159_1444:
	s_and_b64 vcc, exec, s[0:1]
	s_cbranch_vccnz .LBB159_1507
; %bb.1445:
	s_andn2_b64 vcc, exec, s[2:3]
	s_cbranch_vccnz .LBB159_1447
.LBB159_1446:
	global_load_ubyte v1, v[14:15], off
	s_mov_b64 s[6:7], -1
	s_waitcnt vmcnt(0)
	v_cmp_ne_u16_e32 vcc, 0, v1
	v_cndmask_b32_e64 v9, 0, 1, vcc
.LBB159_1447:
	s_branch .LBB159_1379
.LBB159_1448:
	s_cmp_lt_i32 s14, 5
	s_cbranch_scc1 .LBB159_1453
; %bb.1449:
	s_cmp_lt_i32 s14, 8
	s_cbranch_scc1 .LBB159_1454
; %bb.1450:
	;; [unrolled: 3-line block ×3, first 2 shown]
	s_cmp_gt_i32 s14, 9
	s_cbranch_scc0 .LBB159_1456
; %bb.1452:
	global_load_dwordx2 v[8:9], v[14:15], off
	s_mov_b64 s[0:1], 0
	s_waitcnt vmcnt(0)
	v_cvt_i32_f64_e32 v9, v[8:9]
	s_branch .LBB159_1457
.LBB159_1453:
	s_mov_b64 s[0:1], -1
                                        ; implicit-def: $vgpr9
	s_branch .LBB159_1475
.LBB159_1454:
	s_mov_b64 s[0:1], -1
                                        ; implicit-def: $vgpr9
	s_branch .LBB159_1463
.LBB159_1455:
	s_mov_b64 s[0:1], -1
                                        ; implicit-def: $vgpr9
	s_branch .LBB159_1460
.LBB159_1456:
	s_mov_b64 s[0:1], -1
                                        ; implicit-def: $vgpr9
.LBB159_1457:
	s_andn2_b64 vcc, exec, s[0:1]
	s_cbranch_vccnz .LBB159_1459
; %bb.1458:
	global_load_dword v1, v[14:15], off
	s_waitcnt vmcnt(0)
	v_cvt_i32_f32_e32 v9, v1
.LBB159_1459:
	s_mov_b64 s[0:1], 0
.LBB159_1460:
	s_andn2_b64 vcc, exec, s[0:1]
	s_cbranch_vccnz .LBB159_1462
; %bb.1461:
	global_load_dword v1, v[14:15], off
	s_waitcnt vmcnt(0)
	v_cvt_i16_f16_e32 v9, v1
.LBB159_1462:
	s_mov_b64 s[0:1], 0
.LBB159_1463:
	s_andn2_b64 vcc, exec, s[0:1]
	s_cbranch_vccnz .LBB159_1474
; %bb.1464:
	s_cmp_lt_i32 s14, 6
	s_cbranch_scc1 .LBB159_1467
; %bb.1465:
	s_cmp_gt_i32 s14, 6
	s_cbranch_scc0 .LBB159_1468
; %bb.1466:
	global_load_dwordx2 v[8:9], v[14:15], off
	s_mov_b64 s[0:1], 0
	s_waitcnt vmcnt(0)
	v_cvt_i32_f64_e32 v9, v[8:9]
	s_branch .LBB159_1469
.LBB159_1467:
	s_mov_b64 s[0:1], -1
                                        ; implicit-def: $vgpr9
	s_branch .LBB159_1472
.LBB159_1468:
	s_mov_b64 s[0:1], -1
                                        ; implicit-def: $vgpr9
.LBB159_1469:
	s_andn2_b64 vcc, exec, s[0:1]
	s_cbranch_vccnz .LBB159_1471
; %bb.1470:
	global_load_dword v1, v[14:15], off
	s_waitcnt vmcnt(0)
	v_cvt_i32_f32_e32 v9, v1
.LBB159_1471:
	s_mov_b64 s[0:1], 0
.LBB159_1472:
	s_andn2_b64 vcc, exec, s[0:1]
	s_cbranch_vccnz .LBB159_1474
; %bb.1473:
	global_load_ushort v1, v[14:15], off
	s_waitcnt vmcnt(0)
	v_cvt_i16_f16_e32 v9, v1
.LBB159_1474:
	s_mov_b64 s[0:1], 0
.LBB159_1475:
	s_andn2_b64 vcc, exec, s[0:1]
	s_cbranch_vccnz .LBB159_1495
; %bb.1476:
	s_cmp_lt_i32 s14, 2
	s_cbranch_scc1 .LBB159_1480
; %bb.1477:
	s_cmp_lt_i32 s14, 3
	s_cbranch_scc1 .LBB159_1481
; %bb.1478:
	s_cmp_gt_i32 s14, 3
	s_cbranch_scc0 .LBB159_1482
; %bb.1479:
	global_load_dwordx2 v[9:10], v[14:15], off
	s_mov_b64 s[0:1], 0
	s_branch .LBB159_1483
.LBB159_1480:
	s_mov_b64 s[0:1], -1
                                        ; implicit-def: $vgpr9
	s_branch .LBB159_1489
.LBB159_1481:
	s_mov_b64 s[0:1], -1
                                        ; implicit-def: $vgpr9
	s_branch .LBB159_1486
.LBB159_1482:
	s_mov_b64 s[0:1], -1
                                        ; implicit-def: $vgpr9
.LBB159_1483:
	s_andn2_b64 vcc, exec, s[0:1]
	s_cbranch_vccnz .LBB159_1485
; %bb.1484:
	global_load_dword v9, v[14:15], off
.LBB159_1485:
	s_mov_b64 s[0:1], 0
.LBB159_1486:
	s_andn2_b64 vcc, exec, s[0:1]
	s_cbranch_vccnz .LBB159_1488
; %bb.1487:
	global_load_ushort v9, v[14:15], off
.LBB159_1488:
	s_mov_b64 s[0:1], 0
.LBB159_1489:
	s_andn2_b64 vcc, exec, s[0:1]
	s_cbranch_vccnz .LBB159_1495
; %bb.1490:
	s_cmp_gt_i32 s14, 0
	s_cbranch_scc0 .LBB159_1492
; %bb.1491:
	global_load_ubyte v9, v[14:15], off
	s_mov_b64 s[0:1], 0
	s_branch .LBB159_1493
.LBB159_1492:
	s_mov_b64 s[0:1], -1
                                        ; implicit-def: $vgpr9
.LBB159_1493:
	s_andn2_b64 vcc, exec, s[0:1]
	s_cbranch_vccnz .LBB159_1495
; %bb.1494:
	global_load_ubyte v9, v[14:15], off
.LBB159_1495:
.LBB159_1496:
	v_mov_b32_e32 v1, s11
	v_add_co_u32_e32 v14, vcc, s10, v7
	s_cmp_lt_i32 s14, 11
	v_addc_co_u32_e32 v15, vcc, 0, v1, vcc
	s_cbranch_scc1 .LBB159_1503
; %bb.1497:
	s_cmp_gt_i32 s14, 25
	s_mov_b64 s[2:3], 0
	s_cbranch_scc0 .LBB159_1504
; %bb.1498:
	s_cmp_gt_i32 s14, 28
	s_cbranch_scc0 .LBB159_1505
; %bb.1499:
	s_cmp_gt_i32 s14, 43
	;; [unrolled: 3-line block ×3, first 2 shown]
	s_cbranch_scc0 .LBB159_1508
; %bb.1501:
	s_cmp_eq_u32 s14, 46
	s_mov_b64 s[10:11], 0
	s_cbranch_scc0 .LBB159_1509
; %bb.1502:
	global_load_dword v1, v[14:15], off
	s_mov_b64 s[0:1], 0
	s_mov_b64 s[6:7], -1
	s_waitcnt vmcnt(0)
	v_lshlrev_b32_e32 v1, 16, v1
	v_cvt_i32_f32_e32 v7, v1
	s_branch .LBB159_1510
.LBB159_1503:
	s_mov_b64 s[0:1], -1
	s_mov_b64 s[6:7], 0
                                        ; implicit-def: $vgpr7
	s_branch .LBB159_1572
.LBB159_1504:
	s_mov_b64 s[10:11], -1
	s_mov_b64 s[6:7], 0
	s_mov_b64 s[0:1], 0
                                        ; implicit-def: $vgpr7
	s_branch .LBB159_1537
.LBB159_1505:
	s_mov_b64 s[10:11], -1
	s_mov_b64 s[6:7], 0
	s_mov_b64 s[0:1], 0
                                        ; implicit-def: $vgpr7
	s_branch .LBB159_1520
.LBB159_1506:
	s_mov_b64 s[10:11], -1
	s_mov_b64 s[6:7], 0
	s_mov_b64 s[0:1], 0
                                        ; implicit-def: $vgpr7
	s_branch .LBB159_1515
.LBB159_1507:
	s_trap 2
	s_or_b64 s[4:5], s[4:5], exec
	s_cbranch_execz .LBB159_1446
	s_branch .LBB159_1447
.LBB159_1508:
	s_mov_b64 s[10:11], -1
	s_mov_b64 s[6:7], 0
	s_mov_b64 s[0:1], 0
                                        ; implicit-def: $vgpr7
	s_branch .LBB159_1510
.LBB159_1509:
	s_mov_b64 s[0:1], -1
                                        ; implicit-def: $vgpr7
	s_mov_b64 s[6:7], 0
.LBB159_1510:
	s_and_b64 vcc, exec, s[10:11]
	s_cbranch_vccz .LBB159_1514
; %bb.1511:
	s_cmp_eq_u32 s14, 44
	s_cbranch_scc0 .LBB159_1513
; %bb.1512:
	global_load_ubyte v1, v[14:15], off
	s_mov_b64 s[0:1], 0
	s_mov_b64 s[6:7], -1
	s_waitcnt vmcnt(0)
	v_lshlrev_b32_e32 v3, 23, v1
	v_cvt_i32_f32_e32 v3, v3
	v_cmp_ne_u32_e32 vcc, 0, v1
	v_cndmask_b32_e32 v7, 0, v3, vcc
	s_branch .LBB159_1514
.LBB159_1513:
	s_mov_b64 s[0:1], -1
                                        ; implicit-def: $vgpr7
.LBB159_1514:
	s_mov_b64 s[10:11], 0
.LBB159_1515:
	s_and_b64 vcc, exec, s[10:11]
	s_cbranch_vccz .LBB159_1519
; %bb.1516:
	s_cmp_eq_u32 s14, 29
	s_cbranch_scc0 .LBB159_1518
; %bb.1517:
	global_load_dwordx2 v[7:8], v[14:15], off
	s_mov_b64 s[0:1], 0
	s_mov_b64 s[6:7], -1
	s_branch .LBB159_1519
.LBB159_1518:
	s_mov_b64 s[0:1], -1
                                        ; implicit-def: $vgpr7
.LBB159_1519:
	s_mov_b64 s[10:11], 0
.LBB159_1520:
	s_and_b64 vcc, exec, s[10:11]
	s_cbranch_vccz .LBB159_1536
; %bb.1521:
	s_cmp_lt_i32 s14, 27
	s_cbranch_scc1 .LBB159_1524
; %bb.1522:
	s_cmp_gt_i32 s14, 27
	s_cbranch_scc0 .LBB159_1525
; %bb.1523:
	global_load_dword v7, v[14:15], off
	s_mov_b64 s[6:7], 0
	s_branch .LBB159_1526
.LBB159_1524:
	s_mov_b64 s[6:7], -1
                                        ; implicit-def: $vgpr7
	s_branch .LBB159_1529
.LBB159_1525:
	s_mov_b64 s[6:7], -1
                                        ; implicit-def: $vgpr7
.LBB159_1526:
	s_andn2_b64 vcc, exec, s[6:7]
	s_cbranch_vccnz .LBB159_1528
; %bb.1527:
	global_load_ushort v7, v[14:15], off
.LBB159_1528:
	s_mov_b64 s[6:7], 0
.LBB159_1529:
	s_andn2_b64 vcc, exec, s[6:7]
	s_cbranch_vccnz .LBB159_1535
; %bb.1530:
	global_load_ubyte v1, v[14:15], off
	s_movk_i32 s6, 0x7f
	s_mov_b64 s[10:11], 0
	s_waitcnt vmcnt(0)
	v_cmp_lt_i16_e32 vcc, s6, v1
	s_and_saveexec_b64 s[6:7], vcc
	s_xor_b64 s[6:7], exec, s[6:7]
	s_cbranch_execz .LBB159_1547
; %bb.1531:
	s_movk_i32 s10, 0x80
	v_cmp_ne_u16_e32 vcc, s10, v1
	s_and_b64 s[10:11], vcc, exec
	s_andn2_saveexec_b64 s[6:7], s[6:7]
	s_cbranch_execnz .LBB159_1548
.LBB159_1532:
	s_or_b64 exec, exec, s[6:7]
	v_mov_b32_e32 v7, 0
	s_and_saveexec_b64 s[6:7], s[10:11]
	s_cbranch_execz .LBB159_1534
.LBB159_1533:
	v_lshlrev_b32_e32 v3, 24, v1
	v_and_b32_e32 v1, 0xffff, v1
	v_and_b32_e32 v5, 7, v1
	v_ffbh_u32_e32 v8, v5
	v_min_u32_e32 v8, 32, v8
	v_subrev_u32_e32 v10, 28, v8
	v_bfe_u32 v7, v1, 3, 4
	v_lshlrev_b32_e32 v1, v10, v1
	v_sub_u32_e32 v8, 29, v8
	v_and_b32_e32 v1, 7, v1
	v_cmp_eq_u32_e32 vcc, 0, v7
	v_cndmask_b32_e32 v7, v7, v8, vcc
	v_cndmask_b32_e32 v1, v5, v1, vcc
	v_mov_b32_e32 v5, 0x3b800000
	v_lshlrev_b32_e32 v1, 20, v1
	v_and_b32_e32 v3, 0x80000000, v3
	v_lshl_add_u32 v5, v7, 23, v5
	v_or3_b32 v1, v3, v5, v1
	v_cvt_i32_f32_e32 v7, v1
.LBB159_1534:
	s_or_b64 exec, exec, s[6:7]
.LBB159_1535:
	s_mov_b64 s[6:7], -1
.LBB159_1536:
	s_mov_b64 s[10:11], 0
.LBB159_1537:
	s_and_b64 vcc, exec, s[10:11]
	s_cbranch_vccz .LBB159_1568
; %bb.1538:
	s_cmp_gt_i32 s14, 22
	s_cbranch_scc0 .LBB159_1546
; %bb.1539:
	s_cmp_lt_i32 s14, 24
	s_cbranch_scc1 .LBB159_1549
; %bb.1540:
	s_cmp_gt_i32 s14, 24
	s_cbranch_scc0 .LBB159_1550
; %bb.1541:
	global_load_ubyte v1, v[14:15], off
	s_movk_i32 s2, 0x7f
	s_mov_b64 s[6:7], 0
	s_waitcnt vmcnt(0)
	v_cmp_lt_i16_e32 vcc, s2, v1
	s_and_saveexec_b64 s[2:3], vcc
	s_xor_b64 s[2:3], exec, s[2:3]
	s_cbranch_execz .LBB159_1562
; %bb.1542:
	s_movk_i32 s6, 0x80
	v_cmp_ne_u16_e32 vcc, s6, v1
	s_and_b64 s[6:7], vcc, exec
	s_andn2_saveexec_b64 s[2:3], s[2:3]
	s_cbranch_execnz .LBB159_1563
.LBB159_1543:
	s_or_b64 exec, exec, s[2:3]
	v_mov_b32_e32 v7, 0
	s_and_saveexec_b64 s[2:3], s[6:7]
	s_cbranch_execz .LBB159_1545
.LBB159_1544:
	v_lshlrev_b32_e32 v3, 24, v1
	v_and_b32_e32 v1, 0xffff, v1
	v_and_b32_e32 v5, 3, v1
	v_ffbh_u32_e32 v8, v5
	v_min_u32_e32 v8, 32, v8
	v_subrev_u32_e32 v10, 29, v8
	v_bfe_u32 v7, v1, 2, 5
	v_lshlrev_b32_e32 v1, v10, v1
	v_sub_u32_e32 v8, 30, v8
	v_and_b32_e32 v1, 3, v1
	v_cmp_eq_u32_e32 vcc, 0, v7
	v_cndmask_b32_e32 v7, v7, v8, vcc
	v_cndmask_b32_e32 v1, v5, v1, vcc
	v_mov_b32_e32 v5, 0x37800000
	v_lshlrev_b32_e32 v1, 21, v1
	v_and_b32_e32 v3, 0x80000000, v3
	v_lshl_add_u32 v5, v7, 23, v5
	v_or3_b32 v1, v3, v5, v1
	v_cvt_i32_f32_e32 v7, v1
.LBB159_1545:
	s_or_b64 exec, exec, s[2:3]
	s_mov_b64 s[2:3], 0
	s_branch .LBB159_1551
.LBB159_1546:
	s_mov_b64 s[2:3], -1
                                        ; implicit-def: $vgpr7
	s_branch .LBB159_1557
.LBB159_1547:
	s_andn2_saveexec_b64 s[6:7], s[6:7]
	s_cbranch_execz .LBB159_1532
.LBB159_1548:
	v_cmp_ne_u16_e32 vcc, 0, v1
	s_andn2_b64 s[10:11], s[10:11], exec
	s_and_b64 s[12:13], vcc, exec
	s_or_b64 s[10:11], s[10:11], s[12:13]
	s_or_b64 exec, exec, s[6:7]
	v_mov_b32_e32 v7, 0
	s_and_saveexec_b64 s[6:7], s[10:11]
	s_cbranch_execnz .LBB159_1533
	s_branch .LBB159_1534
.LBB159_1549:
	s_mov_b64 s[2:3], -1
                                        ; implicit-def: $vgpr7
	s_branch .LBB159_1554
.LBB159_1550:
	s_mov_b64 s[2:3], -1
                                        ; implicit-def: $vgpr7
.LBB159_1551:
	s_and_b64 vcc, exec, s[2:3]
	s_cbranch_vccz .LBB159_1553
; %bb.1552:
	global_load_ubyte v1, v[14:15], off
	s_mov_b32 s2, 0x7f800000
	s_waitcnt vmcnt(0)
	v_lshlrev_b32_e32 v1, 24, v1
	v_and_b32_e32 v3, 0x7f000000, v1
	v_ffbh_u32_e32 v5, v3
	v_min_u32_e32 v5, 32, v5
	v_sub_u32_e64 v5, v5, 4 clamp
	v_lshlrev_b32_e32 v8, v5, v3
	v_lshlrev_b32_e32 v5, 23, v5
	v_lshrrev_b32_e32 v8, 4, v8
	v_add_u32_e32 v7, 0x1000000, v3
	v_sub_u32_e32 v5, v8, v5
	v_ashrrev_i32_e32 v7, 8, v7
	v_add_u32_e32 v5, 0x3c000000, v5
	v_and_or_b32 v5, v7, s2, v5
	v_cmp_ne_u32_e32 vcc, 0, v3
	v_cndmask_b32_e32 v3, 0, v5, vcc
	s_brev_b32 s2, 1
	v_and_or_b32 v1, v1, s2, v3
	v_cvt_i32_f32_e32 v7, v1
.LBB159_1553:
	s_mov_b64 s[2:3], 0
.LBB159_1554:
	s_andn2_b64 vcc, exec, s[2:3]
	s_cbranch_vccnz .LBB159_1556
; %bb.1555:
	global_load_ubyte v1, v[14:15], off
	s_movk_i32 s2, 0x7f00
	s_brev_b32 s3, 16
	s_waitcnt vmcnt(0)
	v_lshlrev_b16_e32 v3, 8, v1
	v_lshlrev_b32_e32 v1, 25, v1
	v_lshrrev_b32_e32 v5, 4, v1
	v_and_or_b32 v7, v3, s2, 0.5
	v_or_b32_e32 v5, 0x70000000, v5
	v_add_f32_e32 v7, -0.5, v7
	v_mul_f32_e32 v5, 0x7800000, v5
	v_cmp_gt_u32_e32 vcc, s3, v1
	v_bfe_i32 v3, v3, 0, 16
	v_cndmask_b32_e32 v1, v5, v7, vcc
	s_brev_b32 s2, 1
	v_and_or_b32 v1, v3, s2, v1
	v_cvt_i32_f32_e32 v7, v1
.LBB159_1556:
	s_mov_b64 s[2:3], 0
	s_mov_b64 s[6:7], -1
.LBB159_1557:
	s_andn2_b64 vcc, exec, s[2:3]
	s_mov_b64 s[2:3], 0
	s_cbranch_vccnz .LBB159_1568
; %bb.1558:
	s_cmp_gt_i32 s14, 14
	s_cbranch_scc0 .LBB159_1561
; %bb.1559:
	s_cmp_eq_u32 s14, 15
	s_cbranch_scc0 .LBB159_1564
; %bb.1560:
	global_load_ushort v1, v[14:15], off
	s_mov_b64 s[0:1], 0
	s_mov_b64 s[6:7], -1
	s_waitcnt vmcnt(0)
	v_lshlrev_b32_e32 v1, 16, v1
	v_cvt_i32_f32_e32 v7, v1
	s_branch .LBB159_1565
.LBB159_1561:
	s_mov_b64 s[10:11], -1
                                        ; implicit-def: $vgpr7
	s_branch .LBB159_1566
.LBB159_1562:
	s_andn2_saveexec_b64 s[2:3], s[2:3]
	s_cbranch_execz .LBB159_1543
.LBB159_1563:
	v_cmp_ne_u16_e32 vcc, 0, v1
	s_andn2_b64 s[6:7], s[6:7], exec
	s_and_b64 s[10:11], vcc, exec
	s_or_b64 s[6:7], s[6:7], s[10:11]
	s_or_b64 exec, exec, s[2:3]
	v_mov_b32_e32 v7, 0
	s_and_saveexec_b64 s[2:3], s[6:7]
	s_cbranch_execnz .LBB159_1544
	s_branch .LBB159_1545
.LBB159_1564:
	s_mov_b64 s[0:1], -1
                                        ; implicit-def: $vgpr7
.LBB159_1565:
	s_mov_b64 s[10:11], 0
.LBB159_1566:
	s_and_b64 vcc, exec, s[10:11]
	s_cbranch_vccz .LBB159_1568
; %bb.1567:
	s_cmp_lg_u32 s14, 11
	s_mov_b64 s[2:3], -1
	s_cselect_b64 s[0:1], -1, 0
.LBB159_1568:
	s_and_b64 vcc, exec, s[0:1]
	s_cbranch_vccnz .LBB159_2101
; %bb.1569:
	s_andn2_b64 vcc, exec, s[2:3]
	s_cbranch_vccnz .LBB159_1571
.LBB159_1570:
	global_load_ubyte v1, v[14:15], off
	s_mov_b64 s[6:7], -1
	s_waitcnt vmcnt(0)
	v_cmp_ne_u16_e32 vcc, 0, v1
	v_cndmask_b32_e64 v7, 0, 1, vcc
.LBB159_1571:
	s_mov_b64 s[0:1], 0
.LBB159_1572:
	s_and_b64 vcc, exec, s[0:1]
	s_cbranch_vccz .LBB159_1621
; %bb.1573:
	s_cmp_lt_i32 s14, 5
	s_cbranch_scc1 .LBB159_1578
; %bb.1574:
	s_cmp_lt_i32 s14, 8
	s_cbranch_scc1 .LBB159_1579
	;; [unrolled: 3-line block ×3, first 2 shown]
; %bb.1576:
	s_cmp_gt_i32 s14, 9
	s_cbranch_scc0 .LBB159_1581
; %bb.1577:
	global_load_dwordx2 v[7:8], v[14:15], off
	s_mov_b64 s[0:1], 0
	s_waitcnt vmcnt(0)
	v_cvt_i32_f64_e32 v7, v[7:8]
	s_branch .LBB159_1582
.LBB159_1578:
	s_mov_b64 s[0:1], -1
                                        ; implicit-def: $vgpr7
	s_branch .LBB159_1600
.LBB159_1579:
	s_mov_b64 s[0:1], -1
                                        ; implicit-def: $vgpr7
	s_branch .LBB159_1588
.LBB159_1580:
	s_mov_b64 s[0:1], -1
                                        ; implicit-def: $vgpr7
	s_branch .LBB159_1585
.LBB159_1581:
	s_mov_b64 s[0:1], -1
                                        ; implicit-def: $vgpr7
.LBB159_1582:
	s_andn2_b64 vcc, exec, s[0:1]
	s_cbranch_vccnz .LBB159_1584
; %bb.1583:
	global_load_dword v1, v[14:15], off
	s_waitcnt vmcnt(0)
	v_cvt_i32_f32_e32 v7, v1
.LBB159_1584:
	s_mov_b64 s[0:1], 0
.LBB159_1585:
	s_andn2_b64 vcc, exec, s[0:1]
	s_cbranch_vccnz .LBB159_1587
; %bb.1586:
	global_load_dword v1, v[14:15], off
	s_waitcnt vmcnt(0)
	v_cvt_i16_f16_e32 v7, v1
.LBB159_1587:
	s_mov_b64 s[0:1], 0
.LBB159_1588:
	s_andn2_b64 vcc, exec, s[0:1]
	s_cbranch_vccnz .LBB159_1599
; %bb.1589:
	s_cmp_lt_i32 s14, 6
	s_cbranch_scc1 .LBB159_1592
; %bb.1590:
	s_cmp_gt_i32 s14, 6
	s_cbranch_scc0 .LBB159_1593
; %bb.1591:
	global_load_dwordx2 v[7:8], v[14:15], off
	s_mov_b64 s[0:1], 0
	s_waitcnt vmcnt(0)
	v_cvt_i32_f64_e32 v7, v[7:8]
	s_branch .LBB159_1594
.LBB159_1592:
	s_mov_b64 s[0:1], -1
                                        ; implicit-def: $vgpr7
	s_branch .LBB159_1597
.LBB159_1593:
	s_mov_b64 s[0:1], -1
                                        ; implicit-def: $vgpr7
.LBB159_1594:
	s_andn2_b64 vcc, exec, s[0:1]
	s_cbranch_vccnz .LBB159_1596
; %bb.1595:
	global_load_dword v1, v[14:15], off
	s_waitcnt vmcnt(0)
	v_cvt_i32_f32_e32 v7, v1
.LBB159_1596:
	s_mov_b64 s[0:1], 0
.LBB159_1597:
	s_andn2_b64 vcc, exec, s[0:1]
	s_cbranch_vccnz .LBB159_1599
; %bb.1598:
	global_load_ushort v1, v[14:15], off
	s_waitcnt vmcnt(0)
	v_cvt_i16_f16_e32 v7, v1
.LBB159_1599:
	s_mov_b64 s[0:1], 0
.LBB159_1600:
	s_andn2_b64 vcc, exec, s[0:1]
	s_cbranch_vccnz .LBB159_1620
; %bb.1601:
	s_cmp_lt_i32 s14, 2
	s_cbranch_scc1 .LBB159_1605
; %bb.1602:
	s_cmp_lt_i32 s14, 3
	s_cbranch_scc1 .LBB159_1606
; %bb.1603:
	s_cmp_gt_i32 s14, 3
	s_cbranch_scc0 .LBB159_1607
; %bb.1604:
	global_load_dwordx2 v[7:8], v[14:15], off
	s_mov_b64 s[0:1], 0
	s_branch .LBB159_1608
.LBB159_1605:
	s_mov_b64 s[0:1], -1
                                        ; implicit-def: $vgpr7
	s_branch .LBB159_1614
.LBB159_1606:
	s_mov_b64 s[0:1], -1
                                        ; implicit-def: $vgpr7
	s_branch .LBB159_1611
.LBB159_1607:
	s_mov_b64 s[0:1], -1
                                        ; implicit-def: $vgpr7
.LBB159_1608:
	s_andn2_b64 vcc, exec, s[0:1]
	s_cbranch_vccnz .LBB159_1610
; %bb.1609:
	global_load_dword v7, v[14:15], off
.LBB159_1610:
	s_mov_b64 s[0:1], 0
.LBB159_1611:
	s_andn2_b64 vcc, exec, s[0:1]
	s_cbranch_vccnz .LBB159_1613
; %bb.1612:
	global_load_ushort v7, v[14:15], off
.LBB159_1613:
	s_mov_b64 s[0:1], 0
.LBB159_1614:
	s_andn2_b64 vcc, exec, s[0:1]
	s_cbranch_vccnz .LBB159_1620
; %bb.1615:
	s_cmp_gt_i32 s14, 0
	s_cbranch_scc0 .LBB159_1617
; %bb.1616:
	global_load_ubyte v7, v[14:15], off
	s_mov_b64 s[0:1], 0
	s_branch .LBB159_1618
.LBB159_1617:
	s_mov_b64 s[0:1], -1
                                        ; implicit-def: $vgpr7
.LBB159_1618:
	s_andn2_b64 vcc, exec, s[0:1]
	s_cbranch_vccnz .LBB159_1620
; %bb.1619:
	global_load_ubyte v7, v[14:15], off
.LBB159_1620:
	s_mov_b64 s[6:7], -1
.LBB159_1621:
	s_andn2_b64 vcc, exec, s[6:7]
	s_cbranch_vccnz .LBB159_2055
; %bb.1622:
	s_lshr_b32 s0, s16, 8
	s_and_b32 s17, s0, 0xff
	s_cmp_gt_u32 s17, 6
	v_mov_b32_e32 v1, 7
	v_ashrrev_i16_sdwa v1, v1, sext(v13) dst_sel:DWORD dst_unused:UNUSED_PAD src0_sel:DWORD src1_sel:BYTE_0
	v_ashrrev_i32_sdwa v3, s0, sext(v13) dst_sel:DWORD dst_unused:UNUSED_PAD src0_sel:DWORD src1_sel:BYTE_0
	s_cselect_b64 s[0:1], -1, 0
	s_bfe_u32 s18, s16, 0x80010
	v_cndmask_b32_e64 v1, v3, v1, s[0:1]
	v_mov_b32_e32 v3, s9
	v_add_co_u32_e32 v5, vcc, s8, v6
	s_cmp_lt_i32 s18, 11
	v_addc_co_u32_e32 v6, vcc, 0, v3, vcc
	s_cbranch_scc1 .LBB159_1700
; %bb.1623:
	s_and_b32 s19, 0xffff, s18
	s_mov_b64 s[12:13], -1
	s_mov_b64 s[6:7], 0
	s_cmp_gt_i32 s19, 25
	s_mov_b64 s[10:11], 0
	s_mov_b64 s[2:3], 0
	s_cbranch_scc0 .LBB159_1656
; %bb.1624:
	s_cmp_gt_i32 s19, 28
	s_cbranch_scc0 .LBB159_1639
; %bb.1625:
	s_cmp_gt_i32 s19, 43
	;; [unrolled: 3-line block ×3, first 2 shown]
	s_cbranch_scc0 .LBB159_1629
; %bb.1627:
	s_mov_b64 s[2:3], -1
	s_mov_b64 s[12:13], 0
	s_cmp_eq_u32 s19, 46
	s_cbranch_scc0 .LBB159_1629
; %bb.1628:
	v_cvt_f32_i32_sdwa v3, sext(v1) dst_sel:DWORD dst_unused:UNUSED_PAD src0_sel:WORD_0
	s_movk_i32 s10, 0x7fff
	s_mov_b64 s[2:3], 0
	s_waitcnt vmcnt(0)
	v_bfe_u32 v8, v3, 16, 1
	v_add3_u32 v3, v3, v8, s10
	v_lshrrev_b32_e32 v3, 16, v3
	global_store_dword v[5:6], v3, off
	s_mov_b64 s[10:11], -1
.LBB159_1629:
	s_and_b64 vcc, exec, s[12:13]
	s_cbranch_vccz .LBB159_1634
; %bb.1630:
	s_cmp_eq_u32 s19, 44
	s_mov_b64 s[2:3], -1
	s_cbranch_scc0 .LBB159_1634
; %bb.1631:
	v_cvt_f32_i32_sdwa v3, sext(v1) dst_sel:DWORD dst_unused:UNUSED_PAD src0_sel:WORD_0
	s_movk_i32 s2, 0xff
	s_waitcnt vmcnt(0)
	v_mov_b32_e32 v10, 0xff
	v_bfe_u32 v8, v3, 23, 8
	v_cmp_ne_u32_e32 vcc, s2, v8
	s_and_saveexec_b64 s[10:11], vcc
; %bb.1632:
	s_mov_b32 s2, 0x3fffff
	v_lshrrev_b32_e32 v10, 23, v3
	v_and_b32_e32 v12, 0x400000, v3
	v_and_or_b32 v3, v3, s2, v8
	v_cmp_ne_u32_e32 vcc, 0, v12
	v_cmp_ne_u32_e64 s[2:3], 0, v3
	s_and_b64 s[2:3], vcc, s[2:3]
	v_cndmask_b32_e64 v3, 0, 1, s[2:3]
	v_add_u32_e32 v10, v10, v3
; %bb.1633:
	s_or_b64 exec, exec, s[10:11]
	s_mov_b64 s[2:3], 0
	s_mov_b64 s[10:11], -1
	global_store_byte v[5:6], v10, off
.LBB159_1634:
	s_mov_b64 s[12:13], 0
.LBB159_1635:
	s_and_b64 vcc, exec, s[12:13]
	s_cbranch_vccz .LBB159_1638
; %bb.1636:
	s_cmp_eq_u32 s19, 29
	s_mov_b64 s[2:3], -1
	s_cbranch_scc0 .LBB159_1638
; %bb.1637:
	s_waitcnt vmcnt(0)
	v_bfe_i32 v12, v1, 0, 16
	v_ashrrev_i32_e32 v13, 31, v12
	global_store_dwordx2 v[5:6], v[12:13], off
	s_mov_b64 s[2:3], 0
	s_mov_b64 s[10:11], -1
.LBB159_1638:
	s_mov_b64 s[12:13], 0
.LBB159_1639:
	s_and_b64 vcc, exec, s[12:13]
	s_cbranch_vccz .LBB159_1655
; %bb.1640:
	s_cmp_lt_i32 s19, 27
	s_mov_b64 s[10:11], -1
	s_cbranch_scc1 .LBB159_1646
; %bb.1641:
	s_cmp_gt_i32 s19, 27
	s_cbranch_scc0 .LBB159_1643
; %bb.1642:
	v_bfe_i32 v3, v1, 0, 16
	s_mov_b64 s[10:11], 0
	global_store_dword v[5:6], v3, off
.LBB159_1643:
	s_andn2_b64 vcc, exec, s[10:11]
	s_cbranch_vccnz .LBB159_1645
; %bb.1644:
	global_store_short v[5:6], v1, off
.LBB159_1645:
	s_mov_b64 s[10:11], 0
.LBB159_1646:
	s_andn2_b64 vcc, exec, s[10:11]
	s_cbranch_vccnz .LBB159_1654
; %bb.1647:
	v_cvt_f32_i32_sdwa v3, sext(v1) dst_sel:DWORD dst_unused:UNUSED_PAD src0_sel:WORD_0
	s_mov_b32 s10, 0x43800000
	s_waitcnt vmcnt(0)
	v_mov_b32_e32 v10, 0x80
	v_and_b32_e32 v8, 0x7fffffff, v3
	v_cmp_gt_u32_e32 vcc, s10, v8
	s_and_saveexec_b64 s[10:11], vcc
	s_cbranch_execz .LBB159_1653
; %bb.1648:
	s_mov_b32 s12, 0x3bffffff
	v_cmp_lt_u32_e32 vcc, s12, v8
	s_mov_b64 s[12:13], 0
                                        ; implicit-def: $vgpr8
	s_and_saveexec_b64 s[14:15], vcc
	s_xor_b64 s[14:15], exec, s[14:15]
	s_cbranch_execz .LBB159_2102
; %bb.1649:
	v_bfe_u32 v8, v3, 20, 1
	s_mov_b32 s20, 0x487ffff
	v_add3_u32 v8, v3, v8, s20
	s_mov_b64 s[12:13], exec
	v_lshrrev_b32_e32 v8, 20, v8
	s_andn2_saveexec_b64 s[14:15], s[14:15]
	s_cbranch_execnz .LBB159_2103
.LBB159_1650:
	s_or_b64 exec, exec, s[14:15]
	v_mov_b32_e32 v10, 0
	s_and_saveexec_b64 s[14:15], s[12:13]
.LBB159_1651:
	v_lshrrev_b32_e32 v3, 24, v3
	s_movk_i32 s12, 0x80
	v_and_or_b32 v10, v3, s12, v8
.LBB159_1652:
	s_or_b64 exec, exec, s[14:15]
.LBB159_1653:
	s_or_b64 exec, exec, s[10:11]
	global_store_byte v[5:6], v10, off
.LBB159_1654:
	s_mov_b64 s[10:11], -1
.LBB159_1655:
	s_mov_b64 s[12:13], 0
.LBB159_1656:
	s_and_b64 vcc, exec, s[12:13]
	s_cbranch_vccz .LBB159_1696
; %bb.1657:
	s_cmp_gt_i32 s19, 22
	s_mov_b64 s[6:7], -1
	s_cbranch_scc0 .LBB159_1689
; %bb.1658:
	s_cmp_lt_i32 s19, 24
	s_cbranch_scc1 .LBB159_1678
; %bb.1659:
	s_cmp_gt_i32 s19, 24
	s_cbranch_scc0 .LBB159_1667
; %bb.1660:
	v_cvt_f32_i32_sdwa v3, sext(v1) dst_sel:DWORD dst_unused:UNUSED_PAD src0_sel:WORD_0
	s_mov_b32 s6, 0x47800000
	s_waitcnt vmcnt(0)
	v_mov_b32_e32 v10, 0x80
	v_and_b32_e32 v8, 0x7fffffff, v3
	v_cmp_gt_u32_e32 vcc, s6, v8
	s_and_saveexec_b64 s[6:7], vcc
	s_cbranch_execz .LBB159_1666
; %bb.1661:
	s_mov_b32 s10, 0x37ffffff
	v_cmp_lt_u32_e32 vcc, s10, v8
	s_mov_b64 s[10:11], 0
                                        ; implicit-def: $vgpr8
	s_and_saveexec_b64 s[12:13], vcc
	s_xor_b64 s[12:13], exec, s[12:13]
	s_cbranch_execz .LBB159_2105
; %bb.1662:
	v_bfe_u32 v8, v3, 21, 1
	s_mov_b32 s14, 0x88fffff
	v_add3_u32 v8, v3, v8, s14
	s_mov_b64 s[10:11], exec
	v_lshrrev_b32_e32 v8, 21, v8
	s_andn2_saveexec_b64 s[12:13], s[12:13]
	s_cbranch_execnz .LBB159_2106
.LBB159_1663:
	s_or_b64 exec, exec, s[12:13]
	v_mov_b32_e32 v10, 0
	s_and_saveexec_b64 s[12:13], s[10:11]
.LBB159_1664:
	v_lshrrev_b32_e32 v3, 24, v3
	s_movk_i32 s10, 0x80
	v_and_or_b32 v10, v3, s10, v8
.LBB159_1665:
	s_or_b64 exec, exec, s[12:13]
.LBB159_1666:
	s_or_b64 exec, exec, s[6:7]
	s_mov_b64 s[6:7], 0
	global_store_byte v[5:6], v10, off
.LBB159_1667:
	s_and_b64 vcc, exec, s[6:7]
	s_cbranch_vccz .LBB159_1677
; %bb.1668:
	v_cvt_f32_i32_sdwa v3, sext(v1) dst_sel:DWORD dst_unused:UNUSED_PAD src0_sel:WORD_0
	s_mov_b32 s6, 0x43f00000
                                        ; implicit-def: $vgpr8
	s_waitcnt vmcnt(0)
	v_and_b32_e32 v10, 0x7fffffff, v3
	v_cmp_gt_u32_e32 vcc, s6, v10
	s_and_saveexec_b64 s[6:7], vcc
	s_xor_b64 s[6:7], exec, s[6:7]
	s_cbranch_execz .LBB159_1674
; %bb.1669:
	s_mov_b32 s10, 0x3c7fffff
	v_cmp_lt_u32_e32 vcc, s10, v10
                                        ; implicit-def: $vgpr8
	s_and_saveexec_b64 s[10:11], vcc
	s_xor_b64 s[10:11], exec, s[10:11]
; %bb.1670:
	v_bfe_u32 v8, v3, 20, 1
	s_mov_b32 s12, 0x407ffff
	v_add3_u32 v8, v3, v8, s12
	v_lshrrev_b32_e32 v10, 20, v8
	v_and_b32_e32 v8, 0xff00000, v8
	s_mov_b32 s12, 0x7f00000
	v_mov_b32_e32 v12, 0x7e
	v_cmp_ne_u32_e32 vcc, s12, v8
	v_cndmask_b32_e32 v8, v12, v10, vcc
; %bb.1671:
	s_andn2_saveexec_b64 s[10:11], s[10:11]
; %bb.1672:
	s_mov_b32 s12, 0x46800000
	v_add_f32_e64 v8, |v3|, s12
; %bb.1673:
	s_or_b64 exec, exec, s[10:11]
                                        ; implicit-def: $vgpr10
.LBB159_1674:
	s_andn2_saveexec_b64 s[6:7], s[6:7]
; %bb.1675:
	s_mov_b32 s10, 0x7f800000
	v_mov_b32_e32 v8, 0x7e
	v_mov_b32_e32 v12, 0x7f
	v_cmp_lt_u32_e32 vcc, s10, v10
	v_cndmask_b32_e32 v8, v8, v12, vcc
; %bb.1676:
	s_or_b64 exec, exec, s[6:7]
	v_lshrrev_b32_e32 v3, 24, v3
	s_movk_i32 s6, 0x80
	v_and_or_b32 v3, v3, s6, v8
	global_store_byte v[5:6], v3, off
.LBB159_1677:
	s_mov_b64 s[6:7], 0
.LBB159_1678:
	s_andn2_b64 vcc, exec, s[6:7]
	s_cbranch_vccnz .LBB159_1688
; %bb.1679:
	v_cvt_f32_i32_sdwa v3, sext(v1) dst_sel:DWORD dst_unused:UNUSED_PAD src0_sel:WORD_0
	s_mov_b32 s6, 0x47800000
                                        ; implicit-def: $vgpr8
	s_waitcnt vmcnt(0)
	v_and_b32_e32 v10, 0x7fffffff, v3
	v_cmp_gt_u32_e32 vcc, s6, v10
	s_and_saveexec_b64 s[6:7], vcc
	s_xor_b64 s[6:7], exec, s[6:7]
	s_cbranch_execz .LBB159_1685
; %bb.1680:
	s_mov_b32 s10, 0x387fffff
	v_cmp_lt_u32_e32 vcc, s10, v10
                                        ; implicit-def: $vgpr8
	s_and_saveexec_b64 s[10:11], vcc
	s_xor_b64 s[10:11], exec, s[10:11]
; %bb.1681:
	v_bfe_u32 v8, v3, 21, 1
	s_mov_b32 s12, 0x80fffff
	v_add3_u32 v8, v3, v8, s12
	v_lshrrev_b32_e32 v8, 21, v8
; %bb.1682:
	s_andn2_saveexec_b64 s[10:11], s[10:11]
; %bb.1683:
	s_mov_b32 s12, 0x43000000
	v_add_f32_e64 v8, |v3|, s12
; %bb.1684:
	s_or_b64 exec, exec, s[10:11]
                                        ; implicit-def: $vgpr10
.LBB159_1685:
	s_andn2_saveexec_b64 s[6:7], s[6:7]
; %bb.1686:
	s_mov_b32 s10, 0x7f800000
	v_mov_b32_e32 v8, 0x7c
	v_mov_b32_e32 v12, 0x7f
	v_cmp_lt_u32_e32 vcc, s10, v10
	v_cndmask_b32_e32 v8, v8, v12, vcc
; %bb.1687:
	s_or_b64 exec, exec, s[6:7]
	v_lshrrev_b32_e32 v3, 24, v3
	s_movk_i32 s6, 0x80
	v_and_or_b32 v3, v3, s6, v8
	global_store_byte v[5:6], v3, off
.LBB159_1688:
	s_mov_b64 s[6:7], 0
	s_mov_b64 s[10:11], -1
.LBB159_1689:
	s_andn2_b64 vcc, exec, s[6:7]
	s_mov_b64 s[6:7], 0
	s_cbranch_vccnz .LBB159_1696
; %bb.1690:
	s_cmp_gt_i32 s19, 14
	s_mov_b64 s[12:13], -1
	s_cbranch_scc0 .LBB159_1694
; %bb.1691:
	s_cmp_eq_u32 s19, 15
	s_mov_b64 s[2:3], -1
	s_cbranch_scc0 .LBB159_1693
; %bb.1692:
	v_cvt_f32_i32_sdwa v3, sext(v1) dst_sel:DWORD dst_unused:UNUSED_PAD src0_sel:WORD_0
	s_movk_i32 s6, 0x7fff
	s_mov_b64 s[2:3], 0
	s_mov_b64 s[10:11], -1
	s_waitcnt vmcnt(0)
	v_bfe_u32 v8, v3, 16, 1
	v_add3_u32 v3, v3, v8, s6
	global_store_short_d16_hi v[5:6], v3, off
.LBB159_1693:
	s_mov_b64 s[12:13], 0
.LBB159_1694:
	s_mov_b64 s[6:7], 0
	s_and_b64 vcc, exec, s[12:13]
	s_cbranch_vccz .LBB159_1696
; %bb.1695:
	s_cmp_lg_u32 s19, 11
	s_mov_b64 s[6:7], -1
	s_cselect_b64 s[2:3], -1, 0
.LBB159_1696:
	s_and_b64 vcc, exec, s[2:3]
	s_cbranch_vccnz .LBB159_2104
; %bb.1697:
	s_andn2_b64 vcc, exec, s[6:7]
	s_cbranch_vccnz .LBB159_1699
.LBB159_1698:
	v_cmp_ne_u16_e32 vcc, 0, v1
	v_cndmask_b32_e64 v3, 0, 1, vcc
	s_mov_b64 s[10:11], -1
	global_store_byte v[5:6], v3, off
.LBB159_1699:
	s_mov_b64 s[2:3], 0
	s_branch .LBB159_1701
.LBB159_1700:
	s_mov_b64 s[2:3], -1
	s_mov_b64 s[10:11], 0
.LBB159_1701:
	s_and_b64 vcc, exec, s[2:3]
	s_cbranch_vccz .LBB159_1740
; %bb.1702:
	s_and_b32 s6, 0xffff, s18
	s_cmp_lt_i32 s6, 5
	s_mov_b64 s[2:3], -1
	s_cbranch_scc1 .LBB159_1723
; %bb.1703:
	s_cmp_lt_i32 s6, 8
	s_cbranch_scc1 .LBB159_1713
; %bb.1704:
	s_cmp_lt_i32 s6, 9
	s_cbranch_scc1 .LBB159_1710
; %bb.1705:
	s_cmp_gt_i32 s6, 9
	s_cbranch_scc0 .LBB159_1707
; %bb.1706:
	v_bfe_i32 v3, v1, 0, 16
	s_waitcnt vmcnt(0)
	v_cvt_f64_i32_e32 v[12:13], v3
	v_mov_b32_e32 v14, 0
	v_mov_b32_e32 v15, v14
	s_mov_b64 s[2:3], 0
	global_store_dwordx4 v[5:6], v[12:15], off
.LBB159_1707:
	s_andn2_b64 vcc, exec, s[2:3]
	s_cbranch_vccnz .LBB159_1709
; %bb.1708:
	s_waitcnt vmcnt(0)
	v_cvt_f32_i32_sdwa v12, sext(v1) dst_sel:DWORD dst_unused:UNUSED_PAD src0_sel:WORD_0
	v_mov_b32_e32 v13, 0
	global_store_dwordx2 v[5:6], v[12:13], off
.LBB159_1709:
	s_mov_b64 s[2:3], 0
.LBB159_1710:
	s_andn2_b64 vcc, exec, s[2:3]
	s_cbranch_vccnz .LBB159_1712
; %bb.1711:
	v_cvt_f16_i16_e32 v3, v1
	global_store_dword v[5:6], v3, off
.LBB159_1712:
	s_mov_b64 s[2:3], 0
.LBB159_1713:
	s_andn2_b64 vcc, exec, s[2:3]
	s_cbranch_vccnz .LBB159_1722
; %bb.1714:
	s_cmp_lt_i32 s6, 6
	s_mov_b64 s[2:3], -1
	s_cbranch_scc1 .LBB159_1720
; %bb.1715:
	s_cmp_gt_i32 s6, 6
	s_cbranch_scc0 .LBB159_1717
; %bb.1716:
	v_bfe_i32 v3, v1, 0, 16
	s_waitcnt vmcnt(0)
	v_cvt_f64_i32_e32 v[12:13], v3
	s_mov_b64 s[2:3], 0
	global_store_dwordx2 v[5:6], v[12:13], off
.LBB159_1717:
	s_andn2_b64 vcc, exec, s[2:3]
	s_cbranch_vccnz .LBB159_1719
; %bb.1718:
	v_cvt_f32_i32_sdwa v3, sext(v1) dst_sel:DWORD dst_unused:UNUSED_PAD src0_sel:WORD_0
	global_store_dword v[5:6], v3, off
.LBB159_1719:
	s_mov_b64 s[2:3], 0
.LBB159_1720:
	s_andn2_b64 vcc, exec, s[2:3]
	s_cbranch_vccnz .LBB159_1722
; %bb.1721:
	v_cvt_f16_i16_e32 v3, v1
	global_store_short v[5:6], v3, off
.LBB159_1722:
	s_mov_b64 s[2:3], 0
.LBB159_1723:
	s_andn2_b64 vcc, exec, s[2:3]
	s_cbranch_vccnz .LBB159_1739
; %bb.1724:
	s_cmp_lt_i32 s6, 2
	s_mov_b64 s[2:3], -1
	s_cbranch_scc1 .LBB159_1734
; %bb.1725:
	s_cmp_lt_i32 s6, 3
	s_cbranch_scc1 .LBB159_1731
; %bb.1726:
	s_cmp_gt_i32 s6, 3
	s_waitcnt vmcnt(0)
	v_bfe_i32 v12, v1, 0, 16
	s_cbranch_scc0 .LBB159_1728
; %bb.1727:
	v_ashrrev_i32_e32 v13, 31, v12
	global_store_dwordx2 v[5:6], v[12:13], off
	s_mov_b64 s[2:3], 0
.LBB159_1728:
	s_andn2_b64 vcc, exec, s[2:3]
	s_cbranch_vccnz .LBB159_1730
; %bb.1729:
	global_store_dword v[5:6], v12, off
.LBB159_1730:
	s_mov_b64 s[2:3], 0
.LBB159_1731:
	s_andn2_b64 vcc, exec, s[2:3]
	s_cbranch_vccnz .LBB159_1733
; %bb.1732:
	global_store_short v[5:6], v1, off
.LBB159_1733:
	s_mov_b64 s[2:3], 0
.LBB159_1734:
	s_andn2_b64 vcc, exec, s[2:3]
	s_cbranch_vccnz .LBB159_1739
; %bb.1735:
	s_cmp_gt_i32 s6, 0
	s_mov_b64 s[2:3], -1
	s_cbranch_scc0 .LBB159_1737
; %bb.1736:
	global_store_byte v[5:6], v1, off
	s_mov_b64 s[2:3], 0
.LBB159_1737:
	s_andn2_b64 vcc, exec, s[2:3]
	s_cbranch_vccnz .LBB159_1739
; %bb.1738:
	global_store_byte v[5:6], v1, off
.LBB159_1739:
	s_mov_b64 s[10:11], -1
.LBB159_1740:
	s_andn2_b64 vcc, exec, s[10:11]
	s_cbranch_vccnz .LBB159_2055
; %bb.1741:
	v_mov_b32_e32 v1, 7
	s_lshr_b32 s2, s16, 16
	s_waitcnt vmcnt(0)
	v_ashrrev_i16_sdwa v1, v1, sext(v11) dst_sel:DWORD dst_unused:UNUSED_PAD src0_sel:DWORD src1_sel:BYTE_0
	v_ashrrev_i32_sdwa v3, s17, sext(v11) dst_sel:DWORD dst_unused:UNUSED_PAD src0_sel:DWORD src1_sel:BYTE_0
	s_and_b32 s16, s2, 0xff
	v_cndmask_b32_e64 v1, v3, v1, s[0:1]
	v_mov_b32_e32 v5, s9
	v_add_co_u32_e32 v3, vcc, s8, v4
	s_cmp_lt_i32 s16, 11
	v_addc_co_u32_e32 v4, vcc, 0, v5, vcc
	s_cbranch_scc1 .LBB159_1819
; %bb.1742:
	s_and_b32 s18, 0xffff, s16
	s_mov_b64 s[12:13], -1
	s_mov_b64 s[6:7], 0
	s_cmp_gt_i32 s18, 25
	s_mov_b64 s[10:11], 0
	s_mov_b64 s[2:3], 0
	s_cbranch_scc0 .LBB159_1775
; %bb.1743:
	s_cmp_gt_i32 s18, 28
	s_cbranch_scc0 .LBB159_1758
; %bb.1744:
	s_cmp_gt_i32 s18, 43
	;; [unrolled: 3-line block ×3, first 2 shown]
	s_cbranch_scc0 .LBB159_1748
; %bb.1746:
	s_mov_b64 s[2:3], -1
	s_mov_b64 s[12:13], 0
	s_cmp_eq_u32 s18, 46
	s_cbranch_scc0 .LBB159_1748
; %bb.1747:
	v_cvt_f32_i32_sdwa v5, sext(v1) dst_sel:DWORD dst_unused:UNUSED_PAD src0_sel:WORD_0
	s_movk_i32 s10, 0x7fff
	s_mov_b64 s[2:3], 0
	v_bfe_u32 v6, v5, 16, 1
	v_add3_u32 v5, v5, v6, s10
	v_lshrrev_b32_e32 v5, 16, v5
	global_store_dword v[3:4], v5, off
	s_mov_b64 s[10:11], -1
.LBB159_1748:
	s_and_b64 vcc, exec, s[12:13]
	s_cbranch_vccz .LBB159_1753
; %bb.1749:
	s_cmp_eq_u32 s18, 44
	s_mov_b64 s[2:3], -1
	s_cbranch_scc0 .LBB159_1753
; %bb.1750:
	v_cvt_f32_i32_sdwa v5, sext(v1) dst_sel:DWORD dst_unused:UNUSED_PAD src0_sel:WORD_0
	s_movk_i32 s2, 0xff
	v_mov_b32_e32 v8, 0xff
	v_bfe_u32 v6, v5, 23, 8
	v_cmp_ne_u32_e32 vcc, s2, v6
	s_and_saveexec_b64 s[10:11], vcc
; %bb.1751:
	s_mov_b32 s2, 0x3fffff
	v_lshrrev_b32_e32 v8, 23, v5
	v_and_b32_e32 v10, 0x400000, v5
	v_and_or_b32 v5, v5, s2, v6
	v_cmp_ne_u32_e32 vcc, 0, v10
	v_cmp_ne_u32_e64 s[2:3], 0, v5
	s_and_b64 s[2:3], vcc, s[2:3]
	v_cndmask_b32_e64 v5, 0, 1, s[2:3]
	v_add_u32_e32 v8, v8, v5
; %bb.1752:
	s_or_b64 exec, exec, s[10:11]
	s_mov_b64 s[2:3], 0
	s_mov_b64 s[10:11], -1
	global_store_byte v[3:4], v8, off
.LBB159_1753:
	s_mov_b64 s[12:13], 0
.LBB159_1754:
	s_and_b64 vcc, exec, s[12:13]
	s_cbranch_vccz .LBB159_1757
; %bb.1755:
	s_cmp_eq_u32 s18, 29
	s_mov_b64 s[2:3], -1
	s_cbranch_scc0 .LBB159_1757
; %bb.1756:
	v_bfe_i32 v5, v1, 0, 16
	v_ashrrev_i32_e32 v6, 31, v5
	global_store_dwordx2 v[3:4], v[5:6], off
	s_mov_b64 s[2:3], 0
	s_mov_b64 s[10:11], -1
.LBB159_1757:
	s_mov_b64 s[12:13], 0
.LBB159_1758:
	s_and_b64 vcc, exec, s[12:13]
	s_cbranch_vccz .LBB159_1774
; %bb.1759:
	s_cmp_lt_i32 s18, 27
	s_mov_b64 s[10:11], -1
	s_cbranch_scc1 .LBB159_1765
; %bb.1760:
	s_cmp_gt_i32 s18, 27
	s_cbranch_scc0 .LBB159_1762
; %bb.1761:
	v_bfe_i32 v5, v1, 0, 16
	s_mov_b64 s[10:11], 0
	global_store_dword v[3:4], v5, off
.LBB159_1762:
	s_andn2_b64 vcc, exec, s[10:11]
	s_cbranch_vccnz .LBB159_1764
; %bb.1763:
	global_store_short v[3:4], v1, off
.LBB159_1764:
	s_mov_b64 s[10:11], 0
.LBB159_1765:
	s_andn2_b64 vcc, exec, s[10:11]
	s_cbranch_vccnz .LBB159_1773
; %bb.1766:
	v_cvt_f32_i32_sdwa v5, sext(v1) dst_sel:DWORD dst_unused:UNUSED_PAD src0_sel:WORD_0
	s_mov_b32 s10, 0x43800000
	v_mov_b32_e32 v8, 0x80
	v_and_b32_e32 v6, 0x7fffffff, v5
	v_cmp_gt_u32_e32 vcc, s10, v6
	s_and_saveexec_b64 s[10:11], vcc
	s_cbranch_execz .LBB159_1772
; %bb.1767:
	s_mov_b32 s12, 0x3bffffff
	v_cmp_lt_u32_e32 vcc, s12, v6
	s_mov_b64 s[12:13], 0
                                        ; implicit-def: $vgpr6
	s_and_saveexec_b64 s[14:15], vcc
	s_xor_b64 s[14:15], exec, s[14:15]
	s_cbranch_execz .LBB159_2107
; %bb.1768:
	v_bfe_u32 v6, v5, 20, 1
	s_mov_b32 s19, 0x487ffff
	v_add3_u32 v6, v5, v6, s19
	s_mov_b64 s[12:13], exec
	v_lshrrev_b32_e32 v6, 20, v6
	s_andn2_saveexec_b64 s[14:15], s[14:15]
	s_cbranch_execnz .LBB159_2108
.LBB159_1769:
	s_or_b64 exec, exec, s[14:15]
	v_mov_b32_e32 v8, 0
	s_and_saveexec_b64 s[14:15], s[12:13]
.LBB159_1770:
	v_lshrrev_b32_e32 v5, 24, v5
	s_movk_i32 s12, 0x80
	v_and_or_b32 v8, v5, s12, v6
.LBB159_1771:
	s_or_b64 exec, exec, s[14:15]
.LBB159_1772:
	s_or_b64 exec, exec, s[10:11]
	global_store_byte v[3:4], v8, off
.LBB159_1773:
	s_mov_b64 s[10:11], -1
.LBB159_1774:
	s_mov_b64 s[12:13], 0
.LBB159_1775:
	s_and_b64 vcc, exec, s[12:13]
	s_cbranch_vccz .LBB159_1815
; %bb.1776:
	s_cmp_gt_i32 s18, 22
	s_mov_b64 s[6:7], -1
	s_cbranch_scc0 .LBB159_1808
; %bb.1777:
	s_cmp_lt_i32 s18, 24
	s_cbranch_scc1 .LBB159_1797
; %bb.1778:
	s_cmp_gt_i32 s18, 24
	s_cbranch_scc0 .LBB159_1786
; %bb.1779:
	v_cvt_f32_i32_sdwa v5, sext(v1) dst_sel:DWORD dst_unused:UNUSED_PAD src0_sel:WORD_0
	s_mov_b32 s6, 0x47800000
	v_mov_b32_e32 v8, 0x80
	v_and_b32_e32 v6, 0x7fffffff, v5
	v_cmp_gt_u32_e32 vcc, s6, v6
	s_and_saveexec_b64 s[6:7], vcc
	s_cbranch_execz .LBB159_1785
; %bb.1780:
	s_mov_b32 s10, 0x37ffffff
	v_cmp_lt_u32_e32 vcc, s10, v6
	s_mov_b64 s[10:11], 0
                                        ; implicit-def: $vgpr6
	s_and_saveexec_b64 s[12:13], vcc
	s_xor_b64 s[12:13], exec, s[12:13]
	s_cbranch_execz .LBB159_2110
; %bb.1781:
	v_bfe_u32 v6, v5, 21, 1
	s_mov_b32 s14, 0x88fffff
	v_add3_u32 v6, v5, v6, s14
	s_mov_b64 s[10:11], exec
	v_lshrrev_b32_e32 v6, 21, v6
	s_andn2_saveexec_b64 s[12:13], s[12:13]
	s_cbranch_execnz .LBB159_2111
.LBB159_1782:
	s_or_b64 exec, exec, s[12:13]
	v_mov_b32_e32 v8, 0
	s_and_saveexec_b64 s[12:13], s[10:11]
.LBB159_1783:
	v_lshrrev_b32_e32 v5, 24, v5
	s_movk_i32 s10, 0x80
	v_and_or_b32 v8, v5, s10, v6
.LBB159_1784:
	s_or_b64 exec, exec, s[12:13]
.LBB159_1785:
	s_or_b64 exec, exec, s[6:7]
	s_mov_b64 s[6:7], 0
	global_store_byte v[3:4], v8, off
.LBB159_1786:
	s_and_b64 vcc, exec, s[6:7]
	s_cbranch_vccz .LBB159_1796
; %bb.1787:
	v_cvt_f32_i32_sdwa v5, sext(v1) dst_sel:DWORD dst_unused:UNUSED_PAD src0_sel:WORD_0
	s_mov_b32 s6, 0x43f00000
                                        ; implicit-def: $vgpr6
	v_and_b32_e32 v8, 0x7fffffff, v5
	v_cmp_gt_u32_e32 vcc, s6, v8
	s_and_saveexec_b64 s[6:7], vcc
	s_xor_b64 s[6:7], exec, s[6:7]
	s_cbranch_execz .LBB159_1793
; %bb.1788:
	s_mov_b32 s10, 0x3c7fffff
	v_cmp_lt_u32_e32 vcc, s10, v8
                                        ; implicit-def: $vgpr6
	s_and_saveexec_b64 s[10:11], vcc
	s_xor_b64 s[10:11], exec, s[10:11]
; %bb.1789:
	v_bfe_u32 v6, v5, 20, 1
	s_mov_b32 s12, 0x407ffff
	v_add3_u32 v6, v5, v6, s12
	v_lshrrev_b32_e32 v8, 20, v6
	v_and_b32_e32 v6, 0xff00000, v6
	s_mov_b32 s12, 0x7f00000
	v_mov_b32_e32 v10, 0x7e
	v_cmp_ne_u32_e32 vcc, s12, v6
	v_cndmask_b32_e32 v6, v10, v8, vcc
; %bb.1790:
	s_andn2_saveexec_b64 s[10:11], s[10:11]
; %bb.1791:
	s_mov_b32 s12, 0x46800000
	v_add_f32_e64 v6, |v5|, s12
; %bb.1792:
	s_or_b64 exec, exec, s[10:11]
                                        ; implicit-def: $vgpr8
.LBB159_1793:
	s_andn2_saveexec_b64 s[6:7], s[6:7]
; %bb.1794:
	s_mov_b32 s10, 0x7f800000
	v_mov_b32_e32 v6, 0x7e
	v_mov_b32_e32 v10, 0x7f
	v_cmp_lt_u32_e32 vcc, s10, v8
	v_cndmask_b32_e32 v6, v6, v10, vcc
; %bb.1795:
	s_or_b64 exec, exec, s[6:7]
	v_lshrrev_b32_e32 v5, 24, v5
	s_movk_i32 s6, 0x80
	v_and_or_b32 v5, v5, s6, v6
	global_store_byte v[3:4], v5, off
.LBB159_1796:
	s_mov_b64 s[6:7], 0
.LBB159_1797:
	s_andn2_b64 vcc, exec, s[6:7]
	s_cbranch_vccnz .LBB159_1807
; %bb.1798:
	v_cvt_f32_i32_sdwa v5, sext(v1) dst_sel:DWORD dst_unused:UNUSED_PAD src0_sel:WORD_0
	s_mov_b32 s6, 0x47800000
                                        ; implicit-def: $vgpr6
	v_and_b32_e32 v8, 0x7fffffff, v5
	v_cmp_gt_u32_e32 vcc, s6, v8
	s_and_saveexec_b64 s[6:7], vcc
	s_xor_b64 s[6:7], exec, s[6:7]
	s_cbranch_execz .LBB159_1804
; %bb.1799:
	s_mov_b32 s10, 0x387fffff
	v_cmp_lt_u32_e32 vcc, s10, v8
                                        ; implicit-def: $vgpr6
	s_and_saveexec_b64 s[10:11], vcc
	s_xor_b64 s[10:11], exec, s[10:11]
; %bb.1800:
	v_bfe_u32 v6, v5, 21, 1
	s_mov_b32 s12, 0x80fffff
	v_add3_u32 v6, v5, v6, s12
	v_lshrrev_b32_e32 v6, 21, v6
; %bb.1801:
	s_andn2_saveexec_b64 s[10:11], s[10:11]
; %bb.1802:
	s_mov_b32 s12, 0x43000000
	v_add_f32_e64 v6, |v5|, s12
; %bb.1803:
	s_or_b64 exec, exec, s[10:11]
                                        ; implicit-def: $vgpr8
.LBB159_1804:
	s_andn2_saveexec_b64 s[6:7], s[6:7]
; %bb.1805:
	s_mov_b32 s10, 0x7f800000
	v_mov_b32_e32 v6, 0x7c
	v_mov_b32_e32 v10, 0x7f
	v_cmp_lt_u32_e32 vcc, s10, v8
	v_cndmask_b32_e32 v6, v6, v10, vcc
; %bb.1806:
	s_or_b64 exec, exec, s[6:7]
	v_lshrrev_b32_e32 v5, 24, v5
	s_movk_i32 s6, 0x80
	v_and_or_b32 v5, v5, s6, v6
	global_store_byte v[3:4], v5, off
.LBB159_1807:
	s_mov_b64 s[6:7], 0
	s_mov_b64 s[10:11], -1
.LBB159_1808:
	s_andn2_b64 vcc, exec, s[6:7]
	s_mov_b64 s[6:7], 0
	s_cbranch_vccnz .LBB159_1815
; %bb.1809:
	s_cmp_gt_i32 s18, 14
	s_mov_b64 s[12:13], -1
	s_cbranch_scc0 .LBB159_1813
; %bb.1810:
	s_cmp_eq_u32 s18, 15
	s_mov_b64 s[2:3], -1
	s_cbranch_scc0 .LBB159_1812
; %bb.1811:
	v_cvt_f32_i32_sdwa v5, sext(v1) dst_sel:DWORD dst_unused:UNUSED_PAD src0_sel:WORD_0
	s_movk_i32 s6, 0x7fff
	s_mov_b64 s[2:3], 0
	s_mov_b64 s[10:11], -1
	v_bfe_u32 v6, v5, 16, 1
	v_add3_u32 v5, v5, v6, s6
	global_store_short_d16_hi v[3:4], v5, off
.LBB159_1812:
	s_mov_b64 s[12:13], 0
.LBB159_1813:
	s_mov_b64 s[6:7], 0
	s_and_b64 vcc, exec, s[12:13]
	s_cbranch_vccz .LBB159_1815
; %bb.1814:
	s_cmp_lg_u32 s18, 11
	s_mov_b64 s[6:7], -1
	s_cselect_b64 s[2:3], -1, 0
.LBB159_1815:
	s_and_b64 vcc, exec, s[2:3]
	s_cbranch_vccnz .LBB159_2109
; %bb.1816:
	s_andn2_b64 vcc, exec, s[6:7]
	s_cbranch_vccnz .LBB159_1818
.LBB159_1817:
	v_cmp_ne_u16_e32 vcc, 0, v1
	v_cndmask_b32_e64 v5, 0, 1, vcc
	s_mov_b64 s[10:11], -1
	global_store_byte v[3:4], v5, off
.LBB159_1818:
	s_mov_b64 s[2:3], 0
	s_branch .LBB159_1820
.LBB159_1819:
	s_mov_b64 s[2:3], -1
	s_mov_b64 s[10:11], 0
.LBB159_1820:
	s_and_b64 vcc, exec, s[2:3]
	s_cbranch_vccz .LBB159_1859
; %bb.1821:
	s_and_b32 s6, 0xffff, s16
	s_cmp_lt_i32 s6, 5
	s_mov_b64 s[2:3], -1
	s_cbranch_scc1 .LBB159_1842
; %bb.1822:
	s_cmp_lt_i32 s6, 8
	s_cbranch_scc1 .LBB159_1832
; %bb.1823:
	s_cmp_lt_i32 s6, 9
	s_cbranch_scc1 .LBB159_1829
; %bb.1824:
	s_cmp_gt_i32 s6, 9
	s_cbranch_scc0 .LBB159_1826
; %bb.1825:
	v_bfe_i32 v5, v1, 0, 16
	v_cvt_f64_i32_e32 v[10:11], v5
	v_mov_b32_e32 v12, 0
	v_mov_b32_e32 v13, v12
	s_mov_b64 s[2:3], 0
	global_store_dwordx4 v[3:4], v[10:13], off
.LBB159_1826:
	s_andn2_b64 vcc, exec, s[2:3]
	s_cbranch_vccnz .LBB159_1828
; %bb.1827:
	v_cvt_f32_i32_sdwa v5, sext(v1) dst_sel:DWORD dst_unused:UNUSED_PAD src0_sel:WORD_0
	v_mov_b32_e32 v6, 0
	global_store_dwordx2 v[3:4], v[5:6], off
.LBB159_1828:
	s_mov_b64 s[2:3], 0
.LBB159_1829:
	s_andn2_b64 vcc, exec, s[2:3]
	s_cbranch_vccnz .LBB159_1831
; %bb.1830:
	v_cvt_f16_i16_e32 v5, v1
	global_store_dword v[3:4], v5, off
.LBB159_1831:
	s_mov_b64 s[2:3], 0
.LBB159_1832:
	s_andn2_b64 vcc, exec, s[2:3]
	s_cbranch_vccnz .LBB159_1841
; %bb.1833:
	s_cmp_lt_i32 s6, 6
	s_mov_b64 s[2:3], -1
	s_cbranch_scc1 .LBB159_1839
; %bb.1834:
	s_cmp_gt_i32 s6, 6
	s_cbranch_scc0 .LBB159_1836
; %bb.1835:
	v_bfe_i32 v5, v1, 0, 16
	v_cvt_f64_i32_e32 v[5:6], v5
	s_mov_b64 s[2:3], 0
	global_store_dwordx2 v[3:4], v[5:6], off
.LBB159_1836:
	s_andn2_b64 vcc, exec, s[2:3]
	s_cbranch_vccnz .LBB159_1838
; %bb.1837:
	v_cvt_f32_i32_sdwa v5, sext(v1) dst_sel:DWORD dst_unused:UNUSED_PAD src0_sel:WORD_0
	global_store_dword v[3:4], v5, off
.LBB159_1838:
	s_mov_b64 s[2:3], 0
.LBB159_1839:
	s_andn2_b64 vcc, exec, s[2:3]
	s_cbranch_vccnz .LBB159_1841
; %bb.1840:
	v_cvt_f16_i16_e32 v5, v1
	global_store_short v[3:4], v5, off
.LBB159_1841:
	s_mov_b64 s[2:3], 0
.LBB159_1842:
	s_andn2_b64 vcc, exec, s[2:3]
	s_cbranch_vccnz .LBB159_1858
; %bb.1843:
	s_cmp_lt_i32 s6, 2
	s_mov_b64 s[2:3], -1
	s_cbranch_scc1 .LBB159_1853
; %bb.1844:
	s_cmp_lt_i32 s6, 3
	s_cbranch_scc1 .LBB159_1850
; %bb.1845:
	s_cmp_gt_i32 s6, 3
	s_cbranch_scc0 .LBB159_1847
; %bb.1846:
	v_bfe_i32 v5, v1, 0, 16
	v_ashrrev_i32_e32 v6, 31, v5
	global_store_dwordx2 v[3:4], v[5:6], off
	s_mov_b64 s[2:3], 0
.LBB159_1847:
	s_andn2_b64 vcc, exec, s[2:3]
	s_cbranch_vccnz .LBB159_1849
; %bb.1848:
	v_bfe_i32 v5, v1, 0, 16
	global_store_dword v[3:4], v5, off
.LBB159_1849:
	s_mov_b64 s[2:3], 0
.LBB159_1850:
	s_andn2_b64 vcc, exec, s[2:3]
	s_cbranch_vccnz .LBB159_1852
; %bb.1851:
	global_store_short v[3:4], v1, off
.LBB159_1852:
	s_mov_b64 s[2:3], 0
.LBB159_1853:
	s_andn2_b64 vcc, exec, s[2:3]
	s_cbranch_vccnz .LBB159_1858
; %bb.1854:
	s_cmp_gt_i32 s6, 0
	s_mov_b64 s[2:3], -1
	s_cbranch_scc0 .LBB159_1856
; %bb.1855:
	global_store_byte v[3:4], v1, off
	s_mov_b64 s[2:3], 0
.LBB159_1856:
	s_andn2_b64 vcc, exec, s[2:3]
	s_cbranch_vccnz .LBB159_1858
; %bb.1857:
	global_store_byte v[3:4], v1, off
.LBB159_1858:
	s_mov_b64 s[10:11], -1
.LBB159_1859:
	s_andn2_b64 vcc, exec, s[10:11]
	s_cbranch_vccnz .LBB159_2055
; %bb.1860:
	v_mov_b32_e32 v1, 7
	v_ashrrev_i16_sdwa v1, v1, sext(v9) dst_sel:DWORD dst_unused:UNUSED_PAD src0_sel:DWORD src1_sel:BYTE_0
	v_ashrrev_i32_sdwa v3, s17, sext(v9) dst_sel:DWORD dst_unused:UNUSED_PAD src0_sel:DWORD src1_sel:BYTE_0
	v_cndmask_b32_e64 v5, v3, v1, s[0:1]
	v_mov_b32_e32 v3, s9
	v_add_co_u32_e32 v1, vcc, s8, v2
	s_cmp_lt_i32 s16, 11
	v_addc_co_u32_e32 v2, vcc, 0, v3, vcc
	s_cbranch_scc1 .LBB159_1938
; %bb.1861:
	s_and_b32 s18, 0xffff, s16
	s_mov_b64 s[12:13], -1
	s_mov_b64 s[6:7], 0
	s_cmp_gt_i32 s18, 25
	s_mov_b64 s[10:11], 0
	s_mov_b64 s[2:3], 0
	s_cbranch_scc0 .LBB159_1894
; %bb.1862:
	s_cmp_gt_i32 s18, 28
	s_cbranch_scc0 .LBB159_1877
; %bb.1863:
	s_cmp_gt_i32 s18, 43
	s_cbranch_scc0 .LBB159_1873
; %bb.1864:
	s_cmp_gt_i32 s18, 45
	s_cbranch_scc0 .LBB159_1867
; %bb.1865:
	s_mov_b64 s[2:3], -1
	s_mov_b64 s[12:13], 0
	s_cmp_eq_u32 s18, 46
	s_cbranch_scc0 .LBB159_1867
; %bb.1866:
	v_cvt_f32_i32_sdwa v3, sext(v5) dst_sel:DWORD dst_unused:UNUSED_PAD src0_sel:WORD_0
	s_movk_i32 s10, 0x7fff
	s_mov_b64 s[2:3], 0
	v_bfe_u32 v4, v3, 16, 1
	v_add3_u32 v3, v3, v4, s10
	v_lshrrev_b32_e32 v3, 16, v3
	global_store_dword v[1:2], v3, off
	s_mov_b64 s[10:11], -1
.LBB159_1867:
	s_and_b64 vcc, exec, s[12:13]
	s_cbranch_vccz .LBB159_1872
; %bb.1868:
	s_cmp_eq_u32 s18, 44
	s_mov_b64 s[2:3], -1
	s_cbranch_scc0 .LBB159_1872
; %bb.1869:
	v_cvt_f32_i32_sdwa v3, sext(v5) dst_sel:DWORD dst_unused:UNUSED_PAD src0_sel:WORD_0
	s_movk_i32 s2, 0xff
	v_mov_b32_e32 v6, 0xff
	v_bfe_u32 v4, v3, 23, 8
	v_cmp_ne_u32_e32 vcc, s2, v4
	s_and_saveexec_b64 s[10:11], vcc
; %bb.1870:
	s_mov_b32 s2, 0x3fffff
	v_lshrrev_b32_e32 v6, 23, v3
	v_and_b32_e32 v8, 0x400000, v3
	v_and_or_b32 v3, v3, s2, v4
	v_cmp_ne_u32_e32 vcc, 0, v8
	v_cmp_ne_u32_e64 s[2:3], 0, v3
	s_and_b64 s[2:3], vcc, s[2:3]
	v_cndmask_b32_e64 v3, 0, 1, s[2:3]
	v_add_u32_e32 v6, v6, v3
; %bb.1871:
	s_or_b64 exec, exec, s[10:11]
	s_mov_b64 s[2:3], 0
	s_mov_b64 s[10:11], -1
	global_store_byte v[1:2], v6, off
.LBB159_1872:
	s_mov_b64 s[12:13], 0
.LBB159_1873:
	s_and_b64 vcc, exec, s[12:13]
	s_cbranch_vccz .LBB159_1876
; %bb.1874:
	s_cmp_eq_u32 s18, 29
	s_mov_b64 s[2:3], -1
	s_cbranch_scc0 .LBB159_1876
; %bb.1875:
	v_bfe_i32 v3, v5, 0, 16
	v_ashrrev_i32_e32 v4, 31, v3
	global_store_dwordx2 v[1:2], v[3:4], off
	s_mov_b64 s[2:3], 0
	s_mov_b64 s[10:11], -1
.LBB159_1876:
	s_mov_b64 s[12:13], 0
.LBB159_1877:
	s_and_b64 vcc, exec, s[12:13]
	s_cbranch_vccz .LBB159_1893
; %bb.1878:
	s_cmp_lt_i32 s18, 27
	s_mov_b64 s[10:11], -1
	s_cbranch_scc1 .LBB159_1884
; %bb.1879:
	s_cmp_gt_i32 s18, 27
	s_cbranch_scc0 .LBB159_1881
; %bb.1880:
	v_bfe_i32 v3, v5, 0, 16
	s_mov_b64 s[10:11], 0
	global_store_dword v[1:2], v3, off
.LBB159_1881:
	s_andn2_b64 vcc, exec, s[10:11]
	s_cbranch_vccnz .LBB159_1883
; %bb.1882:
	global_store_short v[1:2], v5, off
.LBB159_1883:
	s_mov_b64 s[10:11], 0
.LBB159_1884:
	s_andn2_b64 vcc, exec, s[10:11]
	s_cbranch_vccnz .LBB159_1892
; %bb.1885:
	v_cvt_f32_i32_sdwa v3, sext(v5) dst_sel:DWORD dst_unused:UNUSED_PAD src0_sel:WORD_0
	s_mov_b32 s10, 0x43800000
	v_mov_b32_e32 v6, 0x80
	v_and_b32_e32 v4, 0x7fffffff, v3
	v_cmp_gt_u32_e32 vcc, s10, v4
	s_and_saveexec_b64 s[10:11], vcc
	s_cbranch_execz .LBB159_1891
; %bb.1886:
	s_mov_b32 s12, 0x3bffffff
	v_cmp_lt_u32_e32 vcc, s12, v4
	s_mov_b64 s[12:13], 0
                                        ; implicit-def: $vgpr4
	s_and_saveexec_b64 s[14:15], vcc
	s_xor_b64 s[14:15], exec, s[14:15]
	s_cbranch_execz .LBB159_2112
; %bb.1887:
	v_bfe_u32 v4, v3, 20, 1
	s_mov_b32 s19, 0x487ffff
	v_add3_u32 v4, v3, v4, s19
	s_mov_b64 s[12:13], exec
	v_lshrrev_b32_e32 v4, 20, v4
	s_andn2_saveexec_b64 s[14:15], s[14:15]
	s_cbranch_execnz .LBB159_2113
.LBB159_1888:
	s_or_b64 exec, exec, s[14:15]
	v_mov_b32_e32 v6, 0
	s_and_saveexec_b64 s[14:15], s[12:13]
.LBB159_1889:
	v_lshrrev_b32_e32 v3, 24, v3
	s_movk_i32 s12, 0x80
	v_and_or_b32 v6, v3, s12, v4
.LBB159_1890:
	s_or_b64 exec, exec, s[14:15]
.LBB159_1891:
	s_or_b64 exec, exec, s[10:11]
	global_store_byte v[1:2], v6, off
.LBB159_1892:
	s_mov_b64 s[10:11], -1
.LBB159_1893:
	s_mov_b64 s[12:13], 0
.LBB159_1894:
	s_and_b64 vcc, exec, s[12:13]
	s_cbranch_vccz .LBB159_1934
; %bb.1895:
	s_cmp_gt_i32 s18, 22
	s_mov_b64 s[6:7], -1
	s_cbranch_scc0 .LBB159_1927
; %bb.1896:
	s_cmp_lt_i32 s18, 24
	s_cbranch_scc1 .LBB159_1916
; %bb.1897:
	s_cmp_gt_i32 s18, 24
	s_cbranch_scc0 .LBB159_1905
; %bb.1898:
	v_cvt_f32_i32_sdwa v3, sext(v5) dst_sel:DWORD dst_unused:UNUSED_PAD src0_sel:WORD_0
	s_mov_b32 s6, 0x47800000
	v_mov_b32_e32 v6, 0x80
	v_and_b32_e32 v4, 0x7fffffff, v3
	v_cmp_gt_u32_e32 vcc, s6, v4
	s_and_saveexec_b64 s[6:7], vcc
	s_cbranch_execz .LBB159_1904
; %bb.1899:
	s_mov_b32 s10, 0x37ffffff
	v_cmp_lt_u32_e32 vcc, s10, v4
	s_mov_b64 s[10:11], 0
                                        ; implicit-def: $vgpr4
	s_and_saveexec_b64 s[12:13], vcc
	s_xor_b64 s[12:13], exec, s[12:13]
	s_cbranch_execz .LBB159_2115
; %bb.1900:
	v_bfe_u32 v4, v3, 21, 1
	s_mov_b32 s14, 0x88fffff
	v_add3_u32 v4, v3, v4, s14
	s_mov_b64 s[10:11], exec
	v_lshrrev_b32_e32 v4, 21, v4
	s_andn2_saveexec_b64 s[12:13], s[12:13]
	s_cbranch_execnz .LBB159_2116
.LBB159_1901:
	s_or_b64 exec, exec, s[12:13]
	v_mov_b32_e32 v6, 0
	s_and_saveexec_b64 s[12:13], s[10:11]
.LBB159_1902:
	v_lshrrev_b32_e32 v3, 24, v3
	s_movk_i32 s10, 0x80
	v_and_or_b32 v6, v3, s10, v4
.LBB159_1903:
	s_or_b64 exec, exec, s[12:13]
.LBB159_1904:
	s_or_b64 exec, exec, s[6:7]
	s_mov_b64 s[6:7], 0
	global_store_byte v[1:2], v6, off
.LBB159_1905:
	s_and_b64 vcc, exec, s[6:7]
	s_cbranch_vccz .LBB159_1915
; %bb.1906:
	v_cvt_f32_i32_sdwa v3, sext(v5) dst_sel:DWORD dst_unused:UNUSED_PAD src0_sel:WORD_0
	s_mov_b32 s6, 0x43f00000
                                        ; implicit-def: $vgpr4
	v_and_b32_e32 v6, 0x7fffffff, v3
	v_cmp_gt_u32_e32 vcc, s6, v6
	s_and_saveexec_b64 s[6:7], vcc
	s_xor_b64 s[6:7], exec, s[6:7]
	s_cbranch_execz .LBB159_1912
; %bb.1907:
	s_mov_b32 s10, 0x3c7fffff
	v_cmp_lt_u32_e32 vcc, s10, v6
                                        ; implicit-def: $vgpr4
	s_and_saveexec_b64 s[10:11], vcc
	s_xor_b64 s[10:11], exec, s[10:11]
; %bb.1908:
	v_bfe_u32 v4, v3, 20, 1
	s_mov_b32 s12, 0x407ffff
	v_add3_u32 v4, v3, v4, s12
	v_lshrrev_b32_e32 v6, 20, v4
	v_and_b32_e32 v4, 0xff00000, v4
	s_mov_b32 s12, 0x7f00000
	v_mov_b32_e32 v8, 0x7e
	v_cmp_ne_u32_e32 vcc, s12, v4
	v_cndmask_b32_e32 v4, v8, v6, vcc
; %bb.1909:
	s_andn2_saveexec_b64 s[10:11], s[10:11]
; %bb.1910:
	s_mov_b32 s12, 0x46800000
	v_add_f32_e64 v4, |v3|, s12
; %bb.1911:
	s_or_b64 exec, exec, s[10:11]
                                        ; implicit-def: $vgpr6
.LBB159_1912:
	s_andn2_saveexec_b64 s[6:7], s[6:7]
; %bb.1913:
	s_mov_b32 s10, 0x7f800000
	v_mov_b32_e32 v4, 0x7e
	v_mov_b32_e32 v8, 0x7f
	v_cmp_lt_u32_e32 vcc, s10, v6
	v_cndmask_b32_e32 v4, v4, v8, vcc
; %bb.1914:
	s_or_b64 exec, exec, s[6:7]
	v_lshrrev_b32_e32 v3, 24, v3
	s_movk_i32 s6, 0x80
	v_and_or_b32 v3, v3, s6, v4
	global_store_byte v[1:2], v3, off
.LBB159_1915:
	s_mov_b64 s[6:7], 0
.LBB159_1916:
	s_andn2_b64 vcc, exec, s[6:7]
	s_cbranch_vccnz .LBB159_1926
; %bb.1917:
	v_cvt_f32_i32_sdwa v3, sext(v5) dst_sel:DWORD dst_unused:UNUSED_PAD src0_sel:WORD_0
	s_mov_b32 s6, 0x47800000
                                        ; implicit-def: $vgpr4
	v_and_b32_e32 v6, 0x7fffffff, v3
	v_cmp_gt_u32_e32 vcc, s6, v6
	s_and_saveexec_b64 s[6:7], vcc
	s_xor_b64 s[6:7], exec, s[6:7]
	s_cbranch_execz .LBB159_1923
; %bb.1918:
	s_mov_b32 s10, 0x387fffff
	v_cmp_lt_u32_e32 vcc, s10, v6
                                        ; implicit-def: $vgpr4
	s_and_saveexec_b64 s[10:11], vcc
	s_xor_b64 s[10:11], exec, s[10:11]
; %bb.1919:
	v_bfe_u32 v4, v3, 21, 1
	s_mov_b32 s12, 0x80fffff
	v_add3_u32 v4, v3, v4, s12
	v_lshrrev_b32_e32 v4, 21, v4
; %bb.1920:
	s_andn2_saveexec_b64 s[10:11], s[10:11]
; %bb.1921:
	s_mov_b32 s12, 0x43000000
	v_add_f32_e64 v4, |v3|, s12
; %bb.1922:
	s_or_b64 exec, exec, s[10:11]
                                        ; implicit-def: $vgpr6
.LBB159_1923:
	s_andn2_saveexec_b64 s[6:7], s[6:7]
; %bb.1924:
	s_mov_b32 s10, 0x7f800000
	v_mov_b32_e32 v4, 0x7c
	v_mov_b32_e32 v8, 0x7f
	v_cmp_lt_u32_e32 vcc, s10, v6
	v_cndmask_b32_e32 v4, v4, v8, vcc
; %bb.1925:
	s_or_b64 exec, exec, s[6:7]
	v_lshrrev_b32_e32 v3, 24, v3
	s_movk_i32 s6, 0x80
	v_and_or_b32 v3, v3, s6, v4
	global_store_byte v[1:2], v3, off
.LBB159_1926:
	s_mov_b64 s[6:7], 0
	s_mov_b64 s[10:11], -1
.LBB159_1927:
	s_andn2_b64 vcc, exec, s[6:7]
	s_mov_b64 s[6:7], 0
	s_cbranch_vccnz .LBB159_1934
; %bb.1928:
	s_cmp_gt_i32 s18, 14
	s_mov_b64 s[12:13], -1
	s_cbranch_scc0 .LBB159_1932
; %bb.1929:
	s_cmp_eq_u32 s18, 15
	s_mov_b64 s[2:3], -1
	s_cbranch_scc0 .LBB159_1931
; %bb.1930:
	v_cvt_f32_i32_sdwa v3, sext(v5) dst_sel:DWORD dst_unused:UNUSED_PAD src0_sel:WORD_0
	s_movk_i32 s6, 0x7fff
	s_mov_b64 s[2:3], 0
	s_mov_b64 s[10:11], -1
	v_bfe_u32 v4, v3, 16, 1
	v_add3_u32 v3, v3, v4, s6
	global_store_short_d16_hi v[1:2], v3, off
.LBB159_1931:
	s_mov_b64 s[12:13], 0
.LBB159_1932:
	s_mov_b64 s[6:7], 0
	s_and_b64 vcc, exec, s[12:13]
	s_cbranch_vccz .LBB159_1934
; %bb.1933:
	s_cmp_lg_u32 s18, 11
	s_mov_b64 s[6:7], -1
	s_cselect_b64 s[2:3], -1, 0
.LBB159_1934:
	s_and_b64 vcc, exec, s[2:3]
	s_cbranch_vccnz .LBB159_2114
; %bb.1935:
	s_andn2_b64 vcc, exec, s[6:7]
	s_cbranch_vccnz .LBB159_1937
.LBB159_1936:
	v_cmp_ne_u16_e32 vcc, 0, v5
	v_cndmask_b32_e64 v3, 0, 1, vcc
	s_mov_b64 s[10:11], -1
	global_store_byte v[1:2], v3, off
.LBB159_1937:
	s_mov_b64 s[2:3], 0
	s_branch .LBB159_1939
.LBB159_1938:
	s_mov_b64 s[2:3], -1
	s_mov_b64 s[10:11], 0
.LBB159_1939:
	s_and_b64 vcc, exec, s[2:3]
	s_cbranch_vccz .LBB159_1978
; %bb.1940:
	s_and_b32 s6, 0xffff, s16
	s_cmp_lt_i32 s6, 5
	s_mov_b64 s[2:3], -1
	s_cbranch_scc1 .LBB159_1961
; %bb.1941:
	s_cmp_lt_i32 s6, 8
	s_cbranch_scc1 .LBB159_1951
; %bb.1942:
	s_cmp_lt_i32 s6, 9
	s_cbranch_scc1 .LBB159_1948
; %bb.1943:
	s_cmp_gt_i32 s6, 9
	s_cbranch_scc0 .LBB159_1945
; %bb.1944:
	v_bfe_i32 v3, v5, 0, 16
	v_cvt_f64_i32_e32 v[8:9], v3
	v_mov_b32_e32 v10, 0
	v_mov_b32_e32 v11, v10
	s_mov_b64 s[2:3], 0
	global_store_dwordx4 v[1:2], v[8:11], off
.LBB159_1945:
	s_andn2_b64 vcc, exec, s[2:3]
	s_cbranch_vccnz .LBB159_1947
; %bb.1946:
	v_cvt_f32_i32_sdwa v3, sext(v5) dst_sel:DWORD dst_unused:UNUSED_PAD src0_sel:WORD_0
	v_mov_b32_e32 v4, 0
	global_store_dwordx2 v[1:2], v[3:4], off
.LBB159_1947:
	s_mov_b64 s[2:3], 0
.LBB159_1948:
	s_andn2_b64 vcc, exec, s[2:3]
	s_cbranch_vccnz .LBB159_1950
; %bb.1949:
	v_cvt_f16_i16_e32 v3, v5
	global_store_dword v[1:2], v3, off
.LBB159_1950:
	s_mov_b64 s[2:3], 0
.LBB159_1951:
	s_andn2_b64 vcc, exec, s[2:3]
	s_cbranch_vccnz .LBB159_1960
; %bb.1952:
	s_cmp_lt_i32 s6, 6
	s_mov_b64 s[2:3], -1
	s_cbranch_scc1 .LBB159_1958
; %bb.1953:
	s_cmp_gt_i32 s6, 6
	s_cbranch_scc0 .LBB159_1955
; %bb.1954:
	v_bfe_i32 v3, v5, 0, 16
	v_cvt_f64_i32_e32 v[3:4], v3
	s_mov_b64 s[2:3], 0
	global_store_dwordx2 v[1:2], v[3:4], off
.LBB159_1955:
	s_andn2_b64 vcc, exec, s[2:3]
	s_cbranch_vccnz .LBB159_1957
; %bb.1956:
	v_cvt_f32_i32_sdwa v3, sext(v5) dst_sel:DWORD dst_unused:UNUSED_PAD src0_sel:WORD_0
	global_store_dword v[1:2], v3, off
.LBB159_1957:
	s_mov_b64 s[2:3], 0
.LBB159_1958:
	s_andn2_b64 vcc, exec, s[2:3]
	s_cbranch_vccnz .LBB159_1960
; %bb.1959:
	v_cvt_f16_i16_e32 v3, v5
	global_store_short v[1:2], v3, off
.LBB159_1960:
	s_mov_b64 s[2:3], 0
.LBB159_1961:
	s_andn2_b64 vcc, exec, s[2:3]
	s_cbranch_vccnz .LBB159_1977
; %bb.1962:
	s_cmp_lt_i32 s6, 2
	s_mov_b64 s[2:3], -1
	s_cbranch_scc1 .LBB159_1972
; %bb.1963:
	s_cmp_lt_i32 s6, 3
	s_cbranch_scc1 .LBB159_1969
; %bb.1964:
	s_cmp_gt_i32 s6, 3
	v_bfe_i32 v3, v5, 0, 16
	s_cbranch_scc0 .LBB159_1966
; %bb.1965:
	v_ashrrev_i32_e32 v4, 31, v3
	global_store_dwordx2 v[1:2], v[3:4], off
	s_mov_b64 s[2:3], 0
.LBB159_1966:
	s_andn2_b64 vcc, exec, s[2:3]
	s_cbranch_vccnz .LBB159_1968
; %bb.1967:
	global_store_dword v[1:2], v3, off
.LBB159_1968:
	s_mov_b64 s[2:3], 0
.LBB159_1969:
	s_andn2_b64 vcc, exec, s[2:3]
	s_cbranch_vccnz .LBB159_1971
; %bb.1970:
	global_store_short v[1:2], v5, off
.LBB159_1971:
	s_mov_b64 s[2:3], 0
.LBB159_1972:
	s_andn2_b64 vcc, exec, s[2:3]
	s_cbranch_vccnz .LBB159_1977
; %bb.1973:
	s_cmp_gt_i32 s6, 0
	s_mov_b64 s[2:3], -1
	s_cbranch_scc0 .LBB159_1975
; %bb.1974:
	global_store_byte v[1:2], v5, off
	s_mov_b64 s[2:3], 0
.LBB159_1975:
	s_andn2_b64 vcc, exec, s[2:3]
	s_cbranch_vccnz .LBB159_1977
; %bb.1976:
	global_store_byte v[1:2], v5, off
.LBB159_1977:
	s_mov_b64 s[10:11], -1
.LBB159_1978:
	s_andn2_b64 vcc, exec, s[10:11]
	s_cbranch_vccnz .LBB159_2055
; %bb.1979:
	v_mov_b32_e32 v1, 7
	v_ashrrev_i16_sdwa v1, v1, sext(v7) dst_sel:DWORD dst_unused:UNUSED_PAD src0_sel:DWORD src1_sel:BYTE_0
	v_ashrrev_i32_sdwa v2, s17, sext(v7) dst_sel:DWORD dst_unused:UNUSED_PAD src0_sel:DWORD src1_sel:BYTE_0
	v_cndmask_b32_e64 v2, v2, v1, s[0:1]
	v_mov_b32_e32 v1, s9
	v_add_co_u32_e32 v0, vcc, s8, v0
	s_cmp_lt_i32 s16, 11
	v_addc_co_u32_e32 v1, vcc, 0, v1, vcc
	s_cbranch_scc1 .LBB159_2100
; %bb.1980:
	s_and_b32 s12, 0xffff, s16
	s_mov_b64 s[6:7], -1
	s_mov_b64 s[2:3], 0
	s_cmp_gt_i32 s12, 25
	s_mov_b64 s[0:1], 0
	s_cbranch_scc0 .LBB159_2013
; %bb.1981:
	s_cmp_gt_i32 s12, 28
	s_cbranch_scc0 .LBB159_1997
; %bb.1982:
	s_cmp_gt_i32 s12, 43
	;; [unrolled: 3-line block ×3, first 2 shown]
	s_cbranch_scc0 .LBB159_1987
; %bb.1984:
	s_cmp_eq_u32 s12, 46
	s_mov_b64 s[0:1], -1
	s_cbranch_scc0 .LBB159_1986
; %bb.1985:
	v_cvt_f32_i32_sdwa v3, sext(v2) dst_sel:DWORD dst_unused:UNUSED_PAD src0_sel:WORD_0
	s_movk_i32 s0, 0x7fff
	v_bfe_u32 v4, v3, 16, 1
	v_add3_u32 v3, v3, v4, s0
	v_lshrrev_b32_e32 v3, 16, v3
	global_store_dword v[0:1], v3, off
	s_mov_b64 s[0:1], 0
.LBB159_1986:
	s_mov_b64 s[6:7], 0
.LBB159_1987:
	s_and_b64 vcc, exec, s[6:7]
	s_cbranch_vccz .LBB159_1992
; %bb.1988:
	s_cmp_eq_u32 s12, 44
	s_mov_b64 s[0:1], -1
	s_cbranch_scc0 .LBB159_1992
; %bb.1989:
	v_cvt_f32_i32_sdwa v3, sext(v2) dst_sel:DWORD dst_unused:UNUSED_PAD src0_sel:WORD_0
	s_movk_i32 s0, 0xff
	v_mov_b32_e32 v5, 0xff
	v_bfe_u32 v4, v3, 23, 8
	v_cmp_ne_u32_e32 vcc, s0, v4
	s_and_saveexec_b64 s[6:7], vcc
; %bb.1990:
	s_mov_b32 s0, 0x3fffff
	v_lshrrev_b32_e32 v5, 23, v3
	v_and_b32_e32 v6, 0x400000, v3
	v_and_or_b32 v3, v3, s0, v4
	v_cmp_ne_u32_e32 vcc, 0, v6
	v_cmp_ne_u32_e64 s[0:1], 0, v3
	s_and_b64 s[0:1], vcc, s[0:1]
	v_cndmask_b32_e64 v3, 0, 1, s[0:1]
	v_add_u32_e32 v5, v5, v3
; %bb.1991:
	s_or_b64 exec, exec, s[6:7]
	s_mov_b64 s[0:1], 0
	global_store_byte v[0:1], v5, off
.LBB159_1992:
	s_mov_b64 s[6:7], 0
.LBB159_1993:
	s_and_b64 vcc, exec, s[6:7]
	s_cbranch_vccz .LBB159_1996
; %bb.1994:
	s_cmp_eq_u32 s12, 29
	s_mov_b64 s[0:1], -1
	s_cbranch_scc0 .LBB159_1996
; %bb.1995:
	v_bfe_i32 v3, v2, 0, 16
	v_ashrrev_i32_e32 v4, 31, v3
	global_store_dwordx2 v[0:1], v[3:4], off
	s_mov_b64 s[0:1], 0
.LBB159_1996:
	s_mov_b64 s[6:7], 0
.LBB159_1997:
	s_and_b64 vcc, exec, s[6:7]
	s_cbranch_vccz .LBB159_2012
; %bb.1998:
	s_cmp_lt_i32 s12, 27
	s_mov_b64 s[6:7], -1
	s_cbranch_scc1 .LBB159_2004
; %bb.1999:
	s_cmp_gt_i32 s12, 27
	s_cbranch_scc0 .LBB159_2001
; %bb.2000:
	v_bfe_i32 v3, v2, 0, 16
	global_store_dword v[0:1], v3, off
	s_mov_b64 s[6:7], 0
.LBB159_2001:
	s_andn2_b64 vcc, exec, s[6:7]
	s_cbranch_vccnz .LBB159_2003
; %bb.2002:
	global_store_short v[0:1], v2, off
.LBB159_2003:
	s_mov_b64 s[6:7], 0
.LBB159_2004:
	s_andn2_b64 vcc, exec, s[6:7]
	s_cbranch_vccnz .LBB159_2012
; %bb.2005:
	v_cvt_f32_i32_sdwa v3, sext(v2) dst_sel:DWORD dst_unused:UNUSED_PAD src0_sel:WORD_0
	s_mov_b32 s6, 0x43800000
	v_mov_b32_e32 v5, 0x80
	v_and_b32_e32 v4, 0x7fffffff, v3
	v_cmp_gt_u32_e32 vcc, s6, v4
	s_and_saveexec_b64 s[6:7], vcc
	s_cbranch_execz .LBB159_2011
; %bb.2006:
	s_mov_b32 s8, 0x3bffffff
	v_cmp_lt_u32_e32 vcc, s8, v4
	s_mov_b64 s[8:9], 0
                                        ; implicit-def: $vgpr4
	s_and_saveexec_b64 s[10:11], vcc
	s_xor_b64 s[10:11], exec, s[10:11]
	s_cbranch_execz .LBB159_2117
; %bb.2007:
	v_bfe_u32 v4, v3, 20, 1
	s_mov_b32 s13, 0x487ffff
	v_add3_u32 v4, v3, v4, s13
	s_mov_b64 s[8:9], exec
	v_lshrrev_b32_e32 v4, 20, v4
	s_andn2_saveexec_b64 s[10:11], s[10:11]
	s_cbranch_execnz .LBB159_2118
.LBB159_2008:
	s_or_b64 exec, exec, s[10:11]
	v_mov_b32_e32 v5, 0
	s_and_saveexec_b64 s[10:11], s[8:9]
.LBB159_2009:
	v_lshrrev_b32_e32 v3, 24, v3
	s_movk_i32 s8, 0x80
	v_and_or_b32 v5, v3, s8, v4
.LBB159_2010:
	s_or_b64 exec, exec, s[10:11]
.LBB159_2011:
	s_or_b64 exec, exec, s[6:7]
	global_store_byte v[0:1], v5, off
.LBB159_2012:
	s_mov_b64 s[6:7], 0
.LBB159_2013:
	s_and_b64 vcc, exec, s[6:7]
	s_cbranch_vccz .LBB159_2053
; %bb.2014:
	s_cmp_gt_i32 s12, 22
	s_mov_b64 s[2:3], -1
	s_cbranch_scc0 .LBB159_2046
; %bb.2015:
	s_cmp_lt_i32 s12, 24
	s_cbranch_scc1 .LBB159_2035
; %bb.2016:
	s_cmp_gt_i32 s12, 24
	s_cbranch_scc0 .LBB159_2024
; %bb.2017:
	v_cvt_f32_i32_sdwa v3, sext(v2) dst_sel:DWORD dst_unused:UNUSED_PAD src0_sel:WORD_0
	s_mov_b32 s2, 0x47800000
	v_mov_b32_e32 v5, 0x80
	v_and_b32_e32 v4, 0x7fffffff, v3
	v_cmp_gt_u32_e32 vcc, s2, v4
	s_and_saveexec_b64 s[2:3], vcc
	s_cbranch_execz .LBB159_2023
; %bb.2018:
	s_mov_b32 s6, 0x37ffffff
	v_cmp_lt_u32_e32 vcc, s6, v4
	s_mov_b64 s[6:7], 0
                                        ; implicit-def: $vgpr4
	s_and_saveexec_b64 s[8:9], vcc
	s_xor_b64 s[8:9], exec, s[8:9]
	s_cbranch_execz .LBB159_2120
; %bb.2019:
	v_bfe_u32 v4, v3, 21, 1
	s_mov_b32 s10, 0x88fffff
	v_add3_u32 v4, v3, v4, s10
	s_mov_b64 s[6:7], exec
	v_lshrrev_b32_e32 v4, 21, v4
	s_andn2_saveexec_b64 s[8:9], s[8:9]
	s_cbranch_execnz .LBB159_2121
.LBB159_2020:
	s_or_b64 exec, exec, s[8:9]
	v_mov_b32_e32 v5, 0
	s_and_saveexec_b64 s[8:9], s[6:7]
.LBB159_2021:
	v_lshrrev_b32_e32 v3, 24, v3
	s_movk_i32 s6, 0x80
	v_and_or_b32 v5, v3, s6, v4
.LBB159_2022:
	s_or_b64 exec, exec, s[8:9]
.LBB159_2023:
	s_or_b64 exec, exec, s[2:3]
	s_mov_b64 s[2:3], 0
	global_store_byte v[0:1], v5, off
.LBB159_2024:
	s_and_b64 vcc, exec, s[2:3]
	s_cbranch_vccz .LBB159_2034
; %bb.2025:
	v_cvt_f32_i32_sdwa v3, sext(v2) dst_sel:DWORD dst_unused:UNUSED_PAD src0_sel:WORD_0
	s_mov_b32 s2, 0x43f00000
                                        ; implicit-def: $vgpr4
	v_and_b32_e32 v5, 0x7fffffff, v3
	v_cmp_gt_u32_e32 vcc, s2, v5
	s_and_saveexec_b64 s[2:3], vcc
	s_xor_b64 s[2:3], exec, s[2:3]
	s_cbranch_execz .LBB159_2031
; %bb.2026:
	s_mov_b32 s6, 0x3c7fffff
	v_cmp_lt_u32_e32 vcc, s6, v5
                                        ; implicit-def: $vgpr4
	s_and_saveexec_b64 s[6:7], vcc
	s_xor_b64 s[6:7], exec, s[6:7]
; %bb.2027:
	v_bfe_u32 v4, v3, 20, 1
	s_mov_b32 s8, 0x407ffff
	v_add3_u32 v4, v3, v4, s8
	v_lshrrev_b32_e32 v5, 20, v4
	v_and_b32_e32 v4, 0xff00000, v4
	s_mov_b32 s8, 0x7f00000
	v_mov_b32_e32 v6, 0x7e
	v_cmp_ne_u32_e32 vcc, s8, v4
	v_cndmask_b32_e32 v4, v6, v5, vcc
; %bb.2028:
	s_andn2_saveexec_b64 s[6:7], s[6:7]
; %bb.2029:
	s_mov_b32 s8, 0x46800000
	v_add_f32_e64 v4, |v3|, s8
; %bb.2030:
	s_or_b64 exec, exec, s[6:7]
                                        ; implicit-def: $vgpr5
.LBB159_2031:
	s_andn2_saveexec_b64 s[2:3], s[2:3]
; %bb.2032:
	s_mov_b32 s6, 0x7f800000
	v_mov_b32_e32 v4, 0x7e
	v_mov_b32_e32 v6, 0x7f
	v_cmp_lt_u32_e32 vcc, s6, v5
	v_cndmask_b32_e32 v4, v4, v6, vcc
; %bb.2033:
	s_or_b64 exec, exec, s[2:3]
	v_lshrrev_b32_e32 v3, 24, v3
	s_movk_i32 s2, 0x80
	v_and_or_b32 v3, v3, s2, v4
	global_store_byte v[0:1], v3, off
.LBB159_2034:
	s_mov_b64 s[2:3], 0
.LBB159_2035:
	s_andn2_b64 vcc, exec, s[2:3]
	s_cbranch_vccnz .LBB159_2045
; %bb.2036:
	v_cvt_f32_i32_sdwa v3, sext(v2) dst_sel:DWORD dst_unused:UNUSED_PAD src0_sel:WORD_0
	s_mov_b32 s2, 0x47800000
                                        ; implicit-def: $vgpr4
	v_and_b32_e32 v5, 0x7fffffff, v3
	v_cmp_gt_u32_e32 vcc, s2, v5
	s_and_saveexec_b64 s[2:3], vcc
	s_xor_b64 s[2:3], exec, s[2:3]
	s_cbranch_execz .LBB159_2042
; %bb.2037:
	s_mov_b32 s6, 0x387fffff
	v_cmp_lt_u32_e32 vcc, s6, v5
                                        ; implicit-def: $vgpr4
	s_and_saveexec_b64 s[6:7], vcc
	s_xor_b64 s[6:7], exec, s[6:7]
; %bb.2038:
	v_bfe_u32 v4, v3, 21, 1
	s_mov_b32 s8, 0x80fffff
	v_add3_u32 v4, v3, v4, s8
	v_lshrrev_b32_e32 v4, 21, v4
; %bb.2039:
	s_andn2_saveexec_b64 s[6:7], s[6:7]
; %bb.2040:
	s_mov_b32 s8, 0x43000000
	v_add_f32_e64 v4, |v3|, s8
; %bb.2041:
	s_or_b64 exec, exec, s[6:7]
                                        ; implicit-def: $vgpr5
.LBB159_2042:
	s_andn2_saveexec_b64 s[2:3], s[2:3]
; %bb.2043:
	s_mov_b32 s6, 0x7f800000
	v_mov_b32_e32 v4, 0x7c
	v_mov_b32_e32 v6, 0x7f
	v_cmp_lt_u32_e32 vcc, s6, v5
	v_cndmask_b32_e32 v4, v4, v6, vcc
; %bb.2044:
	s_or_b64 exec, exec, s[2:3]
	v_lshrrev_b32_e32 v3, 24, v3
	s_movk_i32 s2, 0x80
	v_and_or_b32 v3, v3, s2, v4
	global_store_byte v[0:1], v3, off
.LBB159_2045:
	s_mov_b64 s[2:3], 0
.LBB159_2046:
	s_andn2_b64 vcc, exec, s[2:3]
	s_mov_b64 s[2:3], 0
	s_cbranch_vccnz .LBB159_2053
; %bb.2047:
	s_cmp_gt_i32 s12, 14
	s_mov_b64 s[6:7], -1
	s_cbranch_scc0 .LBB159_2051
; %bb.2048:
	s_cmp_eq_u32 s12, 15
	s_mov_b64 s[0:1], -1
	s_cbranch_scc0 .LBB159_2050
; %bb.2049:
	v_cvt_f32_i32_sdwa v3, sext(v2) dst_sel:DWORD dst_unused:UNUSED_PAD src0_sel:WORD_0
	s_movk_i32 s0, 0x7fff
	v_bfe_u32 v4, v3, 16, 1
	v_add3_u32 v3, v3, v4, s0
	global_store_short_d16_hi v[0:1], v3, off
	s_mov_b64 s[0:1], 0
.LBB159_2050:
	s_mov_b64 s[6:7], 0
.LBB159_2051:
	s_and_b64 vcc, exec, s[6:7]
	s_cbranch_vccz .LBB159_2053
; %bb.2052:
	s_cmp_lg_u32 s12, 11
	s_mov_b64 s[2:3], -1
	s_cselect_b64 s[0:1], -1, 0
.LBB159_2053:
	s_and_b64 vcc, exec, s[0:1]
	s_cbranch_vccnz .LBB159_2119
.LBB159_2054:
	s_mov_b64 s[0:1], 0
	s_branch .LBB159_2056
.LBB159_2055:
	s_mov_b64 s[0:1], 0
	s_mov_b64 s[2:3], 0
                                        ; implicit-def: $vgpr0_vgpr1
                                        ; implicit-def: $sgpr16
                                        ; implicit-def: $vgpr2
.LBB159_2056:
	s_and_b64 s[6:7], s[2:3], exec
	s_andn2_b64 s[2:3], s[28:29], exec
	s_and_b64 s[4:5], s[4:5], exec
	s_and_b64 s[0:1], s[0:1], exec
	s_or_b64 s[28:29], s[2:3], s[4:5]
.LBB159_2057:
	s_or_b64 exec, exec, s[30:31]
	s_and_saveexec_b64 s[2:3], s[28:29]
	s_cbranch_execz .LBB159_2060
; %bb.2058:
	; divergent unreachable
	s_or_b64 exec, exec, s[2:3]
	s_and_saveexec_b64 s[2:3], s[6:7]
	s_xor_b64 s[2:3], exec, s[2:3]
	s_cbranch_execnz .LBB159_2061
.LBB159_2059:
	s_or_b64 exec, exec, s[2:3]
	s_and_saveexec_b64 s[2:3], s[0:1]
	s_cbranch_execnz .LBB159_2062
	s_branch .LBB159_2099
.LBB159_2060:
	s_or_b64 exec, exec, s[2:3]
	s_and_saveexec_b64 s[2:3], s[6:7]
	s_xor_b64 s[2:3], exec, s[2:3]
	s_cbranch_execz .LBB159_2059
.LBB159_2061:
	s_waitcnt vmcnt(0)
	v_mov_b32_e32 v3, 0
	v_cmp_ne_u16_sdwa s[4:5], v2, v3 src0_sel:BYTE_0 src1_sel:DWORD
	v_cndmask_b32_e64 v3, 0, 1, s[4:5]
	global_store_byte v[0:1], v3, off
	s_or_b64 exec, exec, s[2:3]
	s_and_saveexec_b64 s[2:3], s[0:1]
	s_cbranch_execz .LBB159_2099
.LBB159_2062:
	s_sext_i32_i16 s2, s16
	s_cmp_lt_i32 s2, 5
	s_mov_b64 s[0:1], -1
	s_cbranch_scc1 .LBB159_2083
; %bb.2063:
	s_cmp_lt_i32 s2, 8
	s_cbranch_scc1 .LBB159_2073
; %bb.2064:
	s_cmp_lt_i32 s2, 9
	s_cbranch_scc1 .LBB159_2070
; %bb.2065:
	s_cmp_gt_i32 s2, 9
	s_cbranch_scc0 .LBB159_2067
; %bb.2066:
	s_waitcnt vmcnt(0)
	v_bfe_i32 v3, v2, 0, 8
	v_bfe_i32 v3, v3, 0, 16
	v_cvt_f64_i32_e32 v[3:4], v3
	v_mov_b32_e32 v5, 0
	v_mov_b32_e32 v6, v5
	s_mov_b64 s[0:1], 0
	global_store_dwordx4 v[0:1], v[3:6], off
.LBB159_2067:
	s_andn2_b64 vcc, exec, s[0:1]
	s_cbranch_vccnz .LBB159_2069
; %bb.2068:
	s_waitcnt vmcnt(0)
	v_bfe_i32 v3, v2, 0, 8
	v_cvt_f32_i32_sdwa v3, sext(v3) dst_sel:DWORD dst_unused:UNUSED_PAD src0_sel:WORD_0
	v_mov_b32_e32 v4, 0
	global_store_dwordx2 v[0:1], v[3:4], off
.LBB159_2069:
	s_mov_b64 s[0:1], 0
.LBB159_2070:
	s_andn2_b64 vcc, exec, s[0:1]
	s_cbranch_vccnz .LBB159_2072
; %bb.2071:
	s_waitcnt vmcnt(0)
	v_cvt_f16_i16_sdwa v3, sext(v2) dst_sel:DWORD dst_unused:UNUSED_PAD src0_sel:BYTE_0
	global_store_dword v[0:1], v3, off
.LBB159_2072:
	s_mov_b64 s[0:1], 0
.LBB159_2073:
	s_andn2_b64 vcc, exec, s[0:1]
	s_cbranch_vccnz .LBB159_2082
; %bb.2074:
	s_sext_i32_i16 s2, s16
	s_cmp_lt_i32 s2, 6
	s_mov_b64 s[0:1], -1
	s_cbranch_scc1 .LBB159_2080
; %bb.2075:
	s_cmp_gt_i32 s2, 6
	s_cbranch_scc0 .LBB159_2077
; %bb.2076:
	s_waitcnt vmcnt(0)
	v_bfe_i32 v3, v2, 0, 8
	v_bfe_i32 v3, v3, 0, 16
	v_cvt_f64_i32_e32 v[3:4], v3
	s_mov_b64 s[0:1], 0
	global_store_dwordx2 v[0:1], v[3:4], off
.LBB159_2077:
	s_andn2_b64 vcc, exec, s[0:1]
	s_cbranch_vccnz .LBB159_2079
; %bb.2078:
	s_waitcnt vmcnt(0)
	v_bfe_i32 v3, v2, 0, 8
	v_cvt_f32_i32_sdwa v3, sext(v3) dst_sel:DWORD dst_unused:UNUSED_PAD src0_sel:WORD_0
	global_store_dword v[0:1], v3, off
.LBB159_2079:
	s_mov_b64 s[0:1], 0
.LBB159_2080:
	s_andn2_b64 vcc, exec, s[0:1]
	s_cbranch_vccnz .LBB159_2082
; %bb.2081:
	s_waitcnt vmcnt(0)
	v_cvt_f16_i16_sdwa v3, sext(v2) dst_sel:DWORD dst_unused:UNUSED_PAD src0_sel:BYTE_0
	global_store_short v[0:1], v3, off
.LBB159_2082:
	s_mov_b64 s[0:1], 0
.LBB159_2083:
	s_andn2_b64 vcc, exec, s[0:1]
	s_cbranch_vccnz .LBB159_2099
; %bb.2084:
	s_sext_i32_i16 s2, s16
	s_cmp_lt_i32 s2, 2
	s_mov_b64 s[0:1], -1
	s_cbranch_scc1 .LBB159_2094
; %bb.2085:
	s_cmp_lt_i32 s2, 3
	s_cbranch_scc1 .LBB159_2091
; %bb.2086:
	s_cmp_gt_i32 s2, 3
	s_cbranch_scc0 .LBB159_2088
; %bb.2087:
	s_waitcnt vmcnt(0)
	v_bfe_i32 v3, v2, 0, 8
	v_ashrrev_i32_e32 v4, 31, v3
	global_store_dwordx2 v[0:1], v[3:4], off
	s_mov_b64 s[0:1], 0
.LBB159_2088:
	s_andn2_b64 vcc, exec, s[0:1]
	s_cbranch_vccnz .LBB159_2090
; %bb.2089:
	s_waitcnt vmcnt(0)
	v_bfe_i32 v3, v2, 0, 8
	global_store_dword v[0:1], v3, off
.LBB159_2090:
	s_mov_b64 s[0:1], 0
.LBB159_2091:
	s_andn2_b64 vcc, exec, s[0:1]
	s_cbranch_vccnz .LBB159_2093
; %bb.2092:
	s_waitcnt vmcnt(0)
	v_bfe_i32 v3, v2, 0, 8
	global_store_short v[0:1], v3, off
.LBB159_2093:
	s_mov_b64 s[0:1], 0
.LBB159_2094:
	s_andn2_b64 vcc, exec, s[0:1]
	s_cbranch_vccnz .LBB159_2099
; %bb.2095:
	s_sext_i32_i16 s0, s16
	s_cmp_gt_i32 s0, 0
	s_mov_b64 s[0:1], -1
	s_cbranch_scc0 .LBB159_2097
; %bb.2096:
	global_store_byte v[0:1], v2, off
	s_mov_b64 s[0:1], 0
.LBB159_2097:
	s_andn2_b64 vcc, exec, s[0:1]
	s_cbranch_vccnz .LBB159_2099
; %bb.2098:
	global_store_byte v[0:1], v2, off
	s_endpgm
.LBB159_2099:
	s_endpgm
.LBB159_2100:
	s_mov_b64 s[2:3], 0
	s_mov_b64 s[0:1], -1
	s_branch .LBB159_2056
.LBB159_2101:
	s_trap 2
	s_or_b64 s[4:5], s[4:5], exec
	s_cbranch_execz .LBB159_1570
	s_branch .LBB159_1571
.LBB159_2102:
	s_andn2_saveexec_b64 s[14:15], s[14:15]
	s_cbranch_execz .LBB159_1650
.LBB159_2103:
	s_mov_b32 s20, 0x46000000
	v_add_f32_e64 v8, |v3|, s20
	v_and_b32_e32 v8, 0xff, v8
	v_cmp_ne_u32_e32 vcc, 0, v8
	s_andn2_b64 s[12:13], s[12:13], exec
	s_and_b64 s[20:21], vcc, exec
	s_or_b64 s[12:13], s[12:13], s[20:21]
	s_or_b64 exec, exec, s[14:15]
	v_mov_b32_e32 v10, 0
	s_and_saveexec_b64 s[14:15], s[12:13]
	s_cbranch_execnz .LBB159_1651
	s_branch .LBB159_1652
.LBB159_2104:
	s_trap 2
	s_or_b64 s[4:5], s[4:5], exec
	s_cbranch_execz .LBB159_1698
	s_branch .LBB159_1699
.LBB159_2105:
	s_andn2_saveexec_b64 s[12:13], s[12:13]
	s_cbranch_execz .LBB159_1663
.LBB159_2106:
	s_mov_b32 s14, 0x42800000
	v_add_f32_e64 v8, |v3|, s14
	v_and_b32_e32 v8, 0xff, v8
	v_cmp_ne_u32_e32 vcc, 0, v8
	s_andn2_b64 s[10:11], s[10:11], exec
	s_and_b64 s[14:15], vcc, exec
	s_or_b64 s[10:11], s[10:11], s[14:15]
	s_or_b64 exec, exec, s[12:13]
	v_mov_b32_e32 v10, 0
	s_and_saveexec_b64 s[12:13], s[10:11]
	s_cbranch_execnz .LBB159_1664
	s_branch .LBB159_1665
.LBB159_2107:
	s_andn2_saveexec_b64 s[14:15], s[14:15]
	s_cbranch_execz .LBB159_1769
.LBB159_2108:
	s_mov_b32 s19, 0x46000000
	v_add_f32_e64 v6, |v5|, s19
	v_and_b32_e32 v6, 0xff, v6
	v_cmp_ne_u32_e32 vcc, 0, v6
	s_andn2_b64 s[12:13], s[12:13], exec
	s_and_b64 s[20:21], vcc, exec
	s_or_b64 s[12:13], s[12:13], s[20:21]
	s_or_b64 exec, exec, s[14:15]
	v_mov_b32_e32 v8, 0
	s_and_saveexec_b64 s[14:15], s[12:13]
	s_cbranch_execnz .LBB159_1770
	s_branch .LBB159_1771
.LBB159_2109:
	s_trap 2
	s_or_b64 s[4:5], s[4:5], exec
	s_cbranch_execz .LBB159_1817
	s_branch .LBB159_1818
.LBB159_2110:
	s_andn2_saveexec_b64 s[12:13], s[12:13]
	s_cbranch_execz .LBB159_1782
.LBB159_2111:
	s_mov_b32 s14, 0x42800000
	v_add_f32_e64 v6, |v5|, s14
	v_and_b32_e32 v6, 0xff, v6
	v_cmp_ne_u32_e32 vcc, 0, v6
	s_andn2_b64 s[10:11], s[10:11], exec
	s_and_b64 s[14:15], vcc, exec
	s_or_b64 s[10:11], s[10:11], s[14:15]
	s_or_b64 exec, exec, s[12:13]
	v_mov_b32_e32 v8, 0
	s_and_saveexec_b64 s[12:13], s[10:11]
	s_cbranch_execnz .LBB159_1783
	s_branch .LBB159_1784
.LBB159_2112:
	s_andn2_saveexec_b64 s[14:15], s[14:15]
	s_cbranch_execz .LBB159_1888
.LBB159_2113:
	s_mov_b32 s19, 0x46000000
	v_add_f32_e64 v4, |v3|, s19
	v_and_b32_e32 v4, 0xff, v4
	v_cmp_ne_u32_e32 vcc, 0, v4
	s_andn2_b64 s[12:13], s[12:13], exec
	s_and_b64 s[20:21], vcc, exec
	s_or_b64 s[12:13], s[12:13], s[20:21]
	s_or_b64 exec, exec, s[14:15]
	v_mov_b32_e32 v6, 0
	s_and_saveexec_b64 s[14:15], s[12:13]
	s_cbranch_execnz .LBB159_1889
	s_branch .LBB159_1890
.LBB159_2114:
	s_trap 2
	s_or_b64 s[4:5], s[4:5], exec
	s_cbranch_execz .LBB159_1936
	s_branch .LBB159_1937
.LBB159_2115:
	s_andn2_saveexec_b64 s[12:13], s[12:13]
	s_cbranch_execz .LBB159_1901
.LBB159_2116:
	s_mov_b32 s14, 0x42800000
	v_add_f32_e64 v4, |v3|, s14
	v_and_b32_e32 v4, 0xff, v4
	v_cmp_ne_u32_e32 vcc, 0, v4
	s_andn2_b64 s[10:11], s[10:11], exec
	s_and_b64 s[14:15], vcc, exec
	s_or_b64 s[10:11], s[10:11], s[14:15]
	s_or_b64 exec, exec, s[12:13]
	v_mov_b32_e32 v6, 0
	s_and_saveexec_b64 s[12:13], s[10:11]
	s_cbranch_execnz .LBB159_1902
	s_branch .LBB159_1903
.LBB159_2117:
	s_andn2_saveexec_b64 s[10:11], s[10:11]
	s_cbranch_execz .LBB159_2008
.LBB159_2118:
	s_mov_b32 s13, 0x46000000
	v_add_f32_e64 v4, |v3|, s13
	v_and_b32_e32 v4, 0xff, v4
	v_cmp_ne_u32_e32 vcc, 0, v4
	s_andn2_b64 s[8:9], s[8:9], exec
	s_and_b64 s[14:15], vcc, exec
	s_or_b64 s[8:9], s[8:9], s[14:15]
	s_or_b64 exec, exec, s[10:11]
	v_mov_b32_e32 v5, 0
	s_and_saveexec_b64 s[10:11], s[8:9]
	s_cbranch_execnz .LBB159_2009
	s_branch .LBB159_2010
.LBB159_2119:
	s_mov_b64 s[2:3], 0
	s_or_b64 s[4:5], s[4:5], exec
	s_trap 2
	s_branch .LBB159_2054
.LBB159_2120:
	s_andn2_saveexec_b64 s[8:9], s[8:9]
	s_cbranch_execz .LBB159_2020
.LBB159_2121:
	s_mov_b32 s10, 0x42800000
	v_add_f32_e64 v4, |v3|, s10
	v_and_b32_e32 v4, 0xff, v4
	v_cmp_ne_u32_e32 vcc, 0, v4
	s_andn2_b64 s[6:7], s[6:7], exec
	s_and_b64 s[10:11], vcc, exec
	s_or_b64 s[6:7], s[6:7], s[10:11]
	s_or_b64 exec, exec, s[8:9]
	v_mov_b32_e32 v5, 0
	s_and_saveexec_b64 s[8:9], s[6:7]
	s_cbranch_execnz .LBB159_2021
	s_branch .LBB159_2022
	.section	.rodata,"a",@progbits
	.p2align	6, 0x0
	.amdhsa_kernel _ZN2at6native32elementwise_kernel_manual_unrollILi128ELi4EZNS0_15gpu_kernel_implINS0_13BUnaryFunctorIaaaZZZNS0_18rshift_kernel_cudaERNS_18TensorIteratorBaseEENKUlvE_clEvENKUlvE0_clEvEUlaaE_EEEEvS5_RKT_EUlibE0_EEviT1_
		.amdhsa_group_segment_fixed_size 0
		.amdhsa_private_segment_fixed_size 0
		.amdhsa_kernarg_size 360
		.amdhsa_user_sgpr_count 6
		.amdhsa_user_sgpr_private_segment_buffer 1
		.amdhsa_user_sgpr_dispatch_ptr 0
		.amdhsa_user_sgpr_queue_ptr 0
		.amdhsa_user_sgpr_kernarg_segment_ptr 1
		.amdhsa_user_sgpr_dispatch_id 0
		.amdhsa_user_sgpr_flat_scratch_init 0
		.amdhsa_user_sgpr_private_segment_size 0
		.amdhsa_uses_dynamic_stack 0
		.amdhsa_system_sgpr_private_segment_wavefront_offset 0
		.amdhsa_system_sgpr_workgroup_id_x 1
		.amdhsa_system_sgpr_workgroup_id_y 0
		.amdhsa_system_sgpr_workgroup_id_z 0
		.amdhsa_system_sgpr_workgroup_info 0
		.amdhsa_system_vgpr_workitem_id 0
		.amdhsa_next_free_vgpr 18
		.amdhsa_next_free_sgpr 81
		.amdhsa_reserve_vcc 1
		.amdhsa_reserve_flat_scratch 0
		.amdhsa_float_round_mode_32 0
		.amdhsa_float_round_mode_16_64 0
		.amdhsa_float_denorm_mode_32 3
		.amdhsa_float_denorm_mode_16_64 3
		.amdhsa_dx10_clamp 1
		.amdhsa_ieee_mode 1
		.amdhsa_fp16_overflow 0
		.amdhsa_exception_fp_ieee_invalid_op 0
		.amdhsa_exception_fp_denorm_src 0
		.amdhsa_exception_fp_ieee_div_zero 0
		.amdhsa_exception_fp_ieee_overflow 0
		.amdhsa_exception_fp_ieee_underflow 0
		.amdhsa_exception_fp_ieee_inexact 0
		.amdhsa_exception_int_div_zero 0
	.end_amdhsa_kernel
	.section	.text._ZN2at6native32elementwise_kernel_manual_unrollILi128ELi4EZNS0_15gpu_kernel_implINS0_13BUnaryFunctorIaaaZZZNS0_18rshift_kernel_cudaERNS_18TensorIteratorBaseEENKUlvE_clEvENKUlvE0_clEvEUlaaE_EEEEvS5_RKT_EUlibE0_EEviT1_,"axG",@progbits,_ZN2at6native32elementwise_kernel_manual_unrollILi128ELi4EZNS0_15gpu_kernel_implINS0_13BUnaryFunctorIaaaZZZNS0_18rshift_kernel_cudaERNS_18TensorIteratorBaseEENKUlvE_clEvENKUlvE0_clEvEUlaaE_EEEEvS5_RKT_EUlibE0_EEviT1_,comdat
.Lfunc_end159:
	.size	_ZN2at6native32elementwise_kernel_manual_unrollILi128ELi4EZNS0_15gpu_kernel_implINS0_13BUnaryFunctorIaaaZZZNS0_18rshift_kernel_cudaERNS_18TensorIteratorBaseEENKUlvE_clEvENKUlvE0_clEvEUlaaE_EEEEvS5_RKT_EUlibE0_EEviT1_, .Lfunc_end159-_ZN2at6native32elementwise_kernel_manual_unrollILi128ELi4EZNS0_15gpu_kernel_implINS0_13BUnaryFunctorIaaaZZZNS0_18rshift_kernel_cudaERNS_18TensorIteratorBaseEENKUlvE_clEvENKUlvE0_clEvEUlaaE_EEEEvS5_RKT_EUlibE0_EEviT1_
                                        ; -- End function
	.set _ZN2at6native32elementwise_kernel_manual_unrollILi128ELi4EZNS0_15gpu_kernel_implINS0_13BUnaryFunctorIaaaZZZNS0_18rshift_kernel_cudaERNS_18TensorIteratorBaseEENKUlvE_clEvENKUlvE0_clEvEUlaaE_EEEEvS5_RKT_EUlibE0_EEviT1_.num_vgpr, 18
	.set _ZN2at6native32elementwise_kernel_manual_unrollILi128ELi4EZNS0_15gpu_kernel_implINS0_13BUnaryFunctorIaaaZZZNS0_18rshift_kernel_cudaERNS_18TensorIteratorBaseEENKUlvE_clEvENKUlvE0_clEvEUlaaE_EEEEvS5_RKT_EUlibE0_EEviT1_.num_agpr, 0
	.set _ZN2at6native32elementwise_kernel_manual_unrollILi128ELi4EZNS0_15gpu_kernel_implINS0_13BUnaryFunctorIaaaZZZNS0_18rshift_kernel_cudaERNS_18TensorIteratorBaseEENKUlvE_clEvENKUlvE0_clEvEUlaaE_EEEEvS5_RKT_EUlibE0_EEviT1_.numbered_sgpr, 81
	.set _ZN2at6native32elementwise_kernel_manual_unrollILi128ELi4EZNS0_15gpu_kernel_implINS0_13BUnaryFunctorIaaaZZZNS0_18rshift_kernel_cudaERNS_18TensorIteratorBaseEENKUlvE_clEvENKUlvE0_clEvEUlaaE_EEEEvS5_RKT_EUlibE0_EEviT1_.num_named_barrier, 0
	.set _ZN2at6native32elementwise_kernel_manual_unrollILi128ELi4EZNS0_15gpu_kernel_implINS0_13BUnaryFunctorIaaaZZZNS0_18rshift_kernel_cudaERNS_18TensorIteratorBaseEENKUlvE_clEvENKUlvE0_clEvEUlaaE_EEEEvS5_RKT_EUlibE0_EEviT1_.private_seg_size, 0
	.set _ZN2at6native32elementwise_kernel_manual_unrollILi128ELi4EZNS0_15gpu_kernel_implINS0_13BUnaryFunctorIaaaZZZNS0_18rshift_kernel_cudaERNS_18TensorIteratorBaseEENKUlvE_clEvENKUlvE0_clEvEUlaaE_EEEEvS5_RKT_EUlibE0_EEviT1_.uses_vcc, 1
	.set _ZN2at6native32elementwise_kernel_manual_unrollILi128ELi4EZNS0_15gpu_kernel_implINS0_13BUnaryFunctorIaaaZZZNS0_18rshift_kernel_cudaERNS_18TensorIteratorBaseEENKUlvE_clEvENKUlvE0_clEvEUlaaE_EEEEvS5_RKT_EUlibE0_EEviT1_.uses_flat_scratch, 0
	.set _ZN2at6native32elementwise_kernel_manual_unrollILi128ELi4EZNS0_15gpu_kernel_implINS0_13BUnaryFunctorIaaaZZZNS0_18rshift_kernel_cudaERNS_18TensorIteratorBaseEENKUlvE_clEvENKUlvE0_clEvEUlaaE_EEEEvS5_RKT_EUlibE0_EEviT1_.has_dyn_sized_stack, 0
	.set _ZN2at6native32elementwise_kernel_manual_unrollILi128ELi4EZNS0_15gpu_kernel_implINS0_13BUnaryFunctorIaaaZZZNS0_18rshift_kernel_cudaERNS_18TensorIteratorBaseEENKUlvE_clEvENKUlvE0_clEvEUlaaE_EEEEvS5_RKT_EUlibE0_EEviT1_.has_recursion, 0
	.set _ZN2at6native32elementwise_kernel_manual_unrollILi128ELi4EZNS0_15gpu_kernel_implINS0_13BUnaryFunctorIaaaZZZNS0_18rshift_kernel_cudaERNS_18TensorIteratorBaseEENKUlvE_clEvENKUlvE0_clEvEUlaaE_EEEEvS5_RKT_EUlibE0_EEviT1_.has_indirect_call, 0
	.section	.AMDGPU.csdata,"",@progbits
; Kernel info:
; codeLenInByte = 35564
; TotalNumSgprs: 85
; NumVgprs: 18
; ScratchSize: 0
; MemoryBound: 1
; FloatMode: 240
; IeeeMode: 1
; LDSByteSize: 0 bytes/workgroup (compile time only)
; SGPRBlocks: 10
; VGPRBlocks: 4
; NumSGPRsForWavesPerEU: 85
; NumVGPRsForWavesPerEU: 18
; Occupancy: 9
; WaveLimiterHint : 1
; COMPUTE_PGM_RSRC2:SCRATCH_EN: 0
; COMPUTE_PGM_RSRC2:USER_SGPR: 6
; COMPUTE_PGM_RSRC2:TRAP_HANDLER: 0
; COMPUTE_PGM_RSRC2:TGID_X_EN: 1
; COMPUTE_PGM_RSRC2:TGID_Y_EN: 0
; COMPUTE_PGM_RSRC2:TGID_Z_EN: 0
; COMPUTE_PGM_RSRC2:TIDIG_COMP_CNT: 0
	.section	.text._ZN2at6native29vectorized_elementwise_kernelILi16ENS0_13BinaryFunctorIaaaZZZNS0_18rshift_kernel_cudaERNS_18TensorIteratorBaseEENKUlvE_clEvENKUlvE0_clEvEUlaaE_EESt5arrayIPcLm3EEEEviT0_T1_,"axG",@progbits,_ZN2at6native29vectorized_elementwise_kernelILi16ENS0_13BinaryFunctorIaaaZZZNS0_18rshift_kernel_cudaERNS_18TensorIteratorBaseEENKUlvE_clEvENKUlvE0_clEvEUlaaE_EESt5arrayIPcLm3EEEEviT0_T1_,comdat
	.globl	_ZN2at6native29vectorized_elementwise_kernelILi16ENS0_13BinaryFunctorIaaaZZZNS0_18rshift_kernel_cudaERNS_18TensorIteratorBaseEENKUlvE_clEvENKUlvE0_clEvEUlaaE_EESt5arrayIPcLm3EEEEviT0_T1_ ; -- Begin function _ZN2at6native29vectorized_elementwise_kernelILi16ENS0_13BinaryFunctorIaaaZZZNS0_18rshift_kernel_cudaERNS_18TensorIteratorBaseEENKUlvE_clEvENKUlvE0_clEvEUlaaE_EESt5arrayIPcLm3EEEEviT0_T1_
	.p2align	8
	.type	_ZN2at6native29vectorized_elementwise_kernelILi16ENS0_13BinaryFunctorIaaaZZZNS0_18rshift_kernel_cudaERNS_18TensorIteratorBaseEENKUlvE_clEvENKUlvE0_clEvEUlaaE_EESt5arrayIPcLm3EEEEviT0_T1_,@function
_ZN2at6native29vectorized_elementwise_kernelILi16ENS0_13BinaryFunctorIaaaZZZNS0_18rshift_kernel_cudaERNS_18TensorIteratorBaseEENKUlvE_clEvENKUlvE0_clEvEUlaaE_EESt5arrayIPcLm3EEEEviT0_T1_: ; @_ZN2at6native29vectorized_elementwise_kernelILi16ENS0_13BinaryFunctorIaaaZZZNS0_18rshift_kernel_cudaERNS_18TensorIteratorBaseEENKUlvE_clEvENKUlvE0_clEvEUlaaE_EESt5arrayIPcLm3EEEEviT0_T1_
; %bb.0:
	s_load_dword s0, s[4:5], 0x0
	s_load_dwordx4 s[8:11], s[4:5], 0x8
	s_load_dwordx2 s[12:13], s[4:5], 0x18
	s_lshl_b32 s33, s6, 12
	s_waitcnt lgkmcnt(0)
	s_sub_i32 s38, s0, s33
	s_cmpk_gt_i32 s38, 0xfff
	s_mov_b64 s[0:1], -1
	s_cbranch_scc0 .LBB160_2
; %bb.1:
	s_ashr_i32 s2, s33, 31
	s_add_u32 s0, s10, s33
	s_addc_u32 s1, s11, s2
	v_lshlrev_b32_e32 v9, 4, v0
	global_load_dwordx4 v[1:4], v9, s[0:1]
	s_add_u32 s0, s12, s33
	s_addc_u32 s1, s13, s2
	global_load_dwordx4 v[5:8], v9, s[0:1]
	s_movk_i32 s0, 0xff
	v_mov_b32_e32 v10, 6
	v_mov_b32_e32 v11, 7
	s_add_u32 s4, s8, s33
	s_addc_u32 s5, s9, s2
	s_waitcnt vmcnt(1)
	v_lshrrev_b16_e32 v14, 8, v2
	v_lshrrev_b16_e32 v12, 8, v1
	v_lshrrev_b32_e32 v13, 16, v1
	v_lshrrev_b32_e32 v15, 16, v2
	v_lshrrev_b16_sdwa v21, v11, sext(v1) dst_sel:DWORD dst_unused:UNUSED_PAD src0_sel:DWORD src1_sel:BYTE_0
	v_ashrrev_i16_e32 v22, 15, v2
	s_waitcnt vmcnt(0)
	v_and_b32_sdwa v29, v5, s0 dst_sel:DWORD dst_unused:UNUSED_PAD src0_sel:WORD_1 src1_sel:DWORD
	v_and_b32_sdwa v30, v6, s0 dst_sel:DWORD dst_unused:UNUSED_PAD src0_sel:WORD_1 src1_sel:DWORD
	;; [unrolled: 1-line block ×4, first 2 shown]
	v_ashrrev_i32_sdwa v33, v5, sext(v1) dst_sel:DWORD dst_unused:UNUSED_PAD src0_sel:DWORD src1_sel:BYTE_0
	v_ashrrev_i32_sdwa v14, v6, sext(v14) dst_sel:DWORD dst_unused:UNUSED_PAD src0_sel:BYTE_1 src1_sel:BYTE_0
	v_cmp_gt_u16_sdwa s[0:1], v5, v10 src0_sel:BYTE_0 src1_sel:DWORD
	v_cmp_gt_u16_sdwa s[2:3], v6, v10 src0_sel:BYTE_1 src1_sel:DWORD
	v_ashrrev_i16_e32 v20, 15, v1
	v_lshrrev_b16_sdwa v26, v11, sext(v13) dst_sel:DWORD dst_unused:UNUSED_PAD src0_sel:DWORD src1_sel:BYTE_0
	v_lshrrev_b16_sdwa v27, v11, sext(v15) dst_sel:DWORD dst_unused:UNUSED_PAD src0_sel:DWORD src1_sel:BYTE_0
	v_ashrrev_i16_e32 v15, 15, v15
	v_ashrrev_i32_sdwa v12, v5, sext(v12) dst_sel:DWORD dst_unused:UNUSED_PAD src0_sel:BYTE_1 src1_sel:BYTE_0
	v_ashrrev_i32_sdwa v34, v5, sext(v1) dst_sel:DWORD dst_unused:UNUSED_PAD src0_sel:BYTE_3 src1_sel:BYTE_3
	v_ashrrev_i32_sdwa v1, v5, sext(v1) dst_sel:DWORD dst_unused:UNUSED_PAD src0_sel:WORD_1 src1_sel:BYTE_2
	v_cmp_lt_u16_e32 vcc, 6, v29
	v_cndmask_b32_e64 v21, v33, v21, s[0:1]
	v_ashrrev_i32_sdwa v33, v6, sext(v2) dst_sel:DWORD dst_unused:UNUSED_PAD src0_sel:BYTE_3 src1_sel:BYTE_3
	v_cmp_gt_u16_sdwa s[0:1], v5, v10 src0_sel:BYTE_1 src1_sel:DWORD
	v_cndmask_b32_e64 v14, v14, v22, s[2:3]
	v_cmp_gt_u16_sdwa s[2:3], v6, v10 src0_sel:BYTE_3 src1_sel:DWORD
	v_lshrrev_b16_sdwa v23, v11, sext(v2) dst_sel:DWORD dst_unused:UNUSED_PAD src0_sel:DWORD src1_sel:BYTE_0
	v_ashrrev_i16_e32 v13, 15, v13
	v_ashrrev_i32_sdwa v29, v6, sext(v2) dst_sel:DWORD dst_unused:UNUSED_PAD src0_sel:DWORD src1_sel:BYTE_0
	v_cndmask_b32_e64 v12, v12, v20, s[0:1]
	v_ashrrev_i32_sdwa v2, v6, sext(v2) dst_sel:DWORD dst_unused:UNUSED_PAD src0_sel:WORD_1 src1_sel:BYTE_2
	v_cmp_gt_u16_sdwa s[0:1], v5, v10 src0_sel:BYTE_3 src1_sel:DWORD
	v_cndmask_b32_e32 v1, v1, v26, vcc
	v_cmp_gt_u16_sdwa vcc, v6, v10 src0_sel:BYTE_0 src1_sel:DWORD
	v_cndmask_b32_e64 v6, v33, v15, s[2:3]
	v_cmp_lt_u16_e64 s[2:3], 6, v30
	v_lshrrev_b16_e32 v16, 8, v3
	v_lshrrev_b16_sdwa v25, v11, sext(v3) dst_sel:DWORD dst_unused:UNUSED_PAD src0_sel:DWORD src1_sel:BYTE_0
	v_cndmask_b32_e64 v5, v34, v13, s[0:1]
	v_ashrrev_i32_sdwa v13, v7, sext(v3) dst_sel:DWORD dst_unused:UNUSED_PAD src0_sel:DWORD src1_sel:BYTE_0
	v_cndmask_b32_e64 v2, v2, v27, s[2:3]
	v_cmp_gt_u16_sdwa s[2:3], v7, v10 src0_sel:BYTE_0 src1_sel:DWORD
	v_lshrrev_b32_e32 v17, 16, v3
	v_ashrrev_i16_e32 v24, 15, v3
	v_ashrrev_i32_sdwa v16, v7, sext(v16) dst_sel:DWORD dst_unused:UNUSED_PAD src0_sel:BYTE_1 src1_sel:BYTE_0
	v_cndmask_b32_e64 v13, v13, v25, s[2:3]
	v_cmp_gt_u16_sdwa s[2:3], v7, v10 src0_sel:BYTE_1 src1_sel:DWORD
	v_lshrrev_b16_sdwa v28, v11, sext(v17) dst_sel:DWORD dst_unused:UNUSED_PAD src0_sel:DWORD src1_sel:BYTE_0
	v_ashrrev_i16_e32 v17, 15, v17
	v_ashrrev_i32_sdwa v20, v7, sext(v3) dst_sel:DWORD dst_unused:UNUSED_PAD src0_sel:BYTE_3 src1_sel:BYTE_3
	v_cndmask_b32_e64 v15, v16, v24, s[2:3]
	v_cmp_gt_u16_sdwa s[2:3], v7, v10 src0_sel:BYTE_3 src1_sel:DWORD
	v_ashrrev_i32_sdwa v3, v7, sext(v3) dst_sel:DWORD dst_unused:UNUSED_PAD src0_sel:WORD_1 src1_sel:BYTE_2
	v_cndmask_b32_e64 v7, v20, v17, s[2:3]
	v_cmp_lt_u16_e64 s[2:3], 6, v31
	v_lshrrev_b16_e32 v18, 8, v4
	v_cndmask_b32_e64 v3, v3, v28, s[2:3]
	v_lshlrev_b16_e32 v6, 8, v6
	v_lshlrev_b16_e32 v15, 8, v15
	;; [unrolled: 1-line block ×3, first 2 shown]
	v_lshrrev_b32_e32 v19, 16, v4
	v_cndmask_b32_e32 v23, v29, v23, vcc
	v_cmp_gt_u16_sdwa s[0:1], v8, v10 src0_sel:BYTE_3 src1_sel:DWORD
	v_cmp_gt_u16_sdwa vcc, v8, v10 src0_sel:BYTE_1 src1_sel:DWORD
	v_lshlrev_b16_e32 v12, 8, v12
	v_lshlrev_b16_e32 v5, 8, v5
	;; [unrolled: 1-line block ×3, first 2 shown]
	v_or_b32_sdwa v2, v2, v6 dst_sel:WORD_1 dst_unused:UNUSED_PAD src0_sel:BYTE_0 src1_sel:DWORD
	v_or_b32_sdwa v6, v13, v15 dst_sel:DWORD dst_unused:UNUSED_PAD src0_sel:BYTE_0 src1_sel:DWORD
	v_or_b32_sdwa v3, v3, v7 dst_sel:WORD_1 dst_unused:UNUSED_PAD src0_sel:BYTE_0 src1_sel:DWORD
	v_ashrrev_i16_e32 v7, 15, v4
	v_ashrrev_i32_sdwa v13, v8, sext(v18) dst_sel:DWORD dst_unused:UNUSED_PAD src0_sel:BYTE_1 src1_sel:BYTE_0
	v_or_b32_sdwa v12, v21, v12 dst_sel:DWORD dst_unused:UNUSED_PAD src0_sel:BYTE_0 src1_sel:DWORD
	v_or_b32_sdwa v1, v1, v5 dst_sel:WORD_1 dst_unused:UNUSED_PAD src0_sel:BYTE_0 src1_sel:DWORD
	v_or_b32_sdwa v5, v23, v14 dst_sel:DWORD dst_unused:UNUSED_PAD src0_sel:BYTE_0 src1_sel:DWORD
	v_or_b32_sdwa v3, v6, v3 dst_sel:DWORD dst_unused:UNUSED_PAD src0_sel:WORD_0 src1_sel:DWORD
	v_ashrrev_i16_e32 v6, 15, v19
	v_ashrrev_i32_sdwa v14, v8, sext(v4) dst_sel:DWORD dst_unused:UNUSED_PAD src0_sel:BYTE_3 src1_sel:BYTE_3
	v_cndmask_b32_sdwa v7, v13, v7, vcc dst_sel:BYTE_1 dst_unused:UNUSED_PAD src0_sel:DWORD src1_sel:DWORD
	s_mov_b64 vcc, s[0:1]
	v_or_b32_sdwa v1, v12, v1 dst_sel:DWORD dst_unused:UNUSED_PAD src0_sel:WORD_0 src1_sel:DWORD
	v_or_b32_sdwa v2, v5, v2 dst_sel:DWORD dst_unused:UNUSED_PAD src0_sel:WORD_0 src1_sel:DWORD
	v_lshrrev_b16_sdwa v5, v11, sext(v19) dst_sel:DWORD dst_unused:UNUSED_PAD src0_sel:DWORD src1_sel:BYTE_0
	v_lshrrev_b16_sdwa v11, v11, sext(v4) dst_sel:DWORD dst_unused:UNUSED_PAD src0_sel:DWORD src1_sel:BYTE_0
	v_ashrrev_i32_sdwa v12, v8, sext(v4) dst_sel:DWORD dst_unused:UNUSED_PAD src0_sel:DWORD src1_sel:BYTE_0
	v_ashrrev_i32_sdwa v4, v8, sext(v4) dst_sel:DWORD dst_unused:UNUSED_PAD src0_sel:WORD_1 src1_sel:BYTE_2
	v_cmp_gt_u16_sdwa s[2:3], v8, v10 src0_sel:BYTE_0 src1_sel:DWORD
	v_cndmask_b32_sdwa v6, v14, v6, vcc dst_sel:BYTE_1 dst_unused:UNUSED_PAD src0_sel:DWORD src1_sel:DWORD
	v_cmp_lt_u16_e32 vcc, 6, v32
	v_cndmask_b32_e64 v8, v12, v11, s[2:3]
	v_cndmask_b32_e32 v4, v4, v5, vcc
	v_or_b32_sdwa v7, v8, v7 dst_sel:DWORD dst_unused:UNUSED_PAD src0_sel:BYTE_0 src1_sel:DWORD
	v_or_b32_sdwa v4, v4, v6 dst_sel:WORD_1 dst_unused:UNUSED_PAD src0_sel:BYTE_0 src1_sel:DWORD
	v_or_b32_sdwa v4, v7, v4 dst_sel:DWORD dst_unused:UNUSED_PAD src0_sel:WORD_0 src1_sel:DWORD
	global_store_dwordx4 v9, v[1:4], s[4:5]
	s_mov_b64 s[0:1], 0
.LBB160_2:
	s_andn2_b64 vcc, exec, s[0:1]
	s_cbranch_vccnz .LBB160_54
; %bb.3:
	v_cmp_gt_i32_e64 s[0:1], s38, v0
	v_cmp_le_i32_e32 vcc, s38, v0
                                        ; implicit-def: $vgpr5
	s_and_saveexec_b64 s[2:3], vcc
	s_xor_b64 s[2:3], exec, s[2:3]
; %bb.4:
	v_or_b32_e32 v5, 0x100, v0
; %bb.5:
	s_or_saveexec_b64 s[2:3], s[2:3]
	v_mov_b32_e32 v38, 0
	v_or_b32_e32 v6, s33, v0
	v_mov_b32_e32 v37, 0
	v_mov_b32_e32 v36, 0
	;; [unrolled: 1-line block ×31, first 2 shown]
	s_xor_b64 exec, exec, s[2:3]
	s_cbranch_execz .LBB160_37
; %bb.6:
	global_load_ubyte v18, v6, s[10:11]
	global_load_ubyte v19, v6, s[12:13]
	v_or_b32_e32 v5, 0x100, v0
	v_cmp_gt_u32_e32 vcc, s38, v5
	v_mov_b32_e32 v10, 0
	v_mov_b32_e32 v11, 0
	;; [unrolled: 1-line block ×30, first 2 shown]
	s_and_saveexec_b64 s[4:5], vcc
	s_cbranch_execz .LBB160_36
; %bb.7:
	v_add_u32_e32 v3, s33, v0
	global_load_ubyte v11, v3, s[10:11] offset:256
	global_load_ubyte v10, v3, s[12:13] offset:256
	v_or_b32_e32 v1, 0x200, v0
	v_mov_b32_e32 v16, 0
	v_cmp_gt_u32_e32 vcc, s38, v1
	v_mov_b32_e32 v23, 0
	v_mov_b32_e32 v12, 0
	;; [unrolled: 1-line block ×27, first 2 shown]
	s_and_saveexec_b64 s[6:7], vcc
	s_cbranch_execz .LBB160_35
; %bb.8:
	v_mov_b32_e32 v2, s11
	v_add_co_u32_e32 v1, vcc, s10, v3
	v_addc_co_u32_e32 v2, vcc, 0, v2, vcc
	v_mov_b32_e32 v4, s13
	v_add_co_u32_e32 v3, vcc, s12, v3
	v_addc_co_u32_e32 v4, vcc, 0, v4, vcc
	global_load_ubyte v23, v[1:2], off offset:512
	global_load_ubyte v16, v[3:4], off offset:512
	v_or_b32_e32 v7, 0x300, v0
	v_cmp_gt_u32_e32 vcc, s38, v7
	v_mov_b32_e32 v12, 0
	v_mov_b32_e32 v17, 0
	;; [unrolled: 1-line block ×26, first 2 shown]
	s_and_saveexec_b64 s[10:11], vcc
	s_cbranch_execz .LBB160_34
; %bb.9:
	global_load_ubyte v17, v[1:2], off offset:768
	global_load_ubyte v12, v[3:4], off offset:768
	v_or_b32_e32 v7, 0x400, v0
	v_cmp_gt_u32_e32 vcc, s38, v7
	v_mov_b32_e32 v13, 0
	v_mov_b32_e32 v20, 0
	;; [unrolled: 1-line block ×24, first 2 shown]
	s_and_saveexec_b64 s[12:13], vcc
	s_cbranch_execz .LBB160_33
; %bb.10:
	global_load_ubyte v20, v[1:2], off offset:1024
	global_load_ubyte v13, v[3:4], off offset:1024
	v_or_b32_e32 v7, 0x500, v0
	v_cmp_gt_u32_e32 vcc, s38, v7
	v_mov_b32_e32 v15, 0
	v_mov_b32_e32 v24, 0
	;; [unrolled: 1-line block ×22, first 2 shown]
	s_and_saveexec_b64 s[14:15], vcc
	s_cbranch_execz .LBB160_32
; %bb.11:
	global_load_ubyte v24, v[1:2], off offset:1280
	global_load_ubyte v15, v[3:4], off offset:1280
	v_or_b32_e32 v7, 0x600, v0
	v_cmp_gt_u32_e32 vcc, s38, v7
	v_mov_b32_e32 v14, 0
	v_mov_b32_e32 v25, 0
	;; [unrolled: 1-line block ×20, first 2 shown]
	s_and_saveexec_b64 s[16:17], vcc
	s_cbranch_execz .LBB160_31
; %bb.12:
	global_load_ubyte v25, v[1:2], off offset:1536
	global_load_ubyte v14, v[3:4], off offset:1536
	v_or_b32_e32 v7, 0x700, v0
	v_cmp_gt_u32_e32 vcc, s38, v7
	v_mov_b32_e32 v7, 0
	v_mov_b32_e32 v9, 0
	;; [unrolled: 1-line block ×18, first 2 shown]
	s_and_saveexec_b64 s[18:19], vcc
	s_cbranch_execz .LBB160_30
; %bb.13:
	global_load_ubyte v9, v[1:2], off offset:1792
	global_load_ubyte v7, v[3:4], off offset:1792
	v_or_b32_e32 v8, 0x800, v0
	v_cmp_gt_u32_e32 vcc, s38, v8
	v_mov_b32_e32 v8, 0
	v_mov_b32_e32 v21, 0
	;; [unrolled: 1-line block ×16, first 2 shown]
	s_and_saveexec_b64 s[20:21], vcc
	s_cbranch_execz .LBB160_29
; %bb.14:
	global_load_ubyte v21, v[1:2], off offset:2048
	global_load_ubyte v8, v[3:4], off offset:2048
	v_or_b32_e32 v22, 0x900, v0
	v_cmp_gt_u32_e32 vcc, s38, v22
	v_mov_b32_e32 v22, 0
	v_mov_b32_e32 v26, 0
	;; [unrolled: 1-line block ×14, first 2 shown]
	s_and_saveexec_b64 s[22:23], vcc
	s_cbranch_execz .LBB160_28
; %bb.15:
	global_load_ubyte v26, v[1:2], off offset:2304
	global_load_ubyte v22, v[3:4], off offset:2304
	v_or_b32_e32 v27, 0xa00, v0
	v_cmp_gt_u32_e32 vcc, s38, v27
	v_mov_b32_e32 v27, 0
	v_mov_b32_e32 v28, 0
	;; [unrolled: 1-line block ×12, first 2 shown]
	s_and_saveexec_b64 s[24:25], vcc
	s_cbranch_execz .LBB160_27
; %bb.16:
	global_load_ubyte v28, v[1:2], off offset:2560
	global_load_ubyte v27, v[3:4], off offset:2560
	v_or_b32_e32 v29, 0xb00, v0
	v_cmp_gt_u32_e32 vcc, s38, v29
	v_mov_b32_e32 v29, 0
	v_mov_b32_e32 v30, 0
	;; [unrolled: 1-line block ×10, first 2 shown]
	s_and_saveexec_b64 s[26:27], vcc
	s_cbranch_execz .LBB160_26
; %bb.17:
	global_load_ubyte v30, v[1:2], off offset:2816
	global_load_ubyte v29, v[3:4], off offset:2816
	v_or_b32_e32 v31, 0xc00, v0
	v_cmp_gt_u32_e32 vcc, s38, v31
	v_mov_b32_e32 v31, 0
	v_mov_b32_e32 v32, 0
	;; [unrolled: 1-line block ×8, first 2 shown]
	s_and_saveexec_b64 s[28:29], vcc
	s_cbranch_execz .LBB160_25
; %bb.18:
	global_load_ubyte v32, v[1:2], off offset:3072
	global_load_ubyte v31, v[3:4], off offset:3072
	v_or_b32_e32 v33, 0xd00, v0
	v_cmp_gt_u32_e32 vcc, s38, v33
	v_mov_b32_e32 v33, 0
	v_mov_b32_e32 v34, 0
	;; [unrolled: 1-line block ×6, first 2 shown]
	s_and_saveexec_b64 s[30:31], vcc
	s_cbranch_execz .LBB160_24
; %bb.19:
	global_load_ubyte v34, v[1:2], off offset:3328
	global_load_ubyte v33, v[3:4], off offset:3328
	v_or_b32_e32 v35, 0xe00, v0
	v_cmp_gt_u32_e32 vcc, s38, v35
	v_mov_b32_e32 v35, 0
	v_mov_b32_e32 v36, 0
	;; [unrolled: 1-line block ×4, first 2 shown]
	s_and_saveexec_b64 s[34:35], vcc
	s_cbranch_execz .LBB160_23
; %bb.20:
	global_load_ubyte v36, v[1:2], off offset:3584
	global_load_ubyte v35, v[3:4], off offset:3584
	v_or_b32_e32 v37, 0xf00, v0
	v_cmp_gt_u32_e32 vcc, s38, v37
	v_mov_b32_e32 v37, 0
	v_mov_b32_e32 v38, 0
	s_and_saveexec_b64 s[36:37], vcc
	s_cbranch_execz .LBB160_22
; %bb.21:
	global_load_ubyte v38, v[1:2], off offset:3840
	global_load_ubyte v37, v[3:4], off offset:3840
.LBB160_22:
	s_or_b64 exec, exec, s[36:37]
.LBB160_23:
	s_or_b64 exec, exec, s[34:35]
.LBB160_24:
	s_or_b64 exec, exec, s[30:31]
.LBB160_25:
	s_or_b64 exec, exec, s[28:29]
.LBB160_26:
	s_or_b64 exec, exec, s[26:27]
.LBB160_27:
	s_or_b64 exec, exec, s[24:25]
.LBB160_28:
	s_or_b64 exec, exec, s[22:23]
.LBB160_29:
	s_or_b64 exec, exec, s[20:21]
.LBB160_30:
	s_or_b64 exec, exec, s[18:19]
.LBB160_31:
	s_or_b64 exec, exec, s[16:17]
.LBB160_32:
	s_or_b64 exec, exec, s[14:15]
.LBB160_33:
	s_or_b64 exec, exec, s[12:13]
.LBB160_34:
	s_or_b64 exec, exec, s[10:11]
.LBB160_35:
	s_or_b64 exec, exec, s[6:7]
.LBB160_36:
	s_or_b64 exec, exec, s[4:5]
.LBB160_37:
	s_or_b64 exec, exec, s[2:3]
	v_mov_b32_e32 v1, 7
	s_waitcnt vmcnt(1)
	v_lshrrev_b16_sdwa v2, v1, sext(v18) dst_sel:DWORD dst_unused:UNUSED_PAD src0_sel:DWORD src1_sel:BYTE_0
	s_waitcnt vmcnt(0)
	v_ashrrev_i32_sdwa v3, v19, sext(v18) dst_sel:DWORD dst_unused:UNUSED_PAD src0_sel:DWORD src1_sel:BYTE_0
	v_mov_b32_e32 v18, 6
	v_cmp_gt_u16_sdwa vcc, v19, v18 src0_sel:BYTE_0 src1_sel:DWORD
	v_cndmask_b32_e32 v2, v3, v2, vcc
	s_mov_b32 s3, 0xffff
	v_lshrrev_b16_sdwa v3, v1, sext(v11) dst_sel:DWORD dst_unused:UNUSED_PAD src0_sel:DWORD src1_sel:BYTE_0
	v_ashrrev_i32_sdwa v4, v10, sext(v11) dst_sel:DWORD dst_unused:UNUSED_PAD src0_sel:DWORD src1_sel:BYTE_0
	v_cmp_gt_u16_sdwa vcc, v10, v18 src0_sel:BYTE_0 src1_sel:DWORD
	v_and_b32_sdwa v2, s3, v2 dst_sel:DWORD dst_unused:UNUSED_PAD src0_sel:DWORD src1_sel:BYTE_0
	v_cndmask_b32_e32 v3, v4, v3, vcc
	v_cndmask_b32_e64 v2, 0, v2, s[0:1]
	v_lshlrev_b16_e32 v3, 8, v3
	v_or_b32_e32 v3, v2, v3
	v_and_b32_e32 v3, 0xffff, v3
	v_cmp_gt_i32_e32 vcc, s38, v5
	v_cndmask_b32_e32 v2, v2, v3, vcc
	v_lshrrev_b16_sdwa v4, v1, sext(v23) dst_sel:DWORD dst_unused:UNUSED_PAD src0_sel:DWORD src1_sel:BYTE_0
	v_ashrrev_i32_sdwa v10, v16, sext(v23) dst_sel:DWORD dst_unused:UNUSED_PAD src0_sel:DWORD src1_sel:BYTE_0
	v_cmp_gt_u16_sdwa vcc, v16, v18 src0_sel:BYTE_0 src1_sel:DWORD
	v_cndmask_b32_e32 v4, v10, v4, vcc
	s_mov_b32 s4, 0xc0c0304
	v_or_b32_e32 v3, 0x200, v0
	v_perm_b32 v4, v4, v2, s4
	v_lshl_or_b32 v4, v4, 16, v2
	v_cmp_gt_i32_e32 vcc, s38, v3
	v_cndmask_b32_e32 v2, v2, v4, vcc
	v_lshrrev_b16_sdwa v10, v1, sext(v17) dst_sel:DWORD dst_unused:UNUSED_PAD src0_sel:DWORD src1_sel:BYTE_0
	v_ashrrev_i32_sdwa v11, v12, sext(v17) dst_sel:DWORD dst_unused:UNUSED_PAD src0_sel:DWORD src1_sel:BYTE_0
	v_cmp_gt_u16_sdwa vcc, v12, v18 src0_sel:BYTE_0 src1_sel:DWORD
	s_movk_i32 s2, 0xff
	v_cndmask_b32_e32 v10, v11, v10, vcc
	v_and_b32_sdwa v3, v2, s2 dst_sel:DWORD dst_unused:UNUSED_PAD src0_sel:WORD_1 src1_sel:DWORD
	v_lshlrev_b16_e32 v10, 8, v10
	v_or_b32_e32 v4, 0x300, v0
	v_or_b32_sdwa v3, v3, v10 dst_sel:WORD_1 dst_unused:UNUSED_PAD src0_sel:DWORD src1_sel:DWORD
	v_and_or_b32 v3, v2, s3, v3
	v_cmp_gt_i32_e32 vcc, s38, v4
	v_cndmask_b32_e32 v4, v2, v3, vcc
	v_lshrrev_b16_sdwa v2, v1, sext(v20) dst_sel:DWORD dst_unused:UNUSED_PAD src0_sel:DWORD src1_sel:BYTE_0
	v_ashrrev_i32_sdwa v3, v13, sext(v20) dst_sel:DWORD dst_unused:UNUSED_PAD src0_sel:DWORD src1_sel:BYTE_0
	v_cmp_gt_u16_sdwa vcc, v13, v18 src0_sel:BYTE_0 src1_sel:DWORD
	v_cndmask_b32_e32 v2, v3, v2, vcc
	s_mov_b32 s5, 0x3020104
	v_or_b32_e32 v3, 0x400, v0
	v_perm_b32 v2, v2, 0, s5
	v_cmp_gt_i32_e32 vcc, s38, v3
	v_cndmask_b32_e32 v2, 0, v2, vcc
	v_lshrrev_b16_sdwa v3, v1, sext(v24) dst_sel:DWORD dst_unused:UNUSED_PAD src0_sel:DWORD src1_sel:BYTE_0
	v_ashrrev_i32_sdwa v10, v15, sext(v24) dst_sel:DWORD dst_unused:UNUSED_PAD src0_sel:DWORD src1_sel:BYTE_0
	v_cmp_gt_u16_sdwa vcc, v15, v18 src0_sel:BYTE_0 src1_sel:DWORD
	v_cndmask_b32_e32 v3, v10, v3, vcc
	v_lshlrev_b16_e32 v3, 8, v3
	v_or_b32_sdwa v3, v2, v3 dst_sel:DWORD dst_unused:UNUSED_PAD src0_sel:BYTE_0 src1_sel:DWORD
	v_and_b32_e32 v3, 0xffff, v3
	s_mov_b32 s6, 0xffff0000
	v_or_b32_e32 v10, 0x500, v0
	v_and_or_b32 v3, v2, s6, v3
	v_cmp_gt_i32_e32 vcc, s38, v10
	v_cndmask_b32_e32 v2, v2, v3, vcc
	v_lshrrev_b16_sdwa v10, v1, sext(v25) dst_sel:DWORD dst_unused:UNUSED_PAD src0_sel:DWORD src1_sel:BYTE_0
	v_ashrrev_i32_sdwa v11, v14, sext(v25) dst_sel:DWORD dst_unused:UNUSED_PAD src0_sel:DWORD src1_sel:BYTE_0
	v_cmp_gt_u16_sdwa vcc, v14, v18 src0_sel:BYTE_0 src1_sel:DWORD
	v_or_b32_e32 v3, 0x600, v0
	v_cndmask_b32_e32 v10, v11, v10, vcc
	s_mov_b32 s7, 0x7000504
	v_perm_b32 v10, v2, v10, s7
	v_cmp_gt_i32_e32 vcc, s38, v3
	v_cndmask_b32_e32 v2, v2, v10, vcc
	v_lshrrev_b16_sdwa v11, v1, sext(v9) dst_sel:DWORD dst_unused:UNUSED_PAD src0_sel:DWORD src1_sel:BYTE_0
	v_ashrrev_i32_sdwa v9, v7, sext(v9) dst_sel:DWORD dst_unused:UNUSED_PAD src0_sel:DWORD src1_sel:BYTE_0
	v_cmp_gt_u16_sdwa vcc, v7, v18 src0_sel:BYTE_0 src1_sel:DWORD
	v_cndmask_b32_e32 v7, v9, v11, vcc
	v_and_b32_sdwa v3, v2, s2 dst_sel:DWORD dst_unused:UNUSED_PAD src0_sel:WORD_1 src1_sel:DWORD
	v_lshlrev_b16_e32 v7, 8, v7
	v_or_b32_e32 v10, 0x700, v0
	v_or_b32_sdwa v3, v3, v7 dst_sel:WORD_1 dst_unused:UNUSED_PAD src0_sel:DWORD src1_sel:DWORD
	v_and_or_b32 v3, v2, s3, v3
	v_cmp_gt_i32_e32 vcc, s38, v10
	v_cndmask_b32_e32 v3, v2, v3, vcc
	v_lshrrev_b16_sdwa v7, v1, sext(v21) dst_sel:DWORD dst_unused:UNUSED_PAD src0_sel:DWORD src1_sel:BYTE_0
	v_ashrrev_i32_sdwa v9, v8, sext(v21) dst_sel:DWORD dst_unused:UNUSED_PAD src0_sel:DWORD src1_sel:BYTE_0
	v_cmp_gt_u16_sdwa vcc, v8, v18 src0_sel:BYTE_0 src1_sel:DWORD
	v_or_b32_e32 v2, 0x800, v0
	v_cndmask_b32_e32 v7, v9, v7, vcc
	v_and_b32_sdwa v7, s3, v7 dst_sel:DWORD dst_unused:UNUSED_PAD src0_sel:DWORD src1_sel:BYTE_0
	v_cmp_gt_i32_e32 vcc, s38, v2
	v_cndmask_b32_e32 v2, 0, v7, vcc
	v_lshrrev_b16_sdwa v8, v1, sext(v26) dst_sel:DWORD dst_unused:UNUSED_PAD src0_sel:DWORD src1_sel:BYTE_0
	v_ashrrev_i32_sdwa v9, v22, sext(v26) dst_sel:DWORD dst_unused:UNUSED_PAD src0_sel:DWORD src1_sel:BYTE_0
	v_cmp_gt_u16_sdwa vcc, v22, v18 src0_sel:BYTE_0 src1_sel:DWORD
	v_cndmask_b32_e32 v8, v9, v8, vcc
	v_lshlrev_b16_e32 v8, 8, v8
	v_or_b32_e32 v7, 0x900, v0
	v_or_b32_e32 v8, v2, v8
	v_and_b32_e32 v8, 0xffff, v8
	v_cmp_gt_i32_e32 vcc, s38, v7
	v_cndmask_b32_e32 v2, v2, v8, vcc
	v_lshrrev_b16_sdwa v8, v1, sext(v28) dst_sel:DWORD dst_unused:UNUSED_PAD src0_sel:DWORD src1_sel:BYTE_0
	v_ashrrev_i32_sdwa v9, v27, sext(v28) dst_sel:DWORD dst_unused:UNUSED_PAD src0_sel:DWORD src1_sel:BYTE_0
	v_cmp_gt_u16_sdwa vcc, v27, v18 src0_sel:BYTE_0 src1_sel:DWORD
	v_cndmask_b32_e32 v8, v9, v8, vcc
	v_or_b32_e32 v7, 0xa00, v0
	v_perm_b32 v8, v8, v2, s4
	v_lshl_or_b32 v8, v8, 16, v2
	v_cmp_gt_i32_e32 vcc, s38, v7
	v_cndmask_b32_e32 v2, v2, v8, vcc
	v_lshrrev_b16_sdwa v9, v1, sext(v30) dst_sel:DWORD dst_unused:UNUSED_PAD src0_sel:DWORD src1_sel:BYTE_0
	v_ashrrev_i32_sdwa v10, v29, sext(v30) dst_sel:DWORD dst_unused:UNUSED_PAD src0_sel:DWORD src1_sel:BYTE_0
	v_cmp_gt_u16_sdwa vcc, v29, v18 src0_sel:BYTE_0 src1_sel:DWORD
	v_cndmask_b32_e32 v9, v10, v9, vcc
	v_and_b32_sdwa v7, v2, s2 dst_sel:DWORD dst_unused:UNUSED_PAD src0_sel:WORD_1 src1_sel:DWORD
	v_lshlrev_b16_e32 v9, 8, v9
	v_or_b32_e32 v8, 0xb00, v0
	v_or_b32_sdwa v7, v7, v9 dst_sel:WORD_1 dst_unused:UNUSED_PAD src0_sel:DWORD src1_sel:DWORD
	v_and_or_b32 v7, v2, s3, v7
	v_cmp_gt_i32_e32 vcc, s38, v8
	v_cndmask_b32_e32 v2, v2, v7, vcc
	v_lshrrev_b16_sdwa v7, v1, sext(v32) dst_sel:DWORD dst_unused:UNUSED_PAD src0_sel:DWORD src1_sel:BYTE_0
	v_ashrrev_i32_sdwa v8, v31, sext(v32) dst_sel:DWORD dst_unused:UNUSED_PAD src0_sel:DWORD src1_sel:BYTE_0
	v_cmp_gt_u16_sdwa vcc, v31, v18 src0_sel:BYTE_0 src1_sel:DWORD
	v_cndmask_b32_e32 v7, v8, v7, vcc
	v_or_b32_e32 v8, 0xc00, v0
	v_perm_b32 v7, v7, 0, s5
	v_cmp_gt_i32_e32 vcc, s38, v8
	v_cndmask_b32_e32 v7, 0, v7, vcc
	v_lshrrev_b16_sdwa v8, v1, sext(v34) dst_sel:DWORD dst_unused:UNUSED_PAD src0_sel:DWORD src1_sel:BYTE_0
	v_ashrrev_i32_sdwa v9, v33, sext(v34) dst_sel:DWORD dst_unused:UNUSED_PAD src0_sel:DWORD src1_sel:BYTE_0
	v_cmp_gt_u16_sdwa vcc, v33, v18 src0_sel:BYTE_0 src1_sel:DWORD
	v_cndmask_b32_e32 v8, v9, v8, vcc
	v_lshlrev_b16_e32 v8, 8, v8
	v_or_b32_sdwa v8, v7, v8 dst_sel:DWORD dst_unused:UNUSED_PAD src0_sel:BYTE_0 src1_sel:DWORD
	v_and_b32_e32 v8, 0xffff, v8
	v_or_b32_e32 v9, 0xd00, v0
	v_and_or_b32 v8, v7, s6, v8
	v_cmp_gt_i32_e32 vcc, s38, v9
	v_cndmask_b32_e32 v7, v7, v8, vcc
	v_lshrrev_b16_sdwa v9, v1, sext(v36) dst_sel:DWORD dst_unused:UNUSED_PAD src0_sel:DWORD src1_sel:BYTE_0
	v_ashrrev_i32_sdwa v10, v35, sext(v36) dst_sel:DWORD dst_unused:UNUSED_PAD src0_sel:DWORD src1_sel:BYTE_0
	v_cmp_gt_u16_sdwa vcc, v35, v18 src0_sel:BYTE_0 src1_sel:DWORD
	v_or_b32_e32 v8, 0xe00, v0
	v_cndmask_b32_e32 v9, v10, v9, vcc
	v_perm_b32 v9, v7, v9, s7
	v_cmp_gt_i32_e32 vcc, s38, v8
	v_cndmask_b32_e32 v7, v7, v9, vcc
	v_cmp_gt_u16_sdwa vcc, v37, v18 src0_sel:BYTE_0 src1_sel:DWORD
	v_lshrrev_b16_sdwa v1, v1, sext(v38) dst_sel:DWORD dst_unused:UNUSED_PAD src0_sel:DWORD src1_sel:BYTE_0
	v_ashrrev_i32_sdwa v10, v37, sext(v38) dst_sel:DWORD dst_unused:UNUSED_PAD src0_sel:DWORD src1_sel:BYTE_0
	v_and_b32_sdwa v8, v7, s2 dst_sel:DWORD dst_unused:UNUSED_PAD src0_sel:WORD_1 src1_sel:DWORD
	v_cndmask_b32_sdwa v1, v10, v1, vcc dst_sel:BYTE_1 dst_unused:UNUSED_PAD src0_sel:DWORD src1_sel:DWORD
	v_or_b32_e32 v9, 0xf00, v0
	v_or_b32_sdwa v1, v8, v1 dst_sel:WORD_1 dst_unused:UNUSED_PAD src0_sel:DWORD src1_sel:DWORD
	v_and_or_b32 v1, v7, s3, v1
	v_cmp_gt_i32_e32 vcc, s38, v9
	v_cndmask_b32_e32 v1, v7, v1, vcc
	s_and_saveexec_b64 s[2:3], s[0:1]
	s_cbranch_execnz .LBB160_55
; %bb.38:
	s_or_b64 exec, exec, s[2:3]
	v_cmp_gt_i32_e32 vcc, s38, v0
	s_and_saveexec_b64 s[0:1], vcc
	s_cbranch_execnz .LBB160_56
.LBB160_39:
	s_or_b64 exec, exec, s[0:1]
	v_cmp_gt_i32_e32 vcc, s38, v0
	s_and_saveexec_b64 s[0:1], vcc
	s_cbranch_execnz .LBB160_57
.LBB160_40:
	s_or_b64 exec, exec, s[0:1]
	v_cmp_gt_i32_e32 vcc, s38, v0
	s_and_saveexec_b64 s[0:1], vcc
	s_cbranch_execnz .LBB160_58
.LBB160_41:
	s_or_b64 exec, exec, s[0:1]
	v_cmp_gt_i32_e32 vcc, s38, v0
	s_and_saveexec_b64 s[0:1], vcc
	s_cbranch_execnz .LBB160_59
.LBB160_42:
	s_or_b64 exec, exec, s[0:1]
	v_cmp_gt_i32_e32 vcc, s38, v0
	s_and_saveexec_b64 s[0:1], vcc
	s_cbranch_execnz .LBB160_60
.LBB160_43:
	s_or_b64 exec, exec, s[0:1]
	v_cmp_gt_i32_e32 vcc, s38, v0
	s_and_saveexec_b64 s[0:1], vcc
	s_cbranch_execnz .LBB160_61
.LBB160_44:
	s_or_b64 exec, exec, s[0:1]
	v_cmp_gt_i32_e32 vcc, s38, v0
	s_and_saveexec_b64 s[0:1], vcc
	s_cbranch_execnz .LBB160_62
.LBB160_45:
	s_or_b64 exec, exec, s[0:1]
	v_cmp_gt_i32_e32 vcc, s38, v0
	s_and_saveexec_b64 s[0:1], vcc
	s_cbranch_execnz .LBB160_63
.LBB160_46:
	s_or_b64 exec, exec, s[0:1]
	v_cmp_gt_i32_e32 vcc, s38, v0
	s_and_saveexec_b64 s[0:1], vcc
	s_cbranch_execnz .LBB160_64
.LBB160_47:
	s_or_b64 exec, exec, s[0:1]
	v_cmp_gt_i32_e32 vcc, s38, v0
	s_and_saveexec_b64 s[0:1], vcc
	s_cbranch_execnz .LBB160_65
.LBB160_48:
	s_or_b64 exec, exec, s[0:1]
	v_cmp_gt_i32_e32 vcc, s38, v0
	s_and_saveexec_b64 s[0:1], vcc
	s_cbranch_execnz .LBB160_66
.LBB160_49:
	s_or_b64 exec, exec, s[0:1]
	v_cmp_gt_i32_e32 vcc, s38, v0
	s_and_saveexec_b64 s[0:1], vcc
	s_cbranch_execnz .LBB160_67
.LBB160_50:
	s_or_b64 exec, exec, s[0:1]
	v_cmp_gt_i32_e32 vcc, s38, v0
	s_and_saveexec_b64 s[0:1], vcc
	s_cbranch_execnz .LBB160_68
.LBB160_51:
	s_or_b64 exec, exec, s[0:1]
	v_cmp_gt_i32_e32 vcc, s38, v0
	s_and_saveexec_b64 s[0:1], vcc
	s_cbranch_execnz .LBB160_69
.LBB160_52:
	s_or_b64 exec, exec, s[0:1]
	v_cmp_gt_i32_e32 vcc, s38, v0
	s_and_saveexec_b64 s[0:1], vcc
	s_cbranch_execz .LBB160_54
.LBB160_53:
	v_lshrrev_b32_e32 v1, 24, v1
	v_add_u32_e32 v0, s33, v0
	global_store_byte v0, v1, s[8:9]
.LBB160_54:
	s_endpgm
.LBB160_55:
	v_mov_b32_e32 v0, v5
	global_store_byte v6, v4, s[8:9]
	s_or_b64 exec, exec, s[2:3]
	v_cmp_gt_i32_e32 vcc, s38, v0
	s_and_saveexec_b64 s[0:1], vcc
	s_cbranch_execz .LBB160_39
.LBB160_56:
	v_lshrrev_b32_e32 v5, 8, v4
	v_add_u32_e32 v6, s33, v0
	v_add_u32_e32 v0, 0x100, v0
	global_store_byte v6, v5, s[8:9]
	s_or_b64 exec, exec, s[0:1]
	v_cmp_gt_i32_e32 vcc, s38, v0
	s_and_saveexec_b64 s[0:1], vcc
	s_cbranch_execz .LBB160_40
.LBB160_57:
	v_add_u32_e32 v5, s33, v0
	v_add_u32_e32 v0, 0x100, v0
	global_store_byte_d16_hi v5, v4, s[8:9]
	s_or_b64 exec, exec, s[0:1]
	v_cmp_gt_i32_e32 vcc, s38, v0
	s_and_saveexec_b64 s[0:1], vcc
	s_cbranch_execz .LBB160_41
.LBB160_58:
	v_lshrrev_b32_e32 v4, 24, v4
	v_add_u32_e32 v5, s33, v0
	v_add_u32_e32 v0, 0x100, v0
	global_store_byte v5, v4, s[8:9]
	s_or_b64 exec, exec, s[0:1]
	v_cmp_gt_i32_e32 vcc, s38, v0
	s_and_saveexec_b64 s[0:1], vcc
	s_cbranch_execz .LBB160_42
.LBB160_59:
	v_add_u32_e32 v4, s33, v0
	v_add_u32_e32 v0, 0x100, v0
	global_store_byte v4, v3, s[8:9]
	s_or_b64 exec, exec, s[0:1]
	v_cmp_gt_i32_e32 vcc, s38, v0
	s_and_saveexec_b64 s[0:1], vcc
	s_cbranch_execz .LBB160_43
.LBB160_60:
	v_lshrrev_b32_e32 v4, 8, v3
	v_add_u32_e32 v5, s33, v0
	v_add_u32_e32 v0, 0x100, v0
	global_store_byte v5, v4, s[8:9]
	s_or_b64 exec, exec, s[0:1]
	v_cmp_gt_i32_e32 vcc, s38, v0
	s_and_saveexec_b64 s[0:1], vcc
	s_cbranch_execz .LBB160_44
.LBB160_61:
	v_add_u32_e32 v4, s33, v0
	v_add_u32_e32 v0, 0x100, v0
	global_store_byte_d16_hi v4, v3, s[8:9]
	s_or_b64 exec, exec, s[0:1]
	v_cmp_gt_i32_e32 vcc, s38, v0
	s_and_saveexec_b64 s[0:1], vcc
	s_cbranch_execz .LBB160_45
.LBB160_62:
	v_lshrrev_b32_e32 v3, 24, v3
	v_add_u32_e32 v4, s33, v0
	v_add_u32_e32 v0, 0x100, v0
	global_store_byte v4, v3, s[8:9]
	s_or_b64 exec, exec, s[0:1]
	v_cmp_gt_i32_e32 vcc, s38, v0
	s_and_saveexec_b64 s[0:1], vcc
	s_cbranch_execz .LBB160_46
.LBB160_63:
	v_add_u32_e32 v3, s33, v0
	v_add_u32_e32 v0, 0x100, v0
	global_store_byte v3, v2, s[8:9]
	s_or_b64 exec, exec, s[0:1]
	v_cmp_gt_i32_e32 vcc, s38, v0
	s_and_saveexec_b64 s[0:1], vcc
	s_cbranch_execz .LBB160_47
.LBB160_64:
	v_lshrrev_b32_e32 v3, 8, v2
	v_add_u32_e32 v4, s33, v0
	v_add_u32_e32 v0, 0x100, v0
	global_store_byte v4, v3, s[8:9]
	s_or_b64 exec, exec, s[0:1]
	v_cmp_gt_i32_e32 vcc, s38, v0
	s_and_saveexec_b64 s[0:1], vcc
	s_cbranch_execz .LBB160_48
.LBB160_65:
	v_add_u32_e32 v3, s33, v0
	v_add_u32_e32 v0, 0x100, v0
	global_store_byte_d16_hi v3, v2, s[8:9]
	s_or_b64 exec, exec, s[0:1]
	v_cmp_gt_i32_e32 vcc, s38, v0
	s_and_saveexec_b64 s[0:1], vcc
	s_cbranch_execz .LBB160_49
.LBB160_66:
	v_lshrrev_b32_e32 v2, 24, v2
	v_add_u32_e32 v3, s33, v0
	v_add_u32_e32 v0, 0x100, v0
	global_store_byte v3, v2, s[8:9]
	s_or_b64 exec, exec, s[0:1]
	v_cmp_gt_i32_e32 vcc, s38, v0
	s_and_saveexec_b64 s[0:1], vcc
	s_cbranch_execz .LBB160_50
.LBB160_67:
	v_add_u32_e32 v2, s33, v0
	v_add_u32_e32 v0, 0x100, v0
	global_store_byte v2, v1, s[8:9]
	s_or_b64 exec, exec, s[0:1]
	v_cmp_gt_i32_e32 vcc, s38, v0
	s_and_saveexec_b64 s[0:1], vcc
	s_cbranch_execz .LBB160_51
.LBB160_68:
	v_lshrrev_b32_e32 v2, 8, v1
	v_add_u32_e32 v3, s33, v0
	v_add_u32_e32 v0, 0x100, v0
	global_store_byte v3, v2, s[8:9]
	s_or_b64 exec, exec, s[0:1]
	v_cmp_gt_i32_e32 vcc, s38, v0
	s_and_saveexec_b64 s[0:1], vcc
	s_cbranch_execz .LBB160_52
.LBB160_69:
	v_add_u32_e32 v2, s33, v0
	v_add_u32_e32 v0, 0x100, v0
	global_store_byte_d16_hi v2, v1, s[8:9]
	s_or_b64 exec, exec, s[0:1]
	v_cmp_gt_i32_e32 vcc, s38, v0
	s_and_saveexec_b64 s[0:1], vcc
	s_cbranch_execnz .LBB160_53
	s_branch .LBB160_54
	.section	.rodata,"a",@progbits
	.p2align	6, 0x0
	.amdhsa_kernel _ZN2at6native29vectorized_elementwise_kernelILi16ENS0_13BinaryFunctorIaaaZZZNS0_18rshift_kernel_cudaERNS_18TensorIteratorBaseEENKUlvE_clEvENKUlvE0_clEvEUlaaE_EESt5arrayIPcLm3EEEEviT0_T1_
		.amdhsa_group_segment_fixed_size 0
		.amdhsa_private_segment_fixed_size 0
		.amdhsa_kernarg_size 32
		.amdhsa_user_sgpr_count 6
		.amdhsa_user_sgpr_private_segment_buffer 1
		.amdhsa_user_sgpr_dispatch_ptr 0
		.amdhsa_user_sgpr_queue_ptr 0
		.amdhsa_user_sgpr_kernarg_segment_ptr 1
		.amdhsa_user_sgpr_dispatch_id 0
		.amdhsa_user_sgpr_flat_scratch_init 0
		.amdhsa_user_sgpr_private_segment_size 0
		.amdhsa_uses_dynamic_stack 0
		.amdhsa_system_sgpr_private_segment_wavefront_offset 0
		.amdhsa_system_sgpr_workgroup_id_x 1
		.amdhsa_system_sgpr_workgroup_id_y 0
		.amdhsa_system_sgpr_workgroup_id_z 0
		.amdhsa_system_sgpr_workgroup_info 0
		.amdhsa_system_vgpr_workitem_id 0
		.amdhsa_next_free_vgpr 39
		.amdhsa_next_free_sgpr 39
		.amdhsa_reserve_vcc 1
		.amdhsa_reserve_flat_scratch 0
		.amdhsa_float_round_mode_32 0
		.amdhsa_float_round_mode_16_64 0
		.amdhsa_float_denorm_mode_32 3
		.amdhsa_float_denorm_mode_16_64 3
		.amdhsa_dx10_clamp 1
		.amdhsa_ieee_mode 1
		.amdhsa_fp16_overflow 0
		.amdhsa_exception_fp_ieee_invalid_op 0
		.amdhsa_exception_fp_denorm_src 0
		.amdhsa_exception_fp_ieee_div_zero 0
		.amdhsa_exception_fp_ieee_overflow 0
		.amdhsa_exception_fp_ieee_underflow 0
		.amdhsa_exception_fp_ieee_inexact 0
		.amdhsa_exception_int_div_zero 0
	.end_amdhsa_kernel
	.section	.text._ZN2at6native29vectorized_elementwise_kernelILi16ENS0_13BinaryFunctorIaaaZZZNS0_18rshift_kernel_cudaERNS_18TensorIteratorBaseEENKUlvE_clEvENKUlvE0_clEvEUlaaE_EESt5arrayIPcLm3EEEEviT0_T1_,"axG",@progbits,_ZN2at6native29vectorized_elementwise_kernelILi16ENS0_13BinaryFunctorIaaaZZZNS0_18rshift_kernel_cudaERNS_18TensorIteratorBaseEENKUlvE_clEvENKUlvE0_clEvEUlaaE_EESt5arrayIPcLm3EEEEviT0_T1_,comdat
.Lfunc_end160:
	.size	_ZN2at6native29vectorized_elementwise_kernelILi16ENS0_13BinaryFunctorIaaaZZZNS0_18rshift_kernel_cudaERNS_18TensorIteratorBaseEENKUlvE_clEvENKUlvE0_clEvEUlaaE_EESt5arrayIPcLm3EEEEviT0_T1_, .Lfunc_end160-_ZN2at6native29vectorized_elementwise_kernelILi16ENS0_13BinaryFunctorIaaaZZZNS0_18rshift_kernel_cudaERNS_18TensorIteratorBaseEENKUlvE_clEvENKUlvE0_clEvEUlaaE_EESt5arrayIPcLm3EEEEviT0_T1_
                                        ; -- End function
	.set _ZN2at6native29vectorized_elementwise_kernelILi16ENS0_13BinaryFunctorIaaaZZZNS0_18rshift_kernel_cudaERNS_18TensorIteratorBaseEENKUlvE_clEvENKUlvE0_clEvEUlaaE_EESt5arrayIPcLm3EEEEviT0_T1_.num_vgpr, 39
	.set _ZN2at6native29vectorized_elementwise_kernelILi16ENS0_13BinaryFunctorIaaaZZZNS0_18rshift_kernel_cudaERNS_18TensorIteratorBaseEENKUlvE_clEvENKUlvE0_clEvEUlaaE_EESt5arrayIPcLm3EEEEviT0_T1_.num_agpr, 0
	.set _ZN2at6native29vectorized_elementwise_kernelILi16ENS0_13BinaryFunctorIaaaZZZNS0_18rshift_kernel_cudaERNS_18TensorIteratorBaseEENKUlvE_clEvENKUlvE0_clEvEUlaaE_EESt5arrayIPcLm3EEEEviT0_T1_.numbered_sgpr, 39
	.set _ZN2at6native29vectorized_elementwise_kernelILi16ENS0_13BinaryFunctorIaaaZZZNS0_18rshift_kernel_cudaERNS_18TensorIteratorBaseEENKUlvE_clEvENKUlvE0_clEvEUlaaE_EESt5arrayIPcLm3EEEEviT0_T1_.num_named_barrier, 0
	.set _ZN2at6native29vectorized_elementwise_kernelILi16ENS0_13BinaryFunctorIaaaZZZNS0_18rshift_kernel_cudaERNS_18TensorIteratorBaseEENKUlvE_clEvENKUlvE0_clEvEUlaaE_EESt5arrayIPcLm3EEEEviT0_T1_.private_seg_size, 0
	.set _ZN2at6native29vectorized_elementwise_kernelILi16ENS0_13BinaryFunctorIaaaZZZNS0_18rshift_kernel_cudaERNS_18TensorIteratorBaseEENKUlvE_clEvENKUlvE0_clEvEUlaaE_EESt5arrayIPcLm3EEEEviT0_T1_.uses_vcc, 1
	.set _ZN2at6native29vectorized_elementwise_kernelILi16ENS0_13BinaryFunctorIaaaZZZNS0_18rshift_kernel_cudaERNS_18TensorIteratorBaseEENKUlvE_clEvENKUlvE0_clEvEUlaaE_EESt5arrayIPcLm3EEEEviT0_T1_.uses_flat_scratch, 0
	.set _ZN2at6native29vectorized_elementwise_kernelILi16ENS0_13BinaryFunctorIaaaZZZNS0_18rshift_kernel_cudaERNS_18TensorIteratorBaseEENKUlvE_clEvENKUlvE0_clEvEUlaaE_EESt5arrayIPcLm3EEEEviT0_T1_.has_dyn_sized_stack, 0
	.set _ZN2at6native29vectorized_elementwise_kernelILi16ENS0_13BinaryFunctorIaaaZZZNS0_18rshift_kernel_cudaERNS_18TensorIteratorBaseEENKUlvE_clEvENKUlvE0_clEvEUlaaE_EESt5arrayIPcLm3EEEEviT0_T1_.has_recursion, 0
	.set _ZN2at6native29vectorized_elementwise_kernelILi16ENS0_13BinaryFunctorIaaaZZZNS0_18rshift_kernel_cudaERNS_18TensorIteratorBaseEENKUlvE_clEvENKUlvE0_clEvEUlaaE_EESt5arrayIPcLm3EEEEviT0_T1_.has_indirect_call, 0
	.section	.AMDGPU.csdata,"",@progbits
; Kernel info:
; codeLenInByte = 4424
; TotalNumSgprs: 43
; NumVgprs: 39
; ScratchSize: 0
; MemoryBound: 0
; FloatMode: 240
; IeeeMode: 1
; LDSByteSize: 0 bytes/workgroup (compile time only)
; SGPRBlocks: 5
; VGPRBlocks: 9
; NumSGPRsForWavesPerEU: 43
; NumVGPRsForWavesPerEU: 39
; Occupancy: 6
; WaveLimiterHint : 0
; COMPUTE_PGM_RSRC2:SCRATCH_EN: 0
; COMPUTE_PGM_RSRC2:USER_SGPR: 6
; COMPUTE_PGM_RSRC2:TRAP_HANDLER: 0
; COMPUTE_PGM_RSRC2:TGID_X_EN: 1
; COMPUTE_PGM_RSRC2:TGID_Y_EN: 0
; COMPUTE_PGM_RSRC2:TGID_Z_EN: 0
; COMPUTE_PGM_RSRC2:TIDIG_COMP_CNT: 0
	.section	.text._ZN2at6native29vectorized_elementwise_kernelILi8ENS0_13BinaryFunctorIaaaZZZNS0_18rshift_kernel_cudaERNS_18TensorIteratorBaseEENKUlvE_clEvENKUlvE0_clEvEUlaaE_EESt5arrayIPcLm3EEEEviT0_T1_,"axG",@progbits,_ZN2at6native29vectorized_elementwise_kernelILi8ENS0_13BinaryFunctorIaaaZZZNS0_18rshift_kernel_cudaERNS_18TensorIteratorBaseEENKUlvE_clEvENKUlvE0_clEvEUlaaE_EESt5arrayIPcLm3EEEEviT0_T1_,comdat
	.globl	_ZN2at6native29vectorized_elementwise_kernelILi8ENS0_13BinaryFunctorIaaaZZZNS0_18rshift_kernel_cudaERNS_18TensorIteratorBaseEENKUlvE_clEvENKUlvE0_clEvEUlaaE_EESt5arrayIPcLm3EEEEviT0_T1_ ; -- Begin function _ZN2at6native29vectorized_elementwise_kernelILi8ENS0_13BinaryFunctorIaaaZZZNS0_18rshift_kernel_cudaERNS_18TensorIteratorBaseEENKUlvE_clEvENKUlvE0_clEvEUlaaE_EESt5arrayIPcLm3EEEEviT0_T1_
	.p2align	8
	.type	_ZN2at6native29vectorized_elementwise_kernelILi8ENS0_13BinaryFunctorIaaaZZZNS0_18rshift_kernel_cudaERNS_18TensorIteratorBaseEENKUlvE_clEvENKUlvE0_clEvEUlaaE_EESt5arrayIPcLm3EEEEviT0_T1_,@function
_ZN2at6native29vectorized_elementwise_kernelILi8ENS0_13BinaryFunctorIaaaZZZNS0_18rshift_kernel_cudaERNS_18TensorIteratorBaseEENKUlvE_clEvENKUlvE0_clEvEUlaaE_EESt5arrayIPcLm3EEEEviT0_T1_: ; @_ZN2at6native29vectorized_elementwise_kernelILi8ENS0_13BinaryFunctorIaaaZZZNS0_18rshift_kernel_cudaERNS_18TensorIteratorBaseEENKUlvE_clEvENKUlvE0_clEvEUlaaE_EESt5arrayIPcLm3EEEEviT0_T1_
; %bb.0:
	s_load_dword s0, s[4:5], 0x0
	s_load_dwordx4 s[8:11], s[4:5], 0x8
	s_load_dwordx2 s[12:13], s[4:5], 0x18
	s_lshl_b32 s33, s6, 12
	s_waitcnt lgkmcnt(0)
	s_sub_i32 s38, s0, s33
	s_cmpk_gt_i32 s38, 0xfff
	s_mov_b64 s[0:1], -1
	s_cbranch_scc0 .LBB161_2
; %bb.1:
	s_ashr_i32 s6, s33, 31
	s_add_u32 s0, s10, s33
	s_addc_u32 s1, s11, s6
	v_lshlrev_b32_e32 v9, 3, v0
	global_load_dwordx2 v[1:2], v9, s[0:1]
	global_load_dwordx2 v[3:4], v9, s[0:1] offset:2048
	s_add_u32 s0, s12, s33
	s_addc_u32 s1, s13, s6
	global_load_dwordx2 v[5:6], v9, s[0:1]
	global_load_dwordx2 v[7:8], v9, s[0:1] offset:2048
	s_movk_i32 s7, 0xff
	v_mov_b32_e32 v10, 6
	v_mov_b32_e32 v11, 7
	s_mov_b32 s14, 0x6ffffff
	s_waitcnt vmcnt(3)
	v_lshrrev_b32_e32 v13, 16, v1
	v_lshrrev_b16_sdwa v24, v11, sext(v1) dst_sel:DWORD dst_unused:UNUSED_PAD src0_sel:DWORD src1_sel:BYTE_0
	v_lshrrev_b32_e32 v16, 16, v2
	s_waitcnt vmcnt(1)
	v_and_b32_sdwa v28, v5, s7 dst_sel:DWORD dst_unused:UNUSED_PAD src0_sel:WORD_1 src1_sel:DWORD
	v_ashrrev_i32_sdwa v31, v5, sext(v1) dst_sel:DWORD dst_unused:UNUSED_PAD src0_sel:DWORD src1_sel:BYTE_0
	v_cmp_gt_u16_sdwa vcc, v5, v10 src0_sel:BYTE_0 src1_sel:DWORD
	v_and_b32_sdwa v30, v6, s7 dst_sel:DWORD dst_unused:UNUSED_PAD src0_sel:WORD_1 src1_sel:DWORD
	v_ashrrev_i32_sdwa v32, v5, sext(v1) dst_sel:DWORD dst_unused:UNUSED_PAD src0_sel:WORD_1 src1_sel:BYTE_2
	v_lshrrev_b16_sdwa v13, v11, sext(v13) dst_sel:DWORD dst_unused:UNUSED_PAD src0_sel:DWORD src1_sel:BYTE_0
	v_cndmask_b32_e32 v24, v31, v24, vcc
	v_cmp_lt_u16_e32 vcc, 6, v28
	v_lshrrev_b16_sdwa v25, v11, sext(v2) dst_sel:DWORD dst_unused:UNUSED_PAD src0_sel:DWORD src1_sel:BYTE_0
	v_lshrrev_b32_e32 v27, 8, v5
	v_lshrrev_b32_e32 v29, 8, v6
	v_ashrrev_i32_sdwa v33, v5, sext(v1) dst_sel:DWORD dst_unused:UNUSED_PAD src0_sel:BYTE_3 src1_sel:BYTE_3
	v_cmp_lt_u32_e64 s[0:1], s14, v5
	v_ashrrev_i32_sdwa v5, v6, sext(v2) dst_sel:DWORD dst_unused:UNUSED_PAD src0_sel:DWORD src1_sel:BYTE_0
	v_cmp_gt_u16_sdwa s[2:3], v6, v10 src0_sel:BYTE_0 src1_sel:DWORD
	v_ashrrev_i32_sdwa v34, v6, sext(v2) dst_sel:DWORD dst_unused:UNUSED_PAD src0_sel:BYTE_3 src1_sel:BYTE_3
	v_cmp_lt_u32_e64 s[4:5], s14, v6
	v_ashrrev_i32_sdwa v6, v6, sext(v2) dst_sel:DWORD dst_unused:UNUSED_PAD src0_sel:WORD_1 src1_sel:BYTE_2
	v_lshrrev_b16_sdwa v16, v11, sext(v16) dst_sel:DWORD dst_unused:UNUSED_PAD src0_sel:DWORD src1_sel:BYTE_0
	v_cndmask_b32_e32 v13, v32, v13, vcc
	v_cmp_lt_u16_e32 vcc, 6, v30
	v_lshrrev_b32_e32 v19, 16, v3
	v_lshrrev_b16_sdwa v26, v11, sext(v3) dst_sel:DWORD dst_unused:UNUSED_PAD src0_sel:DWORD src1_sel:BYTE_0
	s_waitcnt vmcnt(0)
	v_and_b32_sdwa v28, v7, s7 dst_sel:DWORD dst_unused:UNUSED_PAD src0_sel:WORD_1 src1_sel:DWORD
	v_cndmask_b32_e64 v5, v5, v25, s[2:3]
	v_ashrrev_i32_sdwa v25, v7, sext(v3) dst_sel:DWORD dst_unused:UNUSED_PAD src0_sel:DWORD src1_sel:BYTE_0
	v_cndmask_b32_e32 v6, v6, v16, vcc
	v_cmp_gt_u16_sdwa vcc, v7, v10 src0_sel:BYTE_0 src1_sel:DWORD
	v_lshrrev_b32_e32 v17, 24, v2
	v_lshrrev_b32_e32 v20, 24, v3
	v_lshrrev_b16_sdwa v19, v11, sext(v19) dst_sel:DWORD dst_unused:UNUSED_PAD src0_sel:DWORD src1_sel:BYTE_0
	v_ashrrev_i32_sdwa v30, v7, sext(v3) dst_sel:DWORD dst_unused:UNUSED_PAD src0_sel:WORD_1 src1_sel:BYTE_2
	v_cndmask_b32_e32 v25, v25, v26, vcc
	v_cmp_lt_u16_e32 vcc, 6, v28
	v_lshrrev_b16_sdwa v17, v11, sext(v17) dst_sel:DWORD dst_unused:UNUSED_PAD src0_sel:DWORD src1_sel:BYTE_0
	v_lshrrev_b16_sdwa v20, v11, sext(v20) dst_sel:DWORD dst_unused:UNUSED_PAD src0_sel:DWORD src1_sel:BYTE_0
	v_ashrrev_i32_sdwa v16, v7, sext(v3) dst_sel:DWORD dst_unused:UNUSED_PAD src0_sel:BYTE_3 src1_sel:BYTE_3
	v_cndmask_b32_e32 v19, v30, v19, vcc
	v_cmp_lt_u32_e32 vcc, s14, v7
	v_lshrrev_b32_e32 v12, 8, v1
	v_lshrrev_b16_sdwa v35, v11, sext(v4) dst_sel:DWORD dst_unused:UNUSED_PAD src0_sel:DWORD src1_sel:BYTE_0
	v_lshrrev_b32_e32 v31, 8, v7
	v_cndmask_b32_e64 v17, v34, v17, s[4:5]
	v_ashrrev_i32_sdwa v34, v8, sext(v4) dst_sel:DWORD dst_unused:UNUSED_PAD src0_sel:DWORD src1_sel:BYTE_0
	v_cndmask_b32_e32 v7, v16, v20, vcc
	v_cmp_gt_u16_sdwa vcc, v8, v10 src0_sel:BYTE_0 src1_sel:DWORD
	v_lshrrev_b32_e32 v14, 24, v1
	v_lshrrev_b32_e32 v15, 8, v2
	v_lshrrev_b16_sdwa v12, v11, sext(v12) dst_sel:DWORD dst_unused:UNUSED_PAD src0_sel:DWORD src1_sel:BYTE_0
	v_ashrrev_i32_sdwa v1, v27, sext(v1) dst_sel:DWORD dst_unused:UNUSED_PAD src0_sel:DWORD src1_sel:BYTE_1
	v_cndmask_b32_e32 v16, v34, v35, vcc
	v_cmp_gt_u16_sdwa vcc, v27, v10 src0_sel:BYTE_0 src1_sel:DWORD
	v_lshrrev_b32_e32 v18, 8, v3
	v_lshrrev_b16_sdwa v15, v11, sext(v15) dst_sel:DWORD dst_unused:UNUSED_PAD src0_sel:DWORD src1_sel:BYTE_0
	v_ashrrev_i32_sdwa v2, v29, sext(v2) dst_sel:DWORD dst_unused:UNUSED_PAD src0_sel:DWORD src1_sel:BYTE_1
	v_cndmask_b32_e32 v12, v1, v12, vcc
	v_cmp_gt_u16_sdwa vcc, v29, v10 src0_sel:BYTE_0 src1_sel:DWORD
	v_lshrrev_b32_e32 v21, 8, v4
	v_lshrrev_b16_sdwa v14, v11, sext(v14) dst_sel:DWORD dst_unused:UNUSED_PAD src0_sel:DWORD src1_sel:BYTE_0
	v_lshrrev_b16_sdwa v18, v11, sext(v18) dst_sel:DWORD dst_unused:UNUSED_PAD src0_sel:DWORD src1_sel:BYTE_0
	v_lshrrev_b32_e32 v32, 8, v8
	v_ashrrev_i32_sdwa v3, v31, sext(v3) dst_sel:DWORD dst_unused:UNUSED_PAD src0_sel:DWORD src1_sel:BYTE_1
	v_cndmask_b32_e32 v15, v2, v15, vcc
	v_cmp_gt_u16_sdwa vcc, v31, v10 src0_sel:BYTE_0 src1_sel:DWORD
	v_lshrrev_b32_e32 v22, 16, v4
	v_lshrrev_b16_sdwa v21, v11, sext(v21) dst_sel:DWORD dst_unused:UNUSED_PAD src0_sel:DWORD src1_sel:BYTE_0
	v_cndmask_b32_e64 v14, v33, v14, s[0:1]
	v_and_b32_sdwa v33, v8, s7 dst_sel:DWORD dst_unused:UNUSED_PAD src0_sel:WORD_1 src1_sel:DWORD
	v_ashrrev_i32_sdwa v20, v32, sext(v4) dst_sel:DWORD dst_unused:UNUSED_PAD src0_sel:DWORD src1_sel:BYTE_1
	v_cndmask_b32_e32 v1, v3, v18, vcc
	v_cmp_gt_u16_sdwa vcc, v32, v10 src0_sel:BYTE_0 src1_sel:DWORD
	v_lshrrev_b32_e32 v23, 24, v4
	v_cndmask_b32_e32 v2, v20, v21, vcc
	v_lshrrev_b16_sdwa v3, v11, sext(v22) dst_sel:DWORD dst_unused:UNUSED_PAD src0_sel:DWORD src1_sel:BYTE_0
	v_ashrrev_i32_sdwa v10, v8, sext(v4) dst_sel:DWORD dst_unused:UNUSED_PAD src0_sel:WORD_1 src1_sel:BYTE_2
	v_cmp_lt_u16_e32 vcc, 6, v33
	v_cndmask_b32_e32 v3, v10, v3, vcc
	v_lshrrev_b16_sdwa v10, v11, sext(v23) dst_sel:DWORD dst_unused:UNUSED_PAD src0_sel:DWORD src1_sel:BYTE_0
	v_ashrrev_i32_sdwa v4, v8, sext(v4) dst_sel:DWORD dst_unused:UNUSED_PAD src0_sel:BYTE_3 src1_sel:BYTE_3
	v_cmp_lt_u32_e32 vcc, s14, v8
	v_cndmask_b32_e32 v4, v4, v10, vcc
	v_lshlrev_b16_e32 v2, 8, v2
	v_lshlrev_b16_e32 v4, 8, v4
	v_or_b32_sdwa v2, v16, v2 dst_sel:DWORD dst_unused:UNUSED_PAD src0_sel:BYTE_0 src1_sel:DWORD
	v_or_b32_sdwa v3, v3, v4 dst_sel:WORD_1 dst_unused:UNUSED_PAD src0_sel:BYTE_0 src1_sel:DWORD
	v_or_b32_sdwa v2, v2, v3 dst_sel:DWORD dst_unused:UNUSED_PAD src0_sel:WORD_0 src1_sel:DWORD
	v_lshlrev_b16_e32 v1, 8, v1
	v_lshlrev_b16_e32 v3, 8, v7
	v_or_b32_sdwa v1, v25, v1 dst_sel:DWORD dst_unused:UNUSED_PAD src0_sel:BYTE_0 src1_sel:DWORD
	v_or_b32_sdwa v3, v19, v3 dst_sel:WORD_1 dst_unused:UNUSED_PAD src0_sel:BYTE_0 src1_sel:DWORD
	v_or_b32_sdwa v1, v1, v3 dst_sel:DWORD dst_unused:UNUSED_PAD src0_sel:WORD_0 src1_sel:DWORD
	v_lshlrev_b16_e32 v3, 8, v15
	v_lshlrev_b16_e32 v4, 8, v17
	v_or_b32_sdwa v3, v5, v3 dst_sel:DWORD dst_unused:UNUSED_PAD src0_sel:BYTE_0 src1_sel:DWORD
	v_or_b32_sdwa v4, v6, v4 dst_sel:WORD_1 dst_unused:UNUSED_PAD src0_sel:BYTE_0 src1_sel:DWORD
	v_or_b32_sdwa v4, v3, v4 dst_sel:DWORD dst_unused:UNUSED_PAD src0_sel:WORD_0 src1_sel:DWORD
	v_lshlrev_b16_e32 v3, 8, v12
	v_lshlrev_b16_e32 v5, 8, v14
	v_or_b32_sdwa v3, v24, v3 dst_sel:DWORD dst_unused:UNUSED_PAD src0_sel:BYTE_0 src1_sel:DWORD
	v_or_b32_sdwa v5, v13, v5 dst_sel:WORD_1 dst_unused:UNUSED_PAD src0_sel:BYTE_0 src1_sel:DWORD
	s_add_u32 s0, s8, s33
	v_or_b32_sdwa v3, v3, v5 dst_sel:DWORD dst_unused:UNUSED_PAD src0_sel:WORD_0 src1_sel:DWORD
	s_addc_u32 s1, s9, s6
	global_store_dwordx2 v9, v[3:4], s[0:1]
	global_store_dwordx2 v9, v[1:2], s[0:1] offset:2048
	s_mov_b64 s[0:1], 0
.LBB161_2:
	s_andn2_b64 vcc, exec, s[0:1]
	s_cbranch_vccnz .LBB161_54
; %bb.3:
	v_cmp_gt_i32_e64 s[0:1], s38, v0
	v_cmp_le_i32_e32 vcc, s38, v0
                                        ; implicit-def: $vgpr5
	s_and_saveexec_b64 s[2:3], vcc
	s_xor_b64 s[2:3], exec, s[2:3]
; %bb.4:
	v_or_b32_e32 v5, 0x100, v0
; %bb.5:
	s_or_saveexec_b64 s[2:3], s[2:3]
	v_mov_b32_e32 v38, 0
	v_or_b32_e32 v6, s33, v0
	v_mov_b32_e32 v37, 0
	v_mov_b32_e32 v36, 0
	;; [unrolled: 1-line block ×31, first 2 shown]
	s_xor_b64 exec, exec, s[2:3]
	s_cbranch_execz .LBB161_37
; %bb.6:
	global_load_ubyte v18, v6, s[10:11]
	global_load_ubyte v19, v6, s[12:13]
	v_or_b32_e32 v5, 0x100, v0
	v_cmp_gt_u32_e32 vcc, s38, v5
	v_mov_b32_e32 v10, 0
	v_mov_b32_e32 v11, 0
	;; [unrolled: 1-line block ×30, first 2 shown]
	s_and_saveexec_b64 s[4:5], vcc
	s_cbranch_execz .LBB161_36
; %bb.7:
	v_add_u32_e32 v3, s33, v0
	global_load_ubyte v11, v3, s[10:11] offset:256
	global_load_ubyte v10, v3, s[12:13] offset:256
	v_or_b32_e32 v1, 0x200, v0
	v_mov_b32_e32 v16, 0
	v_cmp_gt_u32_e32 vcc, s38, v1
	v_mov_b32_e32 v23, 0
	v_mov_b32_e32 v12, 0
	;; [unrolled: 1-line block ×27, first 2 shown]
	s_and_saveexec_b64 s[6:7], vcc
	s_cbranch_execz .LBB161_35
; %bb.8:
	v_mov_b32_e32 v2, s11
	v_add_co_u32_e32 v1, vcc, s10, v3
	v_addc_co_u32_e32 v2, vcc, 0, v2, vcc
	v_mov_b32_e32 v4, s13
	v_add_co_u32_e32 v3, vcc, s12, v3
	v_addc_co_u32_e32 v4, vcc, 0, v4, vcc
	global_load_ubyte v23, v[1:2], off offset:512
	global_load_ubyte v16, v[3:4], off offset:512
	v_or_b32_e32 v7, 0x300, v0
	v_cmp_gt_u32_e32 vcc, s38, v7
	v_mov_b32_e32 v12, 0
	v_mov_b32_e32 v17, 0
	;; [unrolled: 1-line block ×26, first 2 shown]
	s_and_saveexec_b64 s[10:11], vcc
	s_cbranch_execz .LBB161_34
; %bb.9:
	global_load_ubyte v17, v[1:2], off offset:768
	global_load_ubyte v12, v[3:4], off offset:768
	v_or_b32_e32 v7, 0x400, v0
	v_cmp_gt_u32_e32 vcc, s38, v7
	v_mov_b32_e32 v13, 0
	v_mov_b32_e32 v20, 0
	;; [unrolled: 1-line block ×24, first 2 shown]
	s_and_saveexec_b64 s[12:13], vcc
	s_cbranch_execz .LBB161_33
; %bb.10:
	global_load_ubyte v20, v[1:2], off offset:1024
	global_load_ubyte v13, v[3:4], off offset:1024
	v_or_b32_e32 v7, 0x500, v0
	v_cmp_gt_u32_e32 vcc, s38, v7
	v_mov_b32_e32 v15, 0
	v_mov_b32_e32 v24, 0
	v_mov_b32_e32 v14, 0
	v_mov_b32_e32 v25, 0
	v_mov_b32_e32 v7, 0
	v_mov_b32_e32 v9, 0
	v_mov_b32_e32 v8, 0
	v_mov_b32_e32 v21, 0
	v_mov_b32_e32 v22, 0
	v_mov_b32_e32 v26, 0
	v_mov_b32_e32 v27, 0
	v_mov_b32_e32 v28, 0
	v_mov_b32_e32 v29, 0
	v_mov_b32_e32 v30, 0
	v_mov_b32_e32 v31, 0
	v_mov_b32_e32 v32, 0
	v_mov_b32_e32 v33, 0
	v_mov_b32_e32 v34, 0
	v_mov_b32_e32 v35, 0
	v_mov_b32_e32 v36, 0
	v_mov_b32_e32 v37, 0
	v_mov_b32_e32 v38, 0
	s_and_saveexec_b64 s[14:15], vcc
	s_cbranch_execz .LBB161_32
; %bb.11:
	global_load_ubyte v24, v[1:2], off offset:1280
	global_load_ubyte v15, v[3:4], off offset:1280
	v_or_b32_e32 v7, 0x600, v0
	v_cmp_gt_u32_e32 vcc, s38, v7
	v_mov_b32_e32 v14, 0
	v_mov_b32_e32 v25, 0
	;; [unrolled: 1-line block ×20, first 2 shown]
	s_and_saveexec_b64 s[16:17], vcc
	s_cbranch_execz .LBB161_31
; %bb.12:
	global_load_ubyte v25, v[1:2], off offset:1536
	global_load_ubyte v14, v[3:4], off offset:1536
	v_or_b32_e32 v7, 0x700, v0
	v_cmp_gt_u32_e32 vcc, s38, v7
	v_mov_b32_e32 v7, 0
	v_mov_b32_e32 v9, 0
	v_mov_b32_e32 v8, 0
	v_mov_b32_e32 v21, 0
	v_mov_b32_e32 v22, 0
	v_mov_b32_e32 v26, 0
	v_mov_b32_e32 v27, 0
	v_mov_b32_e32 v28, 0
	v_mov_b32_e32 v29, 0
	v_mov_b32_e32 v30, 0
	v_mov_b32_e32 v31, 0
	v_mov_b32_e32 v32, 0
	v_mov_b32_e32 v33, 0
	v_mov_b32_e32 v34, 0
	v_mov_b32_e32 v35, 0
	v_mov_b32_e32 v36, 0
	v_mov_b32_e32 v37, 0
	v_mov_b32_e32 v38, 0
	s_and_saveexec_b64 s[18:19], vcc
	s_cbranch_execz .LBB161_30
; %bb.13:
	global_load_ubyte v9, v[1:2], off offset:1792
	global_load_ubyte v7, v[3:4], off offset:1792
	v_or_b32_e32 v8, 0x800, v0
	v_cmp_gt_u32_e32 vcc, s38, v8
	v_mov_b32_e32 v8, 0
	v_mov_b32_e32 v21, 0
	;; [unrolled: 1-line block ×16, first 2 shown]
	s_and_saveexec_b64 s[20:21], vcc
	s_cbranch_execz .LBB161_29
; %bb.14:
	global_load_ubyte v21, v[1:2], off offset:2048
	global_load_ubyte v8, v[3:4], off offset:2048
	v_or_b32_e32 v22, 0x900, v0
	v_cmp_gt_u32_e32 vcc, s38, v22
	v_mov_b32_e32 v22, 0
	v_mov_b32_e32 v26, 0
	;; [unrolled: 1-line block ×14, first 2 shown]
	s_and_saveexec_b64 s[22:23], vcc
	s_cbranch_execz .LBB161_28
; %bb.15:
	global_load_ubyte v26, v[1:2], off offset:2304
	global_load_ubyte v22, v[3:4], off offset:2304
	v_or_b32_e32 v27, 0xa00, v0
	v_cmp_gt_u32_e32 vcc, s38, v27
	v_mov_b32_e32 v27, 0
	v_mov_b32_e32 v28, 0
	;; [unrolled: 1-line block ×12, first 2 shown]
	s_and_saveexec_b64 s[24:25], vcc
	s_cbranch_execz .LBB161_27
; %bb.16:
	global_load_ubyte v28, v[1:2], off offset:2560
	global_load_ubyte v27, v[3:4], off offset:2560
	v_or_b32_e32 v29, 0xb00, v0
	v_cmp_gt_u32_e32 vcc, s38, v29
	v_mov_b32_e32 v29, 0
	v_mov_b32_e32 v30, 0
	;; [unrolled: 1-line block ×10, first 2 shown]
	s_and_saveexec_b64 s[26:27], vcc
	s_cbranch_execz .LBB161_26
; %bb.17:
	global_load_ubyte v30, v[1:2], off offset:2816
	global_load_ubyte v29, v[3:4], off offset:2816
	v_or_b32_e32 v31, 0xc00, v0
	v_cmp_gt_u32_e32 vcc, s38, v31
	v_mov_b32_e32 v31, 0
	v_mov_b32_e32 v32, 0
	;; [unrolled: 1-line block ×8, first 2 shown]
	s_and_saveexec_b64 s[28:29], vcc
	s_cbranch_execz .LBB161_25
; %bb.18:
	global_load_ubyte v32, v[1:2], off offset:3072
	global_load_ubyte v31, v[3:4], off offset:3072
	v_or_b32_e32 v33, 0xd00, v0
	v_cmp_gt_u32_e32 vcc, s38, v33
	v_mov_b32_e32 v33, 0
	v_mov_b32_e32 v34, 0
	;; [unrolled: 1-line block ×6, first 2 shown]
	s_and_saveexec_b64 s[30:31], vcc
	s_cbranch_execz .LBB161_24
; %bb.19:
	global_load_ubyte v34, v[1:2], off offset:3328
	global_load_ubyte v33, v[3:4], off offset:3328
	v_or_b32_e32 v35, 0xe00, v0
	v_cmp_gt_u32_e32 vcc, s38, v35
	v_mov_b32_e32 v35, 0
	v_mov_b32_e32 v36, 0
	v_mov_b32_e32 v37, 0
	v_mov_b32_e32 v38, 0
	s_and_saveexec_b64 s[34:35], vcc
	s_cbranch_execz .LBB161_23
; %bb.20:
	global_load_ubyte v36, v[1:2], off offset:3584
	global_load_ubyte v35, v[3:4], off offset:3584
	v_or_b32_e32 v37, 0xf00, v0
	v_cmp_gt_u32_e32 vcc, s38, v37
	v_mov_b32_e32 v37, 0
	v_mov_b32_e32 v38, 0
	s_and_saveexec_b64 s[36:37], vcc
	s_cbranch_execz .LBB161_22
; %bb.21:
	global_load_ubyte v38, v[1:2], off offset:3840
	global_load_ubyte v37, v[3:4], off offset:3840
.LBB161_22:
	s_or_b64 exec, exec, s[36:37]
.LBB161_23:
	s_or_b64 exec, exec, s[34:35]
.LBB161_24:
	s_or_b64 exec, exec, s[30:31]
.LBB161_25:
	s_or_b64 exec, exec, s[28:29]
.LBB161_26:
	s_or_b64 exec, exec, s[26:27]
.LBB161_27:
	s_or_b64 exec, exec, s[24:25]
.LBB161_28:
	s_or_b64 exec, exec, s[22:23]
.LBB161_29:
	s_or_b64 exec, exec, s[20:21]
.LBB161_30:
	s_or_b64 exec, exec, s[18:19]
.LBB161_31:
	s_or_b64 exec, exec, s[16:17]
.LBB161_32:
	s_or_b64 exec, exec, s[14:15]
.LBB161_33:
	s_or_b64 exec, exec, s[12:13]
.LBB161_34:
	s_or_b64 exec, exec, s[10:11]
.LBB161_35:
	s_or_b64 exec, exec, s[6:7]
.LBB161_36:
	s_or_b64 exec, exec, s[4:5]
.LBB161_37:
	s_or_b64 exec, exec, s[2:3]
	v_mov_b32_e32 v1, 7
	s_waitcnt vmcnt(1)
	v_lshrrev_b16_sdwa v2, v1, sext(v18) dst_sel:DWORD dst_unused:UNUSED_PAD src0_sel:DWORD src1_sel:BYTE_0
	s_waitcnt vmcnt(0)
	v_ashrrev_i32_sdwa v3, v19, sext(v18) dst_sel:DWORD dst_unused:UNUSED_PAD src0_sel:DWORD src1_sel:BYTE_0
	v_mov_b32_e32 v18, 6
	v_cmp_gt_u16_sdwa vcc, v19, v18 src0_sel:BYTE_0 src1_sel:DWORD
	v_cndmask_b32_e32 v2, v3, v2, vcc
	s_mov_b32 s3, 0xffff
	v_lshrrev_b16_sdwa v3, v1, sext(v11) dst_sel:DWORD dst_unused:UNUSED_PAD src0_sel:DWORD src1_sel:BYTE_0
	v_ashrrev_i32_sdwa v4, v10, sext(v11) dst_sel:DWORD dst_unused:UNUSED_PAD src0_sel:DWORD src1_sel:BYTE_0
	v_cmp_gt_u16_sdwa vcc, v10, v18 src0_sel:BYTE_0 src1_sel:DWORD
	v_and_b32_sdwa v2, s3, v2 dst_sel:DWORD dst_unused:UNUSED_PAD src0_sel:DWORD src1_sel:BYTE_0
	v_cndmask_b32_e32 v3, v4, v3, vcc
	v_cndmask_b32_e64 v2, 0, v2, s[0:1]
	v_lshlrev_b16_e32 v3, 8, v3
	v_or_b32_e32 v3, v2, v3
	v_and_b32_e32 v3, 0xffff, v3
	v_cmp_gt_i32_e32 vcc, s38, v5
	v_cndmask_b32_e32 v2, v2, v3, vcc
	v_lshrrev_b16_sdwa v4, v1, sext(v23) dst_sel:DWORD dst_unused:UNUSED_PAD src0_sel:DWORD src1_sel:BYTE_0
	v_ashrrev_i32_sdwa v10, v16, sext(v23) dst_sel:DWORD dst_unused:UNUSED_PAD src0_sel:DWORD src1_sel:BYTE_0
	v_cmp_gt_u16_sdwa vcc, v16, v18 src0_sel:BYTE_0 src1_sel:DWORD
	v_cndmask_b32_e32 v4, v10, v4, vcc
	s_mov_b32 s4, 0xc0c0304
	v_or_b32_e32 v3, 0x200, v0
	v_perm_b32 v4, v4, v2, s4
	v_lshl_or_b32 v4, v4, 16, v2
	v_cmp_gt_i32_e32 vcc, s38, v3
	v_cndmask_b32_e32 v2, v2, v4, vcc
	v_lshrrev_b16_sdwa v10, v1, sext(v17) dst_sel:DWORD dst_unused:UNUSED_PAD src0_sel:DWORD src1_sel:BYTE_0
	v_ashrrev_i32_sdwa v11, v12, sext(v17) dst_sel:DWORD dst_unused:UNUSED_PAD src0_sel:DWORD src1_sel:BYTE_0
	v_cmp_gt_u16_sdwa vcc, v12, v18 src0_sel:BYTE_0 src1_sel:DWORD
	s_movk_i32 s2, 0xff
	v_cndmask_b32_e32 v10, v11, v10, vcc
	v_and_b32_sdwa v3, v2, s2 dst_sel:DWORD dst_unused:UNUSED_PAD src0_sel:WORD_1 src1_sel:DWORD
	v_lshlrev_b16_e32 v10, 8, v10
	v_or_b32_e32 v4, 0x300, v0
	v_or_b32_sdwa v3, v3, v10 dst_sel:WORD_1 dst_unused:UNUSED_PAD src0_sel:DWORD src1_sel:DWORD
	v_and_or_b32 v3, v2, s3, v3
	v_cmp_gt_i32_e32 vcc, s38, v4
	v_cndmask_b32_e32 v4, v2, v3, vcc
	v_lshrrev_b16_sdwa v2, v1, sext(v20) dst_sel:DWORD dst_unused:UNUSED_PAD src0_sel:DWORD src1_sel:BYTE_0
	v_ashrrev_i32_sdwa v3, v13, sext(v20) dst_sel:DWORD dst_unused:UNUSED_PAD src0_sel:DWORD src1_sel:BYTE_0
	v_cmp_gt_u16_sdwa vcc, v13, v18 src0_sel:BYTE_0 src1_sel:DWORD
	v_cndmask_b32_e32 v2, v3, v2, vcc
	s_mov_b32 s5, 0x3020104
	v_or_b32_e32 v3, 0x400, v0
	v_perm_b32 v2, v2, 0, s5
	v_cmp_gt_i32_e32 vcc, s38, v3
	v_cndmask_b32_e32 v2, 0, v2, vcc
	v_lshrrev_b16_sdwa v3, v1, sext(v24) dst_sel:DWORD dst_unused:UNUSED_PAD src0_sel:DWORD src1_sel:BYTE_0
	v_ashrrev_i32_sdwa v10, v15, sext(v24) dst_sel:DWORD dst_unused:UNUSED_PAD src0_sel:DWORD src1_sel:BYTE_0
	v_cmp_gt_u16_sdwa vcc, v15, v18 src0_sel:BYTE_0 src1_sel:DWORD
	v_cndmask_b32_e32 v3, v10, v3, vcc
	v_lshlrev_b16_e32 v3, 8, v3
	v_or_b32_sdwa v3, v2, v3 dst_sel:DWORD dst_unused:UNUSED_PAD src0_sel:BYTE_0 src1_sel:DWORD
	v_and_b32_e32 v3, 0xffff, v3
	s_mov_b32 s6, 0xffff0000
	v_or_b32_e32 v10, 0x500, v0
	v_and_or_b32 v3, v2, s6, v3
	v_cmp_gt_i32_e32 vcc, s38, v10
	v_cndmask_b32_e32 v2, v2, v3, vcc
	v_lshrrev_b16_sdwa v10, v1, sext(v25) dst_sel:DWORD dst_unused:UNUSED_PAD src0_sel:DWORD src1_sel:BYTE_0
	v_ashrrev_i32_sdwa v11, v14, sext(v25) dst_sel:DWORD dst_unused:UNUSED_PAD src0_sel:DWORD src1_sel:BYTE_0
	v_cmp_gt_u16_sdwa vcc, v14, v18 src0_sel:BYTE_0 src1_sel:DWORD
	v_or_b32_e32 v3, 0x600, v0
	v_cndmask_b32_e32 v10, v11, v10, vcc
	s_mov_b32 s7, 0x7000504
	v_perm_b32 v10, v2, v10, s7
	v_cmp_gt_i32_e32 vcc, s38, v3
	v_cndmask_b32_e32 v2, v2, v10, vcc
	v_lshrrev_b16_sdwa v11, v1, sext(v9) dst_sel:DWORD dst_unused:UNUSED_PAD src0_sel:DWORD src1_sel:BYTE_0
	v_ashrrev_i32_sdwa v9, v7, sext(v9) dst_sel:DWORD dst_unused:UNUSED_PAD src0_sel:DWORD src1_sel:BYTE_0
	v_cmp_gt_u16_sdwa vcc, v7, v18 src0_sel:BYTE_0 src1_sel:DWORD
	v_cndmask_b32_e32 v7, v9, v11, vcc
	v_and_b32_sdwa v3, v2, s2 dst_sel:DWORD dst_unused:UNUSED_PAD src0_sel:WORD_1 src1_sel:DWORD
	v_lshlrev_b16_e32 v7, 8, v7
	v_or_b32_e32 v10, 0x700, v0
	v_or_b32_sdwa v3, v3, v7 dst_sel:WORD_1 dst_unused:UNUSED_PAD src0_sel:DWORD src1_sel:DWORD
	v_and_or_b32 v3, v2, s3, v3
	v_cmp_gt_i32_e32 vcc, s38, v10
	v_cndmask_b32_e32 v3, v2, v3, vcc
	v_lshrrev_b16_sdwa v7, v1, sext(v21) dst_sel:DWORD dst_unused:UNUSED_PAD src0_sel:DWORD src1_sel:BYTE_0
	v_ashrrev_i32_sdwa v9, v8, sext(v21) dst_sel:DWORD dst_unused:UNUSED_PAD src0_sel:DWORD src1_sel:BYTE_0
	v_cmp_gt_u16_sdwa vcc, v8, v18 src0_sel:BYTE_0 src1_sel:DWORD
	v_or_b32_e32 v2, 0x800, v0
	v_cndmask_b32_e32 v7, v9, v7, vcc
	v_and_b32_sdwa v7, s3, v7 dst_sel:DWORD dst_unused:UNUSED_PAD src0_sel:DWORD src1_sel:BYTE_0
	v_cmp_gt_i32_e32 vcc, s38, v2
	v_cndmask_b32_e32 v2, 0, v7, vcc
	v_lshrrev_b16_sdwa v8, v1, sext(v26) dst_sel:DWORD dst_unused:UNUSED_PAD src0_sel:DWORD src1_sel:BYTE_0
	v_ashrrev_i32_sdwa v9, v22, sext(v26) dst_sel:DWORD dst_unused:UNUSED_PAD src0_sel:DWORD src1_sel:BYTE_0
	v_cmp_gt_u16_sdwa vcc, v22, v18 src0_sel:BYTE_0 src1_sel:DWORD
	v_cndmask_b32_e32 v8, v9, v8, vcc
	v_lshlrev_b16_e32 v8, 8, v8
	v_or_b32_e32 v7, 0x900, v0
	v_or_b32_e32 v8, v2, v8
	v_and_b32_e32 v8, 0xffff, v8
	v_cmp_gt_i32_e32 vcc, s38, v7
	v_cndmask_b32_e32 v2, v2, v8, vcc
	v_lshrrev_b16_sdwa v8, v1, sext(v28) dst_sel:DWORD dst_unused:UNUSED_PAD src0_sel:DWORD src1_sel:BYTE_0
	v_ashrrev_i32_sdwa v9, v27, sext(v28) dst_sel:DWORD dst_unused:UNUSED_PAD src0_sel:DWORD src1_sel:BYTE_0
	v_cmp_gt_u16_sdwa vcc, v27, v18 src0_sel:BYTE_0 src1_sel:DWORD
	v_cndmask_b32_e32 v8, v9, v8, vcc
	v_or_b32_e32 v7, 0xa00, v0
	v_perm_b32 v8, v8, v2, s4
	v_lshl_or_b32 v8, v8, 16, v2
	v_cmp_gt_i32_e32 vcc, s38, v7
	v_cndmask_b32_e32 v2, v2, v8, vcc
	v_lshrrev_b16_sdwa v9, v1, sext(v30) dst_sel:DWORD dst_unused:UNUSED_PAD src0_sel:DWORD src1_sel:BYTE_0
	v_ashrrev_i32_sdwa v10, v29, sext(v30) dst_sel:DWORD dst_unused:UNUSED_PAD src0_sel:DWORD src1_sel:BYTE_0
	v_cmp_gt_u16_sdwa vcc, v29, v18 src0_sel:BYTE_0 src1_sel:DWORD
	v_cndmask_b32_e32 v9, v10, v9, vcc
	v_and_b32_sdwa v7, v2, s2 dst_sel:DWORD dst_unused:UNUSED_PAD src0_sel:WORD_1 src1_sel:DWORD
	v_lshlrev_b16_e32 v9, 8, v9
	v_or_b32_e32 v8, 0xb00, v0
	v_or_b32_sdwa v7, v7, v9 dst_sel:WORD_1 dst_unused:UNUSED_PAD src0_sel:DWORD src1_sel:DWORD
	v_and_or_b32 v7, v2, s3, v7
	v_cmp_gt_i32_e32 vcc, s38, v8
	v_cndmask_b32_e32 v2, v2, v7, vcc
	v_lshrrev_b16_sdwa v7, v1, sext(v32) dst_sel:DWORD dst_unused:UNUSED_PAD src0_sel:DWORD src1_sel:BYTE_0
	v_ashrrev_i32_sdwa v8, v31, sext(v32) dst_sel:DWORD dst_unused:UNUSED_PAD src0_sel:DWORD src1_sel:BYTE_0
	v_cmp_gt_u16_sdwa vcc, v31, v18 src0_sel:BYTE_0 src1_sel:DWORD
	v_cndmask_b32_e32 v7, v8, v7, vcc
	v_or_b32_e32 v8, 0xc00, v0
	v_perm_b32 v7, v7, 0, s5
	v_cmp_gt_i32_e32 vcc, s38, v8
	v_cndmask_b32_e32 v7, 0, v7, vcc
	v_lshrrev_b16_sdwa v8, v1, sext(v34) dst_sel:DWORD dst_unused:UNUSED_PAD src0_sel:DWORD src1_sel:BYTE_0
	v_ashrrev_i32_sdwa v9, v33, sext(v34) dst_sel:DWORD dst_unused:UNUSED_PAD src0_sel:DWORD src1_sel:BYTE_0
	v_cmp_gt_u16_sdwa vcc, v33, v18 src0_sel:BYTE_0 src1_sel:DWORD
	v_cndmask_b32_e32 v8, v9, v8, vcc
	v_lshlrev_b16_e32 v8, 8, v8
	v_or_b32_sdwa v8, v7, v8 dst_sel:DWORD dst_unused:UNUSED_PAD src0_sel:BYTE_0 src1_sel:DWORD
	v_and_b32_e32 v8, 0xffff, v8
	v_or_b32_e32 v9, 0xd00, v0
	v_and_or_b32 v8, v7, s6, v8
	v_cmp_gt_i32_e32 vcc, s38, v9
	v_cndmask_b32_e32 v7, v7, v8, vcc
	v_lshrrev_b16_sdwa v9, v1, sext(v36) dst_sel:DWORD dst_unused:UNUSED_PAD src0_sel:DWORD src1_sel:BYTE_0
	v_ashrrev_i32_sdwa v10, v35, sext(v36) dst_sel:DWORD dst_unused:UNUSED_PAD src0_sel:DWORD src1_sel:BYTE_0
	v_cmp_gt_u16_sdwa vcc, v35, v18 src0_sel:BYTE_0 src1_sel:DWORD
	v_or_b32_e32 v8, 0xe00, v0
	v_cndmask_b32_e32 v9, v10, v9, vcc
	v_perm_b32 v9, v7, v9, s7
	v_cmp_gt_i32_e32 vcc, s38, v8
	v_cndmask_b32_e32 v7, v7, v9, vcc
	v_cmp_gt_u16_sdwa vcc, v37, v18 src0_sel:BYTE_0 src1_sel:DWORD
	v_lshrrev_b16_sdwa v1, v1, sext(v38) dst_sel:DWORD dst_unused:UNUSED_PAD src0_sel:DWORD src1_sel:BYTE_0
	v_ashrrev_i32_sdwa v10, v37, sext(v38) dst_sel:DWORD dst_unused:UNUSED_PAD src0_sel:DWORD src1_sel:BYTE_0
	v_and_b32_sdwa v8, v7, s2 dst_sel:DWORD dst_unused:UNUSED_PAD src0_sel:WORD_1 src1_sel:DWORD
	v_cndmask_b32_sdwa v1, v10, v1, vcc dst_sel:BYTE_1 dst_unused:UNUSED_PAD src0_sel:DWORD src1_sel:DWORD
	v_or_b32_e32 v9, 0xf00, v0
	v_or_b32_sdwa v1, v8, v1 dst_sel:WORD_1 dst_unused:UNUSED_PAD src0_sel:DWORD src1_sel:DWORD
	v_and_or_b32 v1, v7, s3, v1
	v_cmp_gt_i32_e32 vcc, s38, v9
	v_cndmask_b32_e32 v1, v7, v1, vcc
	s_and_saveexec_b64 s[2:3], s[0:1]
	s_cbranch_execnz .LBB161_55
; %bb.38:
	s_or_b64 exec, exec, s[2:3]
	v_cmp_gt_i32_e32 vcc, s38, v0
	s_and_saveexec_b64 s[0:1], vcc
	s_cbranch_execnz .LBB161_56
.LBB161_39:
	s_or_b64 exec, exec, s[0:1]
	v_cmp_gt_i32_e32 vcc, s38, v0
	s_and_saveexec_b64 s[0:1], vcc
	s_cbranch_execnz .LBB161_57
.LBB161_40:
	s_or_b64 exec, exec, s[0:1]
	v_cmp_gt_i32_e32 vcc, s38, v0
	s_and_saveexec_b64 s[0:1], vcc
	s_cbranch_execnz .LBB161_58
.LBB161_41:
	s_or_b64 exec, exec, s[0:1]
	v_cmp_gt_i32_e32 vcc, s38, v0
	s_and_saveexec_b64 s[0:1], vcc
	s_cbranch_execnz .LBB161_59
.LBB161_42:
	s_or_b64 exec, exec, s[0:1]
	v_cmp_gt_i32_e32 vcc, s38, v0
	s_and_saveexec_b64 s[0:1], vcc
	s_cbranch_execnz .LBB161_60
.LBB161_43:
	s_or_b64 exec, exec, s[0:1]
	v_cmp_gt_i32_e32 vcc, s38, v0
	s_and_saveexec_b64 s[0:1], vcc
	s_cbranch_execnz .LBB161_61
.LBB161_44:
	s_or_b64 exec, exec, s[0:1]
	v_cmp_gt_i32_e32 vcc, s38, v0
	s_and_saveexec_b64 s[0:1], vcc
	s_cbranch_execnz .LBB161_62
.LBB161_45:
	s_or_b64 exec, exec, s[0:1]
	v_cmp_gt_i32_e32 vcc, s38, v0
	s_and_saveexec_b64 s[0:1], vcc
	s_cbranch_execnz .LBB161_63
.LBB161_46:
	s_or_b64 exec, exec, s[0:1]
	v_cmp_gt_i32_e32 vcc, s38, v0
	s_and_saveexec_b64 s[0:1], vcc
	s_cbranch_execnz .LBB161_64
.LBB161_47:
	s_or_b64 exec, exec, s[0:1]
	v_cmp_gt_i32_e32 vcc, s38, v0
	s_and_saveexec_b64 s[0:1], vcc
	s_cbranch_execnz .LBB161_65
.LBB161_48:
	s_or_b64 exec, exec, s[0:1]
	v_cmp_gt_i32_e32 vcc, s38, v0
	s_and_saveexec_b64 s[0:1], vcc
	s_cbranch_execnz .LBB161_66
.LBB161_49:
	s_or_b64 exec, exec, s[0:1]
	v_cmp_gt_i32_e32 vcc, s38, v0
	s_and_saveexec_b64 s[0:1], vcc
	s_cbranch_execnz .LBB161_67
.LBB161_50:
	s_or_b64 exec, exec, s[0:1]
	v_cmp_gt_i32_e32 vcc, s38, v0
	s_and_saveexec_b64 s[0:1], vcc
	s_cbranch_execnz .LBB161_68
.LBB161_51:
	s_or_b64 exec, exec, s[0:1]
	v_cmp_gt_i32_e32 vcc, s38, v0
	s_and_saveexec_b64 s[0:1], vcc
	s_cbranch_execnz .LBB161_69
.LBB161_52:
	s_or_b64 exec, exec, s[0:1]
	v_cmp_gt_i32_e32 vcc, s38, v0
	s_and_saveexec_b64 s[0:1], vcc
	s_cbranch_execz .LBB161_54
.LBB161_53:
	v_lshrrev_b32_e32 v1, 24, v1
	v_add_u32_e32 v0, s33, v0
	global_store_byte v0, v1, s[8:9]
.LBB161_54:
	s_endpgm
.LBB161_55:
	v_mov_b32_e32 v0, v5
	global_store_byte v6, v4, s[8:9]
	s_or_b64 exec, exec, s[2:3]
	v_cmp_gt_i32_e32 vcc, s38, v0
	s_and_saveexec_b64 s[0:1], vcc
	s_cbranch_execz .LBB161_39
.LBB161_56:
	v_lshrrev_b32_e32 v5, 8, v4
	v_add_u32_e32 v6, s33, v0
	v_add_u32_e32 v0, 0x100, v0
	global_store_byte v6, v5, s[8:9]
	s_or_b64 exec, exec, s[0:1]
	v_cmp_gt_i32_e32 vcc, s38, v0
	s_and_saveexec_b64 s[0:1], vcc
	s_cbranch_execz .LBB161_40
.LBB161_57:
	v_add_u32_e32 v5, s33, v0
	v_add_u32_e32 v0, 0x100, v0
	global_store_byte_d16_hi v5, v4, s[8:9]
	s_or_b64 exec, exec, s[0:1]
	v_cmp_gt_i32_e32 vcc, s38, v0
	s_and_saveexec_b64 s[0:1], vcc
	s_cbranch_execz .LBB161_41
.LBB161_58:
	v_lshrrev_b32_e32 v4, 24, v4
	v_add_u32_e32 v5, s33, v0
	v_add_u32_e32 v0, 0x100, v0
	global_store_byte v5, v4, s[8:9]
	s_or_b64 exec, exec, s[0:1]
	v_cmp_gt_i32_e32 vcc, s38, v0
	s_and_saveexec_b64 s[0:1], vcc
	s_cbranch_execz .LBB161_42
.LBB161_59:
	v_add_u32_e32 v4, s33, v0
	v_add_u32_e32 v0, 0x100, v0
	global_store_byte v4, v3, s[8:9]
	s_or_b64 exec, exec, s[0:1]
	v_cmp_gt_i32_e32 vcc, s38, v0
	s_and_saveexec_b64 s[0:1], vcc
	s_cbranch_execz .LBB161_43
.LBB161_60:
	v_lshrrev_b32_e32 v4, 8, v3
	v_add_u32_e32 v5, s33, v0
	v_add_u32_e32 v0, 0x100, v0
	global_store_byte v5, v4, s[8:9]
	s_or_b64 exec, exec, s[0:1]
	v_cmp_gt_i32_e32 vcc, s38, v0
	s_and_saveexec_b64 s[0:1], vcc
	s_cbranch_execz .LBB161_44
.LBB161_61:
	v_add_u32_e32 v4, s33, v0
	v_add_u32_e32 v0, 0x100, v0
	global_store_byte_d16_hi v4, v3, s[8:9]
	s_or_b64 exec, exec, s[0:1]
	v_cmp_gt_i32_e32 vcc, s38, v0
	s_and_saveexec_b64 s[0:1], vcc
	s_cbranch_execz .LBB161_45
.LBB161_62:
	v_lshrrev_b32_e32 v3, 24, v3
	v_add_u32_e32 v4, s33, v0
	v_add_u32_e32 v0, 0x100, v0
	global_store_byte v4, v3, s[8:9]
	s_or_b64 exec, exec, s[0:1]
	v_cmp_gt_i32_e32 vcc, s38, v0
	s_and_saveexec_b64 s[0:1], vcc
	s_cbranch_execz .LBB161_46
.LBB161_63:
	v_add_u32_e32 v3, s33, v0
	v_add_u32_e32 v0, 0x100, v0
	global_store_byte v3, v2, s[8:9]
	s_or_b64 exec, exec, s[0:1]
	v_cmp_gt_i32_e32 vcc, s38, v0
	s_and_saveexec_b64 s[0:1], vcc
	s_cbranch_execz .LBB161_47
.LBB161_64:
	v_lshrrev_b32_e32 v3, 8, v2
	v_add_u32_e32 v4, s33, v0
	v_add_u32_e32 v0, 0x100, v0
	global_store_byte v4, v3, s[8:9]
	s_or_b64 exec, exec, s[0:1]
	v_cmp_gt_i32_e32 vcc, s38, v0
	s_and_saveexec_b64 s[0:1], vcc
	s_cbranch_execz .LBB161_48
.LBB161_65:
	v_add_u32_e32 v3, s33, v0
	v_add_u32_e32 v0, 0x100, v0
	global_store_byte_d16_hi v3, v2, s[8:9]
	s_or_b64 exec, exec, s[0:1]
	v_cmp_gt_i32_e32 vcc, s38, v0
	s_and_saveexec_b64 s[0:1], vcc
	s_cbranch_execz .LBB161_49
.LBB161_66:
	v_lshrrev_b32_e32 v2, 24, v2
	v_add_u32_e32 v3, s33, v0
	v_add_u32_e32 v0, 0x100, v0
	global_store_byte v3, v2, s[8:9]
	s_or_b64 exec, exec, s[0:1]
	v_cmp_gt_i32_e32 vcc, s38, v0
	s_and_saveexec_b64 s[0:1], vcc
	s_cbranch_execz .LBB161_50
.LBB161_67:
	v_add_u32_e32 v2, s33, v0
	v_add_u32_e32 v0, 0x100, v0
	global_store_byte v2, v1, s[8:9]
	s_or_b64 exec, exec, s[0:1]
	v_cmp_gt_i32_e32 vcc, s38, v0
	s_and_saveexec_b64 s[0:1], vcc
	s_cbranch_execz .LBB161_51
.LBB161_68:
	v_lshrrev_b32_e32 v2, 8, v1
	v_add_u32_e32 v3, s33, v0
	v_add_u32_e32 v0, 0x100, v0
	global_store_byte v3, v2, s[8:9]
	s_or_b64 exec, exec, s[0:1]
	v_cmp_gt_i32_e32 vcc, s38, v0
	s_and_saveexec_b64 s[0:1], vcc
	s_cbranch_execz .LBB161_52
.LBB161_69:
	v_add_u32_e32 v2, s33, v0
	v_add_u32_e32 v0, 0x100, v0
	global_store_byte_d16_hi v2, v1, s[8:9]
	s_or_b64 exec, exec, s[0:1]
	v_cmp_gt_i32_e32 vcc, s38, v0
	s_and_saveexec_b64 s[0:1], vcc
	s_cbranch_execnz .LBB161_53
	s_branch .LBB161_54
	.section	.rodata,"a",@progbits
	.p2align	6, 0x0
	.amdhsa_kernel _ZN2at6native29vectorized_elementwise_kernelILi8ENS0_13BinaryFunctorIaaaZZZNS0_18rshift_kernel_cudaERNS_18TensorIteratorBaseEENKUlvE_clEvENKUlvE0_clEvEUlaaE_EESt5arrayIPcLm3EEEEviT0_T1_
		.amdhsa_group_segment_fixed_size 0
		.amdhsa_private_segment_fixed_size 0
		.amdhsa_kernarg_size 32
		.amdhsa_user_sgpr_count 6
		.amdhsa_user_sgpr_private_segment_buffer 1
		.amdhsa_user_sgpr_dispatch_ptr 0
		.amdhsa_user_sgpr_queue_ptr 0
		.amdhsa_user_sgpr_kernarg_segment_ptr 1
		.amdhsa_user_sgpr_dispatch_id 0
		.amdhsa_user_sgpr_flat_scratch_init 0
		.amdhsa_user_sgpr_private_segment_size 0
		.amdhsa_uses_dynamic_stack 0
		.amdhsa_system_sgpr_private_segment_wavefront_offset 0
		.amdhsa_system_sgpr_workgroup_id_x 1
		.amdhsa_system_sgpr_workgroup_id_y 0
		.amdhsa_system_sgpr_workgroup_id_z 0
		.amdhsa_system_sgpr_workgroup_info 0
		.amdhsa_system_vgpr_workitem_id 0
		.amdhsa_next_free_vgpr 39
		.amdhsa_next_free_sgpr 39
		.amdhsa_reserve_vcc 1
		.amdhsa_reserve_flat_scratch 0
		.amdhsa_float_round_mode_32 0
		.amdhsa_float_round_mode_16_64 0
		.amdhsa_float_denorm_mode_32 3
		.amdhsa_float_denorm_mode_16_64 3
		.amdhsa_dx10_clamp 1
		.amdhsa_ieee_mode 1
		.amdhsa_fp16_overflow 0
		.amdhsa_exception_fp_ieee_invalid_op 0
		.amdhsa_exception_fp_denorm_src 0
		.amdhsa_exception_fp_ieee_div_zero 0
		.amdhsa_exception_fp_ieee_overflow 0
		.amdhsa_exception_fp_ieee_underflow 0
		.amdhsa_exception_fp_ieee_inexact 0
		.amdhsa_exception_int_div_zero 0
	.end_amdhsa_kernel
	.section	.text._ZN2at6native29vectorized_elementwise_kernelILi8ENS0_13BinaryFunctorIaaaZZZNS0_18rshift_kernel_cudaERNS_18TensorIteratorBaseEENKUlvE_clEvENKUlvE0_clEvEUlaaE_EESt5arrayIPcLm3EEEEviT0_T1_,"axG",@progbits,_ZN2at6native29vectorized_elementwise_kernelILi8ENS0_13BinaryFunctorIaaaZZZNS0_18rshift_kernel_cudaERNS_18TensorIteratorBaseEENKUlvE_clEvENKUlvE0_clEvEUlaaE_EESt5arrayIPcLm3EEEEviT0_T1_,comdat
.Lfunc_end161:
	.size	_ZN2at6native29vectorized_elementwise_kernelILi8ENS0_13BinaryFunctorIaaaZZZNS0_18rshift_kernel_cudaERNS_18TensorIteratorBaseEENKUlvE_clEvENKUlvE0_clEvEUlaaE_EESt5arrayIPcLm3EEEEviT0_T1_, .Lfunc_end161-_ZN2at6native29vectorized_elementwise_kernelILi8ENS0_13BinaryFunctorIaaaZZZNS0_18rshift_kernel_cudaERNS_18TensorIteratorBaseEENKUlvE_clEvENKUlvE0_clEvEUlaaE_EESt5arrayIPcLm3EEEEviT0_T1_
                                        ; -- End function
	.set _ZN2at6native29vectorized_elementwise_kernelILi8ENS0_13BinaryFunctorIaaaZZZNS0_18rshift_kernel_cudaERNS_18TensorIteratorBaseEENKUlvE_clEvENKUlvE0_clEvEUlaaE_EESt5arrayIPcLm3EEEEviT0_T1_.num_vgpr, 39
	.set _ZN2at6native29vectorized_elementwise_kernelILi8ENS0_13BinaryFunctorIaaaZZZNS0_18rshift_kernel_cudaERNS_18TensorIteratorBaseEENKUlvE_clEvENKUlvE0_clEvEUlaaE_EESt5arrayIPcLm3EEEEviT0_T1_.num_agpr, 0
	.set _ZN2at6native29vectorized_elementwise_kernelILi8ENS0_13BinaryFunctorIaaaZZZNS0_18rshift_kernel_cudaERNS_18TensorIteratorBaseEENKUlvE_clEvENKUlvE0_clEvEUlaaE_EESt5arrayIPcLm3EEEEviT0_T1_.numbered_sgpr, 39
	.set _ZN2at6native29vectorized_elementwise_kernelILi8ENS0_13BinaryFunctorIaaaZZZNS0_18rshift_kernel_cudaERNS_18TensorIteratorBaseEENKUlvE_clEvENKUlvE0_clEvEUlaaE_EESt5arrayIPcLm3EEEEviT0_T1_.num_named_barrier, 0
	.set _ZN2at6native29vectorized_elementwise_kernelILi8ENS0_13BinaryFunctorIaaaZZZNS0_18rshift_kernel_cudaERNS_18TensorIteratorBaseEENKUlvE_clEvENKUlvE0_clEvEUlaaE_EESt5arrayIPcLm3EEEEviT0_T1_.private_seg_size, 0
	.set _ZN2at6native29vectorized_elementwise_kernelILi8ENS0_13BinaryFunctorIaaaZZZNS0_18rshift_kernel_cudaERNS_18TensorIteratorBaseEENKUlvE_clEvENKUlvE0_clEvEUlaaE_EESt5arrayIPcLm3EEEEviT0_T1_.uses_vcc, 1
	.set _ZN2at6native29vectorized_elementwise_kernelILi8ENS0_13BinaryFunctorIaaaZZZNS0_18rshift_kernel_cudaERNS_18TensorIteratorBaseEENKUlvE_clEvENKUlvE0_clEvEUlaaE_EESt5arrayIPcLm3EEEEviT0_T1_.uses_flat_scratch, 0
	.set _ZN2at6native29vectorized_elementwise_kernelILi8ENS0_13BinaryFunctorIaaaZZZNS0_18rshift_kernel_cudaERNS_18TensorIteratorBaseEENKUlvE_clEvENKUlvE0_clEvEUlaaE_EESt5arrayIPcLm3EEEEviT0_T1_.has_dyn_sized_stack, 0
	.set _ZN2at6native29vectorized_elementwise_kernelILi8ENS0_13BinaryFunctorIaaaZZZNS0_18rshift_kernel_cudaERNS_18TensorIteratorBaseEENKUlvE_clEvENKUlvE0_clEvEUlaaE_EESt5arrayIPcLm3EEEEviT0_T1_.has_recursion, 0
	.set _ZN2at6native29vectorized_elementwise_kernelILi8ENS0_13BinaryFunctorIaaaZZZNS0_18rshift_kernel_cudaERNS_18TensorIteratorBaseEENKUlvE_clEvENKUlvE0_clEvEUlaaE_EESt5arrayIPcLm3EEEEviT0_T1_.has_indirect_call, 0
	.section	.AMDGPU.csdata,"",@progbits
; Kernel info:
; codeLenInByte = 4472
; TotalNumSgprs: 43
; NumVgprs: 39
; ScratchSize: 0
; MemoryBound: 0
; FloatMode: 240
; IeeeMode: 1
; LDSByteSize: 0 bytes/workgroup (compile time only)
; SGPRBlocks: 5
; VGPRBlocks: 9
; NumSGPRsForWavesPerEU: 43
; NumVGPRsForWavesPerEU: 39
; Occupancy: 6
; WaveLimiterHint : 1
; COMPUTE_PGM_RSRC2:SCRATCH_EN: 0
; COMPUTE_PGM_RSRC2:USER_SGPR: 6
; COMPUTE_PGM_RSRC2:TRAP_HANDLER: 0
; COMPUTE_PGM_RSRC2:TGID_X_EN: 1
; COMPUTE_PGM_RSRC2:TGID_Y_EN: 0
; COMPUTE_PGM_RSRC2:TGID_Z_EN: 0
; COMPUTE_PGM_RSRC2:TIDIG_COMP_CNT: 0
	.section	.text._ZN2at6native29vectorized_elementwise_kernelILi4ENS0_13BinaryFunctorIaaaZZZNS0_18rshift_kernel_cudaERNS_18TensorIteratorBaseEENKUlvE_clEvENKUlvE0_clEvEUlaaE_EESt5arrayIPcLm3EEEEviT0_T1_,"axG",@progbits,_ZN2at6native29vectorized_elementwise_kernelILi4ENS0_13BinaryFunctorIaaaZZZNS0_18rshift_kernel_cudaERNS_18TensorIteratorBaseEENKUlvE_clEvENKUlvE0_clEvEUlaaE_EESt5arrayIPcLm3EEEEviT0_T1_,comdat
	.globl	_ZN2at6native29vectorized_elementwise_kernelILi4ENS0_13BinaryFunctorIaaaZZZNS0_18rshift_kernel_cudaERNS_18TensorIteratorBaseEENKUlvE_clEvENKUlvE0_clEvEUlaaE_EESt5arrayIPcLm3EEEEviT0_T1_ ; -- Begin function _ZN2at6native29vectorized_elementwise_kernelILi4ENS0_13BinaryFunctorIaaaZZZNS0_18rshift_kernel_cudaERNS_18TensorIteratorBaseEENKUlvE_clEvENKUlvE0_clEvEUlaaE_EESt5arrayIPcLm3EEEEviT0_T1_
	.p2align	8
	.type	_ZN2at6native29vectorized_elementwise_kernelILi4ENS0_13BinaryFunctorIaaaZZZNS0_18rshift_kernel_cudaERNS_18TensorIteratorBaseEENKUlvE_clEvENKUlvE0_clEvEUlaaE_EESt5arrayIPcLm3EEEEviT0_T1_,@function
_ZN2at6native29vectorized_elementwise_kernelILi4ENS0_13BinaryFunctorIaaaZZZNS0_18rshift_kernel_cudaERNS_18TensorIteratorBaseEENKUlvE_clEvENKUlvE0_clEvEUlaaE_EESt5arrayIPcLm3EEEEviT0_T1_: ; @_ZN2at6native29vectorized_elementwise_kernelILi4ENS0_13BinaryFunctorIaaaZZZNS0_18rshift_kernel_cudaERNS_18TensorIteratorBaseEENKUlvE_clEvENKUlvE0_clEvEUlaaE_EESt5arrayIPcLm3EEEEviT0_T1_
; %bb.0:
	s_load_dword s0, s[4:5], 0x0
	s_load_dwordx4 s[8:11], s[4:5], 0x8
	s_load_dwordx2 s[12:13], s[4:5], 0x18
	s_lshl_b32 s33, s6, 12
	s_waitcnt lgkmcnt(0)
	s_sub_i32 s38, s0, s33
	s_cmpk_gt_i32 s38, 0xfff
	s_mov_b64 s[0:1], -1
	s_cbranch_scc0 .LBB162_2
; %bb.1:
	s_ashr_i32 s2, s33, 31
	s_add_u32 s0, s10, s33
	s_addc_u32 s1, s11, s2
	v_lshlrev_b32_e32 v1, 2, v0
	global_load_dword v2, v1, s[0:1]
	global_load_dword v3, v1, s[0:1] offset:1024
	global_load_dword v4, v1, s[0:1] offset:2048
	;; [unrolled: 1-line block ×3, first 2 shown]
	s_add_u32 s0, s12, s33
	s_addc_u32 s1, s13, s2
	global_load_dword v6, v1, s[0:1]
	global_load_dword v7, v1, s[0:1] offset:1024
	global_load_dword v8, v1, s[0:1] offset:2048
	;; [unrolled: 1-line block ×3, first 2 shown]
	s_movk_i32 s3, 0xff
	v_mov_b32_e32 v10, 6
	v_mov_b32_e32 v11, 7
	s_mov_b32 s4, 0x6ffffff
	s_waitcnt vmcnt(7)
	v_lshrrev_b32_e32 v13, 16, v2
	v_lshrrev_b32_e32 v14, 24, v2
	v_lshrrev_b16_sdwa v24, v11, sext(v2) dst_sel:DWORD dst_unused:UNUSED_PAD src0_sel:DWORD src1_sel:BYTE_0
	s_waitcnt vmcnt(3)
	v_and_b32_sdwa v29, v6, s3 dst_sel:DWORD dst_unused:UNUSED_PAD src0_sel:WORD_1 src1_sel:DWORD
	v_ashrrev_i32_sdwa v35, v6, sext(v2) dst_sel:DWORD dst_unused:UNUSED_PAD src0_sel:DWORD src1_sel:BYTE_0
	v_cmp_gt_u16_sdwa vcc, v6, v10 src0_sel:BYTE_0 src1_sel:DWORD
	v_lshrrev_b32_e32 v17, 24, v3
	v_lshrrev_b16_sdwa v13, v11, sext(v13) dst_sel:DWORD dst_unused:UNUSED_PAD src0_sel:DWORD src1_sel:BYTE_0
	v_lshrrev_b16_sdwa v14, v11, sext(v14) dst_sel:DWORD dst_unused:UNUSED_PAD src0_sel:DWORD src1_sel:BYTE_0
	v_lshrrev_b32_e32 v28, 8, v6
	v_cndmask_b32_e32 v24, v35, v24, vcc
	v_ashrrev_i32_sdwa v35, v6, sext(v2) dst_sel:DWORD dst_unused:UNUSED_PAD src0_sel:BYTE_3 src1_sel:BYTE_3
	v_cmp_lt_u32_e32 vcc, s4, v6
	v_ashrrev_i32_sdwa v6, v6, sext(v2) dst_sel:DWORD dst_unused:UNUSED_PAD src0_sel:WORD_1 src1_sel:BYTE_2
	v_cmp_lt_u16_e64 s[0:1], 6, v29
	v_lshrrev_b16_sdwa v25, v11, sext(v3) dst_sel:DWORD dst_unused:UNUSED_PAD src0_sel:DWORD src1_sel:BYTE_0
	v_lshrrev_b16_sdwa v17, v11, sext(v17) dst_sel:DWORD dst_unused:UNUSED_PAD src0_sel:DWORD src1_sel:BYTE_0
	v_cndmask_b32_e64 v6, v6, v13, s[0:1]
	s_waitcnt vmcnt(2)
	v_ashrrev_i32_sdwa v13, v7, sext(v3) dst_sel:DWORD dst_unused:UNUSED_PAD src0_sel:DWORD src1_sel:BYTE_0
	v_cmp_gt_u16_sdwa s[0:1], v7, v10 src0_sel:BYTE_0 src1_sel:DWORD
	v_cndmask_b32_e32 v14, v35, v14, vcc
	v_ashrrev_i32_sdwa v35, v7, sext(v3) dst_sel:DWORD dst_unused:UNUSED_PAD src0_sel:BYTE_3 src1_sel:BYTE_3
	v_cmp_lt_u32_e32 vcc, s4, v7
	v_lshrrev_b32_e32 v16, 16, v3
	v_lshrrev_b32_e32 v19, 16, v4
	v_lshrrev_b16_sdwa v26, v11, sext(v4) dst_sel:DWORD dst_unused:UNUSED_PAD src0_sel:DWORD src1_sel:BYTE_0
	v_and_b32_sdwa v31, v7, s3 dst_sel:DWORD dst_unused:UNUSED_PAD src0_sel:WORD_1 src1_sel:DWORD
	s_waitcnt vmcnt(1)
	v_and_b32_sdwa v33, v8, s3 dst_sel:DWORD dst_unused:UNUSED_PAD src0_sel:WORD_1 src1_sel:DWORD
	v_cndmask_b32_e64 v13, v13, v25, s[0:1]
	v_ashrrev_i32_sdwa v25, v8, sext(v4) dst_sel:DWORD dst_unused:UNUSED_PAD src0_sel:DWORD src1_sel:BYTE_0
	v_cndmask_b32_e32 v17, v35, v17, vcc
	v_cmp_gt_u16_sdwa vcc, v8, v10 src0_sel:BYTE_0 src1_sel:DWORD
	v_lshrrev_b32_e32 v20, 24, v4
	v_lshrrev_b16_sdwa v16, v11, sext(v16) dst_sel:DWORD dst_unused:UNUSED_PAD src0_sel:DWORD src1_sel:BYTE_0
	v_lshrrev_b16_sdwa v19, v11, sext(v19) dst_sel:DWORD dst_unused:UNUSED_PAD src0_sel:DWORD src1_sel:BYTE_0
	v_lshrrev_b32_e32 v30, 8, v7
	v_ashrrev_i32_sdwa v7, v7, sext(v3) dst_sel:DWORD dst_unused:UNUSED_PAD src0_sel:WORD_1 src1_sel:BYTE_2
	v_cmp_lt_u16_e64 s[0:1], 6, v31
	v_ashrrev_i32_sdwa v31, v8, sext(v4) dst_sel:DWORD dst_unused:UNUSED_PAD src0_sel:WORD_1 src1_sel:BYTE_2
	v_cndmask_b32_e32 v25, v25, v26, vcc
	v_cmp_lt_u16_e32 vcc, 6, v33
	v_lshrrev_b32_e32 v12, 8, v2
	v_lshrrev_b16_sdwa v20, v11, sext(v20) dst_sel:DWORD dst_unused:UNUSED_PAD src0_sel:DWORD src1_sel:BYTE_0
	v_cndmask_b32_e64 v7, v7, v16, s[0:1]
	v_ashrrev_i32_sdwa v16, v8, sext(v4) dst_sel:DWORD dst_unused:UNUSED_PAD src0_sel:BYTE_3 src1_sel:BYTE_3
	v_cndmask_b32_e32 v19, v31, v19, vcc
	v_cmp_lt_u32_e32 vcc, s4, v8
	v_lshrrev_b32_e32 v15, 8, v3
	v_lshrrev_b16_sdwa v12, v11, sext(v12) dst_sel:DWORD dst_unused:UNUSED_PAD src0_sel:DWORD src1_sel:BYTE_0
	v_lshrrev_b32_e32 v32, 8, v8
	v_ashrrev_i32_sdwa v2, v28, sext(v2) dst_sel:DWORD dst_unused:UNUSED_PAD src0_sel:DWORD src1_sel:BYTE_1
	v_cndmask_b32_e32 v8, v16, v20, vcc
	v_cmp_gt_u16_sdwa vcc, v28, v10 src0_sel:BYTE_0 src1_sel:DWORD
	v_lshrrev_b32_e32 v18, 8, v4
	v_lshrrev_b16_sdwa v15, v11, sext(v15) dst_sel:DWORD dst_unused:UNUSED_PAD src0_sel:DWORD src1_sel:BYTE_0
	v_ashrrev_i32_sdwa v3, v30, sext(v3) dst_sel:DWORD dst_unused:UNUSED_PAD src0_sel:DWORD src1_sel:BYTE_1
	v_cndmask_b32_e32 v2, v2, v12, vcc
	v_cmp_gt_u16_sdwa vcc, v30, v10 src0_sel:BYTE_0 src1_sel:DWORD
	v_lshrrev_b16_sdwa v18, v11, sext(v18) dst_sel:DWORD dst_unused:UNUSED_PAD src0_sel:DWORD src1_sel:BYTE_0
	v_ashrrev_i32_sdwa v4, v32, sext(v4) dst_sel:DWORD dst_unused:UNUSED_PAD src0_sel:DWORD src1_sel:BYTE_1
	v_cndmask_b32_e32 v3, v3, v15, vcc
	v_cmp_gt_u16_sdwa vcc, v32, v10 src0_sel:BYTE_0 src1_sel:DWORD
	v_cndmask_b32_e32 v4, v4, v18, vcc
	v_lshrrev_b32_e32 v21, 8, v5
	v_lshrrev_b16_sdwa v27, v11, sext(v5) dst_sel:DWORD dst_unused:UNUSED_PAD src0_sel:DWORD src1_sel:BYTE_0
	s_waitcnt vmcnt(0)
	v_lshrrev_b32_e32 v34, 8, v9
	v_ashrrev_i32_sdwa v35, v9, sext(v5) dst_sel:DWORD dst_unused:UNUSED_PAD src0_sel:DWORD src1_sel:BYTE_0
	v_cmp_gt_u16_sdwa vcc, v9, v10 src0_sel:BYTE_0 src1_sel:DWORD
	v_lshlrev_b16_e32 v4, 8, v4
	v_lshlrev_b16_e32 v8, 8, v8
	v_lshrrev_b32_e32 v22, 16, v5
	v_and_b32_sdwa v29, v9, s3 dst_sel:DWORD dst_unused:UNUSED_PAD src0_sel:WORD_1 src1_sel:DWORD
	v_cndmask_b32_e32 v12, v35, v27, vcc
	v_lshrrev_b16_sdwa v15, v11, sext(v21) dst_sel:DWORD dst_unused:UNUSED_PAD src0_sel:DWORD src1_sel:BYTE_0
	v_ashrrev_i32_sdwa v16, v34, sext(v5) dst_sel:DWORD dst_unused:UNUSED_PAD src0_sel:DWORD src1_sel:BYTE_1
	v_cmp_gt_u16_sdwa vcc, v34, v10 src0_sel:BYTE_0 src1_sel:DWORD
	v_or_b32_sdwa v4, v25, v4 dst_sel:DWORD dst_unused:UNUSED_PAD src0_sel:BYTE_0 src1_sel:DWORD
	v_or_b32_sdwa v8, v19, v8 dst_sel:WORD_1 dst_unused:UNUSED_PAD src0_sel:BYTE_0 src1_sel:DWORD
	v_lshrrev_b32_e32 v23, 24, v5
	v_cndmask_b32_e32 v10, v16, v15, vcc
	v_lshrrev_b16_sdwa v15, v11, sext(v22) dst_sel:DWORD dst_unused:UNUSED_PAD src0_sel:DWORD src1_sel:BYTE_0
	v_ashrrev_i32_sdwa v16, v9, sext(v5) dst_sel:DWORD dst_unused:UNUSED_PAD src0_sel:WORD_1 src1_sel:BYTE_2
	v_cmp_lt_u16_e32 vcc, 6, v29
	v_or_b32_sdwa v4, v4, v8 dst_sel:DWORD dst_unused:UNUSED_PAD src0_sel:WORD_0 src1_sel:DWORD
	v_lshlrev_b16_e32 v3, 8, v3
	v_lshlrev_b16_e32 v8, 8, v17
	v_cndmask_b32_e32 v15, v16, v15, vcc
	v_lshrrev_b16_sdwa v11, v11, sext(v23) dst_sel:DWORD dst_unused:UNUSED_PAD src0_sel:DWORD src1_sel:BYTE_0
	v_ashrrev_i32_sdwa v5, v9, sext(v5) dst_sel:DWORD dst_unused:UNUSED_PAD src0_sel:BYTE_3 src1_sel:BYTE_3
	v_cmp_lt_u32_e32 vcc, s4, v9
	v_or_b32_sdwa v3, v13, v3 dst_sel:DWORD dst_unused:UNUSED_PAD src0_sel:BYTE_0 src1_sel:DWORD
	v_or_b32_sdwa v7, v7, v8 dst_sel:WORD_1 dst_unused:UNUSED_PAD src0_sel:BYTE_0 src1_sel:DWORD
	v_cndmask_b32_e32 v5, v5, v11, vcc
	v_or_b32_sdwa v3, v3, v7 dst_sel:DWORD dst_unused:UNUSED_PAD src0_sel:WORD_0 src1_sel:DWORD
	v_lshlrev_b16_e32 v2, 8, v2
	v_lshlrev_b16_e32 v7, 8, v14
	;; [unrolled: 1-line block ×4, first 2 shown]
	v_or_b32_sdwa v2, v24, v2 dst_sel:DWORD dst_unused:UNUSED_PAD src0_sel:BYTE_0 src1_sel:DWORD
	v_or_b32_sdwa v6, v6, v7 dst_sel:WORD_1 dst_unused:UNUSED_PAD src0_sel:BYTE_0 src1_sel:DWORD
	s_add_u32 s0, s8, s33
	v_or_b32_sdwa v9, v12, v9 dst_sel:DWORD dst_unused:UNUSED_PAD src0_sel:BYTE_0 src1_sel:DWORD
	v_or_b32_sdwa v5, v15, v5 dst_sel:WORD_1 dst_unused:UNUSED_PAD src0_sel:BYTE_0 src1_sel:DWORD
	v_or_b32_sdwa v2, v2, v6 dst_sel:DWORD dst_unused:UNUSED_PAD src0_sel:WORD_0 src1_sel:DWORD
	s_addc_u32 s1, s9, s2
	v_or_b32_sdwa v5, v9, v5 dst_sel:DWORD dst_unused:UNUSED_PAD src0_sel:WORD_0 src1_sel:DWORD
	global_store_dword v1, v2, s[0:1]
	global_store_dword v1, v3, s[0:1] offset:1024
	global_store_dword v1, v4, s[0:1] offset:2048
	;; [unrolled: 1-line block ×3, first 2 shown]
	s_mov_b64 s[0:1], 0
.LBB162_2:
	s_andn2_b64 vcc, exec, s[0:1]
	s_cbranch_vccnz .LBB162_54
; %bb.3:
	v_cmp_gt_i32_e64 s[0:1], s38, v0
	v_cmp_le_i32_e32 vcc, s38, v0
                                        ; implicit-def: $vgpr5
	s_and_saveexec_b64 s[2:3], vcc
	s_xor_b64 s[2:3], exec, s[2:3]
; %bb.4:
	v_or_b32_e32 v5, 0x100, v0
; %bb.5:
	s_or_saveexec_b64 s[2:3], s[2:3]
	v_mov_b32_e32 v38, 0
	v_or_b32_e32 v6, s33, v0
	v_mov_b32_e32 v37, 0
	v_mov_b32_e32 v36, 0
	;; [unrolled: 1-line block ×31, first 2 shown]
	s_xor_b64 exec, exec, s[2:3]
	s_cbranch_execz .LBB162_37
; %bb.6:
	global_load_ubyte v18, v6, s[10:11]
	global_load_ubyte v19, v6, s[12:13]
	v_or_b32_e32 v5, 0x100, v0
	v_cmp_gt_u32_e32 vcc, s38, v5
	v_mov_b32_e32 v10, 0
	v_mov_b32_e32 v11, 0
	;; [unrolled: 1-line block ×30, first 2 shown]
	s_and_saveexec_b64 s[4:5], vcc
	s_cbranch_execz .LBB162_36
; %bb.7:
	v_add_u32_e32 v3, s33, v0
	global_load_ubyte v11, v3, s[10:11] offset:256
	global_load_ubyte v10, v3, s[12:13] offset:256
	v_or_b32_e32 v1, 0x200, v0
	v_mov_b32_e32 v16, 0
	v_cmp_gt_u32_e32 vcc, s38, v1
	v_mov_b32_e32 v23, 0
	v_mov_b32_e32 v12, 0
	;; [unrolled: 1-line block ×27, first 2 shown]
	s_and_saveexec_b64 s[6:7], vcc
	s_cbranch_execz .LBB162_35
; %bb.8:
	v_mov_b32_e32 v2, s11
	v_add_co_u32_e32 v1, vcc, s10, v3
	v_addc_co_u32_e32 v2, vcc, 0, v2, vcc
	v_mov_b32_e32 v4, s13
	v_add_co_u32_e32 v3, vcc, s12, v3
	v_addc_co_u32_e32 v4, vcc, 0, v4, vcc
	global_load_ubyte v23, v[1:2], off offset:512
	global_load_ubyte v16, v[3:4], off offset:512
	v_or_b32_e32 v7, 0x300, v0
	v_cmp_gt_u32_e32 vcc, s38, v7
	v_mov_b32_e32 v12, 0
	v_mov_b32_e32 v17, 0
	;; [unrolled: 1-line block ×26, first 2 shown]
	s_and_saveexec_b64 s[10:11], vcc
	s_cbranch_execz .LBB162_34
; %bb.9:
	global_load_ubyte v17, v[1:2], off offset:768
	global_load_ubyte v12, v[3:4], off offset:768
	v_or_b32_e32 v7, 0x400, v0
	v_cmp_gt_u32_e32 vcc, s38, v7
	v_mov_b32_e32 v13, 0
	v_mov_b32_e32 v20, 0
	;; [unrolled: 1-line block ×24, first 2 shown]
	s_and_saveexec_b64 s[12:13], vcc
	s_cbranch_execz .LBB162_33
; %bb.10:
	global_load_ubyte v20, v[1:2], off offset:1024
	global_load_ubyte v13, v[3:4], off offset:1024
	v_or_b32_e32 v7, 0x500, v0
	v_cmp_gt_u32_e32 vcc, s38, v7
	v_mov_b32_e32 v15, 0
	v_mov_b32_e32 v24, 0
	;; [unrolled: 1-line block ×22, first 2 shown]
	s_and_saveexec_b64 s[14:15], vcc
	s_cbranch_execz .LBB162_32
; %bb.11:
	global_load_ubyte v24, v[1:2], off offset:1280
	global_load_ubyte v15, v[3:4], off offset:1280
	v_or_b32_e32 v7, 0x600, v0
	v_cmp_gt_u32_e32 vcc, s38, v7
	v_mov_b32_e32 v14, 0
	v_mov_b32_e32 v25, 0
	;; [unrolled: 1-line block ×20, first 2 shown]
	s_and_saveexec_b64 s[16:17], vcc
	s_cbranch_execz .LBB162_31
; %bb.12:
	global_load_ubyte v25, v[1:2], off offset:1536
	global_load_ubyte v14, v[3:4], off offset:1536
	v_or_b32_e32 v7, 0x700, v0
	v_cmp_gt_u32_e32 vcc, s38, v7
	v_mov_b32_e32 v7, 0
	v_mov_b32_e32 v9, 0
	;; [unrolled: 1-line block ×18, first 2 shown]
	s_and_saveexec_b64 s[18:19], vcc
	s_cbranch_execz .LBB162_30
; %bb.13:
	global_load_ubyte v9, v[1:2], off offset:1792
	global_load_ubyte v7, v[3:4], off offset:1792
	v_or_b32_e32 v8, 0x800, v0
	v_cmp_gt_u32_e32 vcc, s38, v8
	v_mov_b32_e32 v8, 0
	v_mov_b32_e32 v21, 0
	;; [unrolled: 1-line block ×16, first 2 shown]
	s_and_saveexec_b64 s[20:21], vcc
	s_cbranch_execz .LBB162_29
; %bb.14:
	global_load_ubyte v21, v[1:2], off offset:2048
	global_load_ubyte v8, v[3:4], off offset:2048
	v_or_b32_e32 v22, 0x900, v0
	v_cmp_gt_u32_e32 vcc, s38, v22
	v_mov_b32_e32 v22, 0
	v_mov_b32_e32 v26, 0
	;; [unrolled: 1-line block ×14, first 2 shown]
	s_and_saveexec_b64 s[22:23], vcc
	s_cbranch_execz .LBB162_28
; %bb.15:
	global_load_ubyte v26, v[1:2], off offset:2304
	global_load_ubyte v22, v[3:4], off offset:2304
	v_or_b32_e32 v27, 0xa00, v0
	v_cmp_gt_u32_e32 vcc, s38, v27
	v_mov_b32_e32 v27, 0
	v_mov_b32_e32 v28, 0
	;; [unrolled: 1-line block ×12, first 2 shown]
	s_and_saveexec_b64 s[24:25], vcc
	s_cbranch_execz .LBB162_27
; %bb.16:
	global_load_ubyte v28, v[1:2], off offset:2560
	global_load_ubyte v27, v[3:4], off offset:2560
	v_or_b32_e32 v29, 0xb00, v0
	v_cmp_gt_u32_e32 vcc, s38, v29
	v_mov_b32_e32 v29, 0
	v_mov_b32_e32 v30, 0
	;; [unrolled: 1-line block ×10, first 2 shown]
	s_and_saveexec_b64 s[26:27], vcc
	s_cbranch_execz .LBB162_26
; %bb.17:
	global_load_ubyte v30, v[1:2], off offset:2816
	global_load_ubyte v29, v[3:4], off offset:2816
	v_or_b32_e32 v31, 0xc00, v0
	v_cmp_gt_u32_e32 vcc, s38, v31
	v_mov_b32_e32 v31, 0
	v_mov_b32_e32 v32, 0
	;; [unrolled: 1-line block ×8, first 2 shown]
	s_and_saveexec_b64 s[28:29], vcc
	s_cbranch_execz .LBB162_25
; %bb.18:
	global_load_ubyte v32, v[1:2], off offset:3072
	global_load_ubyte v31, v[3:4], off offset:3072
	v_or_b32_e32 v33, 0xd00, v0
	v_cmp_gt_u32_e32 vcc, s38, v33
	v_mov_b32_e32 v33, 0
	v_mov_b32_e32 v34, 0
	;; [unrolled: 1-line block ×6, first 2 shown]
	s_and_saveexec_b64 s[30:31], vcc
	s_cbranch_execz .LBB162_24
; %bb.19:
	global_load_ubyte v34, v[1:2], off offset:3328
	global_load_ubyte v33, v[3:4], off offset:3328
	v_or_b32_e32 v35, 0xe00, v0
	v_cmp_gt_u32_e32 vcc, s38, v35
	v_mov_b32_e32 v35, 0
	v_mov_b32_e32 v36, 0
	;; [unrolled: 1-line block ×4, first 2 shown]
	s_and_saveexec_b64 s[34:35], vcc
	s_cbranch_execz .LBB162_23
; %bb.20:
	global_load_ubyte v36, v[1:2], off offset:3584
	global_load_ubyte v35, v[3:4], off offset:3584
	v_or_b32_e32 v37, 0xf00, v0
	v_cmp_gt_u32_e32 vcc, s38, v37
	v_mov_b32_e32 v37, 0
	v_mov_b32_e32 v38, 0
	s_and_saveexec_b64 s[36:37], vcc
	s_cbranch_execz .LBB162_22
; %bb.21:
	global_load_ubyte v38, v[1:2], off offset:3840
	global_load_ubyte v37, v[3:4], off offset:3840
.LBB162_22:
	s_or_b64 exec, exec, s[36:37]
.LBB162_23:
	s_or_b64 exec, exec, s[34:35]
.LBB162_24:
	s_or_b64 exec, exec, s[30:31]
.LBB162_25:
	s_or_b64 exec, exec, s[28:29]
.LBB162_26:
	s_or_b64 exec, exec, s[26:27]
.LBB162_27:
	s_or_b64 exec, exec, s[24:25]
.LBB162_28:
	s_or_b64 exec, exec, s[22:23]
.LBB162_29:
	s_or_b64 exec, exec, s[20:21]
.LBB162_30:
	s_or_b64 exec, exec, s[18:19]
.LBB162_31:
	s_or_b64 exec, exec, s[16:17]
.LBB162_32:
	s_or_b64 exec, exec, s[14:15]
.LBB162_33:
	s_or_b64 exec, exec, s[12:13]
.LBB162_34:
	s_or_b64 exec, exec, s[10:11]
.LBB162_35:
	s_or_b64 exec, exec, s[6:7]
.LBB162_36:
	s_or_b64 exec, exec, s[4:5]
.LBB162_37:
	s_or_b64 exec, exec, s[2:3]
	v_mov_b32_e32 v1, 7
	s_waitcnt vmcnt(1)
	v_lshrrev_b16_sdwa v2, v1, sext(v18) dst_sel:DWORD dst_unused:UNUSED_PAD src0_sel:DWORD src1_sel:BYTE_0
	s_waitcnt vmcnt(0)
	v_ashrrev_i32_sdwa v3, v19, sext(v18) dst_sel:DWORD dst_unused:UNUSED_PAD src0_sel:DWORD src1_sel:BYTE_0
	v_mov_b32_e32 v18, 6
	v_cmp_gt_u16_sdwa vcc, v19, v18 src0_sel:BYTE_0 src1_sel:DWORD
	v_cndmask_b32_e32 v2, v3, v2, vcc
	s_mov_b32 s3, 0xffff
	v_lshrrev_b16_sdwa v3, v1, sext(v11) dst_sel:DWORD dst_unused:UNUSED_PAD src0_sel:DWORD src1_sel:BYTE_0
	v_ashrrev_i32_sdwa v4, v10, sext(v11) dst_sel:DWORD dst_unused:UNUSED_PAD src0_sel:DWORD src1_sel:BYTE_0
	v_cmp_gt_u16_sdwa vcc, v10, v18 src0_sel:BYTE_0 src1_sel:DWORD
	v_and_b32_sdwa v2, s3, v2 dst_sel:DWORD dst_unused:UNUSED_PAD src0_sel:DWORD src1_sel:BYTE_0
	v_cndmask_b32_e32 v3, v4, v3, vcc
	v_cndmask_b32_e64 v2, 0, v2, s[0:1]
	v_lshlrev_b16_e32 v3, 8, v3
	v_or_b32_e32 v3, v2, v3
	v_and_b32_e32 v3, 0xffff, v3
	v_cmp_gt_i32_e32 vcc, s38, v5
	v_cndmask_b32_e32 v2, v2, v3, vcc
	v_lshrrev_b16_sdwa v4, v1, sext(v23) dst_sel:DWORD dst_unused:UNUSED_PAD src0_sel:DWORD src1_sel:BYTE_0
	v_ashrrev_i32_sdwa v10, v16, sext(v23) dst_sel:DWORD dst_unused:UNUSED_PAD src0_sel:DWORD src1_sel:BYTE_0
	v_cmp_gt_u16_sdwa vcc, v16, v18 src0_sel:BYTE_0 src1_sel:DWORD
	v_cndmask_b32_e32 v4, v10, v4, vcc
	s_mov_b32 s4, 0xc0c0304
	v_or_b32_e32 v3, 0x200, v0
	v_perm_b32 v4, v4, v2, s4
	v_lshl_or_b32 v4, v4, 16, v2
	v_cmp_gt_i32_e32 vcc, s38, v3
	v_cndmask_b32_e32 v2, v2, v4, vcc
	v_lshrrev_b16_sdwa v10, v1, sext(v17) dst_sel:DWORD dst_unused:UNUSED_PAD src0_sel:DWORD src1_sel:BYTE_0
	v_ashrrev_i32_sdwa v11, v12, sext(v17) dst_sel:DWORD dst_unused:UNUSED_PAD src0_sel:DWORD src1_sel:BYTE_0
	v_cmp_gt_u16_sdwa vcc, v12, v18 src0_sel:BYTE_0 src1_sel:DWORD
	s_movk_i32 s2, 0xff
	v_cndmask_b32_e32 v10, v11, v10, vcc
	v_and_b32_sdwa v3, v2, s2 dst_sel:DWORD dst_unused:UNUSED_PAD src0_sel:WORD_1 src1_sel:DWORD
	v_lshlrev_b16_e32 v10, 8, v10
	v_or_b32_e32 v4, 0x300, v0
	v_or_b32_sdwa v3, v3, v10 dst_sel:WORD_1 dst_unused:UNUSED_PAD src0_sel:DWORD src1_sel:DWORD
	v_and_or_b32 v3, v2, s3, v3
	v_cmp_gt_i32_e32 vcc, s38, v4
	v_cndmask_b32_e32 v4, v2, v3, vcc
	v_lshrrev_b16_sdwa v2, v1, sext(v20) dst_sel:DWORD dst_unused:UNUSED_PAD src0_sel:DWORD src1_sel:BYTE_0
	v_ashrrev_i32_sdwa v3, v13, sext(v20) dst_sel:DWORD dst_unused:UNUSED_PAD src0_sel:DWORD src1_sel:BYTE_0
	v_cmp_gt_u16_sdwa vcc, v13, v18 src0_sel:BYTE_0 src1_sel:DWORD
	v_cndmask_b32_e32 v2, v3, v2, vcc
	s_mov_b32 s5, 0x3020104
	v_or_b32_e32 v3, 0x400, v0
	v_perm_b32 v2, v2, 0, s5
	v_cmp_gt_i32_e32 vcc, s38, v3
	v_cndmask_b32_e32 v2, 0, v2, vcc
	v_lshrrev_b16_sdwa v3, v1, sext(v24) dst_sel:DWORD dst_unused:UNUSED_PAD src0_sel:DWORD src1_sel:BYTE_0
	v_ashrrev_i32_sdwa v10, v15, sext(v24) dst_sel:DWORD dst_unused:UNUSED_PAD src0_sel:DWORD src1_sel:BYTE_0
	v_cmp_gt_u16_sdwa vcc, v15, v18 src0_sel:BYTE_0 src1_sel:DWORD
	v_cndmask_b32_e32 v3, v10, v3, vcc
	v_lshlrev_b16_e32 v3, 8, v3
	v_or_b32_sdwa v3, v2, v3 dst_sel:DWORD dst_unused:UNUSED_PAD src0_sel:BYTE_0 src1_sel:DWORD
	v_and_b32_e32 v3, 0xffff, v3
	s_mov_b32 s6, 0xffff0000
	v_or_b32_e32 v10, 0x500, v0
	v_and_or_b32 v3, v2, s6, v3
	v_cmp_gt_i32_e32 vcc, s38, v10
	v_cndmask_b32_e32 v2, v2, v3, vcc
	v_lshrrev_b16_sdwa v10, v1, sext(v25) dst_sel:DWORD dst_unused:UNUSED_PAD src0_sel:DWORD src1_sel:BYTE_0
	v_ashrrev_i32_sdwa v11, v14, sext(v25) dst_sel:DWORD dst_unused:UNUSED_PAD src0_sel:DWORD src1_sel:BYTE_0
	v_cmp_gt_u16_sdwa vcc, v14, v18 src0_sel:BYTE_0 src1_sel:DWORD
	v_or_b32_e32 v3, 0x600, v0
	v_cndmask_b32_e32 v10, v11, v10, vcc
	s_mov_b32 s7, 0x7000504
	v_perm_b32 v10, v2, v10, s7
	v_cmp_gt_i32_e32 vcc, s38, v3
	v_cndmask_b32_e32 v2, v2, v10, vcc
	v_lshrrev_b16_sdwa v11, v1, sext(v9) dst_sel:DWORD dst_unused:UNUSED_PAD src0_sel:DWORD src1_sel:BYTE_0
	v_ashrrev_i32_sdwa v9, v7, sext(v9) dst_sel:DWORD dst_unused:UNUSED_PAD src0_sel:DWORD src1_sel:BYTE_0
	v_cmp_gt_u16_sdwa vcc, v7, v18 src0_sel:BYTE_0 src1_sel:DWORD
	v_cndmask_b32_e32 v7, v9, v11, vcc
	v_and_b32_sdwa v3, v2, s2 dst_sel:DWORD dst_unused:UNUSED_PAD src0_sel:WORD_1 src1_sel:DWORD
	v_lshlrev_b16_e32 v7, 8, v7
	v_or_b32_e32 v10, 0x700, v0
	v_or_b32_sdwa v3, v3, v7 dst_sel:WORD_1 dst_unused:UNUSED_PAD src0_sel:DWORD src1_sel:DWORD
	v_and_or_b32 v3, v2, s3, v3
	v_cmp_gt_i32_e32 vcc, s38, v10
	v_cndmask_b32_e32 v3, v2, v3, vcc
	v_lshrrev_b16_sdwa v7, v1, sext(v21) dst_sel:DWORD dst_unused:UNUSED_PAD src0_sel:DWORD src1_sel:BYTE_0
	v_ashrrev_i32_sdwa v9, v8, sext(v21) dst_sel:DWORD dst_unused:UNUSED_PAD src0_sel:DWORD src1_sel:BYTE_0
	v_cmp_gt_u16_sdwa vcc, v8, v18 src0_sel:BYTE_0 src1_sel:DWORD
	v_or_b32_e32 v2, 0x800, v0
	v_cndmask_b32_e32 v7, v9, v7, vcc
	v_and_b32_sdwa v7, s3, v7 dst_sel:DWORD dst_unused:UNUSED_PAD src0_sel:DWORD src1_sel:BYTE_0
	v_cmp_gt_i32_e32 vcc, s38, v2
	v_cndmask_b32_e32 v2, 0, v7, vcc
	v_lshrrev_b16_sdwa v8, v1, sext(v26) dst_sel:DWORD dst_unused:UNUSED_PAD src0_sel:DWORD src1_sel:BYTE_0
	v_ashrrev_i32_sdwa v9, v22, sext(v26) dst_sel:DWORD dst_unused:UNUSED_PAD src0_sel:DWORD src1_sel:BYTE_0
	v_cmp_gt_u16_sdwa vcc, v22, v18 src0_sel:BYTE_0 src1_sel:DWORD
	v_cndmask_b32_e32 v8, v9, v8, vcc
	v_lshlrev_b16_e32 v8, 8, v8
	v_or_b32_e32 v7, 0x900, v0
	v_or_b32_e32 v8, v2, v8
	v_and_b32_e32 v8, 0xffff, v8
	v_cmp_gt_i32_e32 vcc, s38, v7
	v_cndmask_b32_e32 v2, v2, v8, vcc
	v_lshrrev_b16_sdwa v8, v1, sext(v28) dst_sel:DWORD dst_unused:UNUSED_PAD src0_sel:DWORD src1_sel:BYTE_0
	v_ashrrev_i32_sdwa v9, v27, sext(v28) dst_sel:DWORD dst_unused:UNUSED_PAD src0_sel:DWORD src1_sel:BYTE_0
	v_cmp_gt_u16_sdwa vcc, v27, v18 src0_sel:BYTE_0 src1_sel:DWORD
	v_cndmask_b32_e32 v8, v9, v8, vcc
	v_or_b32_e32 v7, 0xa00, v0
	v_perm_b32 v8, v8, v2, s4
	v_lshl_or_b32 v8, v8, 16, v2
	v_cmp_gt_i32_e32 vcc, s38, v7
	v_cndmask_b32_e32 v2, v2, v8, vcc
	v_lshrrev_b16_sdwa v9, v1, sext(v30) dst_sel:DWORD dst_unused:UNUSED_PAD src0_sel:DWORD src1_sel:BYTE_0
	v_ashrrev_i32_sdwa v10, v29, sext(v30) dst_sel:DWORD dst_unused:UNUSED_PAD src0_sel:DWORD src1_sel:BYTE_0
	v_cmp_gt_u16_sdwa vcc, v29, v18 src0_sel:BYTE_0 src1_sel:DWORD
	v_cndmask_b32_e32 v9, v10, v9, vcc
	v_and_b32_sdwa v7, v2, s2 dst_sel:DWORD dst_unused:UNUSED_PAD src0_sel:WORD_1 src1_sel:DWORD
	v_lshlrev_b16_e32 v9, 8, v9
	v_or_b32_e32 v8, 0xb00, v0
	v_or_b32_sdwa v7, v7, v9 dst_sel:WORD_1 dst_unused:UNUSED_PAD src0_sel:DWORD src1_sel:DWORD
	v_and_or_b32 v7, v2, s3, v7
	v_cmp_gt_i32_e32 vcc, s38, v8
	v_cndmask_b32_e32 v2, v2, v7, vcc
	v_lshrrev_b16_sdwa v7, v1, sext(v32) dst_sel:DWORD dst_unused:UNUSED_PAD src0_sel:DWORD src1_sel:BYTE_0
	v_ashrrev_i32_sdwa v8, v31, sext(v32) dst_sel:DWORD dst_unused:UNUSED_PAD src0_sel:DWORD src1_sel:BYTE_0
	v_cmp_gt_u16_sdwa vcc, v31, v18 src0_sel:BYTE_0 src1_sel:DWORD
	v_cndmask_b32_e32 v7, v8, v7, vcc
	v_or_b32_e32 v8, 0xc00, v0
	v_perm_b32 v7, v7, 0, s5
	v_cmp_gt_i32_e32 vcc, s38, v8
	v_cndmask_b32_e32 v7, 0, v7, vcc
	v_lshrrev_b16_sdwa v8, v1, sext(v34) dst_sel:DWORD dst_unused:UNUSED_PAD src0_sel:DWORD src1_sel:BYTE_0
	v_ashrrev_i32_sdwa v9, v33, sext(v34) dst_sel:DWORD dst_unused:UNUSED_PAD src0_sel:DWORD src1_sel:BYTE_0
	v_cmp_gt_u16_sdwa vcc, v33, v18 src0_sel:BYTE_0 src1_sel:DWORD
	v_cndmask_b32_e32 v8, v9, v8, vcc
	v_lshlrev_b16_e32 v8, 8, v8
	v_or_b32_sdwa v8, v7, v8 dst_sel:DWORD dst_unused:UNUSED_PAD src0_sel:BYTE_0 src1_sel:DWORD
	v_and_b32_e32 v8, 0xffff, v8
	v_or_b32_e32 v9, 0xd00, v0
	v_and_or_b32 v8, v7, s6, v8
	v_cmp_gt_i32_e32 vcc, s38, v9
	v_cndmask_b32_e32 v7, v7, v8, vcc
	v_lshrrev_b16_sdwa v9, v1, sext(v36) dst_sel:DWORD dst_unused:UNUSED_PAD src0_sel:DWORD src1_sel:BYTE_0
	v_ashrrev_i32_sdwa v10, v35, sext(v36) dst_sel:DWORD dst_unused:UNUSED_PAD src0_sel:DWORD src1_sel:BYTE_0
	v_cmp_gt_u16_sdwa vcc, v35, v18 src0_sel:BYTE_0 src1_sel:DWORD
	v_or_b32_e32 v8, 0xe00, v0
	v_cndmask_b32_e32 v9, v10, v9, vcc
	v_perm_b32 v9, v7, v9, s7
	v_cmp_gt_i32_e32 vcc, s38, v8
	v_cndmask_b32_e32 v7, v7, v9, vcc
	v_cmp_gt_u16_sdwa vcc, v37, v18 src0_sel:BYTE_0 src1_sel:DWORD
	v_lshrrev_b16_sdwa v1, v1, sext(v38) dst_sel:DWORD dst_unused:UNUSED_PAD src0_sel:DWORD src1_sel:BYTE_0
	v_ashrrev_i32_sdwa v10, v37, sext(v38) dst_sel:DWORD dst_unused:UNUSED_PAD src0_sel:DWORD src1_sel:BYTE_0
	v_and_b32_sdwa v8, v7, s2 dst_sel:DWORD dst_unused:UNUSED_PAD src0_sel:WORD_1 src1_sel:DWORD
	v_cndmask_b32_sdwa v1, v10, v1, vcc dst_sel:BYTE_1 dst_unused:UNUSED_PAD src0_sel:DWORD src1_sel:DWORD
	v_or_b32_e32 v9, 0xf00, v0
	v_or_b32_sdwa v1, v8, v1 dst_sel:WORD_1 dst_unused:UNUSED_PAD src0_sel:DWORD src1_sel:DWORD
	v_and_or_b32 v1, v7, s3, v1
	v_cmp_gt_i32_e32 vcc, s38, v9
	v_cndmask_b32_e32 v1, v7, v1, vcc
	s_and_saveexec_b64 s[2:3], s[0:1]
	s_cbranch_execnz .LBB162_55
; %bb.38:
	s_or_b64 exec, exec, s[2:3]
	v_cmp_gt_i32_e32 vcc, s38, v0
	s_and_saveexec_b64 s[0:1], vcc
	s_cbranch_execnz .LBB162_56
.LBB162_39:
	s_or_b64 exec, exec, s[0:1]
	v_cmp_gt_i32_e32 vcc, s38, v0
	s_and_saveexec_b64 s[0:1], vcc
	s_cbranch_execnz .LBB162_57
.LBB162_40:
	s_or_b64 exec, exec, s[0:1]
	v_cmp_gt_i32_e32 vcc, s38, v0
	s_and_saveexec_b64 s[0:1], vcc
	s_cbranch_execnz .LBB162_58
.LBB162_41:
	s_or_b64 exec, exec, s[0:1]
	v_cmp_gt_i32_e32 vcc, s38, v0
	s_and_saveexec_b64 s[0:1], vcc
	s_cbranch_execnz .LBB162_59
.LBB162_42:
	s_or_b64 exec, exec, s[0:1]
	v_cmp_gt_i32_e32 vcc, s38, v0
	s_and_saveexec_b64 s[0:1], vcc
	s_cbranch_execnz .LBB162_60
.LBB162_43:
	s_or_b64 exec, exec, s[0:1]
	v_cmp_gt_i32_e32 vcc, s38, v0
	s_and_saveexec_b64 s[0:1], vcc
	s_cbranch_execnz .LBB162_61
.LBB162_44:
	s_or_b64 exec, exec, s[0:1]
	v_cmp_gt_i32_e32 vcc, s38, v0
	s_and_saveexec_b64 s[0:1], vcc
	s_cbranch_execnz .LBB162_62
.LBB162_45:
	s_or_b64 exec, exec, s[0:1]
	v_cmp_gt_i32_e32 vcc, s38, v0
	s_and_saveexec_b64 s[0:1], vcc
	s_cbranch_execnz .LBB162_63
.LBB162_46:
	s_or_b64 exec, exec, s[0:1]
	v_cmp_gt_i32_e32 vcc, s38, v0
	s_and_saveexec_b64 s[0:1], vcc
	s_cbranch_execnz .LBB162_64
.LBB162_47:
	s_or_b64 exec, exec, s[0:1]
	v_cmp_gt_i32_e32 vcc, s38, v0
	s_and_saveexec_b64 s[0:1], vcc
	s_cbranch_execnz .LBB162_65
.LBB162_48:
	s_or_b64 exec, exec, s[0:1]
	v_cmp_gt_i32_e32 vcc, s38, v0
	s_and_saveexec_b64 s[0:1], vcc
	s_cbranch_execnz .LBB162_66
.LBB162_49:
	s_or_b64 exec, exec, s[0:1]
	v_cmp_gt_i32_e32 vcc, s38, v0
	s_and_saveexec_b64 s[0:1], vcc
	s_cbranch_execnz .LBB162_67
.LBB162_50:
	s_or_b64 exec, exec, s[0:1]
	v_cmp_gt_i32_e32 vcc, s38, v0
	s_and_saveexec_b64 s[0:1], vcc
	s_cbranch_execnz .LBB162_68
.LBB162_51:
	s_or_b64 exec, exec, s[0:1]
	v_cmp_gt_i32_e32 vcc, s38, v0
	s_and_saveexec_b64 s[0:1], vcc
	s_cbranch_execnz .LBB162_69
.LBB162_52:
	s_or_b64 exec, exec, s[0:1]
	v_cmp_gt_i32_e32 vcc, s38, v0
	s_and_saveexec_b64 s[0:1], vcc
	s_cbranch_execz .LBB162_54
.LBB162_53:
	v_lshrrev_b32_e32 v1, 24, v1
	v_add_u32_e32 v0, s33, v0
	global_store_byte v0, v1, s[8:9]
.LBB162_54:
	s_endpgm
.LBB162_55:
	v_mov_b32_e32 v0, v5
	global_store_byte v6, v4, s[8:9]
	s_or_b64 exec, exec, s[2:3]
	v_cmp_gt_i32_e32 vcc, s38, v0
	s_and_saveexec_b64 s[0:1], vcc
	s_cbranch_execz .LBB162_39
.LBB162_56:
	v_lshrrev_b32_e32 v5, 8, v4
	v_add_u32_e32 v6, s33, v0
	v_add_u32_e32 v0, 0x100, v0
	global_store_byte v6, v5, s[8:9]
	s_or_b64 exec, exec, s[0:1]
	v_cmp_gt_i32_e32 vcc, s38, v0
	s_and_saveexec_b64 s[0:1], vcc
	s_cbranch_execz .LBB162_40
.LBB162_57:
	v_add_u32_e32 v5, s33, v0
	v_add_u32_e32 v0, 0x100, v0
	global_store_byte_d16_hi v5, v4, s[8:9]
	s_or_b64 exec, exec, s[0:1]
	v_cmp_gt_i32_e32 vcc, s38, v0
	s_and_saveexec_b64 s[0:1], vcc
	s_cbranch_execz .LBB162_41
.LBB162_58:
	v_lshrrev_b32_e32 v4, 24, v4
	v_add_u32_e32 v5, s33, v0
	v_add_u32_e32 v0, 0x100, v0
	global_store_byte v5, v4, s[8:9]
	s_or_b64 exec, exec, s[0:1]
	v_cmp_gt_i32_e32 vcc, s38, v0
	s_and_saveexec_b64 s[0:1], vcc
	s_cbranch_execz .LBB162_42
.LBB162_59:
	v_add_u32_e32 v4, s33, v0
	v_add_u32_e32 v0, 0x100, v0
	global_store_byte v4, v3, s[8:9]
	s_or_b64 exec, exec, s[0:1]
	v_cmp_gt_i32_e32 vcc, s38, v0
	s_and_saveexec_b64 s[0:1], vcc
	s_cbranch_execz .LBB162_43
.LBB162_60:
	v_lshrrev_b32_e32 v4, 8, v3
	v_add_u32_e32 v5, s33, v0
	v_add_u32_e32 v0, 0x100, v0
	global_store_byte v5, v4, s[8:9]
	s_or_b64 exec, exec, s[0:1]
	v_cmp_gt_i32_e32 vcc, s38, v0
	s_and_saveexec_b64 s[0:1], vcc
	s_cbranch_execz .LBB162_44
.LBB162_61:
	v_add_u32_e32 v4, s33, v0
	v_add_u32_e32 v0, 0x100, v0
	global_store_byte_d16_hi v4, v3, s[8:9]
	s_or_b64 exec, exec, s[0:1]
	v_cmp_gt_i32_e32 vcc, s38, v0
	s_and_saveexec_b64 s[0:1], vcc
	s_cbranch_execz .LBB162_45
.LBB162_62:
	v_lshrrev_b32_e32 v3, 24, v3
	v_add_u32_e32 v4, s33, v0
	v_add_u32_e32 v0, 0x100, v0
	global_store_byte v4, v3, s[8:9]
	s_or_b64 exec, exec, s[0:1]
	v_cmp_gt_i32_e32 vcc, s38, v0
	s_and_saveexec_b64 s[0:1], vcc
	s_cbranch_execz .LBB162_46
.LBB162_63:
	v_add_u32_e32 v3, s33, v0
	v_add_u32_e32 v0, 0x100, v0
	global_store_byte v3, v2, s[8:9]
	s_or_b64 exec, exec, s[0:1]
	v_cmp_gt_i32_e32 vcc, s38, v0
	s_and_saveexec_b64 s[0:1], vcc
	s_cbranch_execz .LBB162_47
.LBB162_64:
	v_lshrrev_b32_e32 v3, 8, v2
	v_add_u32_e32 v4, s33, v0
	v_add_u32_e32 v0, 0x100, v0
	global_store_byte v4, v3, s[8:9]
	s_or_b64 exec, exec, s[0:1]
	v_cmp_gt_i32_e32 vcc, s38, v0
	s_and_saveexec_b64 s[0:1], vcc
	s_cbranch_execz .LBB162_48
.LBB162_65:
	v_add_u32_e32 v3, s33, v0
	v_add_u32_e32 v0, 0x100, v0
	global_store_byte_d16_hi v3, v2, s[8:9]
	s_or_b64 exec, exec, s[0:1]
	v_cmp_gt_i32_e32 vcc, s38, v0
	s_and_saveexec_b64 s[0:1], vcc
	s_cbranch_execz .LBB162_49
.LBB162_66:
	v_lshrrev_b32_e32 v2, 24, v2
	v_add_u32_e32 v3, s33, v0
	v_add_u32_e32 v0, 0x100, v0
	global_store_byte v3, v2, s[8:9]
	s_or_b64 exec, exec, s[0:1]
	v_cmp_gt_i32_e32 vcc, s38, v0
	s_and_saveexec_b64 s[0:1], vcc
	s_cbranch_execz .LBB162_50
.LBB162_67:
	v_add_u32_e32 v2, s33, v0
	v_add_u32_e32 v0, 0x100, v0
	global_store_byte v2, v1, s[8:9]
	s_or_b64 exec, exec, s[0:1]
	v_cmp_gt_i32_e32 vcc, s38, v0
	s_and_saveexec_b64 s[0:1], vcc
	s_cbranch_execz .LBB162_51
.LBB162_68:
	v_lshrrev_b32_e32 v2, 8, v1
	v_add_u32_e32 v3, s33, v0
	v_add_u32_e32 v0, 0x100, v0
	global_store_byte v3, v2, s[8:9]
	s_or_b64 exec, exec, s[0:1]
	v_cmp_gt_i32_e32 vcc, s38, v0
	s_and_saveexec_b64 s[0:1], vcc
	s_cbranch_execz .LBB162_52
.LBB162_69:
	v_add_u32_e32 v2, s33, v0
	v_add_u32_e32 v0, 0x100, v0
	global_store_byte_d16_hi v2, v1, s[8:9]
	s_or_b64 exec, exec, s[0:1]
	v_cmp_gt_i32_e32 vcc, s38, v0
	s_and_saveexec_b64 s[0:1], vcc
	s_cbranch_execnz .LBB162_53
	s_branch .LBB162_54
	.section	.rodata,"a",@progbits
	.p2align	6, 0x0
	.amdhsa_kernel _ZN2at6native29vectorized_elementwise_kernelILi4ENS0_13BinaryFunctorIaaaZZZNS0_18rshift_kernel_cudaERNS_18TensorIteratorBaseEENKUlvE_clEvENKUlvE0_clEvEUlaaE_EESt5arrayIPcLm3EEEEviT0_T1_
		.amdhsa_group_segment_fixed_size 0
		.amdhsa_private_segment_fixed_size 0
		.amdhsa_kernarg_size 32
		.amdhsa_user_sgpr_count 6
		.amdhsa_user_sgpr_private_segment_buffer 1
		.amdhsa_user_sgpr_dispatch_ptr 0
		.amdhsa_user_sgpr_queue_ptr 0
		.amdhsa_user_sgpr_kernarg_segment_ptr 1
		.amdhsa_user_sgpr_dispatch_id 0
		.amdhsa_user_sgpr_flat_scratch_init 0
		.amdhsa_user_sgpr_private_segment_size 0
		.amdhsa_uses_dynamic_stack 0
		.amdhsa_system_sgpr_private_segment_wavefront_offset 0
		.amdhsa_system_sgpr_workgroup_id_x 1
		.amdhsa_system_sgpr_workgroup_id_y 0
		.amdhsa_system_sgpr_workgroup_id_z 0
		.amdhsa_system_sgpr_workgroup_info 0
		.amdhsa_system_vgpr_workitem_id 0
		.amdhsa_next_free_vgpr 39
		.amdhsa_next_free_sgpr 39
		.amdhsa_reserve_vcc 1
		.amdhsa_reserve_flat_scratch 0
		.amdhsa_float_round_mode_32 0
		.amdhsa_float_round_mode_16_64 0
		.amdhsa_float_denorm_mode_32 3
		.amdhsa_float_denorm_mode_16_64 3
		.amdhsa_dx10_clamp 1
		.amdhsa_ieee_mode 1
		.amdhsa_fp16_overflow 0
		.amdhsa_exception_fp_ieee_invalid_op 0
		.amdhsa_exception_fp_denorm_src 0
		.amdhsa_exception_fp_ieee_div_zero 0
		.amdhsa_exception_fp_ieee_overflow 0
		.amdhsa_exception_fp_ieee_underflow 0
		.amdhsa_exception_fp_ieee_inexact 0
		.amdhsa_exception_int_div_zero 0
	.end_amdhsa_kernel
	.section	.text._ZN2at6native29vectorized_elementwise_kernelILi4ENS0_13BinaryFunctorIaaaZZZNS0_18rshift_kernel_cudaERNS_18TensorIteratorBaseEENKUlvE_clEvENKUlvE0_clEvEUlaaE_EESt5arrayIPcLm3EEEEviT0_T1_,"axG",@progbits,_ZN2at6native29vectorized_elementwise_kernelILi4ENS0_13BinaryFunctorIaaaZZZNS0_18rshift_kernel_cudaERNS_18TensorIteratorBaseEENKUlvE_clEvENKUlvE0_clEvEUlaaE_EESt5arrayIPcLm3EEEEviT0_T1_,comdat
.Lfunc_end162:
	.size	_ZN2at6native29vectorized_elementwise_kernelILi4ENS0_13BinaryFunctorIaaaZZZNS0_18rshift_kernel_cudaERNS_18TensorIteratorBaseEENKUlvE_clEvENKUlvE0_clEvEUlaaE_EESt5arrayIPcLm3EEEEviT0_T1_, .Lfunc_end162-_ZN2at6native29vectorized_elementwise_kernelILi4ENS0_13BinaryFunctorIaaaZZZNS0_18rshift_kernel_cudaERNS_18TensorIteratorBaseEENKUlvE_clEvENKUlvE0_clEvEUlaaE_EESt5arrayIPcLm3EEEEviT0_T1_
                                        ; -- End function
	.set _ZN2at6native29vectorized_elementwise_kernelILi4ENS0_13BinaryFunctorIaaaZZZNS0_18rshift_kernel_cudaERNS_18TensorIteratorBaseEENKUlvE_clEvENKUlvE0_clEvEUlaaE_EESt5arrayIPcLm3EEEEviT0_T1_.num_vgpr, 39
	.set _ZN2at6native29vectorized_elementwise_kernelILi4ENS0_13BinaryFunctorIaaaZZZNS0_18rshift_kernel_cudaERNS_18TensorIteratorBaseEENKUlvE_clEvENKUlvE0_clEvEUlaaE_EESt5arrayIPcLm3EEEEviT0_T1_.num_agpr, 0
	.set _ZN2at6native29vectorized_elementwise_kernelILi4ENS0_13BinaryFunctorIaaaZZZNS0_18rshift_kernel_cudaERNS_18TensorIteratorBaseEENKUlvE_clEvENKUlvE0_clEvEUlaaE_EESt5arrayIPcLm3EEEEviT0_T1_.numbered_sgpr, 39
	.set _ZN2at6native29vectorized_elementwise_kernelILi4ENS0_13BinaryFunctorIaaaZZZNS0_18rshift_kernel_cudaERNS_18TensorIteratorBaseEENKUlvE_clEvENKUlvE0_clEvEUlaaE_EESt5arrayIPcLm3EEEEviT0_T1_.num_named_barrier, 0
	.set _ZN2at6native29vectorized_elementwise_kernelILi4ENS0_13BinaryFunctorIaaaZZZNS0_18rshift_kernel_cudaERNS_18TensorIteratorBaseEENKUlvE_clEvENKUlvE0_clEvEUlaaE_EESt5arrayIPcLm3EEEEviT0_T1_.private_seg_size, 0
	.set _ZN2at6native29vectorized_elementwise_kernelILi4ENS0_13BinaryFunctorIaaaZZZNS0_18rshift_kernel_cudaERNS_18TensorIteratorBaseEENKUlvE_clEvENKUlvE0_clEvEUlaaE_EESt5arrayIPcLm3EEEEviT0_T1_.uses_vcc, 1
	.set _ZN2at6native29vectorized_elementwise_kernelILi4ENS0_13BinaryFunctorIaaaZZZNS0_18rshift_kernel_cudaERNS_18TensorIteratorBaseEENKUlvE_clEvENKUlvE0_clEvEUlaaE_EESt5arrayIPcLm3EEEEviT0_T1_.uses_flat_scratch, 0
	.set _ZN2at6native29vectorized_elementwise_kernelILi4ENS0_13BinaryFunctorIaaaZZZNS0_18rshift_kernel_cudaERNS_18TensorIteratorBaseEENKUlvE_clEvENKUlvE0_clEvEUlaaE_EESt5arrayIPcLm3EEEEviT0_T1_.has_dyn_sized_stack, 0
	.set _ZN2at6native29vectorized_elementwise_kernelILi4ENS0_13BinaryFunctorIaaaZZZNS0_18rshift_kernel_cudaERNS_18TensorIteratorBaseEENKUlvE_clEvENKUlvE0_clEvEUlaaE_EESt5arrayIPcLm3EEEEviT0_T1_.has_recursion, 0
	.set _ZN2at6native29vectorized_elementwise_kernelILi4ENS0_13BinaryFunctorIaaaZZZNS0_18rshift_kernel_cudaERNS_18TensorIteratorBaseEENKUlvE_clEvENKUlvE0_clEvEUlaaE_EESt5arrayIPcLm3EEEEviT0_T1_.has_indirect_call, 0
	.section	.AMDGPU.csdata,"",@progbits
; Kernel info:
; codeLenInByte = 4528
; TotalNumSgprs: 43
; NumVgprs: 39
; ScratchSize: 0
; MemoryBound: 0
; FloatMode: 240
; IeeeMode: 1
; LDSByteSize: 0 bytes/workgroup (compile time only)
; SGPRBlocks: 5
; VGPRBlocks: 9
; NumSGPRsForWavesPerEU: 43
; NumVGPRsForWavesPerEU: 39
; Occupancy: 6
; WaveLimiterHint : 1
; COMPUTE_PGM_RSRC2:SCRATCH_EN: 0
; COMPUTE_PGM_RSRC2:USER_SGPR: 6
; COMPUTE_PGM_RSRC2:TRAP_HANDLER: 0
; COMPUTE_PGM_RSRC2:TGID_X_EN: 1
; COMPUTE_PGM_RSRC2:TGID_Y_EN: 0
; COMPUTE_PGM_RSRC2:TGID_Z_EN: 0
; COMPUTE_PGM_RSRC2:TIDIG_COMP_CNT: 0
	.section	.text._ZN2at6native29vectorized_elementwise_kernelILi2ENS0_13BinaryFunctorIaaaZZZNS0_18rshift_kernel_cudaERNS_18TensorIteratorBaseEENKUlvE_clEvENKUlvE0_clEvEUlaaE_EESt5arrayIPcLm3EEEEviT0_T1_,"axG",@progbits,_ZN2at6native29vectorized_elementwise_kernelILi2ENS0_13BinaryFunctorIaaaZZZNS0_18rshift_kernel_cudaERNS_18TensorIteratorBaseEENKUlvE_clEvENKUlvE0_clEvEUlaaE_EESt5arrayIPcLm3EEEEviT0_T1_,comdat
	.globl	_ZN2at6native29vectorized_elementwise_kernelILi2ENS0_13BinaryFunctorIaaaZZZNS0_18rshift_kernel_cudaERNS_18TensorIteratorBaseEENKUlvE_clEvENKUlvE0_clEvEUlaaE_EESt5arrayIPcLm3EEEEviT0_T1_ ; -- Begin function _ZN2at6native29vectorized_elementwise_kernelILi2ENS0_13BinaryFunctorIaaaZZZNS0_18rshift_kernel_cudaERNS_18TensorIteratorBaseEENKUlvE_clEvENKUlvE0_clEvEUlaaE_EESt5arrayIPcLm3EEEEviT0_T1_
	.p2align	8
	.type	_ZN2at6native29vectorized_elementwise_kernelILi2ENS0_13BinaryFunctorIaaaZZZNS0_18rshift_kernel_cudaERNS_18TensorIteratorBaseEENKUlvE_clEvENKUlvE0_clEvEUlaaE_EESt5arrayIPcLm3EEEEviT0_T1_,@function
_ZN2at6native29vectorized_elementwise_kernelILi2ENS0_13BinaryFunctorIaaaZZZNS0_18rshift_kernel_cudaERNS_18TensorIteratorBaseEENKUlvE_clEvENKUlvE0_clEvEUlaaE_EESt5arrayIPcLm3EEEEviT0_T1_: ; @_ZN2at6native29vectorized_elementwise_kernelILi2ENS0_13BinaryFunctorIaaaZZZNS0_18rshift_kernel_cudaERNS_18TensorIteratorBaseEENKUlvE_clEvENKUlvE0_clEvEUlaaE_EESt5arrayIPcLm3EEEEviT0_T1_
; %bb.0:
	s_load_dword s0, s[4:5], 0x0
	s_load_dwordx4 s[8:11], s[4:5], 0x8
	s_load_dwordx2 s[12:13], s[4:5], 0x18
	s_lshl_b32 s33, s6, 12
	s_waitcnt lgkmcnt(0)
	s_sub_i32 s38, s0, s33
	s_cmpk_gt_i32 s38, 0xfff
	s_mov_b64 s[0:1], -1
	s_cbranch_scc0 .LBB163_2
; %bb.1:
	s_ashr_i32 s2, s33, 31
	s_add_u32 s0, s10, s33
	s_addc_u32 s1, s11, s2
	v_lshlrev_b32_e32 v1, 1, v0
	global_load_ushort v2, v1, s[0:1]
	global_load_ushort v3, v1, s[0:1] offset:512
	global_load_ushort v4, v1, s[0:1] offset:1024
	;; [unrolled: 1-line block ×7, first 2 shown]
	s_add_u32 s0, s12, s33
	s_addc_u32 s1, s13, s2
	global_load_ushort v10, v1, s[0:1]
	global_load_ushort v11, v1, s[0:1] offset:512
	global_load_ushort v12, v1, s[0:1] offset:1024
	;; [unrolled: 1-line block ×7, first 2 shown]
	v_mov_b32_e32 v18, 6
	s_mov_b32 s0, 0xffff
	v_mov_b32_e32 v19, 7
	s_waitcnt vmcnt(15)
	v_lshrrev_b16_e32 v20, 8, v2
	s_waitcnt vmcnt(14)
	v_lshrrev_b16_e32 v21, 8, v3
	v_ashrrev_i16_e32 v29, 15, v2
	s_waitcnt vmcnt(7)
	v_ashrrev_i32_sdwa v20, v10, sext(v20) dst_sel:DWORD dst_unused:UNUSED_PAD src0_sel:BYTE_1 src1_sel:BYTE_0
	v_cmp_gt_u16_sdwa vcc, v10, v18 src0_sel:BYTE_1 src1_sel:DWORD
	v_lshrrev_b16_e32 v22, 8, v4
	v_ashrrev_i16_e32 v31, 15, v3
	v_cndmask_b32_e32 v20, v20, v29, vcc
	s_waitcnt vmcnt(6)
	v_ashrrev_i32_sdwa v21, v11, sext(v21) dst_sel:DWORD dst_unused:UNUSED_PAD src0_sel:BYTE_1 src1_sel:BYTE_0
	v_cmp_gt_u16_sdwa vcc, v11, v18 src0_sel:BYTE_1 src1_sel:DWORD
	v_lshrrev_b16_e32 v23, 8, v5
	v_ashrrev_i16_e32 v33, 15, v4
	v_and_b32_sdwa v35, s0, v10 dst_sel:DWORD dst_unused:UNUSED_PAD src0_sel:DWORD src1_sel:BYTE_0
	v_cndmask_b32_e32 v21, v21, v31, vcc
	s_waitcnt vmcnt(5)
	v_ashrrev_i32_sdwa v22, v12, sext(v22) dst_sel:DWORD dst_unused:UNUSED_PAD src0_sel:BYTE_1 src1_sel:BYTE_0
	v_cmp_gt_u16_sdwa vcc, v12, v18 src0_sel:BYTE_1 src1_sel:DWORD
	v_lshrrev_b16_e32 v24, 8, v6
	v_lshrrev_b16_sdwa v28, v19, sext(v2) dst_sel:DWORD dst_unused:UNUSED_PAD src0_sel:DWORD src1_sel:BYTE_0
	v_ashrrev_i32_sdwa v2, v35, sext(v2) dst_sel:DWORD dst_unused:UNUSED_PAD src0_sel:DWORD src1_sel:BYTE_0
	v_ashrrev_i16_e32 v35, 15, v5
	v_and_b32_sdwa v31, s0, v12 dst_sel:DWORD dst_unused:UNUSED_PAD src0_sel:DWORD src1_sel:BYTE_0
	v_cndmask_b32_e32 v22, v22, v33, vcc
	s_waitcnt vmcnt(4)
	v_ashrrev_i32_sdwa v23, v13, sext(v23) dst_sel:DWORD dst_unused:UNUSED_PAD src0_sel:BYTE_1 src1_sel:BYTE_0
	v_cmp_gt_u16_sdwa vcc, v13, v18 src0_sel:BYTE_1 src1_sel:DWORD
	v_lshrrev_b16_e32 v25, 8, v7
	v_lshrrev_b16_sdwa v32, v19, sext(v4) dst_sel:DWORD dst_unused:UNUSED_PAD src0_sel:DWORD src1_sel:BYTE_0
	v_and_b32_sdwa v29, s0, v11 dst_sel:DWORD dst_unused:UNUSED_PAD src0_sel:DWORD src1_sel:BYTE_0
	v_ashrrev_i32_sdwa v4, v31, sext(v4) dst_sel:DWORD dst_unused:UNUSED_PAD src0_sel:DWORD src1_sel:BYTE_0
	v_ashrrev_i16_e32 v31, 15, v6
	v_cndmask_b32_e32 v23, v23, v35, vcc
	s_waitcnt vmcnt(3)
	v_and_b32_sdwa v35, s0, v14 dst_sel:DWORD dst_unused:UNUSED_PAD src0_sel:DWORD src1_sel:BYTE_0
	v_ashrrev_i32_sdwa v24, v14, sext(v24) dst_sel:DWORD dst_unused:UNUSED_PAD src0_sel:BYTE_1 src1_sel:BYTE_0
	v_cmp_gt_u16_sdwa vcc, v14, v18 src0_sel:BYTE_1 src1_sel:DWORD
	v_lshrrev_b16_sdwa v30, v19, sext(v3) dst_sel:DWORD dst_unused:UNUSED_PAD src0_sel:DWORD src1_sel:BYTE_0
	v_ashrrev_i32_sdwa v3, v29, sext(v3) dst_sel:DWORD dst_unused:UNUSED_PAD src0_sel:DWORD src1_sel:BYTE_0
	v_lshrrev_b16_sdwa v29, v19, sext(v6) dst_sel:DWORD dst_unused:UNUSED_PAD src0_sel:DWORD src1_sel:BYTE_0
	v_ashrrev_i32_sdwa v6, v35, sext(v6) dst_sel:DWORD dst_unused:UNUSED_PAD src0_sel:DWORD src1_sel:BYTE_0
	v_ashrrev_i16_e32 v35, 15, v7
	v_cndmask_b32_e32 v24, v24, v31, vcc
	s_waitcnt vmcnt(2)
	v_ashrrev_i32_sdwa v25, v15, sext(v25) dst_sel:DWORD dst_unused:UNUSED_PAD src0_sel:BYTE_1 src1_sel:BYTE_0
	v_cmp_gt_u16_sdwa vcc, v15, v18 src0_sel:BYTE_1 src1_sel:DWORD
	v_cndmask_b32_e32 v25, v25, v35, vcc
	v_cmp_gt_u16_sdwa vcc, v10, v18 src0_sel:BYTE_0 src1_sel:DWORD
	v_cndmask_b32_e32 v2, v2, v28, vcc
	v_cmp_gt_u16_sdwa vcc, v11, v18 src0_sel:BYTE_0 src1_sel:DWORD
	v_and_b32_sdwa v33, s0, v13 dst_sel:DWORD dst_unused:UNUSED_PAD src0_sel:DWORD src1_sel:BYTE_0
	v_cndmask_b32_e32 v3, v3, v30, vcc
	v_cmp_gt_u16_sdwa vcc, v12, v18 src0_sel:BYTE_0 src1_sel:DWORD
	v_lshrrev_b16_sdwa v34, v19, sext(v5) dst_sel:DWORD dst_unused:UNUSED_PAD src0_sel:DWORD src1_sel:BYTE_0
	v_ashrrev_i32_sdwa v5, v33, sext(v5) dst_sel:DWORD dst_unused:UNUSED_PAD src0_sel:DWORD src1_sel:BYTE_0
	v_cndmask_b32_e32 v4, v4, v32, vcc
	v_cmp_gt_u16_sdwa vcc, v13, v18 src0_sel:BYTE_0 src1_sel:DWORD
	v_and_b32_sdwa v31, s0, v15 dst_sel:DWORD dst_unused:UNUSED_PAD src0_sel:DWORD src1_sel:BYTE_0
	v_cndmask_b32_e32 v5, v5, v34, vcc
	v_cmp_gt_u16_sdwa vcc, v14, v18 src0_sel:BYTE_0 src1_sel:DWORD
	v_lshrrev_b16_sdwa v33, v19, sext(v7) dst_sel:DWORD dst_unused:UNUSED_PAD src0_sel:DWORD src1_sel:BYTE_0
	v_ashrrev_i32_sdwa v7, v31, sext(v7) dst_sel:DWORD dst_unused:UNUSED_PAD src0_sel:DWORD src1_sel:BYTE_0
	v_cndmask_b32_e32 v6, v6, v29, vcc
	v_cmp_gt_u16_sdwa vcc, v15, v18 src0_sel:BYTE_0 src1_sel:DWORD
	s_waitcnt vmcnt(1)
	v_and_b32_sdwa v10, s0, v16 dst_sel:DWORD dst_unused:UNUSED_PAD src0_sel:DWORD src1_sel:BYTE_0
	v_lshrrev_b16_e32 v26, 8, v8
	v_lshrrev_b16_sdwa v31, v19, sext(v8) dst_sel:DWORD dst_unused:UNUSED_PAD src0_sel:DWORD src1_sel:BYTE_0
	v_cndmask_b32_e32 v7, v7, v33, vcc
	v_ashrrev_i32_sdwa v10, v10, sext(v8) dst_sel:DWORD dst_unused:UNUSED_PAD src0_sel:DWORD src1_sel:BYTE_0
	v_cmp_gt_u16_sdwa vcc, v16, v18 src0_sel:BYTE_0 src1_sel:DWORD
	v_cndmask_b32_e32 v10, v10, v31, vcc
	v_ashrrev_i16_e32 v8, 15, v8
	v_ashrrev_i32_sdwa v11, v16, sext(v26) dst_sel:DWORD dst_unused:UNUSED_PAD src0_sel:BYTE_1 src1_sel:BYTE_0
	v_cmp_gt_u16_sdwa vcc, v16, v18 src0_sel:BYTE_1 src1_sel:DWORD
	v_cndmask_b32_e32 v8, v11, v8, vcc
	v_lshlrev_b16_e32 v8, 8, v8
	v_or_b32_sdwa v8, v10, v8 dst_sel:DWORD dst_unused:UNUSED_PAD src0_sel:BYTE_0 src1_sel:DWORD
	v_lshlrev_b16_e32 v10, 8, v25
	v_or_b32_sdwa v7, v7, v10 dst_sel:DWORD dst_unused:UNUSED_PAD src0_sel:BYTE_0 src1_sel:DWORD
	v_lshlrev_b16_e32 v10, 8, v24
	s_waitcnt vmcnt(0)
	v_and_b32_sdwa v12, s0, v17 dst_sel:DWORD dst_unused:UNUSED_PAD src0_sel:DWORD src1_sel:BYTE_0
	v_or_b32_sdwa v6, v6, v10 dst_sel:DWORD dst_unused:UNUSED_PAD src0_sel:BYTE_0 src1_sel:DWORD
	v_lshlrev_b16_e32 v10, 8, v23
	v_lshrrev_b16_e32 v27, 8, v9
	v_lshrrev_b16_sdwa v11, v19, sext(v9) dst_sel:DWORD dst_unused:UNUSED_PAD src0_sel:DWORD src1_sel:BYTE_0
	v_ashrrev_i32_sdwa v12, v12, sext(v9) dst_sel:DWORD dst_unused:UNUSED_PAD src0_sel:DWORD src1_sel:BYTE_0
	v_cmp_gt_u16_sdwa vcc, v17, v18 src0_sel:BYTE_0 src1_sel:DWORD
	v_or_b32_sdwa v5, v5, v10 dst_sel:DWORD dst_unused:UNUSED_PAD src0_sel:BYTE_0 src1_sel:DWORD
	v_lshlrev_b16_e32 v10, 8, v22
	v_cndmask_b32_e32 v11, v12, v11, vcc
	v_ashrrev_i16_e32 v9, 15, v9
	v_ashrrev_i32_sdwa v12, v17, sext(v27) dst_sel:DWORD dst_unused:UNUSED_PAD src0_sel:BYTE_1 src1_sel:BYTE_0
	v_cmp_gt_u16_sdwa vcc, v17, v18 src0_sel:BYTE_1 src1_sel:DWORD
	v_or_b32_sdwa v4, v4, v10 dst_sel:DWORD dst_unused:UNUSED_PAD src0_sel:BYTE_0 src1_sel:DWORD
	v_lshlrev_b16_e32 v10, 8, v21
	v_cndmask_b32_e32 v9, v12, v9, vcc
	v_or_b32_sdwa v3, v3, v10 dst_sel:DWORD dst_unused:UNUSED_PAD src0_sel:BYTE_0 src1_sel:DWORD
	v_lshlrev_b16_e32 v10, 8, v20
	s_add_u32 s0, s8, s33
	v_lshlrev_b16_e32 v9, 8, v9
	v_or_b32_sdwa v2, v2, v10 dst_sel:DWORD dst_unused:UNUSED_PAD src0_sel:BYTE_0 src1_sel:DWORD
	s_addc_u32 s1, s9, s2
	v_or_b32_sdwa v9, v11, v9 dst_sel:DWORD dst_unused:UNUSED_PAD src0_sel:BYTE_0 src1_sel:DWORD
	global_store_short v1, v2, s[0:1]
	global_store_short v1, v3, s[0:1] offset:512
	global_store_short v1, v4, s[0:1] offset:1024
	;; [unrolled: 1-line block ×7, first 2 shown]
	s_mov_b64 s[0:1], 0
.LBB163_2:
	s_andn2_b64 vcc, exec, s[0:1]
	s_cbranch_vccnz .LBB163_54
; %bb.3:
	v_cmp_gt_i32_e64 s[0:1], s38, v0
	v_cmp_le_i32_e32 vcc, s38, v0
                                        ; implicit-def: $vgpr5
	s_and_saveexec_b64 s[2:3], vcc
	s_xor_b64 s[2:3], exec, s[2:3]
; %bb.4:
	v_or_b32_e32 v5, 0x100, v0
; %bb.5:
	s_or_saveexec_b64 s[2:3], s[2:3]
	v_mov_b32_e32 v38, 0
	v_or_b32_e32 v6, s33, v0
	v_mov_b32_e32 v37, 0
	v_mov_b32_e32 v36, 0
	;; [unrolled: 1-line block ×31, first 2 shown]
	s_xor_b64 exec, exec, s[2:3]
	s_cbranch_execz .LBB163_37
; %bb.6:
	global_load_ubyte v18, v6, s[10:11]
	global_load_ubyte v19, v6, s[12:13]
	v_or_b32_e32 v5, 0x100, v0
	v_cmp_gt_u32_e32 vcc, s38, v5
	v_mov_b32_e32 v10, 0
	v_mov_b32_e32 v11, 0
	v_mov_b32_e32 v16, 0
	v_mov_b32_e32 v23, 0
	v_mov_b32_e32 v12, 0
	v_mov_b32_e32 v17, 0
	v_mov_b32_e32 v13, 0
	v_mov_b32_e32 v20, 0
	v_mov_b32_e32 v15, 0
	v_mov_b32_e32 v24, 0
	v_mov_b32_e32 v14, 0
	v_mov_b32_e32 v25, 0
	v_mov_b32_e32 v7, 0
	v_mov_b32_e32 v9, 0
	v_mov_b32_e32 v8, 0
	v_mov_b32_e32 v21, 0
	v_mov_b32_e32 v22, 0
	v_mov_b32_e32 v26, 0
	v_mov_b32_e32 v27, 0
	v_mov_b32_e32 v28, 0
	v_mov_b32_e32 v29, 0
	v_mov_b32_e32 v30, 0
	v_mov_b32_e32 v31, 0
	v_mov_b32_e32 v32, 0
	v_mov_b32_e32 v33, 0
	v_mov_b32_e32 v34, 0
	v_mov_b32_e32 v35, 0
	v_mov_b32_e32 v36, 0
	v_mov_b32_e32 v37, 0
	v_mov_b32_e32 v38, 0
	s_and_saveexec_b64 s[4:5], vcc
	s_cbranch_execz .LBB163_36
; %bb.7:
	v_add_u32_e32 v3, s33, v0
	global_load_ubyte v11, v3, s[10:11] offset:256
	global_load_ubyte v10, v3, s[12:13] offset:256
	v_or_b32_e32 v1, 0x200, v0
	v_mov_b32_e32 v16, 0
	v_cmp_gt_u32_e32 vcc, s38, v1
	v_mov_b32_e32 v23, 0
	v_mov_b32_e32 v12, 0
	;; [unrolled: 1-line block ×27, first 2 shown]
	s_and_saveexec_b64 s[6:7], vcc
	s_cbranch_execz .LBB163_35
; %bb.8:
	v_mov_b32_e32 v2, s11
	v_add_co_u32_e32 v1, vcc, s10, v3
	v_addc_co_u32_e32 v2, vcc, 0, v2, vcc
	v_mov_b32_e32 v4, s13
	v_add_co_u32_e32 v3, vcc, s12, v3
	v_addc_co_u32_e32 v4, vcc, 0, v4, vcc
	global_load_ubyte v23, v[1:2], off offset:512
	global_load_ubyte v16, v[3:4], off offset:512
	v_or_b32_e32 v7, 0x300, v0
	v_cmp_gt_u32_e32 vcc, s38, v7
	v_mov_b32_e32 v12, 0
	v_mov_b32_e32 v17, 0
	;; [unrolled: 1-line block ×26, first 2 shown]
	s_and_saveexec_b64 s[10:11], vcc
	s_cbranch_execz .LBB163_34
; %bb.9:
	global_load_ubyte v17, v[1:2], off offset:768
	global_load_ubyte v12, v[3:4], off offset:768
	v_or_b32_e32 v7, 0x400, v0
	v_cmp_gt_u32_e32 vcc, s38, v7
	v_mov_b32_e32 v13, 0
	v_mov_b32_e32 v20, 0
	;; [unrolled: 1-line block ×24, first 2 shown]
	s_and_saveexec_b64 s[12:13], vcc
	s_cbranch_execz .LBB163_33
; %bb.10:
	global_load_ubyte v20, v[1:2], off offset:1024
	global_load_ubyte v13, v[3:4], off offset:1024
	v_or_b32_e32 v7, 0x500, v0
	v_cmp_gt_u32_e32 vcc, s38, v7
	v_mov_b32_e32 v15, 0
	v_mov_b32_e32 v24, 0
	;; [unrolled: 1-line block ×22, first 2 shown]
	s_and_saveexec_b64 s[14:15], vcc
	s_cbranch_execz .LBB163_32
; %bb.11:
	global_load_ubyte v24, v[1:2], off offset:1280
	global_load_ubyte v15, v[3:4], off offset:1280
	v_or_b32_e32 v7, 0x600, v0
	v_cmp_gt_u32_e32 vcc, s38, v7
	v_mov_b32_e32 v14, 0
	v_mov_b32_e32 v25, 0
	;; [unrolled: 1-line block ×20, first 2 shown]
	s_and_saveexec_b64 s[16:17], vcc
	s_cbranch_execz .LBB163_31
; %bb.12:
	global_load_ubyte v25, v[1:2], off offset:1536
	global_load_ubyte v14, v[3:4], off offset:1536
	v_or_b32_e32 v7, 0x700, v0
	v_cmp_gt_u32_e32 vcc, s38, v7
	v_mov_b32_e32 v7, 0
	v_mov_b32_e32 v9, 0
	;; [unrolled: 1-line block ×18, first 2 shown]
	s_and_saveexec_b64 s[18:19], vcc
	s_cbranch_execz .LBB163_30
; %bb.13:
	global_load_ubyte v9, v[1:2], off offset:1792
	global_load_ubyte v7, v[3:4], off offset:1792
	v_or_b32_e32 v8, 0x800, v0
	v_cmp_gt_u32_e32 vcc, s38, v8
	v_mov_b32_e32 v8, 0
	v_mov_b32_e32 v21, 0
	;; [unrolled: 1-line block ×16, first 2 shown]
	s_and_saveexec_b64 s[20:21], vcc
	s_cbranch_execz .LBB163_29
; %bb.14:
	global_load_ubyte v21, v[1:2], off offset:2048
	global_load_ubyte v8, v[3:4], off offset:2048
	v_or_b32_e32 v22, 0x900, v0
	v_cmp_gt_u32_e32 vcc, s38, v22
	v_mov_b32_e32 v22, 0
	v_mov_b32_e32 v26, 0
	;; [unrolled: 1-line block ×14, first 2 shown]
	s_and_saveexec_b64 s[22:23], vcc
	s_cbranch_execz .LBB163_28
; %bb.15:
	global_load_ubyte v26, v[1:2], off offset:2304
	global_load_ubyte v22, v[3:4], off offset:2304
	v_or_b32_e32 v27, 0xa00, v0
	v_cmp_gt_u32_e32 vcc, s38, v27
	v_mov_b32_e32 v27, 0
	v_mov_b32_e32 v28, 0
	v_mov_b32_e32 v29, 0
	v_mov_b32_e32 v30, 0
	v_mov_b32_e32 v31, 0
	v_mov_b32_e32 v32, 0
	v_mov_b32_e32 v33, 0
	v_mov_b32_e32 v34, 0
	v_mov_b32_e32 v35, 0
	v_mov_b32_e32 v36, 0
	v_mov_b32_e32 v37, 0
	v_mov_b32_e32 v38, 0
	s_and_saveexec_b64 s[24:25], vcc
	s_cbranch_execz .LBB163_27
; %bb.16:
	global_load_ubyte v28, v[1:2], off offset:2560
	global_load_ubyte v27, v[3:4], off offset:2560
	v_or_b32_e32 v29, 0xb00, v0
	v_cmp_gt_u32_e32 vcc, s38, v29
	v_mov_b32_e32 v29, 0
	v_mov_b32_e32 v30, 0
	;; [unrolled: 1-line block ×10, first 2 shown]
	s_and_saveexec_b64 s[26:27], vcc
	s_cbranch_execz .LBB163_26
; %bb.17:
	global_load_ubyte v30, v[1:2], off offset:2816
	global_load_ubyte v29, v[3:4], off offset:2816
	v_or_b32_e32 v31, 0xc00, v0
	v_cmp_gt_u32_e32 vcc, s38, v31
	v_mov_b32_e32 v31, 0
	v_mov_b32_e32 v32, 0
	;; [unrolled: 1-line block ×8, first 2 shown]
	s_and_saveexec_b64 s[28:29], vcc
	s_cbranch_execz .LBB163_25
; %bb.18:
	global_load_ubyte v32, v[1:2], off offset:3072
	global_load_ubyte v31, v[3:4], off offset:3072
	v_or_b32_e32 v33, 0xd00, v0
	v_cmp_gt_u32_e32 vcc, s38, v33
	v_mov_b32_e32 v33, 0
	v_mov_b32_e32 v34, 0
	;; [unrolled: 1-line block ×6, first 2 shown]
	s_and_saveexec_b64 s[30:31], vcc
	s_cbranch_execz .LBB163_24
; %bb.19:
	global_load_ubyte v34, v[1:2], off offset:3328
	global_load_ubyte v33, v[3:4], off offset:3328
	v_or_b32_e32 v35, 0xe00, v0
	v_cmp_gt_u32_e32 vcc, s38, v35
	v_mov_b32_e32 v35, 0
	v_mov_b32_e32 v36, 0
	;; [unrolled: 1-line block ×4, first 2 shown]
	s_and_saveexec_b64 s[34:35], vcc
	s_cbranch_execz .LBB163_23
; %bb.20:
	global_load_ubyte v36, v[1:2], off offset:3584
	global_load_ubyte v35, v[3:4], off offset:3584
	v_or_b32_e32 v37, 0xf00, v0
	v_cmp_gt_u32_e32 vcc, s38, v37
	v_mov_b32_e32 v37, 0
	v_mov_b32_e32 v38, 0
	s_and_saveexec_b64 s[36:37], vcc
	s_cbranch_execz .LBB163_22
; %bb.21:
	global_load_ubyte v38, v[1:2], off offset:3840
	global_load_ubyte v37, v[3:4], off offset:3840
.LBB163_22:
	s_or_b64 exec, exec, s[36:37]
.LBB163_23:
	s_or_b64 exec, exec, s[34:35]
.LBB163_24:
	s_or_b64 exec, exec, s[30:31]
.LBB163_25:
	s_or_b64 exec, exec, s[28:29]
.LBB163_26:
	s_or_b64 exec, exec, s[26:27]
.LBB163_27:
	s_or_b64 exec, exec, s[24:25]
.LBB163_28:
	s_or_b64 exec, exec, s[22:23]
.LBB163_29:
	s_or_b64 exec, exec, s[20:21]
.LBB163_30:
	s_or_b64 exec, exec, s[18:19]
.LBB163_31:
	s_or_b64 exec, exec, s[16:17]
.LBB163_32:
	s_or_b64 exec, exec, s[14:15]
.LBB163_33:
	s_or_b64 exec, exec, s[12:13]
.LBB163_34:
	s_or_b64 exec, exec, s[10:11]
.LBB163_35:
	s_or_b64 exec, exec, s[6:7]
.LBB163_36:
	s_or_b64 exec, exec, s[4:5]
.LBB163_37:
	s_or_b64 exec, exec, s[2:3]
	v_mov_b32_e32 v1, 7
	s_waitcnt vmcnt(1)
	v_lshrrev_b16_sdwa v2, v1, sext(v18) dst_sel:DWORD dst_unused:UNUSED_PAD src0_sel:DWORD src1_sel:BYTE_0
	s_waitcnt vmcnt(0)
	v_ashrrev_i32_sdwa v3, v19, sext(v18) dst_sel:DWORD dst_unused:UNUSED_PAD src0_sel:DWORD src1_sel:BYTE_0
	v_mov_b32_e32 v18, 6
	v_cmp_gt_u16_sdwa vcc, v19, v18 src0_sel:BYTE_0 src1_sel:DWORD
	v_cndmask_b32_e32 v2, v3, v2, vcc
	s_mov_b32 s3, 0xffff
	v_lshrrev_b16_sdwa v3, v1, sext(v11) dst_sel:DWORD dst_unused:UNUSED_PAD src0_sel:DWORD src1_sel:BYTE_0
	v_ashrrev_i32_sdwa v4, v10, sext(v11) dst_sel:DWORD dst_unused:UNUSED_PAD src0_sel:DWORD src1_sel:BYTE_0
	v_cmp_gt_u16_sdwa vcc, v10, v18 src0_sel:BYTE_0 src1_sel:DWORD
	v_and_b32_sdwa v2, s3, v2 dst_sel:DWORD dst_unused:UNUSED_PAD src0_sel:DWORD src1_sel:BYTE_0
	v_cndmask_b32_e32 v3, v4, v3, vcc
	v_cndmask_b32_e64 v2, 0, v2, s[0:1]
	v_lshlrev_b16_e32 v3, 8, v3
	v_or_b32_e32 v3, v2, v3
	v_and_b32_e32 v3, 0xffff, v3
	v_cmp_gt_i32_e32 vcc, s38, v5
	v_cndmask_b32_e32 v2, v2, v3, vcc
	v_lshrrev_b16_sdwa v4, v1, sext(v23) dst_sel:DWORD dst_unused:UNUSED_PAD src0_sel:DWORD src1_sel:BYTE_0
	v_ashrrev_i32_sdwa v10, v16, sext(v23) dst_sel:DWORD dst_unused:UNUSED_PAD src0_sel:DWORD src1_sel:BYTE_0
	v_cmp_gt_u16_sdwa vcc, v16, v18 src0_sel:BYTE_0 src1_sel:DWORD
	v_cndmask_b32_e32 v4, v10, v4, vcc
	s_mov_b32 s4, 0xc0c0304
	v_or_b32_e32 v3, 0x200, v0
	v_perm_b32 v4, v4, v2, s4
	v_lshl_or_b32 v4, v4, 16, v2
	v_cmp_gt_i32_e32 vcc, s38, v3
	v_cndmask_b32_e32 v2, v2, v4, vcc
	v_lshrrev_b16_sdwa v10, v1, sext(v17) dst_sel:DWORD dst_unused:UNUSED_PAD src0_sel:DWORD src1_sel:BYTE_0
	v_ashrrev_i32_sdwa v11, v12, sext(v17) dst_sel:DWORD dst_unused:UNUSED_PAD src0_sel:DWORD src1_sel:BYTE_0
	v_cmp_gt_u16_sdwa vcc, v12, v18 src0_sel:BYTE_0 src1_sel:DWORD
	s_movk_i32 s2, 0xff
	v_cndmask_b32_e32 v10, v11, v10, vcc
	v_and_b32_sdwa v3, v2, s2 dst_sel:DWORD dst_unused:UNUSED_PAD src0_sel:WORD_1 src1_sel:DWORD
	v_lshlrev_b16_e32 v10, 8, v10
	v_or_b32_e32 v4, 0x300, v0
	v_or_b32_sdwa v3, v3, v10 dst_sel:WORD_1 dst_unused:UNUSED_PAD src0_sel:DWORD src1_sel:DWORD
	v_and_or_b32 v3, v2, s3, v3
	v_cmp_gt_i32_e32 vcc, s38, v4
	v_cndmask_b32_e32 v4, v2, v3, vcc
	v_lshrrev_b16_sdwa v2, v1, sext(v20) dst_sel:DWORD dst_unused:UNUSED_PAD src0_sel:DWORD src1_sel:BYTE_0
	v_ashrrev_i32_sdwa v3, v13, sext(v20) dst_sel:DWORD dst_unused:UNUSED_PAD src0_sel:DWORD src1_sel:BYTE_0
	v_cmp_gt_u16_sdwa vcc, v13, v18 src0_sel:BYTE_0 src1_sel:DWORD
	v_cndmask_b32_e32 v2, v3, v2, vcc
	s_mov_b32 s5, 0x3020104
	v_or_b32_e32 v3, 0x400, v0
	v_perm_b32 v2, v2, 0, s5
	v_cmp_gt_i32_e32 vcc, s38, v3
	v_cndmask_b32_e32 v2, 0, v2, vcc
	v_lshrrev_b16_sdwa v3, v1, sext(v24) dst_sel:DWORD dst_unused:UNUSED_PAD src0_sel:DWORD src1_sel:BYTE_0
	v_ashrrev_i32_sdwa v10, v15, sext(v24) dst_sel:DWORD dst_unused:UNUSED_PAD src0_sel:DWORD src1_sel:BYTE_0
	v_cmp_gt_u16_sdwa vcc, v15, v18 src0_sel:BYTE_0 src1_sel:DWORD
	v_cndmask_b32_e32 v3, v10, v3, vcc
	v_lshlrev_b16_e32 v3, 8, v3
	v_or_b32_sdwa v3, v2, v3 dst_sel:DWORD dst_unused:UNUSED_PAD src0_sel:BYTE_0 src1_sel:DWORD
	v_and_b32_e32 v3, 0xffff, v3
	s_mov_b32 s6, 0xffff0000
	v_or_b32_e32 v10, 0x500, v0
	v_and_or_b32 v3, v2, s6, v3
	v_cmp_gt_i32_e32 vcc, s38, v10
	v_cndmask_b32_e32 v2, v2, v3, vcc
	v_lshrrev_b16_sdwa v10, v1, sext(v25) dst_sel:DWORD dst_unused:UNUSED_PAD src0_sel:DWORD src1_sel:BYTE_0
	v_ashrrev_i32_sdwa v11, v14, sext(v25) dst_sel:DWORD dst_unused:UNUSED_PAD src0_sel:DWORD src1_sel:BYTE_0
	v_cmp_gt_u16_sdwa vcc, v14, v18 src0_sel:BYTE_0 src1_sel:DWORD
	v_or_b32_e32 v3, 0x600, v0
	v_cndmask_b32_e32 v10, v11, v10, vcc
	s_mov_b32 s7, 0x7000504
	v_perm_b32 v10, v2, v10, s7
	v_cmp_gt_i32_e32 vcc, s38, v3
	v_cndmask_b32_e32 v2, v2, v10, vcc
	v_lshrrev_b16_sdwa v11, v1, sext(v9) dst_sel:DWORD dst_unused:UNUSED_PAD src0_sel:DWORD src1_sel:BYTE_0
	v_ashrrev_i32_sdwa v9, v7, sext(v9) dst_sel:DWORD dst_unused:UNUSED_PAD src0_sel:DWORD src1_sel:BYTE_0
	v_cmp_gt_u16_sdwa vcc, v7, v18 src0_sel:BYTE_0 src1_sel:DWORD
	v_cndmask_b32_e32 v7, v9, v11, vcc
	v_and_b32_sdwa v3, v2, s2 dst_sel:DWORD dst_unused:UNUSED_PAD src0_sel:WORD_1 src1_sel:DWORD
	v_lshlrev_b16_e32 v7, 8, v7
	v_or_b32_e32 v10, 0x700, v0
	v_or_b32_sdwa v3, v3, v7 dst_sel:WORD_1 dst_unused:UNUSED_PAD src0_sel:DWORD src1_sel:DWORD
	v_and_or_b32 v3, v2, s3, v3
	v_cmp_gt_i32_e32 vcc, s38, v10
	v_cndmask_b32_e32 v3, v2, v3, vcc
	v_lshrrev_b16_sdwa v7, v1, sext(v21) dst_sel:DWORD dst_unused:UNUSED_PAD src0_sel:DWORD src1_sel:BYTE_0
	v_ashrrev_i32_sdwa v9, v8, sext(v21) dst_sel:DWORD dst_unused:UNUSED_PAD src0_sel:DWORD src1_sel:BYTE_0
	v_cmp_gt_u16_sdwa vcc, v8, v18 src0_sel:BYTE_0 src1_sel:DWORD
	v_or_b32_e32 v2, 0x800, v0
	v_cndmask_b32_e32 v7, v9, v7, vcc
	v_and_b32_sdwa v7, s3, v7 dst_sel:DWORD dst_unused:UNUSED_PAD src0_sel:DWORD src1_sel:BYTE_0
	v_cmp_gt_i32_e32 vcc, s38, v2
	v_cndmask_b32_e32 v2, 0, v7, vcc
	v_lshrrev_b16_sdwa v8, v1, sext(v26) dst_sel:DWORD dst_unused:UNUSED_PAD src0_sel:DWORD src1_sel:BYTE_0
	v_ashrrev_i32_sdwa v9, v22, sext(v26) dst_sel:DWORD dst_unused:UNUSED_PAD src0_sel:DWORD src1_sel:BYTE_0
	v_cmp_gt_u16_sdwa vcc, v22, v18 src0_sel:BYTE_0 src1_sel:DWORD
	v_cndmask_b32_e32 v8, v9, v8, vcc
	v_lshlrev_b16_e32 v8, 8, v8
	v_or_b32_e32 v7, 0x900, v0
	v_or_b32_e32 v8, v2, v8
	v_and_b32_e32 v8, 0xffff, v8
	v_cmp_gt_i32_e32 vcc, s38, v7
	v_cndmask_b32_e32 v2, v2, v8, vcc
	v_lshrrev_b16_sdwa v8, v1, sext(v28) dst_sel:DWORD dst_unused:UNUSED_PAD src0_sel:DWORD src1_sel:BYTE_0
	v_ashrrev_i32_sdwa v9, v27, sext(v28) dst_sel:DWORD dst_unused:UNUSED_PAD src0_sel:DWORD src1_sel:BYTE_0
	v_cmp_gt_u16_sdwa vcc, v27, v18 src0_sel:BYTE_0 src1_sel:DWORD
	v_cndmask_b32_e32 v8, v9, v8, vcc
	v_or_b32_e32 v7, 0xa00, v0
	v_perm_b32 v8, v8, v2, s4
	v_lshl_or_b32 v8, v8, 16, v2
	v_cmp_gt_i32_e32 vcc, s38, v7
	v_cndmask_b32_e32 v2, v2, v8, vcc
	v_lshrrev_b16_sdwa v9, v1, sext(v30) dst_sel:DWORD dst_unused:UNUSED_PAD src0_sel:DWORD src1_sel:BYTE_0
	v_ashrrev_i32_sdwa v10, v29, sext(v30) dst_sel:DWORD dst_unused:UNUSED_PAD src0_sel:DWORD src1_sel:BYTE_0
	v_cmp_gt_u16_sdwa vcc, v29, v18 src0_sel:BYTE_0 src1_sel:DWORD
	v_cndmask_b32_e32 v9, v10, v9, vcc
	v_and_b32_sdwa v7, v2, s2 dst_sel:DWORD dst_unused:UNUSED_PAD src0_sel:WORD_1 src1_sel:DWORD
	v_lshlrev_b16_e32 v9, 8, v9
	v_or_b32_e32 v8, 0xb00, v0
	v_or_b32_sdwa v7, v7, v9 dst_sel:WORD_1 dst_unused:UNUSED_PAD src0_sel:DWORD src1_sel:DWORD
	v_and_or_b32 v7, v2, s3, v7
	v_cmp_gt_i32_e32 vcc, s38, v8
	v_cndmask_b32_e32 v2, v2, v7, vcc
	v_lshrrev_b16_sdwa v7, v1, sext(v32) dst_sel:DWORD dst_unused:UNUSED_PAD src0_sel:DWORD src1_sel:BYTE_0
	v_ashrrev_i32_sdwa v8, v31, sext(v32) dst_sel:DWORD dst_unused:UNUSED_PAD src0_sel:DWORD src1_sel:BYTE_0
	v_cmp_gt_u16_sdwa vcc, v31, v18 src0_sel:BYTE_0 src1_sel:DWORD
	v_cndmask_b32_e32 v7, v8, v7, vcc
	v_or_b32_e32 v8, 0xc00, v0
	v_perm_b32 v7, v7, 0, s5
	v_cmp_gt_i32_e32 vcc, s38, v8
	v_cndmask_b32_e32 v7, 0, v7, vcc
	v_lshrrev_b16_sdwa v8, v1, sext(v34) dst_sel:DWORD dst_unused:UNUSED_PAD src0_sel:DWORD src1_sel:BYTE_0
	v_ashrrev_i32_sdwa v9, v33, sext(v34) dst_sel:DWORD dst_unused:UNUSED_PAD src0_sel:DWORD src1_sel:BYTE_0
	v_cmp_gt_u16_sdwa vcc, v33, v18 src0_sel:BYTE_0 src1_sel:DWORD
	v_cndmask_b32_e32 v8, v9, v8, vcc
	v_lshlrev_b16_e32 v8, 8, v8
	v_or_b32_sdwa v8, v7, v8 dst_sel:DWORD dst_unused:UNUSED_PAD src0_sel:BYTE_0 src1_sel:DWORD
	v_and_b32_e32 v8, 0xffff, v8
	v_or_b32_e32 v9, 0xd00, v0
	v_and_or_b32 v8, v7, s6, v8
	v_cmp_gt_i32_e32 vcc, s38, v9
	v_cndmask_b32_e32 v7, v7, v8, vcc
	v_lshrrev_b16_sdwa v9, v1, sext(v36) dst_sel:DWORD dst_unused:UNUSED_PAD src0_sel:DWORD src1_sel:BYTE_0
	v_ashrrev_i32_sdwa v10, v35, sext(v36) dst_sel:DWORD dst_unused:UNUSED_PAD src0_sel:DWORD src1_sel:BYTE_0
	v_cmp_gt_u16_sdwa vcc, v35, v18 src0_sel:BYTE_0 src1_sel:DWORD
	v_or_b32_e32 v8, 0xe00, v0
	v_cndmask_b32_e32 v9, v10, v9, vcc
	v_perm_b32 v9, v7, v9, s7
	v_cmp_gt_i32_e32 vcc, s38, v8
	v_cndmask_b32_e32 v7, v7, v9, vcc
	v_cmp_gt_u16_sdwa vcc, v37, v18 src0_sel:BYTE_0 src1_sel:DWORD
	v_lshrrev_b16_sdwa v1, v1, sext(v38) dst_sel:DWORD dst_unused:UNUSED_PAD src0_sel:DWORD src1_sel:BYTE_0
	v_ashrrev_i32_sdwa v10, v37, sext(v38) dst_sel:DWORD dst_unused:UNUSED_PAD src0_sel:DWORD src1_sel:BYTE_0
	v_and_b32_sdwa v8, v7, s2 dst_sel:DWORD dst_unused:UNUSED_PAD src0_sel:WORD_1 src1_sel:DWORD
	v_cndmask_b32_sdwa v1, v10, v1, vcc dst_sel:BYTE_1 dst_unused:UNUSED_PAD src0_sel:DWORD src1_sel:DWORD
	v_or_b32_e32 v9, 0xf00, v0
	v_or_b32_sdwa v1, v8, v1 dst_sel:WORD_1 dst_unused:UNUSED_PAD src0_sel:DWORD src1_sel:DWORD
	v_and_or_b32 v1, v7, s3, v1
	v_cmp_gt_i32_e32 vcc, s38, v9
	v_cndmask_b32_e32 v1, v7, v1, vcc
	s_and_saveexec_b64 s[2:3], s[0:1]
	s_cbranch_execnz .LBB163_55
; %bb.38:
	s_or_b64 exec, exec, s[2:3]
	v_cmp_gt_i32_e32 vcc, s38, v0
	s_and_saveexec_b64 s[0:1], vcc
	s_cbranch_execnz .LBB163_56
.LBB163_39:
	s_or_b64 exec, exec, s[0:1]
	v_cmp_gt_i32_e32 vcc, s38, v0
	s_and_saveexec_b64 s[0:1], vcc
	s_cbranch_execnz .LBB163_57
.LBB163_40:
	s_or_b64 exec, exec, s[0:1]
	v_cmp_gt_i32_e32 vcc, s38, v0
	s_and_saveexec_b64 s[0:1], vcc
	s_cbranch_execnz .LBB163_58
.LBB163_41:
	s_or_b64 exec, exec, s[0:1]
	v_cmp_gt_i32_e32 vcc, s38, v0
	s_and_saveexec_b64 s[0:1], vcc
	s_cbranch_execnz .LBB163_59
.LBB163_42:
	s_or_b64 exec, exec, s[0:1]
	v_cmp_gt_i32_e32 vcc, s38, v0
	s_and_saveexec_b64 s[0:1], vcc
	s_cbranch_execnz .LBB163_60
.LBB163_43:
	s_or_b64 exec, exec, s[0:1]
	v_cmp_gt_i32_e32 vcc, s38, v0
	s_and_saveexec_b64 s[0:1], vcc
	s_cbranch_execnz .LBB163_61
.LBB163_44:
	s_or_b64 exec, exec, s[0:1]
	v_cmp_gt_i32_e32 vcc, s38, v0
	s_and_saveexec_b64 s[0:1], vcc
	s_cbranch_execnz .LBB163_62
.LBB163_45:
	s_or_b64 exec, exec, s[0:1]
	v_cmp_gt_i32_e32 vcc, s38, v0
	s_and_saveexec_b64 s[0:1], vcc
	s_cbranch_execnz .LBB163_63
.LBB163_46:
	s_or_b64 exec, exec, s[0:1]
	v_cmp_gt_i32_e32 vcc, s38, v0
	s_and_saveexec_b64 s[0:1], vcc
	s_cbranch_execnz .LBB163_64
.LBB163_47:
	s_or_b64 exec, exec, s[0:1]
	v_cmp_gt_i32_e32 vcc, s38, v0
	s_and_saveexec_b64 s[0:1], vcc
	s_cbranch_execnz .LBB163_65
.LBB163_48:
	s_or_b64 exec, exec, s[0:1]
	v_cmp_gt_i32_e32 vcc, s38, v0
	s_and_saveexec_b64 s[0:1], vcc
	s_cbranch_execnz .LBB163_66
.LBB163_49:
	s_or_b64 exec, exec, s[0:1]
	v_cmp_gt_i32_e32 vcc, s38, v0
	s_and_saveexec_b64 s[0:1], vcc
	s_cbranch_execnz .LBB163_67
.LBB163_50:
	s_or_b64 exec, exec, s[0:1]
	v_cmp_gt_i32_e32 vcc, s38, v0
	s_and_saveexec_b64 s[0:1], vcc
	s_cbranch_execnz .LBB163_68
.LBB163_51:
	s_or_b64 exec, exec, s[0:1]
	v_cmp_gt_i32_e32 vcc, s38, v0
	s_and_saveexec_b64 s[0:1], vcc
	s_cbranch_execnz .LBB163_69
.LBB163_52:
	s_or_b64 exec, exec, s[0:1]
	v_cmp_gt_i32_e32 vcc, s38, v0
	s_and_saveexec_b64 s[0:1], vcc
	s_cbranch_execz .LBB163_54
.LBB163_53:
	v_lshrrev_b32_e32 v1, 24, v1
	v_add_u32_e32 v0, s33, v0
	global_store_byte v0, v1, s[8:9]
.LBB163_54:
	s_endpgm
.LBB163_55:
	v_mov_b32_e32 v0, v5
	global_store_byte v6, v4, s[8:9]
	s_or_b64 exec, exec, s[2:3]
	v_cmp_gt_i32_e32 vcc, s38, v0
	s_and_saveexec_b64 s[0:1], vcc
	s_cbranch_execz .LBB163_39
.LBB163_56:
	v_lshrrev_b32_e32 v5, 8, v4
	v_add_u32_e32 v6, s33, v0
	v_add_u32_e32 v0, 0x100, v0
	global_store_byte v6, v5, s[8:9]
	s_or_b64 exec, exec, s[0:1]
	v_cmp_gt_i32_e32 vcc, s38, v0
	s_and_saveexec_b64 s[0:1], vcc
	s_cbranch_execz .LBB163_40
.LBB163_57:
	v_add_u32_e32 v5, s33, v0
	v_add_u32_e32 v0, 0x100, v0
	global_store_byte_d16_hi v5, v4, s[8:9]
	s_or_b64 exec, exec, s[0:1]
	v_cmp_gt_i32_e32 vcc, s38, v0
	s_and_saveexec_b64 s[0:1], vcc
	s_cbranch_execz .LBB163_41
.LBB163_58:
	v_lshrrev_b32_e32 v4, 24, v4
	v_add_u32_e32 v5, s33, v0
	v_add_u32_e32 v0, 0x100, v0
	global_store_byte v5, v4, s[8:9]
	s_or_b64 exec, exec, s[0:1]
	v_cmp_gt_i32_e32 vcc, s38, v0
	s_and_saveexec_b64 s[0:1], vcc
	s_cbranch_execz .LBB163_42
.LBB163_59:
	v_add_u32_e32 v4, s33, v0
	v_add_u32_e32 v0, 0x100, v0
	global_store_byte v4, v3, s[8:9]
	s_or_b64 exec, exec, s[0:1]
	v_cmp_gt_i32_e32 vcc, s38, v0
	s_and_saveexec_b64 s[0:1], vcc
	s_cbranch_execz .LBB163_43
.LBB163_60:
	v_lshrrev_b32_e32 v4, 8, v3
	v_add_u32_e32 v5, s33, v0
	v_add_u32_e32 v0, 0x100, v0
	global_store_byte v5, v4, s[8:9]
	s_or_b64 exec, exec, s[0:1]
	v_cmp_gt_i32_e32 vcc, s38, v0
	s_and_saveexec_b64 s[0:1], vcc
	s_cbranch_execz .LBB163_44
.LBB163_61:
	v_add_u32_e32 v4, s33, v0
	v_add_u32_e32 v0, 0x100, v0
	global_store_byte_d16_hi v4, v3, s[8:9]
	s_or_b64 exec, exec, s[0:1]
	v_cmp_gt_i32_e32 vcc, s38, v0
	s_and_saveexec_b64 s[0:1], vcc
	s_cbranch_execz .LBB163_45
.LBB163_62:
	v_lshrrev_b32_e32 v3, 24, v3
	v_add_u32_e32 v4, s33, v0
	v_add_u32_e32 v0, 0x100, v0
	global_store_byte v4, v3, s[8:9]
	s_or_b64 exec, exec, s[0:1]
	v_cmp_gt_i32_e32 vcc, s38, v0
	s_and_saveexec_b64 s[0:1], vcc
	s_cbranch_execz .LBB163_46
.LBB163_63:
	v_add_u32_e32 v3, s33, v0
	v_add_u32_e32 v0, 0x100, v0
	global_store_byte v3, v2, s[8:9]
	s_or_b64 exec, exec, s[0:1]
	v_cmp_gt_i32_e32 vcc, s38, v0
	s_and_saveexec_b64 s[0:1], vcc
	s_cbranch_execz .LBB163_47
.LBB163_64:
	v_lshrrev_b32_e32 v3, 8, v2
	v_add_u32_e32 v4, s33, v0
	v_add_u32_e32 v0, 0x100, v0
	global_store_byte v4, v3, s[8:9]
	s_or_b64 exec, exec, s[0:1]
	v_cmp_gt_i32_e32 vcc, s38, v0
	s_and_saveexec_b64 s[0:1], vcc
	s_cbranch_execz .LBB163_48
.LBB163_65:
	v_add_u32_e32 v3, s33, v0
	v_add_u32_e32 v0, 0x100, v0
	global_store_byte_d16_hi v3, v2, s[8:9]
	s_or_b64 exec, exec, s[0:1]
	v_cmp_gt_i32_e32 vcc, s38, v0
	s_and_saveexec_b64 s[0:1], vcc
	s_cbranch_execz .LBB163_49
.LBB163_66:
	v_lshrrev_b32_e32 v2, 24, v2
	v_add_u32_e32 v3, s33, v0
	v_add_u32_e32 v0, 0x100, v0
	global_store_byte v3, v2, s[8:9]
	s_or_b64 exec, exec, s[0:1]
	v_cmp_gt_i32_e32 vcc, s38, v0
	s_and_saveexec_b64 s[0:1], vcc
	s_cbranch_execz .LBB163_50
.LBB163_67:
	v_add_u32_e32 v2, s33, v0
	v_add_u32_e32 v0, 0x100, v0
	global_store_byte v2, v1, s[8:9]
	s_or_b64 exec, exec, s[0:1]
	v_cmp_gt_i32_e32 vcc, s38, v0
	s_and_saveexec_b64 s[0:1], vcc
	s_cbranch_execz .LBB163_51
.LBB163_68:
	v_lshrrev_b32_e32 v2, 8, v1
	v_add_u32_e32 v3, s33, v0
	v_add_u32_e32 v0, 0x100, v0
	global_store_byte v3, v2, s[8:9]
	s_or_b64 exec, exec, s[0:1]
	v_cmp_gt_i32_e32 vcc, s38, v0
	s_and_saveexec_b64 s[0:1], vcc
	s_cbranch_execz .LBB163_52
.LBB163_69:
	v_add_u32_e32 v2, s33, v0
	v_add_u32_e32 v0, 0x100, v0
	global_store_byte_d16_hi v2, v1, s[8:9]
	s_or_b64 exec, exec, s[0:1]
	v_cmp_gt_i32_e32 vcc, s38, v0
	s_and_saveexec_b64 s[0:1], vcc
	s_cbranch_execnz .LBB163_53
	s_branch .LBB163_54
	.section	.rodata,"a",@progbits
	.p2align	6, 0x0
	.amdhsa_kernel _ZN2at6native29vectorized_elementwise_kernelILi2ENS0_13BinaryFunctorIaaaZZZNS0_18rshift_kernel_cudaERNS_18TensorIteratorBaseEENKUlvE_clEvENKUlvE0_clEvEUlaaE_EESt5arrayIPcLm3EEEEviT0_T1_
		.amdhsa_group_segment_fixed_size 0
		.amdhsa_private_segment_fixed_size 0
		.amdhsa_kernarg_size 32
		.amdhsa_user_sgpr_count 6
		.amdhsa_user_sgpr_private_segment_buffer 1
		.amdhsa_user_sgpr_dispatch_ptr 0
		.amdhsa_user_sgpr_queue_ptr 0
		.amdhsa_user_sgpr_kernarg_segment_ptr 1
		.amdhsa_user_sgpr_dispatch_id 0
		.amdhsa_user_sgpr_flat_scratch_init 0
		.amdhsa_user_sgpr_private_segment_size 0
		.amdhsa_uses_dynamic_stack 0
		.amdhsa_system_sgpr_private_segment_wavefront_offset 0
		.amdhsa_system_sgpr_workgroup_id_x 1
		.amdhsa_system_sgpr_workgroup_id_y 0
		.amdhsa_system_sgpr_workgroup_id_z 0
		.amdhsa_system_sgpr_workgroup_info 0
		.amdhsa_system_vgpr_workitem_id 0
		.amdhsa_next_free_vgpr 39
		.amdhsa_next_free_sgpr 39
		.amdhsa_reserve_vcc 1
		.amdhsa_reserve_flat_scratch 0
		.amdhsa_float_round_mode_32 0
		.amdhsa_float_round_mode_16_64 0
		.amdhsa_float_denorm_mode_32 3
		.amdhsa_float_denorm_mode_16_64 3
		.amdhsa_dx10_clamp 1
		.amdhsa_ieee_mode 1
		.amdhsa_fp16_overflow 0
		.amdhsa_exception_fp_ieee_invalid_op 0
		.amdhsa_exception_fp_denorm_src 0
		.amdhsa_exception_fp_ieee_div_zero 0
		.amdhsa_exception_fp_ieee_overflow 0
		.amdhsa_exception_fp_ieee_underflow 0
		.amdhsa_exception_fp_ieee_inexact 0
		.amdhsa_exception_int_div_zero 0
	.end_amdhsa_kernel
	.section	.text._ZN2at6native29vectorized_elementwise_kernelILi2ENS0_13BinaryFunctorIaaaZZZNS0_18rshift_kernel_cudaERNS_18TensorIteratorBaseEENKUlvE_clEvENKUlvE0_clEvEUlaaE_EESt5arrayIPcLm3EEEEviT0_T1_,"axG",@progbits,_ZN2at6native29vectorized_elementwise_kernelILi2ENS0_13BinaryFunctorIaaaZZZNS0_18rshift_kernel_cudaERNS_18TensorIteratorBaseEENKUlvE_clEvENKUlvE0_clEvEUlaaE_EESt5arrayIPcLm3EEEEviT0_T1_,comdat
.Lfunc_end163:
	.size	_ZN2at6native29vectorized_elementwise_kernelILi2ENS0_13BinaryFunctorIaaaZZZNS0_18rshift_kernel_cudaERNS_18TensorIteratorBaseEENKUlvE_clEvENKUlvE0_clEvEUlaaE_EESt5arrayIPcLm3EEEEviT0_T1_, .Lfunc_end163-_ZN2at6native29vectorized_elementwise_kernelILi2ENS0_13BinaryFunctorIaaaZZZNS0_18rshift_kernel_cudaERNS_18TensorIteratorBaseEENKUlvE_clEvENKUlvE0_clEvEUlaaE_EESt5arrayIPcLm3EEEEviT0_T1_
                                        ; -- End function
	.set _ZN2at6native29vectorized_elementwise_kernelILi2ENS0_13BinaryFunctorIaaaZZZNS0_18rshift_kernel_cudaERNS_18TensorIteratorBaseEENKUlvE_clEvENKUlvE0_clEvEUlaaE_EESt5arrayIPcLm3EEEEviT0_T1_.num_vgpr, 39
	.set _ZN2at6native29vectorized_elementwise_kernelILi2ENS0_13BinaryFunctorIaaaZZZNS0_18rshift_kernel_cudaERNS_18TensorIteratorBaseEENKUlvE_clEvENKUlvE0_clEvEUlaaE_EESt5arrayIPcLm3EEEEviT0_T1_.num_agpr, 0
	.set _ZN2at6native29vectorized_elementwise_kernelILi2ENS0_13BinaryFunctorIaaaZZZNS0_18rshift_kernel_cudaERNS_18TensorIteratorBaseEENKUlvE_clEvENKUlvE0_clEvEUlaaE_EESt5arrayIPcLm3EEEEviT0_T1_.numbered_sgpr, 39
	.set _ZN2at6native29vectorized_elementwise_kernelILi2ENS0_13BinaryFunctorIaaaZZZNS0_18rshift_kernel_cudaERNS_18TensorIteratorBaseEENKUlvE_clEvENKUlvE0_clEvEUlaaE_EESt5arrayIPcLm3EEEEviT0_T1_.num_named_barrier, 0
	.set _ZN2at6native29vectorized_elementwise_kernelILi2ENS0_13BinaryFunctorIaaaZZZNS0_18rshift_kernel_cudaERNS_18TensorIteratorBaseEENKUlvE_clEvENKUlvE0_clEvEUlaaE_EESt5arrayIPcLm3EEEEviT0_T1_.private_seg_size, 0
	.set _ZN2at6native29vectorized_elementwise_kernelILi2ENS0_13BinaryFunctorIaaaZZZNS0_18rshift_kernel_cudaERNS_18TensorIteratorBaseEENKUlvE_clEvENKUlvE0_clEvEUlaaE_EESt5arrayIPcLm3EEEEviT0_T1_.uses_vcc, 1
	.set _ZN2at6native29vectorized_elementwise_kernelILi2ENS0_13BinaryFunctorIaaaZZZNS0_18rshift_kernel_cudaERNS_18TensorIteratorBaseEENKUlvE_clEvENKUlvE0_clEvEUlaaE_EESt5arrayIPcLm3EEEEviT0_T1_.uses_flat_scratch, 0
	.set _ZN2at6native29vectorized_elementwise_kernelILi2ENS0_13BinaryFunctorIaaaZZZNS0_18rshift_kernel_cudaERNS_18TensorIteratorBaseEENKUlvE_clEvENKUlvE0_clEvEUlaaE_EESt5arrayIPcLm3EEEEviT0_T1_.has_dyn_sized_stack, 0
	.set _ZN2at6native29vectorized_elementwise_kernelILi2ENS0_13BinaryFunctorIaaaZZZNS0_18rshift_kernel_cudaERNS_18TensorIteratorBaseEENKUlvE_clEvENKUlvE0_clEvEUlaaE_EESt5arrayIPcLm3EEEEviT0_T1_.has_recursion, 0
	.set _ZN2at6native29vectorized_elementwise_kernelILi2ENS0_13BinaryFunctorIaaaZZZNS0_18rshift_kernel_cudaERNS_18TensorIteratorBaseEENKUlvE_clEvENKUlvE0_clEvEUlaaE_EESt5arrayIPcLm3EEEEviT0_T1_.has_indirect_call, 0
	.section	.AMDGPU.csdata,"",@progbits
; Kernel info:
; codeLenInByte = 4588
; TotalNumSgprs: 43
; NumVgprs: 39
; ScratchSize: 0
; MemoryBound: 0
; FloatMode: 240
; IeeeMode: 1
; LDSByteSize: 0 bytes/workgroup (compile time only)
; SGPRBlocks: 5
; VGPRBlocks: 9
; NumSGPRsForWavesPerEU: 43
; NumVGPRsForWavesPerEU: 39
; Occupancy: 6
; WaveLimiterHint : 1
; COMPUTE_PGM_RSRC2:SCRATCH_EN: 0
; COMPUTE_PGM_RSRC2:USER_SGPR: 6
; COMPUTE_PGM_RSRC2:TRAP_HANDLER: 0
; COMPUTE_PGM_RSRC2:TGID_X_EN: 1
; COMPUTE_PGM_RSRC2:TGID_Y_EN: 0
; COMPUTE_PGM_RSRC2:TGID_Z_EN: 0
; COMPUTE_PGM_RSRC2:TIDIG_COMP_CNT: 0
	.section	.text._ZN2at6native27unrolled_elementwise_kernelINS0_13BinaryFunctorIaaaZZZNS0_18rshift_kernel_cudaERNS_18TensorIteratorBaseEENKUlvE_clEvENKUlvE0_clEvEUlaaE_EESt5arrayIPcLm3EELi4E23TrivialOffsetCalculatorILi2EjESC_ILi1EjENS0_6memory15LoadWithoutCastENSF_16StoreWithoutCastEEEviT_T0_T2_T3_T4_T5_,"axG",@progbits,_ZN2at6native27unrolled_elementwise_kernelINS0_13BinaryFunctorIaaaZZZNS0_18rshift_kernel_cudaERNS_18TensorIteratorBaseEENKUlvE_clEvENKUlvE0_clEvEUlaaE_EESt5arrayIPcLm3EELi4E23TrivialOffsetCalculatorILi2EjESC_ILi1EjENS0_6memory15LoadWithoutCastENSF_16StoreWithoutCastEEEviT_T0_T2_T3_T4_T5_,comdat
	.globl	_ZN2at6native27unrolled_elementwise_kernelINS0_13BinaryFunctorIaaaZZZNS0_18rshift_kernel_cudaERNS_18TensorIteratorBaseEENKUlvE_clEvENKUlvE0_clEvEUlaaE_EESt5arrayIPcLm3EELi4E23TrivialOffsetCalculatorILi2EjESC_ILi1EjENS0_6memory15LoadWithoutCastENSF_16StoreWithoutCastEEEviT_T0_T2_T3_T4_T5_ ; -- Begin function _ZN2at6native27unrolled_elementwise_kernelINS0_13BinaryFunctorIaaaZZZNS0_18rshift_kernel_cudaERNS_18TensorIteratorBaseEENKUlvE_clEvENKUlvE0_clEvEUlaaE_EESt5arrayIPcLm3EELi4E23TrivialOffsetCalculatorILi2EjESC_ILi1EjENS0_6memory15LoadWithoutCastENSF_16StoreWithoutCastEEEviT_T0_T2_T3_T4_T5_
	.p2align	8
	.type	_ZN2at6native27unrolled_elementwise_kernelINS0_13BinaryFunctorIaaaZZZNS0_18rshift_kernel_cudaERNS_18TensorIteratorBaseEENKUlvE_clEvENKUlvE0_clEvEUlaaE_EESt5arrayIPcLm3EELi4E23TrivialOffsetCalculatorILi2EjESC_ILi1EjENS0_6memory15LoadWithoutCastENSF_16StoreWithoutCastEEEviT_T0_T2_T3_T4_T5_,@function
_ZN2at6native27unrolled_elementwise_kernelINS0_13BinaryFunctorIaaaZZZNS0_18rshift_kernel_cudaERNS_18TensorIteratorBaseEENKUlvE_clEvENKUlvE0_clEvEUlaaE_EESt5arrayIPcLm3EELi4E23TrivialOffsetCalculatorILi2EjESC_ILi1EjENS0_6memory15LoadWithoutCastENSF_16StoreWithoutCastEEEviT_T0_T2_T3_T4_T5_: ; @_ZN2at6native27unrolled_elementwise_kernelINS0_13BinaryFunctorIaaaZZZNS0_18rshift_kernel_cudaERNS_18TensorIteratorBaseEENKUlvE_clEvENKUlvE0_clEvEUlaaE_EESt5arrayIPcLm3EELi4E23TrivialOffsetCalculatorILi2EjESC_ILi1EjENS0_6memory15LoadWithoutCastENSF_16StoreWithoutCastEEEviT_T0_T2_T3_T4_T5_
; %bb.0:
	s_load_dword s0, s[4:5], 0x0
	s_load_dwordx4 s[8:11], s[4:5], 0x8
	s_load_dwordx2 s[12:13], s[4:5], 0x18
	s_lshl_b32 s16, s6, 10
                                        ; implicit-def: $vgpr1
	s_waitcnt lgkmcnt(0)
	s_sub_i32 s17, s0, s16
	v_cmp_gt_i32_e64 s[0:1], s17, v0
	v_cmp_le_i32_e32 vcc, s17, v0
	s_and_saveexec_b64 s[2:3], vcc
	s_xor_b64 s[2:3], exec, s[2:3]
; %bb.1:
	v_or_b32_e32 v1, 0x100, v0
; %bb.2:
	s_or_saveexec_b64 s[2:3], s[2:3]
	v_mov_b32_e32 v3, 0
	v_or_b32_e32 v2, s16, v0
	v_mov_b32_e32 v4, 0
	v_mov_b32_e32 v6, 0
	v_mov_b32_e32 v5, 0
	v_mov_b32_e32 v8, 0
	v_mov_b32_e32 v7, 0
	v_mov_b32_e32 v9, 0
	v_mov_b32_e32 v10, 0
	s_xor_b64 exec, exec, s[2:3]
	s_cbranch_execz .LBB164_10
; %bb.3:
	global_load_ubyte v9, v2, s[10:11]
	global_load_ubyte v10, v2, s[12:13]
	v_or_b32_e32 v1, 0x100, v0
	v_cmp_gt_u32_e32 vcc, s17, v1
	v_mov_b32_e32 v7, 0
	v_mov_b32_e32 v8, 0
	;; [unrolled: 1-line block ×6, first 2 shown]
	s_and_saveexec_b64 s[4:5], vcc
	s_cbranch_execz .LBB164_9
; %bb.4:
	v_add_u32_e32 v3, s16, v1
	global_load_ubyte v8, v3, s[10:11]
	global_load_ubyte v7, v3, s[12:13]
	v_or_b32_e32 v11, 0x200, v0
	v_cmp_gt_u32_e32 vcc, s17, v11
	v_mov_b32_e32 v5, 0
	v_mov_b32_e32 v6, 0
	;; [unrolled: 1-line block ×4, first 2 shown]
	s_and_saveexec_b64 s[6:7], vcc
	s_cbranch_execz .LBB164_8
; %bb.5:
	v_add_u32_e32 v3, s16, v11
	global_load_ubyte v6, v3, s[10:11]
	global_load_ubyte v5, v3, s[12:13]
	v_or_b32_e32 v11, 0x300, v0
	v_cmp_gt_u32_e32 vcc, s17, v11
	v_mov_b32_e32 v4, 0
	v_mov_b32_e32 v3, 0
	s_and_saveexec_b64 s[14:15], vcc
	s_cbranch_execz .LBB164_7
; %bb.6:
	v_add_u32_e32 v11, s16, v11
	global_load_ubyte v3, v11, s[10:11]
	global_load_ubyte v4, v11, s[12:13]
.LBB164_7:
	s_or_b64 exec, exec, s[14:15]
.LBB164_8:
	s_or_b64 exec, exec, s[6:7]
.LBB164_9:
	s_or_b64 exec, exec, s[4:5]
.LBB164_10:
	s_or_b64 exec, exec, s[2:3]
	v_mov_b32_e32 v11, 6
	v_mov_b32_e32 v12, 7
	s_waitcnt vmcnt(1)
	v_lshrrev_b16_sdwa v13, v12, sext(v9) dst_sel:DWORD dst_unused:UNUSED_PAD src0_sel:DWORD src1_sel:BYTE_0
	s_waitcnt vmcnt(0)
	v_ashrrev_i32_sdwa v9, v10, sext(v9) dst_sel:DWORD dst_unused:UNUSED_PAD src0_sel:DWORD src1_sel:BYTE_0
	v_cmp_gt_u16_sdwa vcc, v10, v11 src0_sel:BYTE_0 src1_sel:DWORD
	v_cndmask_b32_e32 v9, v9, v13, vcc
	s_mov_b32 s3, 0xffff
	v_lshrrev_b16_sdwa v10, v12, sext(v8) dst_sel:DWORD dst_unused:UNUSED_PAD src0_sel:DWORD src1_sel:BYTE_0
	v_ashrrev_i32_sdwa v8, v7, sext(v8) dst_sel:DWORD dst_unused:UNUSED_PAD src0_sel:DWORD src1_sel:BYTE_0
	v_cmp_gt_u16_sdwa vcc, v7, v11 src0_sel:BYTE_0 src1_sel:DWORD
	v_and_b32_sdwa v9, s3, v9 dst_sel:DWORD dst_unused:UNUSED_PAD src0_sel:DWORD src1_sel:BYTE_0
	v_cndmask_b32_e32 v7, v8, v10, vcc
	v_cndmask_b32_e64 v9, 0, v9, s[0:1]
	v_lshlrev_b16_e32 v7, 8, v7
	v_or_b32_e32 v7, v9, v7
	v_and_b32_e32 v7, 0xffff, v7
	v_cmp_gt_i32_e32 vcc, s17, v1
	v_cndmask_b32_e32 v7, v9, v7, vcc
	v_lshrrev_b16_sdwa v9, v12, sext(v6) dst_sel:DWORD dst_unused:UNUSED_PAD src0_sel:DWORD src1_sel:BYTE_0
	v_ashrrev_i32_sdwa v6, v5, sext(v6) dst_sel:DWORD dst_unused:UNUSED_PAD src0_sel:DWORD src1_sel:BYTE_0
	v_cmp_gt_u16_sdwa vcc, v5, v11 src0_sel:BYTE_0 src1_sel:DWORD
	v_cndmask_b32_e32 v5, v6, v9, vcc
	s_mov_b32 s4, 0xc0c0304
	v_or_b32_e32 v8, 0x200, v0
	v_perm_b32 v5, v5, v7, s4
	v_lshl_or_b32 v5, v5, 16, v7
	v_cmp_gt_i32_e32 vcc, s17, v8
	s_movk_i32 s2, 0xff
	v_cndmask_b32_e32 v5, v7, v5, vcc
	v_cmp_gt_u16_sdwa vcc, v4, v11 src0_sel:BYTE_0 src1_sel:DWORD
	v_lshrrev_b16_sdwa v8, v12, sext(v3) dst_sel:DWORD dst_unused:UNUSED_PAD src0_sel:DWORD src1_sel:BYTE_0
	v_ashrrev_i32_sdwa v3, v4, sext(v3) dst_sel:DWORD dst_unused:UNUSED_PAD src0_sel:DWORD src1_sel:BYTE_0
	v_and_b32_sdwa v6, v5, s2 dst_sel:DWORD dst_unused:UNUSED_PAD src0_sel:WORD_1 src1_sel:DWORD
	v_cndmask_b32_sdwa v3, v3, v8, vcc dst_sel:BYTE_1 dst_unused:UNUSED_PAD src0_sel:DWORD src1_sel:DWORD
	v_or_b32_e32 v7, 0x300, v0
	v_or_b32_sdwa v3, v6, v3 dst_sel:WORD_1 dst_unused:UNUSED_PAD src0_sel:DWORD src1_sel:DWORD
	v_and_or_b32 v3, v5, s3, v3
	v_cmp_gt_i32_e32 vcc, s17, v7
	v_cndmask_b32_e32 v3, v5, v3, vcc
	s_and_saveexec_b64 s[2:3], s[0:1]
	s_cbranch_execnz .LBB164_15
; %bb.11:
	s_or_b64 exec, exec, s[2:3]
	v_cmp_gt_i32_e32 vcc, s17, v0
	s_and_saveexec_b64 s[0:1], vcc
	s_cbranch_execnz .LBB164_16
.LBB164_12:
	s_or_b64 exec, exec, s[0:1]
	v_cmp_gt_i32_e32 vcc, s17, v0
	s_and_saveexec_b64 s[0:1], vcc
	s_cbranch_execnz .LBB164_17
.LBB164_13:
	s_or_b64 exec, exec, s[0:1]
	v_cmp_gt_i32_e32 vcc, s17, v0
	s_and_saveexec_b64 s[0:1], vcc
	s_cbranch_execnz .LBB164_18
.LBB164_14:
	s_endpgm
.LBB164_15:
	v_mov_b32_e32 v0, v1
	global_store_byte v2, v3, s[8:9]
	s_or_b64 exec, exec, s[2:3]
	v_cmp_gt_i32_e32 vcc, s17, v0
	s_and_saveexec_b64 s[0:1], vcc
	s_cbranch_execz .LBB164_12
.LBB164_16:
	v_add_u32_e32 v1, 0x100, v0
	v_add_u32_e32 v0, s16, v0
	v_lshrrev_b32_e32 v2, 8, v3
	global_store_byte v0, v2, s[8:9]
	v_mov_b32_e32 v0, v1
	s_or_b64 exec, exec, s[0:1]
	v_cmp_gt_i32_e32 vcc, s17, v0
	s_and_saveexec_b64 s[0:1], vcc
	s_cbranch_execz .LBB164_13
.LBB164_17:
	v_add_u32_e32 v1, 0x100, v0
	v_add_u32_e32 v0, s16, v0
	global_store_byte_d16_hi v0, v3, s[8:9]
	v_mov_b32_e32 v0, v1
	s_or_b64 exec, exec, s[0:1]
	v_cmp_gt_i32_e32 vcc, s17, v0
	s_and_saveexec_b64 s[0:1], vcc
	s_cbranch_execz .LBB164_14
.LBB164_18:
	v_add_u32_e32 v0, s16, v0
	v_lshrrev_b32_e32 v1, 24, v3
	global_store_byte v0, v1, s[8:9]
	s_endpgm
	.section	.rodata,"a",@progbits
	.p2align	6, 0x0
	.amdhsa_kernel _ZN2at6native27unrolled_elementwise_kernelINS0_13BinaryFunctorIaaaZZZNS0_18rshift_kernel_cudaERNS_18TensorIteratorBaseEENKUlvE_clEvENKUlvE0_clEvEUlaaE_EESt5arrayIPcLm3EELi4E23TrivialOffsetCalculatorILi2EjESC_ILi1EjENS0_6memory15LoadWithoutCastENSF_16StoreWithoutCastEEEviT_T0_T2_T3_T4_T5_
		.amdhsa_group_segment_fixed_size 0
		.amdhsa_private_segment_fixed_size 0
		.amdhsa_kernarg_size 36
		.amdhsa_user_sgpr_count 6
		.amdhsa_user_sgpr_private_segment_buffer 1
		.amdhsa_user_sgpr_dispatch_ptr 0
		.amdhsa_user_sgpr_queue_ptr 0
		.amdhsa_user_sgpr_kernarg_segment_ptr 1
		.amdhsa_user_sgpr_dispatch_id 0
		.amdhsa_user_sgpr_flat_scratch_init 0
		.amdhsa_user_sgpr_private_segment_size 0
		.amdhsa_uses_dynamic_stack 0
		.amdhsa_system_sgpr_private_segment_wavefront_offset 0
		.amdhsa_system_sgpr_workgroup_id_x 1
		.amdhsa_system_sgpr_workgroup_id_y 0
		.amdhsa_system_sgpr_workgroup_id_z 0
		.amdhsa_system_sgpr_workgroup_info 0
		.amdhsa_system_vgpr_workitem_id 0
		.amdhsa_next_free_vgpr 14
		.amdhsa_next_free_sgpr 18
		.amdhsa_reserve_vcc 1
		.amdhsa_reserve_flat_scratch 0
		.amdhsa_float_round_mode_32 0
		.amdhsa_float_round_mode_16_64 0
		.amdhsa_float_denorm_mode_32 3
		.amdhsa_float_denorm_mode_16_64 3
		.amdhsa_dx10_clamp 1
		.amdhsa_ieee_mode 1
		.amdhsa_fp16_overflow 0
		.amdhsa_exception_fp_ieee_invalid_op 0
		.amdhsa_exception_fp_denorm_src 0
		.amdhsa_exception_fp_ieee_div_zero 0
		.amdhsa_exception_fp_ieee_overflow 0
		.amdhsa_exception_fp_ieee_underflow 0
		.amdhsa_exception_fp_ieee_inexact 0
		.amdhsa_exception_int_div_zero 0
	.end_amdhsa_kernel
	.section	.text._ZN2at6native27unrolled_elementwise_kernelINS0_13BinaryFunctorIaaaZZZNS0_18rshift_kernel_cudaERNS_18TensorIteratorBaseEENKUlvE_clEvENKUlvE0_clEvEUlaaE_EESt5arrayIPcLm3EELi4E23TrivialOffsetCalculatorILi2EjESC_ILi1EjENS0_6memory15LoadWithoutCastENSF_16StoreWithoutCastEEEviT_T0_T2_T3_T4_T5_,"axG",@progbits,_ZN2at6native27unrolled_elementwise_kernelINS0_13BinaryFunctorIaaaZZZNS0_18rshift_kernel_cudaERNS_18TensorIteratorBaseEENKUlvE_clEvENKUlvE0_clEvEUlaaE_EESt5arrayIPcLm3EELi4E23TrivialOffsetCalculatorILi2EjESC_ILi1EjENS0_6memory15LoadWithoutCastENSF_16StoreWithoutCastEEEviT_T0_T2_T3_T4_T5_,comdat
.Lfunc_end164:
	.size	_ZN2at6native27unrolled_elementwise_kernelINS0_13BinaryFunctorIaaaZZZNS0_18rshift_kernel_cudaERNS_18TensorIteratorBaseEENKUlvE_clEvENKUlvE0_clEvEUlaaE_EESt5arrayIPcLm3EELi4E23TrivialOffsetCalculatorILi2EjESC_ILi1EjENS0_6memory15LoadWithoutCastENSF_16StoreWithoutCastEEEviT_T0_T2_T3_T4_T5_, .Lfunc_end164-_ZN2at6native27unrolled_elementwise_kernelINS0_13BinaryFunctorIaaaZZZNS0_18rshift_kernel_cudaERNS_18TensorIteratorBaseEENKUlvE_clEvENKUlvE0_clEvEUlaaE_EESt5arrayIPcLm3EELi4E23TrivialOffsetCalculatorILi2EjESC_ILi1EjENS0_6memory15LoadWithoutCastENSF_16StoreWithoutCastEEEviT_T0_T2_T3_T4_T5_
                                        ; -- End function
	.set _ZN2at6native27unrolled_elementwise_kernelINS0_13BinaryFunctorIaaaZZZNS0_18rshift_kernel_cudaERNS_18TensorIteratorBaseEENKUlvE_clEvENKUlvE0_clEvEUlaaE_EESt5arrayIPcLm3EELi4E23TrivialOffsetCalculatorILi2EjESC_ILi1EjENS0_6memory15LoadWithoutCastENSF_16StoreWithoutCastEEEviT_T0_T2_T3_T4_T5_.num_vgpr, 14
	.set _ZN2at6native27unrolled_elementwise_kernelINS0_13BinaryFunctorIaaaZZZNS0_18rshift_kernel_cudaERNS_18TensorIteratorBaseEENKUlvE_clEvENKUlvE0_clEvEUlaaE_EESt5arrayIPcLm3EELi4E23TrivialOffsetCalculatorILi2EjESC_ILi1EjENS0_6memory15LoadWithoutCastENSF_16StoreWithoutCastEEEviT_T0_T2_T3_T4_T5_.num_agpr, 0
	.set _ZN2at6native27unrolled_elementwise_kernelINS0_13BinaryFunctorIaaaZZZNS0_18rshift_kernel_cudaERNS_18TensorIteratorBaseEENKUlvE_clEvENKUlvE0_clEvEUlaaE_EESt5arrayIPcLm3EELi4E23TrivialOffsetCalculatorILi2EjESC_ILi1EjENS0_6memory15LoadWithoutCastENSF_16StoreWithoutCastEEEviT_T0_T2_T3_T4_T5_.numbered_sgpr, 18
	.set _ZN2at6native27unrolled_elementwise_kernelINS0_13BinaryFunctorIaaaZZZNS0_18rshift_kernel_cudaERNS_18TensorIteratorBaseEENKUlvE_clEvENKUlvE0_clEvEUlaaE_EESt5arrayIPcLm3EELi4E23TrivialOffsetCalculatorILi2EjESC_ILi1EjENS0_6memory15LoadWithoutCastENSF_16StoreWithoutCastEEEviT_T0_T2_T3_T4_T5_.num_named_barrier, 0
	.set _ZN2at6native27unrolled_elementwise_kernelINS0_13BinaryFunctorIaaaZZZNS0_18rshift_kernel_cudaERNS_18TensorIteratorBaseEENKUlvE_clEvENKUlvE0_clEvEUlaaE_EESt5arrayIPcLm3EELi4E23TrivialOffsetCalculatorILi2EjESC_ILi1EjENS0_6memory15LoadWithoutCastENSF_16StoreWithoutCastEEEviT_T0_T2_T3_T4_T5_.private_seg_size, 0
	.set _ZN2at6native27unrolled_elementwise_kernelINS0_13BinaryFunctorIaaaZZZNS0_18rshift_kernel_cudaERNS_18TensorIteratorBaseEENKUlvE_clEvENKUlvE0_clEvEUlaaE_EESt5arrayIPcLm3EELi4E23TrivialOffsetCalculatorILi2EjESC_ILi1EjENS0_6memory15LoadWithoutCastENSF_16StoreWithoutCastEEEviT_T0_T2_T3_T4_T5_.uses_vcc, 1
	.set _ZN2at6native27unrolled_elementwise_kernelINS0_13BinaryFunctorIaaaZZZNS0_18rshift_kernel_cudaERNS_18TensorIteratorBaseEENKUlvE_clEvENKUlvE0_clEvEUlaaE_EESt5arrayIPcLm3EELi4E23TrivialOffsetCalculatorILi2EjESC_ILi1EjENS0_6memory15LoadWithoutCastENSF_16StoreWithoutCastEEEviT_T0_T2_T3_T4_T5_.uses_flat_scratch, 0
	.set _ZN2at6native27unrolled_elementwise_kernelINS0_13BinaryFunctorIaaaZZZNS0_18rshift_kernel_cudaERNS_18TensorIteratorBaseEENKUlvE_clEvENKUlvE0_clEvEUlaaE_EESt5arrayIPcLm3EELi4E23TrivialOffsetCalculatorILi2EjESC_ILi1EjENS0_6memory15LoadWithoutCastENSF_16StoreWithoutCastEEEviT_T0_T2_T3_T4_T5_.has_dyn_sized_stack, 0
	.set _ZN2at6native27unrolled_elementwise_kernelINS0_13BinaryFunctorIaaaZZZNS0_18rshift_kernel_cudaERNS_18TensorIteratorBaseEENKUlvE_clEvENKUlvE0_clEvEUlaaE_EESt5arrayIPcLm3EELi4E23TrivialOffsetCalculatorILi2EjESC_ILi1EjENS0_6memory15LoadWithoutCastENSF_16StoreWithoutCastEEEviT_T0_T2_T3_T4_T5_.has_recursion, 0
	.set _ZN2at6native27unrolled_elementwise_kernelINS0_13BinaryFunctorIaaaZZZNS0_18rshift_kernel_cudaERNS_18TensorIteratorBaseEENKUlvE_clEvENKUlvE0_clEvEUlaaE_EESt5arrayIPcLm3EELi4E23TrivialOffsetCalculatorILi2EjESC_ILi1EjENS0_6memory15LoadWithoutCastENSF_16StoreWithoutCastEEEviT_T0_T2_T3_T4_T5_.has_indirect_call, 0
	.section	.AMDGPU.csdata,"",@progbits
; Kernel info:
; codeLenInByte = 768
; TotalNumSgprs: 22
; NumVgprs: 14
; ScratchSize: 0
; MemoryBound: 0
; FloatMode: 240
; IeeeMode: 1
; LDSByteSize: 0 bytes/workgroup (compile time only)
; SGPRBlocks: 2
; VGPRBlocks: 3
; NumSGPRsForWavesPerEU: 22
; NumVGPRsForWavesPerEU: 14
; Occupancy: 10
; WaveLimiterHint : 0
; COMPUTE_PGM_RSRC2:SCRATCH_EN: 0
; COMPUTE_PGM_RSRC2:USER_SGPR: 6
; COMPUTE_PGM_RSRC2:TRAP_HANDLER: 0
; COMPUTE_PGM_RSRC2:TGID_X_EN: 1
; COMPUTE_PGM_RSRC2:TGID_Y_EN: 0
; COMPUTE_PGM_RSRC2:TGID_Z_EN: 0
; COMPUTE_PGM_RSRC2:TIDIG_COMP_CNT: 0
	.section	.text._ZN2at6native32elementwise_kernel_manual_unrollILi128ELi8EZNS0_22gpu_kernel_impl_nocastINS0_13BinaryFunctorIaaaZZZNS0_18rshift_kernel_cudaERNS_18TensorIteratorBaseEENKUlvE_clEvENKUlvE0_clEvEUlaaE_EEEEvS5_RKT_EUlibE_EEviT1_,"axG",@progbits,_ZN2at6native32elementwise_kernel_manual_unrollILi128ELi8EZNS0_22gpu_kernel_impl_nocastINS0_13BinaryFunctorIaaaZZZNS0_18rshift_kernel_cudaERNS_18TensorIteratorBaseEENKUlvE_clEvENKUlvE0_clEvEUlaaE_EEEEvS5_RKT_EUlibE_EEviT1_,comdat
	.globl	_ZN2at6native32elementwise_kernel_manual_unrollILi128ELi8EZNS0_22gpu_kernel_impl_nocastINS0_13BinaryFunctorIaaaZZZNS0_18rshift_kernel_cudaERNS_18TensorIteratorBaseEENKUlvE_clEvENKUlvE0_clEvEUlaaE_EEEEvS5_RKT_EUlibE_EEviT1_ ; -- Begin function _ZN2at6native32elementwise_kernel_manual_unrollILi128ELi8EZNS0_22gpu_kernel_impl_nocastINS0_13BinaryFunctorIaaaZZZNS0_18rshift_kernel_cudaERNS_18TensorIteratorBaseEENKUlvE_clEvENKUlvE0_clEvEUlaaE_EEEEvS5_RKT_EUlibE_EEviT1_
	.p2align	8
	.type	_ZN2at6native32elementwise_kernel_manual_unrollILi128ELi8EZNS0_22gpu_kernel_impl_nocastINS0_13BinaryFunctorIaaaZZZNS0_18rshift_kernel_cudaERNS_18TensorIteratorBaseEENKUlvE_clEvENKUlvE0_clEvEUlaaE_EEEEvS5_RKT_EUlibE_EEviT1_,@function
_ZN2at6native32elementwise_kernel_manual_unrollILi128ELi8EZNS0_22gpu_kernel_impl_nocastINS0_13BinaryFunctorIaaaZZZNS0_18rshift_kernel_cudaERNS_18TensorIteratorBaseEENKUlvE_clEvENKUlvE0_clEvEUlaaE_EEEEvS5_RKT_EUlibE_EEviT1_: ; @_ZN2at6native32elementwise_kernel_manual_unrollILi128ELi8EZNS0_22gpu_kernel_impl_nocastINS0_13BinaryFunctorIaaaZZZNS0_18rshift_kernel_cudaERNS_18TensorIteratorBaseEENKUlvE_clEvENKUlvE0_clEvEUlaaE_EEEEvS5_RKT_EUlibE_EEviT1_
; %bb.0:
	s_load_dword s36, s[4:5], 0x0
	s_load_dword s33, s[4:5], 0x8
	s_add_u32 s12, s4, 8
	s_addc_u32 s13, s5, 0
	v_lshl_or_b32 v31, s6, 10, v0
	v_or_b32_e32 v41, 0x380, v31
	s_waitcnt lgkmcnt(0)
	s_add_i32 s34, s33, -1
	s_cmp_gt_u32 s34, 1
	v_cmp_le_i32_e32 vcc, s36, v41
	s_cselect_b64 s[14:15], -1, 0
	s_and_saveexec_b64 s[0:1], vcc
	s_xor_b64 s[16:17], exec, s[0:1]
	s_cbranch_execz .LBB165_106
; %bb.1:
	s_load_dwordx4 s[8:11], s[12:13], 0x4
	s_load_dwordx2 s[22:23], s[12:13], 0x14
	s_load_dwordx4 s[4:7], s[12:13], 0xc4
	s_load_dwordx2 s[20:21], s[12:13], 0xd4
	s_load_dwordx2 s[18:19], s[12:13], 0x198
	s_load_dwordx4 s[0:3], s[12:13], 0x188
	s_cmp_lg_u32 s33, 0
	s_cselect_b64 s[26:27], -1, 0
	s_min_u32 s35, s34, 15
	s_cmp_gt_u32 s33, 1
	s_cselect_b64 s[24:25], -1, 0
	v_cmp_gt_i32_e32 vcc, s36, v31
	s_and_saveexec_b64 s[28:29], vcc
	s_cbranch_execnz .LBB165_9
; %bb.2:
	s_or_b64 exec, exec, s[28:29]
	v_cmp_gt_i32_e32 vcc, s36, v31
	s_and_saveexec_b64 s[28:29], vcc
	s_cbranch_execnz .LBB165_21
.LBB165_3:
	s_or_b64 exec, exec, s[28:29]
	v_cmp_gt_i32_e32 vcc, s36, v31
	s_and_saveexec_b64 s[28:29], vcc
	s_cbranch_execnz .LBB165_33
.LBB165_4:
	s_or_b64 exec, exec, s[28:29]
	v_cmp_gt_i32_e32 vcc, s36, v31
	s_and_saveexec_b64 s[28:29], vcc
	s_cbranch_execnz .LBB165_45
.LBB165_5:
	s_or_b64 exec, exec, s[28:29]
	v_cmp_gt_i32_e32 vcc, s36, v31
	s_and_saveexec_b64 s[28:29], vcc
	s_cbranch_execnz .LBB165_57
.LBB165_6:
	s_or_b64 exec, exec, s[28:29]
	v_cmp_gt_i32_e32 vcc, s36, v31
	s_and_saveexec_b64 s[28:29], vcc
	s_cbranch_execnz .LBB165_69
.LBB165_7:
	s_or_b64 exec, exec, s[28:29]
	v_cmp_gt_i32_e32 vcc, s36, v31
	s_and_saveexec_b64 s[28:29], vcc
	s_cbranch_execnz .LBB165_81
.LBB165_8:
	s_or_b64 exec, exec, s[28:29]
	v_cmp_gt_i32_e32 vcc, s36, v31
	s_and_saveexec_b64 s[28:29], vcc
	s_cbranch_execnz .LBB165_93
	s_branch .LBB165_105
.LBB165_9:
	s_andn2_b64 vcc, exec, s[14:15]
	s_cbranch_vccnz .LBB165_15
; %bb.10:
	s_andn2_b64 vcc, exec, s[26:27]
	s_cbranch_vccnz .LBB165_16
; %bb.11:
	s_add_i32 s30, s35, 1
	s_and_b32 s37, s30, 30
	s_add_u32 s30, s12, 0xffffffe8
	s_addc_u32 s31, s13, -1
	v_mov_b32_e32 v2, 0
	v_mov_b32_e32 v4, 0
	;; [unrolled: 1-line block ×4, first 2 shown]
.LBB165_12:                             ; =>This Inner Loop Header: Depth=1
	s_load_dwordx4 s[40:43], s[30:31], 0x1c
	s_load_dwordx2 s[38:39], s[30:31], 0x2c
	s_load_dwordx2 s[48:49], s[30:31], 0xec
	s_load_dwordx4 s[44:47], s[30:31], 0xdc
	s_add_u32 s30, s30, 24
	s_waitcnt lgkmcnt(0)
	v_mul_hi_u32 v3, s41, v1
	s_addc_u32 s31, s31, 0
	s_add_i32 s37, s37, -2
	s_cmp_lg_u32 s37, 0
	v_add_u32_e32 v3, v1, v3
	v_lshrrev_b32_e32 v3, s42, v3
	v_mul_lo_u32 v5, v3, s40
	v_mul_hi_u32 v6, s38, v3
	v_sub_u32_e32 v5, v1, v5
	v_add_u32_e32 v1, v3, v6
	v_lshrrev_b32_e32 v1, s39, v1
	v_mul_lo_u32 v8, v1, s43
	v_mul_lo_u32 v6, v5, s44
	;; [unrolled: 1-line block ×4, first 2 shown]
	v_sub_u32_e32 v3, v3, v8
	v_mul_lo_u32 v8, v3, s47
	v_mul_lo_u32 v9, v3, s48
	;; [unrolled: 1-line block ×3, first 2 shown]
	v_add3_u32 v0, v6, v0, v8
	v_add3_u32 v4, v7, v4, v9
	v_add3_u32 v2, v5, v2, v3
	s_cbranch_scc1 .LBB165_12
; %bb.13:
	s_bitcmp1_b32 s35, 0
	s_cselect_b64 s[38:39], -1, 0
	s_and_b64 vcc, exec, s[38:39]
	s_cbranch_vccnz .LBB165_17
; %bb.14:
	s_load_dwordx2 s[38:39], s[30:31], 0x1c
	s_load_dword s37, s[30:31], 0x24
	s_load_dwordx2 s[40:41], s[30:31], 0xdc
	s_waitcnt lgkmcnt(0)
	v_mul_hi_u32 v3, s39, v1
	v_add_u32_e32 v3, v1, v3
	v_lshrrev_b32_e32 v3, s37, v3
	v_mul_lo_u32 v3, v3, s38
	s_load_dword s37, s[30:31], 0xe4
	v_sub_u32_e32 v3, v1, v3
	v_mad_u64_u32 v[0:1], s[30:31], v3, s40, v[0:1]
	v_mad_u64_u32 v[4:5], s[30:31], v3, s41, v[4:5]
	s_waitcnt lgkmcnt(0)
	v_mad_u64_u32 v[2:3], s[30:31], v3, s37, v[2:3]
	s_cbranch_execz .LBB165_18
	s_branch .LBB165_20
.LBB165_15:
                                        ; implicit-def: $vgpr0
                                        ; implicit-def: $vgpr4
                                        ; implicit-def: $vgpr2
	s_branch .LBB165_18
.LBB165_16:
	v_mov_b32_e32 v0, 0
	v_mov_b32_e32 v4, 0
	;; [unrolled: 1-line block ×3, first 2 shown]
.LBB165_17:
	s_cbranch_execnz .LBB165_20
.LBB165_18:
	s_waitcnt lgkmcnt(0)
	v_mul_hi_u32 v0, s9, v31
	s_andn2_b64 vcc, exec, s[24:25]
	v_add_u32_e32 v0, v31, v0
	v_lshrrev_b32_e32 v1, s10, v0
	v_mul_lo_u32 v0, v1, s8
	v_sub_u32_e32 v2, v31, v0
	v_mul_lo_u32 v0, v2, s4
	v_mul_lo_u32 v4, v2, s5
	;; [unrolled: 1-line block ×3, first 2 shown]
	s_cbranch_vccnz .LBB165_20
; %bb.19:
	v_mul_hi_u32 v3, s22, v1
	v_add_u32_e32 v3, v1, v3
	v_lshrrev_b32_e32 v3, s23, v3
	v_mul_lo_u32 v3, v3, s11
	v_sub_u32_e32 v3, v1, v3
	v_mad_u64_u32 v[0:1], s[30:31], v3, s7, v[0:1]
	v_mad_u64_u32 v[4:5], s[30:31], v3, s20, v[4:5]
	;; [unrolled: 1-line block ×3, first 2 shown]
.LBB165_20:
	s_waitcnt lgkmcnt(0)
	global_load_sbyte v1, v4, s[2:3]
	global_load_ubyte v3, v2, s[18:19]
	v_add_u32_e32 v31, 0x80, v31
	s_waitcnt vmcnt(1)
	v_lshrrev_b16_e32 v2, 7, v1
	s_waitcnt vmcnt(0)
	v_ashrrev_i32_sdwa v1, v3, sext(v1) dst_sel:DWORD dst_unused:UNUSED_PAD src0_sel:DWORD src1_sel:WORD_0
	v_cmp_lt_u32_e32 vcc, 6, v3
	v_cndmask_b32_e32 v1, v1, v2, vcc
	global_store_byte v0, v1, s[0:1]
	s_or_b64 exec, exec, s[28:29]
	v_cmp_gt_i32_e32 vcc, s36, v31
	s_and_saveexec_b64 s[28:29], vcc
	s_cbranch_execz .LBB165_3
.LBB165_21:
	s_andn2_b64 vcc, exec, s[14:15]
	s_cbranch_vccnz .LBB165_27
; %bb.22:
	s_andn2_b64 vcc, exec, s[26:27]
	s_cbranch_vccnz .LBB165_28
; %bb.23:
	s_add_i32 s30, s35, 1
	s_and_b32 s37, s30, 30
	s_add_u32 s30, s12, 0xffffffe8
	s_addc_u32 s31, s13, -1
	v_mov_b32_e32 v2, 0
	v_mov_b32_e32 v4, 0
	;; [unrolled: 1-line block ×4, first 2 shown]
.LBB165_24:                             ; =>This Inner Loop Header: Depth=1
	s_load_dwordx4 s[40:43], s[30:31], 0x1c
	s_load_dwordx2 s[38:39], s[30:31], 0x2c
	s_load_dwordx2 s[48:49], s[30:31], 0xec
	s_load_dwordx4 s[44:47], s[30:31], 0xdc
	s_add_u32 s30, s30, 24
	s_waitcnt lgkmcnt(0)
	v_mul_hi_u32 v3, s41, v1
	s_addc_u32 s31, s31, 0
	s_add_i32 s37, s37, -2
	s_cmp_eq_u32 s37, 0
	v_add_u32_e32 v3, v1, v3
	v_lshrrev_b32_e32 v3, s42, v3
	v_mul_lo_u32 v5, v3, s40
	v_mul_hi_u32 v6, s38, v3
	v_sub_u32_e32 v5, v1, v5
	v_add_u32_e32 v1, v3, v6
	v_lshrrev_b32_e32 v1, s39, v1
	v_mul_lo_u32 v8, v1, s43
	v_mul_lo_u32 v6, v5, s44
	;; [unrolled: 1-line block ×4, first 2 shown]
	v_sub_u32_e32 v3, v3, v8
	v_mul_lo_u32 v8, v3, s47
	v_mul_lo_u32 v9, v3, s48
	;; [unrolled: 1-line block ×3, first 2 shown]
	v_add3_u32 v0, v6, v0, v8
	v_add3_u32 v4, v7, v4, v9
	;; [unrolled: 1-line block ×3, first 2 shown]
	s_cbranch_scc0 .LBB165_24
; %bb.25:
	s_bitcmp1_b32 s35, 0
	s_cselect_b64 s[38:39], -1, 0
	s_and_b64 vcc, exec, s[38:39]
	s_cbranch_vccnz .LBB165_29
; %bb.26:
	s_load_dwordx2 s[38:39], s[30:31], 0x1c
	s_load_dword s37, s[30:31], 0x24
	s_load_dwordx2 s[40:41], s[30:31], 0xdc
	s_waitcnt lgkmcnt(0)
	v_mul_hi_u32 v3, s39, v1
	v_add_u32_e32 v3, v1, v3
	v_lshrrev_b32_e32 v3, s37, v3
	v_mul_lo_u32 v3, v3, s38
	s_load_dword s37, s[30:31], 0xe4
	v_sub_u32_e32 v3, v1, v3
	v_mad_u64_u32 v[0:1], s[30:31], v3, s40, v[0:1]
	v_mad_u64_u32 v[4:5], s[30:31], v3, s41, v[4:5]
	s_waitcnt lgkmcnt(0)
	v_mad_u64_u32 v[2:3], s[30:31], v3, s37, v[2:3]
	s_branch .LBB165_29
.LBB165_27:
                                        ; implicit-def: $vgpr0
                                        ; implicit-def: $vgpr4
                                        ; implicit-def: $vgpr2
	s_branch .LBB165_30
.LBB165_28:
	v_mov_b32_e32 v0, 0
	v_mov_b32_e32 v4, 0
	;; [unrolled: 1-line block ×3, first 2 shown]
.LBB165_29:
	s_cbranch_execnz .LBB165_32
.LBB165_30:
	s_waitcnt lgkmcnt(0)
	v_mul_hi_u32 v0, s9, v31
	s_andn2_b64 vcc, exec, s[24:25]
	v_add_u32_e32 v0, v31, v0
	v_lshrrev_b32_e32 v1, s10, v0
	v_mul_lo_u32 v0, v1, s8
	v_sub_u32_e32 v2, v31, v0
	v_mul_lo_u32 v0, v2, s4
	v_mul_lo_u32 v4, v2, s5
	v_mul_lo_u32 v2, v2, s6
	s_cbranch_vccnz .LBB165_32
; %bb.31:
	v_mul_hi_u32 v3, s22, v1
	v_add_u32_e32 v3, v1, v3
	v_lshrrev_b32_e32 v3, s23, v3
	v_mul_lo_u32 v3, v3, s11
	v_sub_u32_e32 v3, v1, v3
	v_mad_u64_u32 v[0:1], s[30:31], v3, s7, v[0:1]
	v_mad_u64_u32 v[4:5], s[30:31], v3, s20, v[4:5]
	v_mad_u64_u32 v[2:3], s[30:31], v3, s21, v[2:3]
.LBB165_32:
	s_waitcnt lgkmcnt(0)
	global_load_sbyte v1, v4, s[2:3]
	global_load_ubyte v3, v2, s[18:19]
	v_add_u32_e32 v31, 0x80, v31
	s_waitcnt vmcnt(1)
	v_lshrrev_b16_e32 v2, 7, v1
	s_waitcnt vmcnt(0)
	v_ashrrev_i32_sdwa v1, v3, sext(v1) dst_sel:DWORD dst_unused:UNUSED_PAD src0_sel:DWORD src1_sel:WORD_0
	v_cmp_lt_u32_e32 vcc, 6, v3
	v_cndmask_b32_e32 v1, v1, v2, vcc
	global_store_byte v0, v1, s[0:1]
	s_or_b64 exec, exec, s[28:29]
	v_cmp_gt_i32_e32 vcc, s36, v31
	s_and_saveexec_b64 s[28:29], vcc
	s_cbranch_execz .LBB165_4
.LBB165_33:
	s_andn2_b64 vcc, exec, s[14:15]
	s_cbranch_vccnz .LBB165_39
; %bb.34:
	s_andn2_b64 vcc, exec, s[26:27]
	s_cbranch_vccnz .LBB165_40
; %bb.35:
	s_add_i32 s30, s35, 1
	s_and_b32 s37, s30, 30
	s_add_u32 s30, s12, 0xffffffe8
	s_addc_u32 s31, s13, -1
	v_mov_b32_e32 v2, 0
	v_mov_b32_e32 v4, 0
	;; [unrolled: 1-line block ×4, first 2 shown]
.LBB165_36:                             ; =>This Inner Loop Header: Depth=1
	s_load_dwordx4 s[40:43], s[30:31], 0x1c
	s_load_dwordx2 s[38:39], s[30:31], 0x2c
	s_load_dwordx2 s[48:49], s[30:31], 0xec
	s_load_dwordx4 s[44:47], s[30:31], 0xdc
	s_add_u32 s30, s30, 24
	s_waitcnt lgkmcnt(0)
	v_mul_hi_u32 v3, s41, v1
	s_addc_u32 s31, s31, 0
	s_add_i32 s37, s37, -2
	s_cmp_eq_u32 s37, 0
	v_add_u32_e32 v3, v1, v3
	v_lshrrev_b32_e32 v3, s42, v3
	v_mul_lo_u32 v5, v3, s40
	v_mul_hi_u32 v6, s38, v3
	v_sub_u32_e32 v5, v1, v5
	v_add_u32_e32 v1, v3, v6
	v_lshrrev_b32_e32 v1, s39, v1
	v_mul_lo_u32 v8, v1, s43
	v_mul_lo_u32 v6, v5, s44
	;; [unrolled: 1-line block ×4, first 2 shown]
	v_sub_u32_e32 v3, v3, v8
	v_mul_lo_u32 v8, v3, s47
	v_mul_lo_u32 v9, v3, s48
	v_mul_lo_u32 v3, v3, s49
	v_add3_u32 v0, v6, v0, v8
	v_add3_u32 v4, v7, v4, v9
	;; [unrolled: 1-line block ×3, first 2 shown]
	s_cbranch_scc0 .LBB165_36
; %bb.37:
	s_bitcmp1_b32 s35, 0
	s_cselect_b64 s[38:39], -1, 0
	s_and_b64 vcc, exec, s[38:39]
	s_cbranch_vccnz .LBB165_41
; %bb.38:
	s_load_dwordx2 s[38:39], s[30:31], 0x1c
	s_load_dword s37, s[30:31], 0x24
	s_load_dwordx2 s[40:41], s[30:31], 0xdc
	s_waitcnt lgkmcnt(0)
	v_mul_hi_u32 v3, s39, v1
	v_add_u32_e32 v3, v1, v3
	v_lshrrev_b32_e32 v3, s37, v3
	v_mul_lo_u32 v3, v3, s38
	s_load_dword s37, s[30:31], 0xe4
	v_sub_u32_e32 v3, v1, v3
	v_mad_u64_u32 v[0:1], s[30:31], v3, s40, v[0:1]
	v_mad_u64_u32 v[4:5], s[30:31], v3, s41, v[4:5]
	s_waitcnt lgkmcnt(0)
	v_mad_u64_u32 v[2:3], s[30:31], v3, s37, v[2:3]
	s_branch .LBB165_41
.LBB165_39:
                                        ; implicit-def: $vgpr0
                                        ; implicit-def: $vgpr4
                                        ; implicit-def: $vgpr2
	s_branch .LBB165_42
.LBB165_40:
	v_mov_b32_e32 v0, 0
	v_mov_b32_e32 v4, 0
	;; [unrolled: 1-line block ×3, first 2 shown]
.LBB165_41:
	s_cbranch_execnz .LBB165_44
.LBB165_42:
	s_waitcnt lgkmcnt(0)
	v_mul_hi_u32 v0, s9, v31
	s_andn2_b64 vcc, exec, s[24:25]
	v_add_u32_e32 v0, v31, v0
	v_lshrrev_b32_e32 v1, s10, v0
	v_mul_lo_u32 v0, v1, s8
	v_sub_u32_e32 v2, v31, v0
	v_mul_lo_u32 v0, v2, s4
	v_mul_lo_u32 v4, v2, s5
	;; [unrolled: 1-line block ×3, first 2 shown]
	s_cbranch_vccnz .LBB165_44
; %bb.43:
	v_mul_hi_u32 v3, s22, v1
	v_add_u32_e32 v3, v1, v3
	v_lshrrev_b32_e32 v3, s23, v3
	v_mul_lo_u32 v3, v3, s11
	v_sub_u32_e32 v3, v1, v3
	v_mad_u64_u32 v[0:1], s[30:31], v3, s7, v[0:1]
	v_mad_u64_u32 v[4:5], s[30:31], v3, s20, v[4:5]
	;; [unrolled: 1-line block ×3, first 2 shown]
.LBB165_44:
	s_waitcnt lgkmcnt(0)
	global_load_sbyte v1, v4, s[2:3]
	global_load_ubyte v3, v2, s[18:19]
	v_add_u32_e32 v31, 0x80, v31
	s_waitcnt vmcnt(1)
	v_lshrrev_b16_e32 v2, 7, v1
	s_waitcnt vmcnt(0)
	v_ashrrev_i32_sdwa v1, v3, sext(v1) dst_sel:DWORD dst_unused:UNUSED_PAD src0_sel:DWORD src1_sel:WORD_0
	v_cmp_lt_u32_e32 vcc, 6, v3
	v_cndmask_b32_e32 v1, v1, v2, vcc
	global_store_byte v0, v1, s[0:1]
	s_or_b64 exec, exec, s[28:29]
	v_cmp_gt_i32_e32 vcc, s36, v31
	s_and_saveexec_b64 s[28:29], vcc
	s_cbranch_execz .LBB165_5
.LBB165_45:
	s_andn2_b64 vcc, exec, s[14:15]
	s_cbranch_vccnz .LBB165_51
; %bb.46:
	s_andn2_b64 vcc, exec, s[26:27]
	s_cbranch_vccnz .LBB165_52
; %bb.47:
	s_add_i32 s30, s35, 1
	s_and_b32 s37, s30, 30
	s_add_u32 s30, s12, 0xffffffe8
	s_addc_u32 s31, s13, -1
	v_mov_b32_e32 v2, 0
	v_mov_b32_e32 v4, 0
	;; [unrolled: 1-line block ×4, first 2 shown]
.LBB165_48:                             ; =>This Inner Loop Header: Depth=1
	s_load_dwordx4 s[40:43], s[30:31], 0x1c
	s_load_dwordx2 s[38:39], s[30:31], 0x2c
	s_load_dwordx2 s[48:49], s[30:31], 0xec
	s_load_dwordx4 s[44:47], s[30:31], 0xdc
	s_add_u32 s30, s30, 24
	s_waitcnt lgkmcnt(0)
	v_mul_hi_u32 v3, s41, v1
	s_addc_u32 s31, s31, 0
	s_add_i32 s37, s37, -2
	s_cmp_eq_u32 s37, 0
	v_add_u32_e32 v3, v1, v3
	v_lshrrev_b32_e32 v3, s42, v3
	v_mul_lo_u32 v5, v3, s40
	v_mul_hi_u32 v6, s38, v3
	v_sub_u32_e32 v5, v1, v5
	v_add_u32_e32 v1, v3, v6
	v_lshrrev_b32_e32 v1, s39, v1
	v_mul_lo_u32 v8, v1, s43
	v_mul_lo_u32 v6, v5, s44
	v_mul_lo_u32 v7, v5, s45
	v_mul_lo_u32 v5, v5, s46
	v_sub_u32_e32 v3, v3, v8
	v_mul_lo_u32 v8, v3, s47
	v_mul_lo_u32 v9, v3, s48
	;; [unrolled: 1-line block ×3, first 2 shown]
	v_add3_u32 v0, v6, v0, v8
	v_add3_u32 v4, v7, v4, v9
	;; [unrolled: 1-line block ×3, first 2 shown]
	s_cbranch_scc0 .LBB165_48
; %bb.49:
	s_bitcmp1_b32 s35, 0
	s_cselect_b64 s[38:39], -1, 0
	s_and_b64 vcc, exec, s[38:39]
	s_cbranch_vccnz .LBB165_53
; %bb.50:
	s_load_dwordx2 s[38:39], s[30:31], 0x1c
	s_load_dword s37, s[30:31], 0x24
	s_load_dwordx2 s[40:41], s[30:31], 0xdc
	s_waitcnt lgkmcnt(0)
	v_mul_hi_u32 v3, s39, v1
	v_add_u32_e32 v3, v1, v3
	v_lshrrev_b32_e32 v3, s37, v3
	v_mul_lo_u32 v3, v3, s38
	s_load_dword s37, s[30:31], 0xe4
	v_sub_u32_e32 v3, v1, v3
	v_mad_u64_u32 v[0:1], s[30:31], v3, s40, v[0:1]
	v_mad_u64_u32 v[4:5], s[30:31], v3, s41, v[4:5]
	s_waitcnt lgkmcnt(0)
	v_mad_u64_u32 v[2:3], s[30:31], v3, s37, v[2:3]
	s_branch .LBB165_53
.LBB165_51:
                                        ; implicit-def: $vgpr0
                                        ; implicit-def: $vgpr4
                                        ; implicit-def: $vgpr2
	s_branch .LBB165_54
.LBB165_52:
	v_mov_b32_e32 v0, 0
	v_mov_b32_e32 v4, 0
	;; [unrolled: 1-line block ×3, first 2 shown]
.LBB165_53:
	s_cbranch_execnz .LBB165_56
.LBB165_54:
	s_waitcnt lgkmcnt(0)
	v_mul_hi_u32 v0, s9, v31
	s_andn2_b64 vcc, exec, s[24:25]
	v_add_u32_e32 v0, v31, v0
	v_lshrrev_b32_e32 v1, s10, v0
	v_mul_lo_u32 v0, v1, s8
	v_sub_u32_e32 v2, v31, v0
	v_mul_lo_u32 v0, v2, s4
	v_mul_lo_u32 v4, v2, s5
	;; [unrolled: 1-line block ×3, first 2 shown]
	s_cbranch_vccnz .LBB165_56
; %bb.55:
	v_mul_hi_u32 v3, s22, v1
	v_add_u32_e32 v3, v1, v3
	v_lshrrev_b32_e32 v3, s23, v3
	v_mul_lo_u32 v3, v3, s11
	v_sub_u32_e32 v3, v1, v3
	v_mad_u64_u32 v[0:1], s[30:31], v3, s7, v[0:1]
	v_mad_u64_u32 v[4:5], s[30:31], v3, s20, v[4:5]
	;; [unrolled: 1-line block ×3, first 2 shown]
.LBB165_56:
	s_waitcnt lgkmcnt(0)
	global_load_sbyte v1, v4, s[2:3]
	global_load_ubyte v3, v2, s[18:19]
	v_add_u32_e32 v31, 0x80, v31
	s_waitcnt vmcnt(1)
	v_lshrrev_b16_e32 v2, 7, v1
	s_waitcnt vmcnt(0)
	v_ashrrev_i32_sdwa v1, v3, sext(v1) dst_sel:DWORD dst_unused:UNUSED_PAD src0_sel:DWORD src1_sel:WORD_0
	v_cmp_lt_u32_e32 vcc, 6, v3
	v_cndmask_b32_e32 v1, v1, v2, vcc
	global_store_byte v0, v1, s[0:1]
	s_or_b64 exec, exec, s[28:29]
	v_cmp_gt_i32_e32 vcc, s36, v31
	s_and_saveexec_b64 s[28:29], vcc
	s_cbranch_execz .LBB165_6
.LBB165_57:
	s_andn2_b64 vcc, exec, s[14:15]
	s_cbranch_vccnz .LBB165_63
; %bb.58:
	s_andn2_b64 vcc, exec, s[26:27]
	s_cbranch_vccnz .LBB165_64
; %bb.59:
	s_add_i32 s30, s35, 1
	s_and_b32 s37, s30, 30
	s_add_u32 s30, s12, 0xffffffe8
	s_addc_u32 s31, s13, -1
	v_mov_b32_e32 v2, 0
	v_mov_b32_e32 v4, 0
	;; [unrolled: 1-line block ×4, first 2 shown]
.LBB165_60:                             ; =>This Inner Loop Header: Depth=1
	s_load_dwordx4 s[40:43], s[30:31], 0x1c
	s_load_dwordx2 s[38:39], s[30:31], 0x2c
	s_load_dwordx2 s[48:49], s[30:31], 0xec
	s_load_dwordx4 s[44:47], s[30:31], 0xdc
	s_add_u32 s30, s30, 24
	s_waitcnt lgkmcnt(0)
	v_mul_hi_u32 v3, s41, v1
	s_addc_u32 s31, s31, 0
	s_add_i32 s37, s37, -2
	s_cmp_eq_u32 s37, 0
	v_add_u32_e32 v3, v1, v3
	v_lshrrev_b32_e32 v3, s42, v3
	v_mul_lo_u32 v5, v3, s40
	v_mul_hi_u32 v6, s38, v3
	v_sub_u32_e32 v5, v1, v5
	v_add_u32_e32 v1, v3, v6
	v_lshrrev_b32_e32 v1, s39, v1
	v_mul_lo_u32 v8, v1, s43
	v_mul_lo_u32 v6, v5, s44
	;; [unrolled: 1-line block ×4, first 2 shown]
	v_sub_u32_e32 v3, v3, v8
	v_mul_lo_u32 v8, v3, s47
	v_mul_lo_u32 v9, v3, s48
	;; [unrolled: 1-line block ×3, first 2 shown]
	v_add3_u32 v0, v6, v0, v8
	v_add3_u32 v4, v7, v4, v9
	;; [unrolled: 1-line block ×3, first 2 shown]
	s_cbranch_scc0 .LBB165_60
; %bb.61:
	s_bitcmp1_b32 s35, 0
	s_cselect_b64 s[38:39], -1, 0
	s_and_b64 vcc, exec, s[38:39]
	s_cbranch_vccnz .LBB165_65
; %bb.62:
	s_load_dwordx2 s[38:39], s[30:31], 0x1c
	s_load_dword s37, s[30:31], 0x24
	s_load_dwordx2 s[40:41], s[30:31], 0xdc
	s_waitcnt lgkmcnt(0)
	v_mul_hi_u32 v3, s39, v1
	v_add_u32_e32 v3, v1, v3
	v_lshrrev_b32_e32 v3, s37, v3
	v_mul_lo_u32 v3, v3, s38
	s_load_dword s37, s[30:31], 0xe4
	v_sub_u32_e32 v3, v1, v3
	v_mad_u64_u32 v[0:1], s[30:31], v3, s40, v[0:1]
	v_mad_u64_u32 v[4:5], s[30:31], v3, s41, v[4:5]
	s_waitcnt lgkmcnt(0)
	v_mad_u64_u32 v[2:3], s[30:31], v3, s37, v[2:3]
	s_branch .LBB165_65
.LBB165_63:
                                        ; implicit-def: $vgpr0
                                        ; implicit-def: $vgpr4
                                        ; implicit-def: $vgpr2
	s_branch .LBB165_66
.LBB165_64:
	v_mov_b32_e32 v0, 0
	v_mov_b32_e32 v4, 0
	;; [unrolled: 1-line block ×3, first 2 shown]
.LBB165_65:
	s_cbranch_execnz .LBB165_68
.LBB165_66:
	s_waitcnt lgkmcnt(0)
	v_mul_hi_u32 v0, s9, v31
	s_andn2_b64 vcc, exec, s[24:25]
	v_add_u32_e32 v0, v31, v0
	v_lshrrev_b32_e32 v1, s10, v0
	v_mul_lo_u32 v0, v1, s8
	v_sub_u32_e32 v2, v31, v0
	v_mul_lo_u32 v0, v2, s4
	v_mul_lo_u32 v4, v2, s5
	;; [unrolled: 1-line block ×3, first 2 shown]
	s_cbranch_vccnz .LBB165_68
; %bb.67:
	v_mul_hi_u32 v3, s22, v1
	v_add_u32_e32 v3, v1, v3
	v_lshrrev_b32_e32 v3, s23, v3
	v_mul_lo_u32 v3, v3, s11
	v_sub_u32_e32 v3, v1, v3
	v_mad_u64_u32 v[0:1], s[30:31], v3, s7, v[0:1]
	v_mad_u64_u32 v[4:5], s[30:31], v3, s20, v[4:5]
	;; [unrolled: 1-line block ×3, first 2 shown]
.LBB165_68:
	s_waitcnt lgkmcnt(0)
	global_load_sbyte v1, v4, s[2:3]
	global_load_ubyte v3, v2, s[18:19]
	v_add_u32_e32 v31, 0x80, v31
	s_waitcnt vmcnt(1)
	v_lshrrev_b16_e32 v2, 7, v1
	s_waitcnt vmcnt(0)
	v_ashrrev_i32_sdwa v1, v3, sext(v1) dst_sel:DWORD dst_unused:UNUSED_PAD src0_sel:DWORD src1_sel:WORD_0
	v_cmp_lt_u32_e32 vcc, 6, v3
	v_cndmask_b32_e32 v1, v1, v2, vcc
	global_store_byte v0, v1, s[0:1]
	s_or_b64 exec, exec, s[28:29]
	v_cmp_gt_i32_e32 vcc, s36, v31
	s_and_saveexec_b64 s[28:29], vcc
	s_cbranch_execz .LBB165_7
.LBB165_69:
	s_andn2_b64 vcc, exec, s[14:15]
	s_cbranch_vccnz .LBB165_75
; %bb.70:
	s_andn2_b64 vcc, exec, s[26:27]
	s_cbranch_vccnz .LBB165_76
; %bb.71:
	s_add_i32 s30, s35, 1
	s_and_b32 s37, s30, 30
	s_add_u32 s30, s12, 0xffffffe8
	s_addc_u32 s31, s13, -1
	v_mov_b32_e32 v2, 0
	v_mov_b32_e32 v4, 0
	v_mov_b32_e32 v0, 0
	v_mov_b32_e32 v1, v31
.LBB165_72:                             ; =>This Inner Loop Header: Depth=1
	s_load_dwordx4 s[40:43], s[30:31], 0x1c
	s_load_dwordx2 s[38:39], s[30:31], 0x2c
	s_load_dwordx2 s[48:49], s[30:31], 0xec
	s_load_dwordx4 s[44:47], s[30:31], 0xdc
	s_add_u32 s30, s30, 24
	s_waitcnt lgkmcnt(0)
	v_mul_hi_u32 v3, s41, v1
	s_addc_u32 s31, s31, 0
	s_add_i32 s37, s37, -2
	s_cmp_eq_u32 s37, 0
	v_add_u32_e32 v3, v1, v3
	v_lshrrev_b32_e32 v3, s42, v3
	v_mul_lo_u32 v5, v3, s40
	v_mul_hi_u32 v6, s38, v3
	v_sub_u32_e32 v5, v1, v5
	v_add_u32_e32 v1, v3, v6
	v_lshrrev_b32_e32 v1, s39, v1
	v_mul_lo_u32 v8, v1, s43
	v_mul_lo_u32 v6, v5, s44
	;; [unrolled: 1-line block ×4, first 2 shown]
	v_sub_u32_e32 v3, v3, v8
	v_mul_lo_u32 v8, v3, s47
	v_mul_lo_u32 v9, v3, s48
	;; [unrolled: 1-line block ×3, first 2 shown]
	v_add3_u32 v0, v6, v0, v8
	v_add3_u32 v4, v7, v4, v9
	v_add3_u32 v2, v5, v2, v3
	s_cbranch_scc0 .LBB165_72
; %bb.73:
	s_bitcmp1_b32 s35, 0
	s_cselect_b64 s[38:39], -1, 0
	s_and_b64 vcc, exec, s[38:39]
	s_cbranch_vccnz .LBB165_77
; %bb.74:
	s_load_dwordx2 s[38:39], s[30:31], 0x1c
	s_load_dword s37, s[30:31], 0x24
	s_load_dwordx2 s[40:41], s[30:31], 0xdc
	s_waitcnt lgkmcnt(0)
	v_mul_hi_u32 v3, s39, v1
	v_add_u32_e32 v3, v1, v3
	v_lshrrev_b32_e32 v3, s37, v3
	v_mul_lo_u32 v3, v3, s38
	s_load_dword s37, s[30:31], 0xe4
	v_sub_u32_e32 v3, v1, v3
	v_mad_u64_u32 v[0:1], s[30:31], v3, s40, v[0:1]
	v_mad_u64_u32 v[4:5], s[30:31], v3, s41, v[4:5]
	s_waitcnt lgkmcnt(0)
	v_mad_u64_u32 v[2:3], s[30:31], v3, s37, v[2:3]
	s_branch .LBB165_77
.LBB165_75:
                                        ; implicit-def: $vgpr0
                                        ; implicit-def: $vgpr4
                                        ; implicit-def: $vgpr2
	s_branch .LBB165_78
.LBB165_76:
	v_mov_b32_e32 v0, 0
	v_mov_b32_e32 v4, 0
	;; [unrolled: 1-line block ×3, first 2 shown]
.LBB165_77:
	s_cbranch_execnz .LBB165_80
.LBB165_78:
	s_waitcnt lgkmcnt(0)
	v_mul_hi_u32 v0, s9, v31
	s_andn2_b64 vcc, exec, s[24:25]
	v_add_u32_e32 v0, v31, v0
	v_lshrrev_b32_e32 v1, s10, v0
	v_mul_lo_u32 v0, v1, s8
	v_sub_u32_e32 v2, v31, v0
	v_mul_lo_u32 v0, v2, s4
	v_mul_lo_u32 v4, v2, s5
	;; [unrolled: 1-line block ×3, first 2 shown]
	s_cbranch_vccnz .LBB165_80
; %bb.79:
	v_mul_hi_u32 v3, s22, v1
	v_add_u32_e32 v3, v1, v3
	v_lshrrev_b32_e32 v3, s23, v3
	v_mul_lo_u32 v3, v3, s11
	v_sub_u32_e32 v3, v1, v3
	v_mad_u64_u32 v[0:1], s[30:31], v3, s7, v[0:1]
	v_mad_u64_u32 v[4:5], s[30:31], v3, s20, v[4:5]
	;; [unrolled: 1-line block ×3, first 2 shown]
.LBB165_80:
	s_waitcnt lgkmcnt(0)
	global_load_sbyte v1, v4, s[2:3]
	global_load_ubyte v3, v2, s[18:19]
	v_add_u32_e32 v31, 0x80, v31
	s_waitcnt vmcnt(1)
	v_lshrrev_b16_e32 v2, 7, v1
	s_waitcnt vmcnt(0)
	v_ashrrev_i32_sdwa v1, v3, sext(v1) dst_sel:DWORD dst_unused:UNUSED_PAD src0_sel:DWORD src1_sel:WORD_0
	v_cmp_lt_u32_e32 vcc, 6, v3
	v_cndmask_b32_e32 v1, v1, v2, vcc
	global_store_byte v0, v1, s[0:1]
	s_or_b64 exec, exec, s[28:29]
	v_cmp_gt_i32_e32 vcc, s36, v31
	s_and_saveexec_b64 s[28:29], vcc
	s_cbranch_execz .LBB165_8
.LBB165_81:
	s_andn2_b64 vcc, exec, s[14:15]
	s_cbranch_vccnz .LBB165_87
; %bb.82:
	s_andn2_b64 vcc, exec, s[26:27]
	s_cbranch_vccnz .LBB165_88
; %bb.83:
	s_add_i32 s30, s35, 1
	s_and_b32 s37, s30, 30
	s_add_u32 s30, s12, 0xffffffe8
	s_addc_u32 s31, s13, -1
	v_mov_b32_e32 v2, 0
	v_mov_b32_e32 v4, 0
	;; [unrolled: 1-line block ×4, first 2 shown]
.LBB165_84:                             ; =>This Inner Loop Header: Depth=1
	s_load_dwordx4 s[40:43], s[30:31], 0x1c
	s_load_dwordx2 s[38:39], s[30:31], 0x2c
	s_load_dwordx2 s[48:49], s[30:31], 0xec
	s_load_dwordx4 s[44:47], s[30:31], 0xdc
	s_add_u32 s30, s30, 24
	s_waitcnt lgkmcnt(0)
	v_mul_hi_u32 v3, s41, v1
	s_addc_u32 s31, s31, 0
	s_add_i32 s37, s37, -2
	s_cmp_eq_u32 s37, 0
	v_add_u32_e32 v3, v1, v3
	v_lshrrev_b32_e32 v3, s42, v3
	v_mul_lo_u32 v5, v3, s40
	v_mul_hi_u32 v6, s38, v3
	v_sub_u32_e32 v5, v1, v5
	v_add_u32_e32 v1, v3, v6
	v_lshrrev_b32_e32 v1, s39, v1
	v_mul_lo_u32 v8, v1, s43
	v_mul_lo_u32 v6, v5, s44
	;; [unrolled: 1-line block ×4, first 2 shown]
	v_sub_u32_e32 v3, v3, v8
	v_mul_lo_u32 v8, v3, s47
	v_mul_lo_u32 v9, v3, s48
	;; [unrolled: 1-line block ×3, first 2 shown]
	v_add3_u32 v0, v6, v0, v8
	v_add3_u32 v4, v7, v4, v9
	;; [unrolled: 1-line block ×3, first 2 shown]
	s_cbranch_scc0 .LBB165_84
; %bb.85:
	s_bitcmp1_b32 s35, 0
	s_cselect_b64 s[38:39], -1, 0
	s_and_b64 vcc, exec, s[38:39]
	s_cbranch_vccnz .LBB165_89
; %bb.86:
	s_load_dwordx2 s[38:39], s[30:31], 0x1c
	s_load_dword s37, s[30:31], 0x24
	s_load_dwordx2 s[40:41], s[30:31], 0xdc
	s_waitcnt lgkmcnt(0)
	v_mul_hi_u32 v3, s39, v1
	v_add_u32_e32 v3, v1, v3
	v_lshrrev_b32_e32 v3, s37, v3
	v_mul_lo_u32 v3, v3, s38
	s_load_dword s37, s[30:31], 0xe4
	v_sub_u32_e32 v3, v1, v3
	v_mad_u64_u32 v[0:1], s[30:31], v3, s40, v[0:1]
	v_mad_u64_u32 v[4:5], s[30:31], v3, s41, v[4:5]
	s_waitcnt lgkmcnt(0)
	v_mad_u64_u32 v[2:3], s[30:31], v3, s37, v[2:3]
	s_branch .LBB165_89
.LBB165_87:
                                        ; implicit-def: $vgpr0
                                        ; implicit-def: $vgpr4
                                        ; implicit-def: $vgpr2
	s_branch .LBB165_90
.LBB165_88:
	v_mov_b32_e32 v0, 0
	v_mov_b32_e32 v4, 0
	;; [unrolled: 1-line block ×3, first 2 shown]
.LBB165_89:
	s_cbranch_execnz .LBB165_92
.LBB165_90:
	s_waitcnt lgkmcnt(0)
	v_mul_hi_u32 v0, s9, v31
	s_andn2_b64 vcc, exec, s[24:25]
	v_add_u32_e32 v0, v31, v0
	v_lshrrev_b32_e32 v1, s10, v0
	v_mul_lo_u32 v0, v1, s8
	v_sub_u32_e32 v2, v31, v0
	v_mul_lo_u32 v0, v2, s4
	v_mul_lo_u32 v4, v2, s5
	;; [unrolled: 1-line block ×3, first 2 shown]
	s_cbranch_vccnz .LBB165_92
; %bb.91:
	v_mul_hi_u32 v3, s22, v1
	v_add_u32_e32 v3, v1, v3
	v_lshrrev_b32_e32 v3, s23, v3
	v_mul_lo_u32 v3, v3, s11
	v_sub_u32_e32 v3, v1, v3
	v_mad_u64_u32 v[0:1], s[30:31], v3, s7, v[0:1]
	v_mad_u64_u32 v[4:5], s[30:31], v3, s20, v[4:5]
	;; [unrolled: 1-line block ×3, first 2 shown]
.LBB165_92:
	s_waitcnt lgkmcnt(0)
	global_load_sbyte v1, v4, s[2:3]
	global_load_ubyte v3, v2, s[18:19]
	v_add_u32_e32 v31, 0x80, v31
	s_waitcnt vmcnt(1)
	v_lshrrev_b16_e32 v2, 7, v1
	s_waitcnt vmcnt(0)
	v_ashrrev_i32_sdwa v1, v3, sext(v1) dst_sel:DWORD dst_unused:UNUSED_PAD src0_sel:DWORD src1_sel:WORD_0
	v_cmp_lt_u32_e32 vcc, 6, v3
	v_cndmask_b32_e32 v1, v1, v2, vcc
	global_store_byte v0, v1, s[0:1]
	s_or_b64 exec, exec, s[28:29]
	v_cmp_gt_i32_e32 vcc, s36, v31
	s_and_saveexec_b64 s[28:29], vcc
	s_cbranch_execz .LBB165_105
.LBB165_93:
	s_andn2_b64 vcc, exec, s[14:15]
	s_cbranch_vccnz .LBB165_99
; %bb.94:
	s_andn2_b64 vcc, exec, s[26:27]
	s_cbranch_vccnz .LBB165_100
; %bb.95:
	s_add_i32 s26, s35, 1
	s_and_b32 s30, s26, 30
	s_add_u32 s26, s12, 0xffffffe8
	s_addc_u32 s27, s13, -1
	v_mov_b32_e32 v2, 0
	v_mov_b32_e32 v4, 0
	v_mov_b32_e32 v0, 0
	v_mov_b32_e32 v1, v31
.LBB165_96:                             ; =>This Inner Loop Header: Depth=1
	s_load_dwordx4 s[36:39], s[26:27], 0x1c
	s_load_dwordx2 s[44:45], s[26:27], 0x2c
	s_load_dwordx2 s[46:47], s[26:27], 0xec
	s_load_dwordx4 s[40:43], s[26:27], 0xdc
	s_add_u32 s26, s26, 24
	s_waitcnt lgkmcnt(0)
	v_mul_hi_u32 v3, s37, v1
	s_addc_u32 s27, s27, 0
	s_add_i32 s30, s30, -2
	s_cmp_eq_u32 s30, 0
	v_add_u32_e32 v3, v1, v3
	v_lshrrev_b32_e32 v3, s38, v3
	v_mul_lo_u32 v5, v3, s36
	v_mul_hi_u32 v6, s44, v3
	v_sub_u32_e32 v5, v1, v5
	v_add_u32_e32 v1, v3, v6
	v_lshrrev_b32_e32 v1, s45, v1
	v_mul_lo_u32 v8, v1, s39
	v_mul_lo_u32 v6, v5, s40
	v_mul_lo_u32 v7, v5, s41
	v_mul_lo_u32 v5, v5, s42
	v_sub_u32_e32 v3, v3, v8
	v_mul_lo_u32 v8, v3, s43
	v_mul_lo_u32 v9, v3, s46
	;; [unrolled: 1-line block ×3, first 2 shown]
	v_add3_u32 v0, v6, v0, v8
	v_add3_u32 v4, v7, v4, v9
	;; [unrolled: 1-line block ×3, first 2 shown]
	s_cbranch_scc0 .LBB165_96
; %bb.97:
	s_bitcmp1_b32 s35, 0
	s_cselect_b64 s[30:31], -1, 0
	s_and_b64 vcc, exec, s[30:31]
	s_cbranch_vccnz .LBB165_101
; %bb.98:
	s_load_dwordx2 s[30:31], s[26:27], 0x1c
	s_load_dword s35, s[26:27], 0x24
	s_load_dwordx2 s[36:37], s[26:27], 0xdc
	s_waitcnt lgkmcnt(0)
	v_mul_hi_u32 v3, s31, v1
	v_add_u32_e32 v3, v1, v3
	v_lshrrev_b32_e32 v3, s35, v3
	v_mul_lo_u32 v3, v3, s30
	s_load_dword s30, s[26:27], 0xe4
	v_sub_u32_e32 v3, v1, v3
	v_mad_u64_u32 v[0:1], s[26:27], v3, s36, v[0:1]
	v_mad_u64_u32 v[4:5], s[26:27], v3, s37, v[4:5]
	s_waitcnt lgkmcnt(0)
	v_mad_u64_u32 v[2:3], s[26:27], v3, s30, v[2:3]
	s_branch .LBB165_101
.LBB165_99:
                                        ; implicit-def: $vgpr0
                                        ; implicit-def: $vgpr4
                                        ; implicit-def: $vgpr2
	s_branch .LBB165_102
.LBB165_100:
	v_mov_b32_e32 v0, 0
	v_mov_b32_e32 v4, 0
	v_mov_b32_e32 v2, 0
.LBB165_101:
	s_cbranch_execnz .LBB165_104
.LBB165_102:
	s_waitcnt lgkmcnt(0)
	v_mul_hi_u32 v0, s9, v31
	s_andn2_b64 vcc, exec, s[24:25]
	v_add_u32_e32 v0, v31, v0
	v_lshrrev_b32_e32 v1, s10, v0
	v_mul_lo_u32 v0, v1, s8
	v_sub_u32_e32 v2, v31, v0
	v_mul_lo_u32 v0, v2, s4
	v_mul_lo_u32 v4, v2, s5
	;; [unrolled: 1-line block ×3, first 2 shown]
	s_cbranch_vccnz .LBB165_104
; %bb.103:
	v_mul_hi_u32 v3, s22, v1
	v_add_u32_e32 v3, v1, v3
	v_lshrrev_b32_e32 v3, s23, v3
	v_mul_lo_u32 v3, v3, s11
	v_sub_u32_e32 v3, v1, v3
	v_mad_u64_u32 v[0:1], s[4:5], v3, s7, v[0:1]
	v_mad_u64_u32 v[4:5], s[4:5], v3, s20, v[4:5]
	;; [unrolled: 1-line block ×3, first 2 shown]
.LBB165_104:
	s_waitcnt lgkmcnt(0)
	global_load_sbyte v1, v4, s[2:3]
	global_load_ubyte v3, v2, s[18:19]
	s_waitcnt vmcnt(1)
	v_lshrrev_b16_e32 v2, 7, v1
	s_waitcnt vmcnt(0)
	v_ashrrev_i32_sdwa v1, v3, sext(v1) dst_sel:DWORD dst_unused:UNUSED_PAD src0_sel:DWORD src1_sel:WORD_0
	v_cmp_lt_u32_e32 vcc, 6, v3
	v_cndmask_b32_e32 v1, v1, v2, vcc
	global_store_byte v0, v1, s[0:1]
.LBB165_105:
	s_or_b64 exec, exec, s[28:29]
                                        ; implicit-def: $vgpr41
                                        ; implicit-def: $vgpr31
.LBB165_106:
	s_waitcnt lgkmcnt(0)
	s_andn2_saveexec_b64 s[0:1], s[16:17]
	s_cbranch_execz .LBB165_113
; %bb.107:
	v_cndmask_b32_e64 v0, 0, 1, s[14:15]
	v_cmp_ne_u32_e64 s[0:1], 1, v0
	s_andn2_b64 vcc, exec, s[14:15]
	s_cbranch_vccnz .LBB165_114
; %bb.108:
	s_cmp_lg_u32 s33, 0
	s_cbranch_scc0 .LBB165_115
; %bb.109:
	s_min_u32 s4, s34, 15
	s_add_i32 s2, s4, 1
	s_and_b32 s5, s2, 30
	s_add_u32 s2, s12, 0xffffffe8
	s_addc_u32 s3, s13, -1
	v_mov_b32_e32 v2, 0
	v_mov_b32_e32 v4, 0
	v_mov_b32_e32 v0, 0
	v_mov_b32_e32 v1, v31
.LBB165_110:                            ; =>This Inner Loop Header: Depth=1
	s_load_dwordx4 s[8:11], s[2:3], 0x1c
	s_load_dwordx2 s[6:7], s[2:3], 0x2c
	s_load_dwordx2 s[14:15], s[2:3], 0xec
	s_load_dwordx4 s[16:19], s[2:3], 0xdc
	s_add_u32 s2, s2, 24
	s_waitcnt lgkmcnt(0)
	v_mul_hi_u32 v3, s9, v1
	s_addc_u32 s3, s3, 0
	s_add_i32 s5, s5, -2
	s_cmp_lg_u32 s5, 0
	v_add_u32_e32 v3, v1, v3
	v_lshrrev_b32_e32 v3, s10, v3
	v_mul_lo_u32 v5, v3, s8
	v_mul_hi_u32 v6, s6, v3
	v_sub_u32_e32 v5, v1, v5
	v_add_u32_e32 v1, v3, v6
	v_lshrrev_b32_e32 v1, s7, v1
	v_mul_lo_u32 v8, v1, s11
	v_mul_lo_u32 v6, v5, s16
	;; [unrolled: 1-line block ×4, first 2 shown]
	v_sub_u32_e32 v3, v3, v8
	v_mul_lo_u32 v8, v3, s19
	v_mul_lo_u32 v9, v3, s14
	;; [unrolled: 1-line block ×3, first 2 shown]
	v_add3_u32 v0, v6, v0, v8
	v_add3_u32 v4, v7, v4, v9
	;; [unrolled: 1-line block ×3, first 2 shown]
	s_cbranch_scc1 .LBB165_110
; %bb.111:
	s_bitcmp1_b32 s4, 0
	s_cselect_b64 s[4:5], -1, 0
	s_and_b64 vcc, exec, s[4:5]
	s_cbranch_vccnz .LBB165_116
; %bb.112:
	s_load_dwordx2 s[4:5], s[2:3], 0x1c
	s_load_dword s8, s[2:3], 0x24
	s_load_dwordx2 s[6:7], s[2:3], 0xdc
	s_waitcnt lgkmcnt(0)
	v_mul_hi_u32 v3, s5, v1
	v_add_u32_e32 v3, v1, v3
	v_lshrrev_b32_e32 v3, s8, v3
	v_mul_lo_u32 v3, v3, s4
	s_load_dword s4, s[2:3], 0xe4
	v_sub_u32_e32 v3, v1, v3
	v_mad_u64_u32 v[0:1], s[2:3], v3, s6, v[0:1]
	v_mad_u64_u32 v[4:5], s[2:3], v3, s7, v[4:5]
	s_waitcnt lgkmcnt(0)
	v_mad_u64_u32 v[2:3], s[2:3], v3, s4, v[2:3]
	s_cbranch_execz .LBB165_117
	s_branch .LBB165_119
.LBB165_113:
	s_endpgm
.LBB165_114:
                                        ; implicit-def: $vgpr0
                                        ; implicit-def: $vgpr4
                                        ; implicit-def: $vgpr2
	s_branch .LBB165_117
.LBB165_115:
	v_mov_b32_e32 v0, 0
	v_mov_b32_e32 v4, 0
	;; [unrolled: 1-line block ×3, first 2 shown]
.LBB165_116:
	s_cbranch_execnz .LBB165_119
.LBB165_117:
	s_load_dwordx4 s[4:7], s[12:13], 0x4
	s_load_dwordx4 s[8:11], s[12:13], 0xc4
	s_cmp_lt_u32 s33, 2
	s_waitcnt lgkmcnt(0)
	v_mul_hi_u32 v0, s5, v31
	v_add_u32_e32 v0, v31, v0
	v_lshrrev_b32_e32 v1, s6, v0
	v_mul_lo_u32 v0, v1, s4
	v_sub_u32_e32 v2, v31, v0
	v_mul_lo_u32 v0, v2, s8
	v_mul_lo_u32 v4, v2, s9
	;; [unrolled: 1-line block ×3, first 2 shown]
	s_cbranch_scc1 .LBB165_119
; %bb.118:
	s_load_dwordx4 s[4:7], s[12:13], 0x10
	s_load_dwordx4 s[8:11], s[12:13], 0xd0
	s_waitcnt lgkmcnt(0)
	v_mul_hi_u32 v3, s5, v1
	v_add_u32_e32 v3, v1, v3
	v_lshrrev_b32_e32 v3, s6, v3
	v_mul_lo_u32 v3, v3, s4
	v_sub_u32_e32 v3, v1, v3
	v_mad_u64_u32 v[0:1], s[2:3], v3, s8, v[0:1]
	v_mad_u64_u32 v[4:5], s[2:3], v3, s9, v[4:5]
	;; [unrolled: 1-line block ×3, first 2 shown]
.LBB165_119:
	s_and_b64 vcc, exec, s[0:1]
	v_add_u32_e32 v1, 0x80, v31
	s_cbranch_vccnz .LBB165_125
; %bb.120:
	s_cmp_lg_u32 s33, 0
	s_cbranch_scc0 .LBB165_126
; %bb.121:
	s_min_u32 s4, s34, 15
	s_add_i32 s2, s4, 1
	s_and_b32 s5, s2, 30
	s_add_u32 s2, s12, 0xffffffe8
	s_addc_u32 s3, s13, -1
	v_mov_b32_e32 v7, 0
	v_mov_b32_e32 v9, 0
	;; [unrolled: 1-line block ×4, first 2 shown]
.LBB165_122:                            ; =>This Inner Loop Header: Depth=1
	s_load_dwordx4 s[8:11], s[2:3], 0x1c
	s_load_dwordx2 s[6:7], s[2:3], 0x2c
	s_load_dwordx2 s[14:15], s[2:3], 0xec
	s_load_dwordx4 s[16:19], s[2:3], 0xdc
	s_add_u32 s2, s2, 24
	s_waitcnt lgkmcnt(0)
	v_mul_hi_u32 v6, s9, v3
	s_addc_u32 s3, s3, 0
	s_add_i32 s5, s5, -2
	s_cmp_lg_u32 s5, 0
	v_add_u32_e32 v6, v3, v6
	v_lshrrev_b32_e32 v6, s10, v6
	v_mul_lo_u32 v8, v6, s8
	v_mul_hi_u32 v10, s6, v6
	v_sub_u32_e32 v8, v3, v8
	v_add_u32_e32 v3, v6, v10
	v_lshrrev_b32_e32 v3, s7, v3
	v_mul_lo_u32 v12, v3, s11
	v_mul_lo_u32 v10, v8, s16
	;; [unrolled: 1-line block ×4, first 2 shown]
	v_sub_u32_e32 v6, v6, v12
	v_mul_lo_u32 v12, v6, s19
	v_mul_lo_u32 v13, v6, s14
	;; [unrolled: 1-line block ×3, first 2 shown]
	v_add3_u32 v5, v10, v5, v12
	v_add3_u32 v9, v11, v9, v13
	;; [unrolled: 1-line block ×3, first 2 shown]
	s_cbranch_scc1 .LBB165_122
; %bb.123:
	s_bitcmp1_b32 s4, 0
	s_cselect_b64 s[4:5], -1, 0
	s_and_b64 vcc, exec, s[4:5]
	s_cbranch_vccnz .LBB165_127
; %bb.124:
	s_load_dwordx2 s[4:5], s[2:3], 0x1c
	s_load_dword s8, s[2:3], 0x24
	s_load_dwordx2 s[6:7], s[2:3], 0xdc
	s_waitcnt lgkmcnt(0)
	v_mul_hi_u32 v6, s5, v3
	v_add_u32_e32 v6, v3, v6
	v_lshrrev_b32_e32 v6, s8, v6
	v_mul_lo_u32 v6, v6, s4
	s_load_dword s4, s[2:3], 0xe4
	v_sub_u32_e32 v3, v3, v6
	v_mad_u64_u32 v[5:6], s[2:3], v3, s6, v[5:6]
	v_mad_u64_u32 v[9:10], s[2:3], v3, s7, v[9:10]
	s_waitcnt lgkmcnt(0)
	v_mad_u64_u32 v[7:8], s[2:3], v3, s4, v[7:8]
	s_cbranch_execz .LBB165_128
	s_branch .LBB165_130
.LBB165_125:
                                        ; implicit-def: $vgpr5
                                        ; implicit-def: $vgpr9
                                        ; implicit-def: $vgpr7
	s_branch .LBB165_128
.LBB165_126:
	v_mov_b32_e32 v5, 0
	v_mov_b32_e32 v9, 0
	;; [unrolled: 1-line block ×3, first 2 shown]
.LBB165_127:
	s_cbranch_execnz .LBB165_130
.LBB165_128:
	s_load_dwordx4 s[4:7], s[12:13], 0x4
	s_load_dwordx4 s[8:11], s[12:13], 0xc4
	s_cmp_lt_u32 s33, 2
	s_waitcnt lgkmcnt(0)
	v_mul_hi_u32 v3, s5, v1
	v_add_u32_e32 v3, v1, v3
	v_lshrrev_b32_e32 v3, s6, v3
	v_mul_lo_u32 v5, v3, s4
	v_sub_u32_e32 v1, v1, v5
	v_mul_lo_u32 v5, v1, s8
	v_mul_lo_u32 v9, v1, s9
	;; [unrolled: 1-line block ×3, first 2 shown]
	s_cbranch_scc1 .LBB165_130
; %bb.129:
	s_load_dwordx4 s[4:7], s[12:13], 0x10
	s_load_dwordx4 s[8:11], s[12:13], 0xd0
	s_waitcnt lgkmcnt(0)
	v_mul_hi_u32 v1, s5, v3
	v_add_u32_e32 v1, v3, v1
	v_lshrrev_b32_e32 v1, s6, v1
	v_mul_lo_u32 v1, v1, s4
	v_sub_u32_e32 v1, v3, v1
	v_mad_u64_u32 v[5:6], s[2:3], v1, s8, v[5:6]
	v_mad_u64_u32 v[9:10], s[2:3], v1, s9, v[9:10]
	;; [unrolled: 1-line block ×3, first 2 shown]
.LBB165_130:
	s_and_b64 vcc, exec, s[0:1]
	v_add_u32_e32 v1, 0x100, v31
	s_cbranch_vccnz .LBB165_136
; %bb.131:
	s_cmp_lg_u32 s33, 0
	s_cbranch_scc0 .LBB165_137
; %bb.132:
	s_min_u32 s4, s34, 15
	s_add_i32 s2, s4, 1
	s_and_b32 s5, s2, 30
	s_add_u32 s2, s12, 0xffffffe8
	s_addc_u32 s3, s13, -1
	v_mov_b32_e32 v12, 0
	v_mov_b32_e32 v14, 0
	;; [unrolled: 1-line block ×4, first 2 shown]
.LBB165_133:                            ; =>This Inner Loop Header: Depth=1
	s_load_dwordx4 s[8:11], s[2:3], 0x1c
	s_load_dwordx2 s[6:7], s[2:3], 0x2c
	s_load_dwordx2 s[14:15], s[2:3], 0xec
	s_load_dwordx4 s[16:19], s[2:3], 0xdc
	s_add_u32 s2, s2, 24
	s_waitcnt lgkmcnt(0)
	v_mul_hi_u32 v6, s9, v3
	s_addc_u32 s3, s3, 0
	s_add_i32 s5, s5, -2
	s_cmp_lg_u32 s5, 0
	v_add_u32_e32 v6, v3, v6
	v_lshrrev_b32_e32 v6, s10, v6
	v_mul_lo_u32 v8, v6, s8
	v_mul_hi_u32 v11, s6, v6
	v_sub_u32_e32 v8, v3, v8
	v_add_u32_e32 v3, v6, v11
	v_lshrrev_b32_e32 v3, s7, v3
	v_mul_lo_u32 v15, v3, s11
	v_mul_lo_u32 v11, v8, s16
	;; [unrolled: 1-line block ×4, first 2 shown]
	v_sub_u32_e32 v6, v6, v15
	v_mul_lo_u32 v15, v6, s19
	v_mul_lo_u32 v16, v6, s14
	;; [unrolled: 1-line block ×3, first 2 shown]
	v_add3_u32 v10, v11, v10, v15
	v_add3_u32 v14, v13, v14, v16
	;; [unrolled: 1-line block ×3, first 2 shown]
	s_cbranch_scc1 .LBB165_133
; %bb.134:
	s_bitcmp1_b32 s4, 0
	s_cselect_b64 s[4:5], -1, 0
	s_and_b64 vcc, exec, s[4:5]
	s_cbranch_vccnz .LBB165_138
; %bb.135:
	s_load_dwordx2 s[4:5], s[2:3], 0x1c
	s_load_dword s8, s[2:3], 0x24
	s_load_dwordx2 s[6:7], s[2:3], 0xdc
	s_waitcnt lgkmcnt(0)
	v_mul_hi_u32 v6, s5, v3
	v_add_u32_e32 v6, v3, v6
	v_lshrrev_b32_e32 v6, s8, v6
	v_mul_lo_u32 v6, v6, s4
	s_load_dword s4, s[2:3], 0xe4
	v_sub_u32_e32 v3, v3, v6
	v_mad_u64_u32 v[10:11], s[2:3], v3, s6, v[10:11]
	v_mad_u64_u32 v[14:15], s[2:3], v3, s7, v[14:15]
	s_waitcnt lgkmcnt(0)
	v_mad_u64_u32 v[12:13], s[2:3], v3, s4, v[12:13]
	s_cbranch_execz .LBB165_139
	s_branch .LBB165_141
.LBB165_136:
                                        ; implicit-def: $vgpr10
                                        ; implicit-def: $vgpr14
                                        ; implicit-def: $vgpr12
	s_branch .LBB165_139
.LBB165_137:
	v_mov_b32_e32 v10, 0
	v_mov_b32_e32 v14, 0
	;; [unrolled: 1-line block ×3, first 2 shown]
.LBB165_138:
	s_cbranch_execnz .LBB165_141
.LBB165_139:
	s_load_dwordx4 s[4:7], s[12:13], 0x4
	s_load_dwordx4 s[8:11], s[12:13], 0xc4
	s_cmp_lt_u32 s33, 2
	s_waitcnt lgkmcnt(0)
	v_mul_hi_u32 v3, s5, v1
	v_add_u32_e32 v3, v1, v3
	v_lshrrev_b32_e32 v3, s6, v3
	v_mul_lo_u32 v6, v3, s4
	v_sub_u32_e32 v1, v1, v6
	v_mul_lo_u32 v10, v1, s8
	v_mul_lo_u32 v14, v1, s9
	;; [unrolled: 1-line block ×3, first 2 shown]
	s_cbranch_scc1 .LBB165_141
; %bb.140:
	s_load_dwordx4 s[4:7], s[12:13], 0x10
	s_load_dwordx4 s[8:11], s[12:13], 0xd0
	s_waitcnt lgkmcnt(0)
	v_mul_hi_u32 v1, s5, v3
	v_add_u32_e32 v1, v3, v1
	v_lshrrev_b32_e32 v1, s6, v1
	v_mul_lo_u32 v1, v1, s4
	v_sub_u32_e32 v1, v3, v1
	v_mad_u64_u32 v[10:11], s[2:3], v1, s8, v[10:11]
	v_mad_u64_u32 v[14:15], s[2:3], v1, s9, v[14:15]
	v_mad_u64_u32 v[12:13], s[2:3], v1, s10, v[12:13]
.LBB165_141:
	s_and_b64 vcc, exec, s[0:1]
	v_add_u32_e32 v1, 0x180, v31
	s_cbranch_vccnz .LBB165_147
; %bb.142:
	s_cmp_lg_u32 s33, 0
	s_cbranch_scc0 .LBB165_148
; %bb.143:
	s_min_u32 s4, s34, 15
	s_add_i32 s2, s4, 1
	s_and_b32 s5, s2, 30
	s_add_u32 s2, s12, 0xffffffe8
	s_addc_u32 s3, s13, -1
	v_mov_b32_e32 v19, 0
	v_mov_b32_e32 v17, 0
	;; [unrolled: 1-line block ×4, first 2 shown]
.LBB165_144:                            ; =>This Inner Loop Header: Depth=1
	s_load_dwordx4 s[8:11], s[2:3], 0x1c
	s_load_dwordx2 s[6:7], s[2:3], 0x2c
	s_load_dwordx2 s[14:15], s[2:3], 0xec
	s_load_dwordx4 s[16:19], s[2:3], 0xdc
	s_add_u32 s2, s2, 24
	s_waitcnt lgkmcnt(0)
	v_mul_hi_u32 v6, s9, v3
	s_addc_u32 s3, s3, 0
	s_add_i32 s5, s5, -2
	s_cmp_lg_u32 s5, 0
	v_add_u32_e32 v6, v3, v6
	v_lshrrev_b32_e32 v6, s10, v6
	v_mul_lo_u32 v8, v6, s8
	v_mul_hi_u32 v11, s6, v6
	v_sub_u32_e32 v8, v3, v8
	v_add_u32_e32 v3, v6, v11
	v_lshrrev_b32_e32 v3, s7, v3
	v_mul_lo_u32 v16, v3, s11
	v_mul_lo_u32 v11, v8, s16
	;; [unrolled: 1-line block ×4, first 2 shown]
	v_sub_u32_e32 v6, v6, v16
	v_mul_lo_u32 v16, v6, s19
	v_mul_lo_u32 v18, v6, s14
	;; [unrolled: 1-line block ×3, first 2 shown]
	v_add3_u32 v15, v11, v15, v16
	v_add3_u32 v17, v13, v17, v18
	;; [unrolled: 1-line block ×3, first 2 shown]
	s_cbranch_scc1 .LBB165_144
; %bb.145:
	s_bitcmp1_b32 s4, 0
	s_cselect_b64 s[4:5], -1, 0
	s_and_b64 vcc, exec, s[4:5]
	s_cbranch_vccnz .LBB165_149
; %bb.146:
	s_load_dwordx2 s[4:5], s[2:3], 0x1c
	s_load_dword s8, s[2:3], 0x24
	s_load_dwordx2 s[6:7], s[2:3], 0xdc
	s_waitcnt lgkmcnt(0)
	v_mul_hi_u32 v6, s5, v3
	v_add_u32_e32 v6, v3, v6
	v_lshrrev_b32_e32 v6, s8, v6
	v_mul_lo_u32 v6, v6, s4
	s_load_dword s4, s[2:3], 0xe4
	v_sub_u32_e32 v3, v3, v6
	v_mad_u64_u32 v[15:16], s[2:3], v3, s6, v[15:16]
	v_mad_u64_u32 v[17:18], s[2:3], v3, s7, v[17:18]
	s_waitcnt lgkmcnt(0)
	v_mad_u64_u32 v[19:20], s[2:3], v3, s4, v[19:20]
	s_cbranch_execz .LBB165_150
	s_branch .LBB165_152
.LBB165_147:
                                        ; implicit-def: $vgpr15
                                        ; implicit-def: $vgpr17
                                        ; implicit-def: $vgpr19
	s_branch .LBB165_150
.LBB165_148:
	v_mov_b32_e32 v15, 0
	v_mov_b32_e32 v17, 0
	;; [unrolled: 1-line block ×3, first 2 shown]
.LBB165_149:
	s_cbranch_execnz .LBB165_152
.LBB165_150:
	s_load_dwordx4 s[4:7], s[12:13], 0x4
	s_load_dwordx4 s[8:11], s[12:13], 0xc4
	s_cmp_lt_u32 s33, 2
	s_waitcnt lgkmcnt(0)
	v_mul_hi_u32 v3, s5, v1
	v_add_u32_e32 v3, v1, v3
	v_lshrrev_b32_e32 v3, s6, v3
	v_mul_lo_u32 v6, v3, s4
	v_sub_u32_e32 v1, v1, v6
	v_mul_lo_u32 v15, v1, s8
	v_mul_lo_u32 v17, v1, s9
	v_mul_lo_u32 v19, v1, s10
	s_cbranch_scc1 .LBB165_152
; %bb.151:
	s_load_dwordx4 s[4:7], s[12:13], 0x10
	s_load_dwordx4 s[8:11], s[12:13], 0xd0
	s_waitcnt lgkmcnt(0)
	v_mul_hi_u32 v1, s5, v3
	v_add_u32_e32 v1, v3, v1
	v_lshrrev_b32_e32 v1, s6, v1
	v_mul_lo_u32 v1, v1, s4
	v_sub_u32_e32 v1, v3, v1
	v_mad_u64_u32 v[15:16], s[2:3], v1, s8, v[15:16]
	v_mad_u64_u32 v[17:18], s[2:3], v1, s9, v[17:18]
	;; [unrolled: 1-line block ×3, first 2 shown]
.LBB165_152:
	s_and_b64 vcc, exec, s[0:1]
	v_add_u32_e32 v1, 0x200, v31
	s_cbranch_vccnz .LBB165_158
; %bb.153:
	s_cmp_lg_u32 s33, 0
	s_cbranch_scc0 .LBB165_159
; %bb.154:
	s_min_u32 s4, s34, 15
	s_add_i32 s2, s4, 1
	s_and_b32 s5, s2, 30
	s_add_u32 s2, s12, 0xffffffe8
	s_addc_u32 s3, s13, -1
	v_mov_b32_e32 v24, 0
	v_mov_b32_e32 v22, 0
	;; [unrolled: 1-line block ×4, first 2 shown]
.LBB165_155:                            ; =>This Inner Loop Header: Depth=1
	s_load_dwordx4 s[8:11], s[2:3], 0x1c
	s_load_dwordx2 s[6:7], s[2:3], 0x2c
	s_load_dwordx2 s[14:15], s[2:3], 0xec
	s_load_dwordx4 s[16:19], s[2:3], 0xdc
	s_add_u32 s2, s2, 24
	s_waitcnt lgkmcnt(0)
	v_mul_hi_u32 v6, s9, v3
	s_addc_u32 s3, s3, 0
	s_add_i32 s5, s5, -2
	s_cmp_lg_u32 s5, 0
	v_add_u32_e32 v6, v3, v6
	v_lshrrev_b32_e32 v6, s10, v6
	v_mul_lo_u32 v8, v6, s8
	v_mul_hi_u32 v11, s6, v6
	v_sub_u32_e32 v8, v3, v8
	v_add_u32_e32 v3, v6, v11
	v_lshrrev_b32_e32 v3, s7, v3
	v_mul_lo_u32 v16, v3, s11
	v_mul_lo_u32 v11, v8, s16
	v_mul_lo_u32 v13, v8, s17
	v_mul_lo_u32 v8, v8, s18
	v_sub_u32_e32 v6, v6, v16
	v_mul_lo_u32 v16, v6, s19
	v_mul_lo_u32 v18, v6, s14
	;; [unrolled: 1-line block ×3, first 2 shown]
	v_add3_u32 v20, v11, v20, v16
	v_add3_u32 v22, v13, v22, v18
	;; [unrolled: 1-line block ×3, first 2 shown]
	s_cbranch_scc1 .LBB165_155
; %bb.156:
	s_bitcmp1_b32 s4, 0
	s_cselect_b64 s[4:5], -1, 0
	s_and_b64 vcc, exec, s[4:5]
	s_cbranch_vccnz .LBB165_160
; %bb.157:
	s_load_dwordx2 s[4:5], s[2:3], 0x1c
	s_load_dword s8, s[2:3], 0x24
	s_load_dwordx2 s[6:7], s[2:3], 0xdc
	s_waitcnt lgkmcnt(0)
	v_mul_hi_u32 v6, s5, v3
	v_add_u32_e32 v6, v3, v6
	v_lshrrev_b32_e32 v6, s8, v6
	v_mul_lo_u32 v6, v6, s4
	s_load_dword s4, s[2:3], 0xe4
	v_sub_u32_e32 v3, v3, v6
	v_mad_u64_u32 v[20:21], s[2:3], v3, s6, v[20:21]
	v_mad_u64_u32 v[22:23], s[2:3], v3, s7, v[22:23]
	s_waitcnt lgkmcnt(0)
	v_mad_u64_u32 v[24:25], s[2:3], v3, s4, v[24:25]
	s_cbranch_execz .LBB165_161
	s_branch .LBB165_163
.LBB165_158:
                                        ; implicit-def: $vgpr20
                                        ; implicit-def: $vgpr22
                                        ; implicit-def: $vgpr24
	s_branch .LBB165_161
.LBB165_159:
	v_mov_b32_e32 v20, 0
	v_mov_b32_e32 v22, 0
	;; [unrolled: 1-line block ×3, first 2 shown]
.LBB165_160:
	s_cbranch_execnz .LBB165_163
.LBB165_161:
	s_load_dwordx4 s[4:7], s[12:13], 0x4
	s_load_dwordx4 s[8:11], s[12:13], 0xc4
	s_cmp_lt_u32 s33, 2
	s_waitcnt lgkmcnt(0)
	v_mul_hi_u32 v3, s5, v1
	v_add_u32_e32 v3, v1, v3
	v_lshrrev_b32_e32 v3, s6, v3
	v_mul_lo_u32 v6, v3, s4
	v_sub_u32_e32 v1, v1, v6
	v_mul_lo_u32 v20, v1, s8
	v_mul_lo_u32 v22, v1, s9
	;; [unrolled: 1-line block ×3, first 2 shown]
	s_cbranch_scc1 .LBB165_163
; %bb.162:
	s_load_dwordx4 s[4:7], s[12:13], 0x10
	s_load_dwordx4 s[8:11], s[12:13], 0xd0
	s_waitcnt lgkmcnt(0)
	v_mul_hi_u32 v1, s5, v3
	v_add_u32_e32 v1, v3, v1
	v_lshrrev_b32_e32 v1, s6, v1
	v_mul_lo_u32 v1, v1, s4
	v_sub_u32_e32 v1, v3, v1
	v_mad_u64_u32 v[20:21], s[2:3], v1, s8, v[20:21]
	v_mad_u64_u32 v[22:23], s[2:3], v1, s9, v[22:23]
	;; [unrolled: 1-line block ×3, first 2 shown]
.LBB165_163:
	s_and_b64 vcc, exec, s[0:1]
	v_add_u32_e32 v1, 0x280, v31
	s_cbranch_vccnz .LBB165_169
; %bb.164:
	s_cmp_lg_u32 s33, 0
	s_cbranch_scc0 .LBB165_170
; %bb.165:
	s_min_u32 s4, s34, 15
	s_add_i32 s2, s4, 1
	s_and_b32 s5, s2, 30
	s_add_u32 s2, s12, 0xffffffe8
	s_addc_u32 s3, s13, -1
	v_mov_b32_e32 v27, 0
	v_mov_b32_e32 v29, 0
	v_mov_b32_e32 v25, 0
	v_mov_b32_e32 v3, v1
.LBB165_166:                            ; =>This Inner Loop Header: Depth=1
	s_load_dwordx4 s[8:11], s[2:3], 0x1c
	s_load_dwordx2 s[6:7], s[2:3], 0x2c
	s_load_dwordx2 s[14:15], s[2:3], 0xec
	s_load_dwordx4 s[16:19], s[2:3], 0xdc
	s_add_u32 s2, s2, 24
	s_waitcnt lgkmcnt(0)
	v_mul_hi_u32 v6, s9, v3
	s_addc_u32 s3, s3, 0
	s_add_i32 s5, s5, -2
	s_cmp_lg_u32 s5, 0
	v_add_u32_e32 v6, v3, v6
	v_lshrrev_b32_e32 v6, s10, v6
	v_mul_lo_u32 v8, v6, s8
	v_mul_hi_u32 v11, s6, v6
	v_sub_u32_e32 v8, v3, v8
	v_add_u32_e32 v3, v6, v11
	v_lshrrev_b32_e32 v3, s7, v3
	v_mul_lo_u32 v16, v3, s11
	v_mul_lo_u32 v11, v8, s16
	;; [unrolled: 1-line block ×4, first 2 shown]
	v_sub_u32_e32 v6, v6, v16
	v_mul_lo_u32 v16, v6, s19
	v_mul_lo_u32 v18, v6, s14
	v_mul_lo_u32 v6, v6, s15
	v_add3_u32 v25, v11, v25, v16
	v_add3_u32 v29, v13, v29, v18
	;; [unrolled: 1-line block ×3, first 2 shown]
	s_cbranch_scc1 .LBB165_166
; %bb.167:
	s_bitcmp1_b32 s4, 0
	s_cselect_b64 s[4:5], -1, 0
	s_and_b64 vcc, exec, s[4:5]
	s_cbranch_vccnz .LBB165_171
; %bb.168:
	s_load_dwordx2 s[4:5], s[2:3], 0x1c
	s_load_dword s8, s[2:3], 0x24
	s_load_dwordx2 s[6:7], s[2:3], 0xdc
	s_waitcnt lgkmcnt(0)
	v_mul_hi_u32 v6, s5, v3
	v_add_u32_e32 v6, v3, v6
	v_lshrrev_b32_e32 v6, s8, v6
	v_mul_lo_u32 v6, v6, s4
	s_load_dword s4, s[2:3], 0xe4
	v_sub_u32_e32 v3, v3, v6
	v_mad_u64_u32 v[25:26], s[2:3], v3, s6, v[25:26]
	v_mad_u64_u32 v[29:30], s[2:3], v3, s7, v[29:30]
	s_waitcnt lgkmcnt(0)
	v_mad_u64_u32 v[27:28], s[2:3], v3, s4, v[27:28]
	s_cbranch_execz .LBB165_172
	s_branch .LBB165_174
.LBB165_169:
                                        ; implicit-def: $vgpr25
                                        ; implicit-def: $vgpr29
                                        ; implicit-def: $vgpr27
	s_branch .LBB165_172
.LBB165_170:
	v_mov_b32_e32 v25, 0
	v_mov_b32_e32 v29, 0
	;; [unrolled: 1-line block ×3, first 2 shown]
.LBB165_171:
	s_cbranch_execnz .LBB165_174
.LBB165_172:
	s_load_dwordx4 s[4:7], s[12:13], 0x4
	s_load_dwordx4 s[8:11], s[12:13], 0xc4
	s_cmp_lt_u32 s33, 2
	s_waitcnt lgkmcnt(0)
	v_mul_hi_u32 v3, s5, v1
	v_add_u32_e32 v3, v1, v3
	v_lshrrev_b32_e32 v3, s6, v3
	v_mul_lo_u32 v6, v3, s4
	v_sub_u32_e32 v1, v1, v6
	v_mul_lo_u32 v25, v1, s8
	v_mul_lo_u32 v29, v1, s9
	;; [unrolled: 1-line block ×3, first 2 shown]
	s_cbranch_scc1 .LBB165_174
; %bb.173:
	s_load_dwordx4 s[4:7], s[12:13], 0x10
	s_load_dwordx4 s[8:11], s[12:13], 0xd0
	s_waitcnt lgkmcnt(0)
	v_mul_hi_u32 v1, s5, v3
	v_add_u32_e32 v1, v3, v1
	v_lshrrev_b32_e32 v1, s6, v1
	v_mul_lo_u32 v1, v1, s4
	v_sub_u32_e32 v1, v3, v1
	v_mad_u64_u32 v[25:26], s[2:3], v1, s8, v[25:26]
	v_mad_u64_u32 v[29:30], s[2:3], v1, s9, v[29:30]
	;; [unrolled: 1-line block ×3, first 2 shown]
.LBB165_174:
	s_and_b64 vcc, exec, s[0:1]
	v_add_u32_e32 v1, 0x300, v31
	s_cbranch_vccnz .LBB165_180
; %bb.175:
	s_cmp_lg_u32 s33, 0
	s_cbranch_scc0 .LBB165_181
; %bb.176:
	s_min_u32 s4, s34, 15
	s_add_i32 s2, s4, 1
	s_and_b32 s5, s2, 30
	s_add_u32 s2, s12, 0xffffffe8
	s_addc_u32 s3, s13, -1
	v_mov_b32_e32 v32, 0
	v_mov_b32_e32 v34, 0
	;; [unrolled: 1-line block ×4, first 2 shown]
.LBB165_177:                            ; =>This Inner Loop Header: Depth=1
	s_load_dwordx4 s[8:11], s[2:3], 0x1c
	s_load_dwordx2 s[6:7], s[2:3], 0x2c
	s_load_dwordx2 s[14:15], s[2:3], 0xec
	s_load_dwordx4 s[16:19], s[2:3], 0xdc
	s_add_u32 s2, s2, 24
	s_waitcnt lgkmcnt(0)
	v_mul_hi_u32 v6, s9, v3
	s_addc_u32 s3, s3, 0
	s_add_i32 s5, s5, -2
	s_cmp_lg_u32 s5, 0
	v_add_u32_e32 v6, v3, v6
	v_lshrrev_b32_e32 v6, s10, v6
	v_mul_lo_u32 v8, v6, s8
	v_mul_hi_u32 v11, s6, v6
	v_sub_u32_e32 v8, v3, v8
	v_add_u32_e32 v3, v6, v11
	v_lshrrev_b32_e32 v3, s7, v3
	v_mul_lo_u32 v16, v3, s11
	v_mul_lo_u32 v11, v8, s16
	;; [unrolled: 1-line block ×4, first 2 shown]
	v_sub_u32_e32 v6, v6, v16
	v_mul_lo_u32 v16, v6, s19
	v_mul_lo_u32 v18, v6, s14
	v_mul_lo_u32 v6, v6, s15
	v_add3_u32 v30, v11, v30, v16
	v_add3_u32 v34, v13, v34, v18
	;; [unrolled: 1-line block ×3, first 2 shown]
	s_cbranch_scc1 .LBB165_177
; %bb.178:
	s_bitcmp1_b32 s4, 0
	s_cselect_b64 s[4:5], -1, 0
	s_and_b64 vcc, exec, s[4:5]
	s_cbranch_vccnz .LBB165_182
; %bb.179:
	s_load_dwordx2 s[4:5], s[2:3], 0x1c
	s_load_dword s8, s[2:3], 0x24
	s_load_dwordx2 s[6:7], s[2:3], 0xdc
	s_waitcnt lgkmcnt(0)
	v_mul_hi_u32 v6, s5, v3
	v_add_u32_e32 v6, v3, v6
	v_lshrrev_b32_e32 v6, s8, v6
	v_mul_lo_u32 v6, v6, s4
	s_load_dword s4, s[2:3], 0xe4
	v_sub_u32_e32 v3, v3, v6
	v_mad_u64_u32 v[30:31], s[2:3], v3, s6, v[30:31]
	v_mad_u64_u32 v[34:35], s[2:3], v3, s7, v[34:35]
	s_waitcnt lgkmcnt(0)
	v_mad_u64_u32 v[32:33], s[2:3], v3, s4, v[32:33]
	s_cbranch_execz .LBB165_183
	s_branch .LBB165_185
.LBB165_180:
                                        ; implicit-def: $vgpr30
                                        ; implicit-def: $vgpr34
                                        ; implicit-def: $vgpr32
	s_branch .LBB165_183
.LBB165_181:
	v_mov_b32_e32 v30, 0
	v_mov_b32_e32 v34, 0
	;; [unrolled: 1-line block ×3, first 2 shown]
.LBB165_182:
	s_cbranch_execnz .LBB165_185
.LBB165_183:
	s_load_dwordx4 s[4:7], s[12:13], 0x4
	s_load_dwordx4 s[8:11], s[12:13], 0xc4
	s_cmp_lt_u32 s33, 2
	s_waitcnt lgkmcnt(0)
	v_mul_hi_u32 v3, s5, v1
	v_add_u32_e32 v3, v1, v3
	v_lshrrev_b32_e32 v3, s6, v3
	v_mul_lo_u32 v6, v3, s4
	v_sub_u32_e32 v1, v1, v6
	v_mul_lo_u32 v30, v1, s8
	v_mul_lo_u32 v34, v1, s9
	;; [unrolled: 1-line block ×3, first 2 shown]
	s_cbranch_scc1 .LBB165_185
; %bb.184:
	s_load_dwordx4 s[4:7], s[12:13], 0x10
	s_load_dwordx4 s[8:11], s[12:13], 0xd0
	s_waitcnt lgkmcnt(0)
	v_mul_hi_u32 v1, s5, v3
	v_add_u32_e32 v1, v3, v1
	v_lshrrev_b32_e32 v1, s6, v1
	v_mul_lo_u32 v1, v1, s4
	v_sub_u32_e32 v1, v3, v1
	v_mad_u64_u32 v[30:31], s[2:3], v1, s8, v[30:31]
	v_mad_u64_u32 v[34:35], s[2:3], v1, s9, v[34:35]
	;; [unrolled: 1-line block ×3, first 2 shown]
.LBB165_185:
	s_and_b64 vcc, exec, s[0:1]
	s_cbranch_vccnz .LBB165_191
; %bb.186:
	s_cmp_lg_u32 s33, 0
	s_cbranch_scc0 .LBB165_192
; %bb.187:
	s_min_u32 s2, s34, 15
	s_add_i32 s0, s2, 1
	s_and_b32 s3, s0, 30
	s_add_u32 s0, s12, 0xffffffe8
	s_addc_u32 s1, s13, -1
	v_mov_b32_e32 v37, 0
	v_mov_b32_e32 v39, 0
	;; [unrolled: 1-line block ×4, first 2 shown]
.LBB165_188:                            ; =>This Inner Loop Header: Depth=1
	s_load_dwordx4 s[4:7], s[0:1], 0x1c
	s_load_dwordx2 s[14:15], s[0:1], 0x2c
	s_load_dwordx2 s[16:17], s[0:1], 0xec
	s_load_dwordx4 s[8:11], s[0:1], 0xdc
	s_add_u32 s0, s0, 24
	s_waitcnt lgkmcnt(0)
	v_mul_hi_u32 v3, s5, v1
	s_addc_u32 s1, s1, 0
	s_add_i32 s3, s3, -2
	s_cmp_lg_u32 s3, 0
	v_add_u32_e32 v3, v1, v3
	v_lshrrev_b32_e32 v3, s6, v3
	v_mul_lo_u32 v6, v3, s4
	v_mul_hi_u32 v8, s14, v3
	v_sub_u32_e32 v6, v1, v6
	v_add_u32_e32 v1, v3, v8
	v_lshrrev_b32_e32 v1, s15, v1
	v_mul_lo_u32 v13, v1, s7
	v_mul_lo_u32 v8, v6, s8
	;; [unrolled: 1-line block ×4, first 2 shown]
	v_sub_u32_e32 v3, v3, v13
	v_mul_lo_u32 v13, v3, s11
	v_mul_lo_u32 v16, v3, s16
	;; [unrolled: 1-line block ×3, first 2 shown]
	v_add3_u32 v35, v8, v35, v13
	v_add3_u32 v39, v11, v39, v16
	;; [unrolled: 1-line block ×3, first 2 shown]
	s_cbranch_scc1 .LBB165_188
; %bb.189:
	s_bitcmp1_b32 s2, 0
	s_cselect_b64 s[2:3], -1, 0
	s_and_b64 vcc, exec, s[2:3]
	s_cbranch_vccnz .LBB165_193
; %bb.190:
	s_load_dwordx2 s[2:3], s[0:1], 0x1c
	s_load_dword s6, s[0:1], 0x24
	s_load_dwordx2 s[4:5], s[0:1], 0xdc
	s_waitcnt lgkmcnt(0)
	v_mul_hi_u32 v3, s3, v1
	v_add_u32_e32 v3, v1, v3
	v_lshrrev_b32_e32 v3, s6, v3
	v_mul_lo_u32 v3, v3, s2
	s_load_dword s2, s[0:1], 0xe4
	v_sub_u32_e32 v1, v1, v3
	v_mad_u64_u32 v[35:36], s[0:1], v1, s4, v[35:36]
	v_mad_u64_u32 v[39:40], s[0:1], v1, s5, v[39:40]
	s_waitcnt lgkmcnt(0)
	v_mad_u64_u32 v[37:38], s[0:1], v1, s2, v[37:38]
	s_cbranch_execz .LBB165_194
	s_branch .LBB165_196
.LBB165_191:
                                        ; implicit-def: $vgpr35
                                        ; implicit-def: $vgpr39
                                        ; implicit-def: $vgpr37
	s_branch .LBB165_194
.LBB165_192:
	v_mov_b32_e32 v35, 0
	v_mov_b32_e32 v39, 0
	;; [unrolled: 1-line block ×3, first 2 shown]
.LBB165_193:
	s_cbranch_execnz .LBB165_196
.LBB165_194:
	s_load_dwordx4 s[0:3], s[12:13], 0x4
	s_load_dwordx4 s[4:7], s[12:13], 0xc4
	s_cmp_lt_u32 s33, 2
	s_waitcnt lgkmcnt(0)
	v_mul_hi_u32 v1, s1, v41
	v_add_u32_e32 v1, v41, v1
	v_lshrrev_b32_e32 v1, s2, v1
	v_mul_lo_u32 v3, v1, s0
	v_sub_u32_e32 v3, v41, v3
	v_mul_lo_u32 v35, v3, s4
	v_mul_lo_u32 v39, v3, s5
	;; [unrolled: 1-line block ×3, first 2 shown]
	s_cbranch_scc1 .LBB165_196
; %bb.195:
	s_load_dwordx4 s[0:3], s[12:13], 0x10
	s_load_dwordx4 s[4:7], s[12:13], 0xd0
	s_waitcnt lgkmcnt(0)
	v_mul_hi_u32 v3, s1, v1
	v_add_u32_e32 v3, v1, v3
	v_lshrrev_b32_e32 v3, s2, v3
	v_mul_lo_u32 v3, v3, s0
	v_sub_u32_e32 v1, v1, v3
	v_mad_u64_u32 v[35:36], s[0:1], v1, s4, v[35:36]
	v_mad_u64_u32 v[39:40], s[0:1], v1, s5, v[39:40]
	;; [unrolled: 1-line block ×3, first 2 shown]
.LBB165_196:
	s_load_dwordx4 s[8:11], s[12:13], 0x188
	s_load_dwordx2 s[0:1], s[12:13], 0x198
	s_waitcnt lgkmcnt(0)
	global_load_sbyte v1, v9, s[10:11]
	s_nop 0
	global_load_ubyte v3, v7, s[0:1]
	global_load_sbyte v6, v14, s[10:11]
	global_load_ubyte v8, v12, s[0:1]
	global_load_sbyte v11, v17, s[10:11]
	;; [unrolled: 2-line block ×3, first 2 shown]
	global_load_ubyte v18, v2, s[0:1]
                                        ; kill: killed $vgpr19
                                        ; kill: killed $vgpr4
                                        ; kill: killed $vgpr9
                                        ; kill: killed $vgpr2
                                        ; kill: killed $vgpr14
                                        ; kill: killed $vgpr7
                                        ; kill: killed $vgpr17
                                        ; kill: killed $vgpr12
	s_nop 0
	global_load_sbyte v2, v22, s[10:11]
	global_load_ubyte v4, v24, s[0:1]
	global_load_sbyte v7, v29, s[10:11]
	global_load_ubyte v9, v27, s[0:1]
	global_load_sbyte v12, v34, s[10:11]
	global_load_ubyte v14, v32, s[0:1]
	global_load_sbyte v17, v39, s[10:11]
	global_load_ubyte v19, v37, s[0:1]
	s_waitcnt vmcnt(15)
	v_lshrrev_b16_e32 v21, 7, v1
	s_waitcnt vmcnt(14)
	v_ashrrev_i32_sdwa v1, v3, sext(v1) dst_sel:DWORD dst_unused:UNUSED_PAD src0_sel:DWORD src1_sel:WORD_0
	v_cmp_lt_u32_e32 vcc, 6, v3
	s_waitcnt vmcnt(13)
	v_lshrrev_b16_e32 v3, 7, v6
	s_waitcnt vmcnt(12)
	v_ashrrev_i32_sdwa v6, v8, sext(v6) dst_sel:DWORD dst_unused:UNUSED_PAD src0_sel:DWORD src1_sel:WORD_0
	v_cmp_lt_u32_e64 s[0:1], 6, v8
	s_waitcnt vmcnt(11)
	v_lshrrev_b16_e32 v8, 7, v11
	s_waitcnt vmcnt(10)
	v_ashrrev_i32_sdwa v11, v13, sext(v11) dst_sel:DWORD dst_unused:UNUSED_PAD src0_sel:DWORD src1_sel:WORD_0
	v_cmp_lt_u32_e64 s[2:3], 6, v13
	;; [unrolled: 5-line block ×3, first 2 shown]
	v_cndmask_b32_e64 v13, v16, v13, s[4:5]
	v_cndmask_b32_e32 v1, v1, v21, vcc
	v_cndmask_b32_e64 v3, v6, v3, s[0:1]
	v_cndmask_b32_e64 v8, v11, v8, s[2:3]
	s_waitcnt vmcnt(7)
	v_lshrrev_b16_e32 v16, 7, v2
	s_waitcnt vmcnt(6)
	v_ashrrev_i32_sdwa v2, v4, sext(v2) dst_sel:DWORD dst_unused:UNUSED_PAD src0_sel:DWORD src1_sel:WORD_0
	v_cmp_lt_u32_e32 vcc, 6, v4
	s_waitcnt vmcnt(5)
	v_lshrrev_b16_e32 v18, 7, v7
	s_waitcnt vmcnt(4)
	v_ashrrev_i32_sdwa v7, v9, sext(v7) dst_sel:DWORD dst_unused:UNUSED_PAD src0_sel:DWORD src1_sel:WORD_0
	v_cndmask_b32_e32 v2, v2, v16, vcc
	v_cmp_lt_u32_e32 vcc, 6, v9
	s_waitcnt vmcnt(3)
	v_lshrrev_b16_e32 v6, 7, v12
	s_waitcnt vmcnt(2)
	v_ashrrev_i32_sdwa v12, v14, sext(v12) dst_sel:DWORD dst_unused:UNUSED_PAD src0_sel:DWORD src1_sel:WORD_0
	v_cndmask_b32_e32 v4, v7, v18, vcc
	;; [unrolled: 6-line block ×3, first 2 shown]
	v_cmp_lt_u32_e32 vcc, 6, v19
	v_cndmask_b32_e32 v7, v17, v11, vcc
	global_store_byte v0, v13, s[8:9]
	global_store_byte v5, v1, s[8:9]
	;; [unrolled: 1-line block ×8, first 2 shown]
	s_endpgm
	.section	.rodata,"a",@progbits
	.p2align	6, 0x0
	.amdhsa_kernel _ZN2at6native32elementwise_kernel_manual_unrollILi128ELi8EZNS0_22gpu_kernel_impl_nocastINS0_13BinaryFunctorIaaaZZZNS0_18rshift_kernel_cudaERNS_18TensorIteratorBaseEENKUlvE_clEvENKUlvE0_clEvEUlaaE_EEEEvS5_RKT_EUlibE_EEviT1_
		.amdhsa_group_segment_fixed_size 0
		.amdhsa_private_segment_fixed_size 0
		.amdhsa_kernarg_size 432
		.amdhsa_user_sgpr_count 6
		.amdhsa_user_sgpr_private_segment_buffer 1
		.amdhsa_user_sgpr_dispatch_ptr 0
		.amdhsa_user_sgpr_queue_ptr 0
		.amdhsa_user_sgpr_kernarg_segment_ptr 1
		.amdhsa_user_sgpr_dispatch_id 0
		.amdhsa_user_sgpr_flat_scratch_init 0
		.amdhsa_user_sgpr_private_segment_size 0
		.amdhsa_uses_dynamic_stack 0
		.amdhsa_system_sgpr_private_segment_wavefront_offset 0
		.amdhsa_system_sgpr_workgroup_id_x 1
		.amdhsa_system_sgpr_workgroup_id_y 0
		.amdhsa_system_sgpr_workgroup_id_z 0
		.amdhsa_system_sgpr_workgroup_info 0
		.amdhsa_system_vgpr_workitem_id 0
		.amdhsa_next_free_vgpr 42
		.amdhsa_next_free_sgpr 50
		.amdhsa_reserve_vcc 1
		.amdhsa_reserve_flat_scratch 0
		.amdhsa_float_round_mode_32 0
		.amdhsa_float_round_mode_16_64 0
		.amdhsa_float_denorm_mode_32 3
		.amdhsa_float_denorm_mode_16_64 3
		.amdhsa_dx10_clamp 1
		.amdhsa_ieee_mode 1
		.amdhsa_fp16_overflow 0
		.amdhsa_exception_fp_ieee_invalid_op 0
		.amdhsa_exception_fp_denorm_src 0
		.amdhsa_exception_fp_ieee_div_zero 0
		.amdhsa_exception_fp_ieee_overflow 0
		.amdhsa_exception_fp_ieee_underflow 0
		.amdhsa_exception_fp_ieee_inexact 0
		.amdhsa_exception_int_div_zero 0
	.end_amdhsa_kernel
	.section	.text._ZN2at6native32elementwise_kernel_manual_unrollILi128ELi8EZNS0_22gpu_kernel_impl_nocastINS0_13BinaryFunctorIaaaZZZNS0_18rshift_kernel_cudaERNS_18TensorIteratorBaseEENKUlvE_clEvENKUlvE0_clEvEUlaaE_EEEEvS5_RKT_EUlibE_EEviT1_,"axG",@progbits,_ZN2at6native32elementwise_kernel_manual_unrollILi128ELi8EZNS0_22gpu_kernel_impl_nocastINS0_13BinaryFunctorIaaaZZZNS0_18rshift_kernel_cudaERNS_18TensorIteratorBaseEENKUlvE_clEvENKUlvE0_clEvEUlaaE_EEEEvS5_RKT_EUlibE_EEviT1_,comdat
.Lfunc_end165:
	.size	_ZN2at6native32elementwise_kernel_manual_unrollILi128ELi8EZNS0_22gpu_kernel_impl_nocastINS0_13BinaryFunctorIaaaZZZNS0_18rshift_kernel_cudaERNS_18TensorIteratorBaseEENKUlvE_clEvENKUlvE0_clEvEUlaaE_EEEEvS5_RKT_EUlibE_EEviT1_, .Lfunc_end165-_ZN2at6native32elementwise_kernel_manual_unrollILi128ELi8EZNS0_22gpu_kernel_impl_nocastINS0_13BinaryFunctorIaaaZZZNS0_18rshift_kernel_cudaERNS_18TensorIteratorBaseEENKUlvE_clEvENKUlvE0_clEvEUlaaE_EEEEvS5_RKT_EUlibE_EEviT1_
                                        ; -- End function
	.set _ZN2at6native32elementwise_kernel_manual_unrollILi128ELi8EZNS0_22gpu_kernel_impl_nocastINS0_13BinaryFunctorIaaaZZZNS0_18rshift_kernel_cudaERNS_18TensorIteratorBaseEENKUlvE_clEvENKUlvE0_clEvEUlaaE_EEEEvS5_RKT_EUlibE_EEviT1_.num_vgpr, 42
	.set _ZN2at6native32elementwise_kernel_manual_unrollILi128ELi8EZNS0_22gpu_kernel_impl_nocastINS0_13BinaryFunctorIaaaZZZNS0_18rshift_kernel_cudaERNS_18TensorIteratorBaseEENKUlvE_clEvENKUlvE0_clEvEUlaaE_EEEEvS5_RKT_EUlibE_EEviT1_.num_agpr, 0
	.set _ZN2at6native32elementwise_kernel_manual_unrollILi128ELi8EZNS0_22gpu_kernel_impl_nocastINS0_13BinaryFunctorIaaaZZZNS0_18rshift_kernel_cudaERNS_18TensorIteratorBaseEENKUlvE_clEvENKUlvE0_clEvEUlaaE_EEEEvS5_RKT_EUlibE_EEviT1_.numbered_sgpr, 50
	.set _ZN2at6native32elementwise_kernel_manual_unrollILi128ELi8EZNS0_22gpu_kernel_impl_nocastINS0_13BinaryFunctorIaaaZZZNS0_18rshift_kernel_cudaERNS_18TensorIteratorBaseEENKUlvE_clEvENKUlvE0_clEvEUlaaE_EEEEvS5_RKT_EUlibE_EEviT1_.num_named_barrier, 0
	.set _ZN2at6native32elementwise_kernel_manual_unrollILi128ELi8EZNS0_22gpu_kernel_impl_nocastINS0_13BinaryFunctorIaaaZZZNS0_18rshift_kernel_cudaERNS_18TensorIteratorBaseEENKUlvE_clEvENKUlvE0_clEvEUlaaE_EEEEvS5_RKT_EUlibE_EEviT1_.private_seg_size, 0
	.set _ZN2at6native32elementwise_kernel_manual_unrollILi128ELi8EZNS0_22gpu_kernel_impl_nocastINS0_13BinaryFunctorIaaaZZZNS0_18rshift_kernel_cudaERNS_18TensorIteratorBaseEENKUlvE_clEvENKUlvE0_clEvEUlaaE_EEEEvS5_RKT_EUlibE_EEviT1_.uses_vcc, 1
	.set _ZN2at6native32elementwise_kernel_manual_unrollILi128ELi8EZNS0_22gpu_kernel_impl_nocastINS0_13BinaryFunctorIaaaZZZNS0_18rshift_kernel_cudaERNS_18TensorIteratorBaseEENKUlvE_clEvENKUlvE0_clEvEUlaaE_EEEEvS5_RKT_EUlibE_EEviT1_.uses_flat_scratch, 0
	.set _ZN2at6native32elementwise_kernel_manual_unrollILi128ELi8EZNS0_22gpu_kernel_impl_nocastINS0_13BinaryFunctorIaaaZZZNS0_18rshift_kernel_cudaERNS_18TensorIteratorBaseEENKUlvE_clEvENKUlvE0_clEvEUlaaE_EEEEvS5_RKT_EUlibE_EEviT1_.has_dyn_sized_stack, 0
	.set _ZN2at6native32elementwise_kernel_manual_unrollILi128ELi8EZNS0_22gpu_kernel_impl_nocastINS0_13BinaryFunctorIaaaZZZNS0_18rshift_kernel_cudaERNS_18TensorIteratorBaseEENKUlvE_clEvENKUlvE0_clEvEUlaaE_EEEEvS5_RKT_EUlibE_EEviT1_.has_recursion, 0
	.set _ZN2at6native32elementwise_kernel_manual_unrollILi128ELi8EZNS0_22gpu_kernel_impl_nocastINS0_13BinaryFunctorIaaaZZZNS0_18rshift_kernel_cudaERNS_18TensorIteratorBaseEENKUlvE_clEvENKUlvE0_clEvEUlaaE_EEEEvS5_RKT_EUlibE_EEviT1_.has_indirect_call, 0
	.section	.AMDGPU.csdata,"",@progbits
; Kernel info:
; codeLenInByte = 9540
; TotalNumSgprs: 54
; NumVgprs: 42
; ScratchSize: 0
; MemoryBound: 0
; FloatMode: 240
; IeeeMode: 1
; LDSByteSize: 0 bytes/workgroup (compile time only)
; SGPRBlocks: 6
; VGPRBlocks: 10
; NumSGPRsForWavesPerEU: 54
; NumVGPRsForWavesPerEU: 42
; Occupancy: 5
; WaveLimiterHint : 1
; COMPUTE_PGM_RSRC2:SCRATCH_EN: 0
; COMPUTE_PGM_RSRC2:USER_SGPR: 6
; COMPUTE_PGM_RSRC2:TRAP_HANDLER: 0
; COMPUTE_PGM_RSRC2:TGID_X_EN: 1
; COMPUTE_PGM_RSRC2:TGID_Y_EN: 0
; COMPUTE_PGM_RSRC2:TGID_Z_EN: 0
; COMPUTE_PGM_RSRC2:TIDIG_COMP_CNT: 0
	.section	.text._ZN2at6native32elementwise_kernel_manual_unrollILi128ELi4EZNS0_15gpu_kernel_implINS0_13BinaryFunctorIaaaZZZNS0_18rshift_kernel_cudaERNS_18TensorIteratorBaseEENKUlvE_clEvENKUlvE0_clEvEUlaaE_EEEEvS5_RKT_EUlibE_EEviT1_,"axG",@progbits,_ZN2at6native32elementwise_kernel_manual_unrollILi128ELi4EZNS0_15gpu_kernel_implINS0_13BinaryFunctorIaaaZZZNS0_18rshift_kernel_cudaERNS_18TensorIteratorBaseEENKUlvE_clEvENKUlvE0_clEvEUlaaE_EEEEvS5_RKT_EUlibE_EEviT1_,comdat
	.globl	_ZN2at6native32elementwise_kernel_manual_unrollILi128ELi4EZNS0_15gpu_kernel_implINS0_13BinaryFunctorIaaaZZZNS0_18rshift_kernel_cudaERNS_18TensorIteratorBaseEENKUlvE_clEvENKUlvE0_clEvEUlaaE_EEEEvS5_RKT_EUlibE_EEviT1_ ; -- Begin function _ZN2at6native32elementwise_kernel_manual_unrollILi128ELi4EZNS0_15gpu_kernel_implINS0_13BinaryFunctorIaaaZZZNS0_18rshift_kernel_cudaERNS_18TensorIteratorBaseEENKUlvE_clEvENKUlvE0_clEvEUlaaE_EEEEvS5_RKT_EUlibE_EEviT1_
	.p2align	8
	.type	_ZN2at6native32elementwise_kernel_manual_unrollILi128ELi4EZNS0_15gpu_kernel_implINS0_13BinaryFunctorIaaaZZZNS0_18rshift_kernel_cudaERNS_18TensorIteratorBaseEENKUlvE_clEvENKUlvE0_clEvEUlaaE_EEEEvS5_RKT_EUlibE_EEviT1_,@function
_ZN2at6native32elementwise_kernel_manual_unrollILi128ELi4EZNS0_15gpu_kernel_implINS0_13BinaryFunctorIaaaZZZNS0_18rshift_kernel_cudaERNS_18TensorIteratorBaseEENKUlvE_clEvENKUlvE0_clEvEUlaaE_EEEEvS5_RKT_EUlibE_EEviT1_: ; @_ZN2at6native32elementwise_kernel_manual_unrollILi128ELi4EZNS0_15gpu_kernel_implINS0_13BinaryFunctorIaaaZZZNS0_18rshift_kernel_cudaERNS_18TensorIteratorBaseEENKUlvE_clEvENKUlvE0_clEvEUlaaE_EEEEvS5_RKT_EUlibE_EEviT1_
; %bb.0:
	v_mov_b32_e32 v1, 0
	global_load_ushort v2, v1, s[4:5] offset:45
	global_load_sbyte v3, v1, s[4:5] offset:47
	s_load_dword s48, s[4:5], 0x0
	s_load_dwordx4 s[8:11], s[4:5], 0x8
	s_load_dwordx2 s[2:3], s[4:5], 0x18
	s_load_dwordx4 s[12:15], s[4:5], 0x20
	v_lshl_or_b32 v14, s6, 9, v0
	v_or_b32_e32 v0, 0x180, v14
	s_mov_b64 s[16:17], 0
	s_waitcnt lgkmcnt(0)
	v_cmp_le_i32_e32 vcc, s48, v0
	s_mov_b64 s[6:7], 0
	s_waitcnt vmcnt(1)
	v_readfirstlane_b32 s33, v2
	s_waitcnt vmcnt(0)
	v_readfirstlane_b32 s15, v3
	s_lshr_b32 s54, s33, 8
	s_and_saveexec_b64 s[0:1], vcc
	s_xor_b64 s[4:5], exec, s[0:1]
	s_cbranch_execz .LBB166_1512
; %bb.1:
	v_cmp_gt_i32_e32 vcc, s48, v14
	s_mov_b64 s[0:1], -1
	s_mov_b64 s[26:27], 0
	s_mov_b64 s[20:21], 0
	;; [unrolled: 1-line block ×3, first 2 shown]
	s_and_saveexec_b64 s[22:23], vcc
	s_cbranch_execz .LBB166_375
; %bb.2:
	v_mul_lo_u32 v0, v14, s13
	v_mov_b32_e32 v1, s11
	s_and_b32 s18, s54, 0xff
	s_cmp_lt_i32 s18, 11
	v_ashrrev_i32_e32 v3, 31, v0
	v_add_co_u32_e32 v2, vcc, s10, v0
	v_addc_co_u32_e32 v3, vcc, v1, v3, vcc
	s_cbranch_scc1 .LBB166_9
; %bb.3:
	s_and_b32 s19, 0xffff, s18
	s_cmp_gt_i32 s19, 25
	s_cbranch_scc0 .LBB166_18
; %bb.4:
	s_cmp_gt_i32 s19, 28
	s_cbranch_scc0 .LBB166_28
; %bb.5:
	;; [unrolled: 3-line block ×4, first 2 shown]
	s_cmp_eq_u32 s19, 46
	s_cbranch_scc0 .LBB166_37
; %bb.8:
	global_load_dword v0, v[2:3], off
	s_waitcnt vmcnt(0)
	v_lshlrev_b32_e32 v0, 16, v0
	v_cvt_i32_f32_e32 v0, v0
	s_branch .LBB166_39
.LBB166_9:
                                        ; implicit-def: $vgpr0
	s_mov_b64 s[0:1], 0
	s_cbranch_execnz .LBB166_101
.LBB166_10:
	s_andn2_b64 vcc, exec, s[0:1]
	s_cbranch_vccnz .LBB166_148
.LBB166_11:
	s_waitcnt vmcnt(0)
	v_mul_lo_u32 v1, v14, s14
	v_mov_b32_e32 v2, s3
	s_and_b32 s24, s15, 0xff
	s_cmp_lt_i32 s24, 11
	v_ashrrev_i32_e32 v3, 31, v1
	v_add_co_u32_e32 v1, vcc, s2, v1
	v_addc_co_u32_e32 v2, vcc, v2, v3, vcc
	s_cbranch_scc1 .LBB166_19
; %bb.12:
	s_and_b32 s25, 0xffff, s24
	s_cmp_gt_i32 s25, 25
	s_cbranch_scc0 .LBB166_29
; %bb.13:
	s_cmp_gt_i32 s25, 28
	s_cbranch_scc0 .LBB166_32
; %bb.14:
	;; [unrolled: 3-line block ×4, first 2 shown]
	s_cmp_eq_u32 s25, 46
	s_mov_b64 s[6:7], 0
	s_cbranch_scc0 .LBB166_149
; %bb.17:
	global_load_dword v3, v[1:2], off
	s_mov_b64 s[0:1], -1
	s_mov_b64 s[18:19], 0
	s_waitcnt vmcnt(0)
	v_lshlrev_b32_e32 v3, 16, v3
	v_cvt_i32_f32_e32 v3, v3
	s_branch .LBB166_151
.LBB166_18:
	s_mov_b64 s[0:1], 0
                                        ; implicit-def: $vgpr0
	s_cbranch_execnz .LBB166_68
	s_branch .LBB166_100
.LBB166_19:
	s_mov_b64 s[18:19], 0
                                        ; implicit-def: $vgpr3
	s_mov_b64 s[0:1], 0
	s_cbranch_execnz .LBB166_324
.LBB166_20:
	s_andn2_b64 vcc, exec, s[0:1]
	s_cbranch_vccnz .LBB166_372
.LBB166_21:
	v_mul_lo_u32 v5, v14, s12
	v_mov_b32_e32 v1, 6
	v_mov_b32_e32 v2, 7
	v_ashrrev_i16_sdwa v2, v2, sext(v0) dst_sel:DWORD dst_unused:UNUSED_PAD src0_sel:DWORD src1_sel:BYTE_0
	s_waitcnt vmcnt(0)
	v_ashrrev_i32_sdwa v0, v3, sext(v0) dst_sel:DWORD dst_unused:UNUSED_PAD src0_sel:DWORD src1_sel:BYTE_0
	v_cmp_gt_u16_sdwa vcc, v3, v1 src0_sel:BYTE_0 src1_sel:DWORD
	v_cndmask_b32_e32 v4, v0, v2, vcc
	v_ashrrev_i32_e32 v1, 31, v5
	v_mov_b32_e32 v2, s9
	s_and_b32 s30, s33, 0xff
	v_add_co_u32_e32 v0, vcc, s8, v5
	s_cmp_lt_i32 s30, 11
	v_addc_co_u32_e32 v1, vcc, v2, v1, vcc
	s_cbranch_scc1 .LBB166_30
; %bb.22:
	s_and_b32 s31, 0xffff, s30
	s_cmp_gt_i32 s31, 25
	s_cbranch_scc0 .LBB166_33
; %bb.23:
	s_cmp_gt_i32 s31, 28
	s_cbranch_scc0 .LBB166_36
; %bb.24:
	s_cmp_gt_i32 s31, 43
	s_cbranch_scc0 .LBB166_43
; %bb.25:
	s_cmp_gt_i32 s31, 45
	s_cbranch_scc0 .LBB166_154
; %bb.26:
	s_mov_b64 s[24:25], 0
	s_mov_b64 s[0:1], -1
	s_cmp_eq_u32 s31, 46
	s_mov_b64 s[6:7], 0
	s_cbranch_scc0 .LBB166_155
; %bb.27:
	v_cvt_f32_i32_sdwa v2, sext(v4) dst_sel:DWORD dst_unused:UNUSED_PAD src0_sel:WORD_0
	s_movk_i32 s0, 0x7fff
	s_mov_b64 s[6:7], -1
	v_bfe_u32 v3, v2, 16, 1
	v_add3_u32 v2, v2, v3, s0
	v_lshrrev_b32_e32 v2, 16, v2
	global_store_dword v[0:1], v2, off
	s_mov_b64 s[0:1], 0
	s_branch .LBB166_155
.LBB166_28:
	s_mov_b64 s[6:7], -1
	s_mov_b64 s[0:1], 0
                                        ; implicit-def: $vgpr0
	s_branch .LBB166_51
.LBB166_29:
	s_mov_b64 s[6:7], -1
	s_mov_b64 s[18:19], 0
	s_mov_b64 s[0:1], 0
                                        ; implicit-def: $vgpr3
	s_branch .LBB166_290
.LBB166_30:
	s_mov_b64 s[24:25], -1
	s_mov_b64 s[0:1], 0
	s_mov_b64 s[6:7], 0
	s_branch .LBB166_224
.LBB166_31:
	s_mov_b64 s[6:7], -1
	s_mov_b64 s[0:1], 0
                                        ; implicit-def: $vgpr0
	s_branch .LBB166_46
.LBB166_32:
	s_mov_b64 s[6:7], -1
	s_mov_b64 s[18:19], 0
	s_mov_b64 s[0:1], 0
                                        ; implicit-def: $vgpr3
	s_branch .LBB166_273
.LBB166_33:
	s_mov_b64 s[24:25], -1
	s_mov_b64 s[0:1], 0
	s_mov_b64 s[6:7], 0
	s_branch .LBB166_182
.LBB166_34:
	s_mov_b64 s[6:7], -1
	s_branch .LBB166_38
.LBB166_35:
	s_mov_b64 s[6:7], -1
	s_mov_b64 s[18:19], 0
	s_mov_b64 s[0:1], 0
                                        ; implicit-def: $vgpr3
	s_branch .LBB166_268
.LBB166_36:
	s_mov_b64 s[24:25], -1
	s_mov_b64 s[0:1], 0
	s_mov_b64 s[6:7], 0
	s_branch .LBB166_165
.LBB166_37:
	s_mov_b64 s[20:21], -1
.LBB166_38:
	s_mov_b64 s[0:1], 0
                                        ; implicit-def: $vgpr0
.LBB166_39:
	s_and_b64 vcc, exec, s[6:7]
	s_cbranch_vccz .LBB166_45
; %bb.40:
	s_cmp_eq_u32 s19, 44
	s_cbranch_scc0 .LBB166_44
; %bb.41:
	global_load_ubyte v0, v[2:3], off
	s_mov_b64 s[0:1], -1
	s_mov_b64 s[20:21], 0
	s_waitcnt vmcnt(0)
	v_lshlrev_b32_e32 v1, 23, v0
	v_cvt_i32_f32_e32 v1, v1
	v_cmp_ne_u32_e32 vcc, 0, v0
	v_cndmask_b32_e32 v0, 0, v1, vcc
	s_branch .LBB166_45
.LBB166_42:
	s_mov_b64 s[6:7], -1
	s_mov_b64 s[18:19], 0
	s_branch .LBB166_150
.LBB166_43:
	s_mov_b64 s[24:25], -1
	s_mov_b64 s[0:1], 0
	s_mov_b64 s[6:7], 0
	s_branch .LBB166_161
.LBB166_44:
	s_mov_b64 s[20:21], -1
                                        ; implicit-def: $vgpr0
.LBB166_45:
	s_mov_b64 s[6:7], 0
.LBB166_46:
	s_and_b64 vcc, exec, s[6:7]
	s_cbranch_vccz .LBB166_50
; %bb.47:
	s_cmp_eq_u32 s19, 29
	s_cbranch_scc0 .LBB166_49
; %bb.48:
	global_load_dwordx2 v[0:1], v[2:3], off
	s_mov_b64 s[0:1], -1
	s_mov_b64 s[20:21], 0
	s_branch .LBB166_50
.LBB166_49:
	s_mov_b64 s[20:21], -1
                                        ; implicit-def: $vgpr0
.LBB166_50:
	s_mov_b64 s[6:7], 0
.LBB166_51:
	s_and_b64 vcc, exec, s[6:7]
	s_cbranch_vccz .LBB166_67
; %bb.52:
	s_cmp_lt_i32 s19, 27
	s_cbranch_scc1 .LBB166_55
; %bb.53:
	s_cmp_gt_i32 s19, 27
	s_cbranch_scc0 .LBB166_56
; %bb.54:
	global_load_dword v0, v[2:3], off
	s_mov_b64 s[0:1], 0
	s_branch .LBB166_57
.LBB166_55:
	s_mov_b64 s[0:1], -1
                                        ; implicit-def: $vgpr0
	s_branch .LBB166_60
.LBB166_56:
	s_mov_b64 s[0:1], -1
                                        ; implicit-def: $vgpr0
.LBB166_57:
	s_andn2_b64 vcc, exec, s[0:1]
	s_cbranch_vccnz .LBB166_59
; %bb.58:
	global_load_ushort v0, v[2:3], off
.LBB166_59:
	s_mov_b64 s[0:1], 0
.LBB166_60:
	s_andn2_b64 vcc, exec, s[0:1]
	s_cbranch_vccnz .LBB166_66
; %bb.61:
	global_load_ubyte v1, v[2:3], off
	s_movk_i32 s0, 0x7f
	s_mov_b64 s[6:7], 0
	s_waitcnt vmcnt(0)
	v_cmp_lt_i16_e32 vcc, s0, v1
	s_and_saveexec_b64 s[0:1], vcc
	s_xor_b64 s[0:1], exec, s[0:1]
	s_cbranch_execz .LBB166_77
; %bb.62:
	s_movk_i32 s6, 0x80
	v_cmp_ne_u16_e32 vcc, s6, v1
	s_and_b64 s[6:7], vcc, exec
	s_andn2_saveexec_b64 s[0:1], s[0:1]
	s_cbranch_execnz .LBB166_78
.LBB166_63:
	s_or_b64 exec, exec, s[0:1]
	v_mov_b32_e32 v0, 0
	s_and_saveexec_b64 s[0:1], s[6:7]
	s_cbranch_execz .LBB166_65
.LBB166_64:
	v_lshlrev_b32_e32 v0, 24, v1
	v_and_b32_e32 v1, 0xffff, v1
	v_and_b32_e32 v4, 7, v1
	v_ffbh_u32_e32 v6, v4
	v_min_u32_e32 v6, 32, v6
	v_subrev_u32_e32 v7, 28, v6
	v_bfe_u32 v5, v1, 3, 4
	v_lshlrev_b32_e32 v1, v7, v1
	v_sub_u32_e32 v6, 29, v6
	v_and_b32_e32 v1, 7, v1
	v_cmp_eq_u32_e32 vcc, 0, v5
	v_cndmask_b32_e32 v5, v5, v6, vcc
	v_cndmask_b32_e32 v1, v4, v1, vcc
	v_mov_b32_e32 v4, 0x3b800000
	v_lshlrev_b32_e32 v1, 20, v1
	v_and_b32_e32 v0, 0x80000000, v0
	v_lshl_add_u32 v4, v5, 23, v4
	v_or3_b32 v0, v0, v4, v1
	v_cvt_i32_f32_e32 v0, v0
.LBB166_65:
	s_or_b64 exec, exec, s[0:1]
.LBB166_66:
	s_mov_b64 s[0:1], -1
.LBB166_67:
	s_branch .LBB166_100
.LBB166_68:
	s_cmp_gt_i32 s19, 22
	s_cbranch_scc0 .LBB166_76
; %bb.69:
	s_cmp_lt_i32 s19, 24
	s_cbranch_scc1 .LBB166_79
; %bb.70:
	s_cmp_gt_i32 s19, 24
	s_cbranch_scc0 .LBB166_80
; %bb.71:
	global_load_ubyte v1, v[2:3], off
	s_movk_i32 s0, 0x7f
	s_mov_b64 s[6:7], 0
	s_waitcnt vmcnt(0)
	v_cmp_lt_i16_e32 vcc, s0, v1
	s_and_saveexec_b64 s[0:1], vcc
	s_xor_b64 s[0:1], exec, s[0:1]
	s_cbranch_execz .LBB166_92
; %bb.72:
	s_movk_i32 s6, 0x80
	v_cmp_ne_u16_e32 vcc, s6, v1
	s_and_b64 s[6:7], vcc, exec
	s_andn2_saveexec_b64 s[0:1], s[0:1]
	s_cbranch_execnz .LBB166_93
.LBB166_73:
	s_or_b64 exec, exec, s[0:1]
	v_mov_b32_e32 v0, 0
	s_and_saveexec_b64 s[0:1], s[6:7]
	s_cbranch_execz .LBB166_75
.LBB166_74:
	v_lshlrev_b32_e32 v0, 24, v1
	v_and_b32_e32 v1, 0xffff, v1
	v_and_b32_e32 v4, 3, v1
	v_ffbh_u32_e32 v6, v4
	v_min_u32_e32 v6, 32, v6
	v_subrev_u32_e32 v7, 29, v6
	v_bfe_u32 v5, v1, 2, 5
	v_lshlrev_b32_e32 v1, v7, v1
	v_sub_u32_e32 v6, 30, v6
	v_and_b32_e32 v1, 3, v1
	v_cmp_eq_u32_e32 vcc, 0, v5
	v_cndmask_b32_e32 v5, v5, v6, vcc
	v_cndmask_b32_e32 v1, v4, v1, vcc
	v_mov_b32_e32 v4, 0x37800000
	v_lshlrev_b32_e32 v1, 21, v1
	v_and_b32_e32 v0, 0x80000000, v0
	v_lshl_add_u32 v4, v5, 23, v4
	v_or3_b32 v0, v0, v4, v1
	v_cvt_i32_f32_e32 v0, v0
.LBB166_75:
	s_or_b64 exec, exec, s[0:1]
	s_mov_b64 s[0:1], 0
	s_branch .LBB166_81
.LBB166_76:
	s_mov_b64 s[6:7], -1
                                        ; implicit-def: $vgpr0
	s_branch .LBB166_87
.LBB166_77:
	s_andn2_saveexec_b64 s[0:1], s[0:1]
	s_cbranch_execz .LBB166_63
.LBB166_78:
	v_cmp_ne_u16_e32 vcc, 0, v1
	s_andn2_b64 s[6:7], s[6:7], exec
	s_and_b64 s[24:25], vcc, exec
	s_or_b64 s[6:7], s[6:7], s[24:25]
	s_or_b64 exec, exec, s[0:1]
	v_mov_b32_e32 v0, 0
	s_and_saveexec_b64 s[0:1], s[6:7]
	s_cbranch_execnz .LBB166_64
	s_branch .LBB166_65
.LBB166_79:
	s_mov_b64 s[0:1], -1
                                        ; implicit-def: $vgpr0
	s_branch .LBB166_84
.LBB166_80:
	s_mov_b64 s[0:1], -1
                                        ; implicit-def: $vgpr0
.LBB166_81:
	s_and_b64 vcc, exec, s[0:1]
	s_cbranch_vccz .LBB166_83
; %bb.82:
	global_load_ubyte v0, v[2:3], off
	s_mov_b32 s0, 0x7f800000
	s_waitcnt vmcnt(0)
	v_lshlrev_b32_e32 v0, 24, v0
	v_and_b32_e32 v1, 0x7f000000, v0
	v_ffbh_u32_e32 v4, v1
	v_min_u32_e32 v4, 32, v4
	v_sub_u32_e64 v4, v4, 4 clamp
	v_lshlrev_b32_e32 v6, v4, v1
	v_lshlrev_b32_e32 v4, 23, v4
	v_lshrrev_b32_e32 v6, 4, v6
	v_add_u32_e32 v5, 0x1000000, v1
	v_sub_u32_e32 v4, v6, v4
	v_ashrrev_i32_e32 v5, 8, v5
	v_add_u32_e32 v4, 0x3c000000, v4
	v_and_or_b32 v4, v5, s0, v4
	v_cmp_ne_u32_e32 vcc, 0, v1
	v_cndmask_b32_e32 v1, 0, v4, vcc
	s_brev_b32 s0, 1
	v_and_or_b32 v0, v0, s0, v1
	v_cvt_i32_f32_e32 v0, v0
.LBB166_83:
	s_mov_b64 s[0:1], 0
.LBB166_84:
	s_andn2_b64 vcc, exec, s[0:1]
	s_cbranch_vccnz .LBB166_86
; %bb.85:
	global_load_ubyte v0, v[2:3], off
	s_movk_i32 s0, 0x7f00
	s_brev_b32 s1, 16
	s_waitcnt vmcnt(0)
	v_lshlrev_b16_e32 v1, 8, v0
	v_lshlrev_b32_e32 v0, 25, v0
	v_lshrrev_b32_e32 v4, 4, v0
	v_and_or_b32 v5, v1, s0, 0.5
	v_or_b32_e32 v4, 0x70000000, v4
	v_add_f32_e32 v5, -0.5, v5
	v_mul_f32_e32 v4, 0x7800000, v4
	v_cmp_gt_u32_e32 vcc, s1, v0
	v_bfe_i32 v1, v1, 0, 16
	v_cndmask_b32_e32 v0, v4, v5, vcc
	s_brev_b32 s0, 1
	v_and_or_b32 v0, v1, s0, v0
	v_cvt_i32_f32_e32 v0, v0
.LBB166_86:
	s_mov_b64 s[6:7], 0
	s_mov_b64 s[0:1], -1
.LBB166_87:
	s_andn2_b64 vcc, exec, s[6:7]
	s_cbranch_vccnz .LBB166_100
; %bb.88:
	s_cmp_gt_i32 s19, 14
	s_cbranch_scc0 .LBB166_91
; %bb.89:
	s_cmp_eq_u32 s19, 15
	s_cbranch_scc0 .LBB166_94
; %bb.90:
	global_load_ushort v0, v[2:3], off
	s_mov_b64 s[0:1], -1
	s_mov_b64 s[20:21], 0
	s_waitcnt vmcnt(0)
	v_lshlrev_b32_e32 v0, 16, v0
	v_cvt_i32_f32_e32 v0, v0
	s_branch .LBB166_95
.LBB166_91:
	s_mov_b64 s[6:7], -1
                                        ; implicit-def: $vgpr0
	s_branch .LBB166_96
.LBB166_92:
	s_andn2_saveexec_b64 s[0:1], s[0:1]
	s_cbranch_execz .LBB166_73
.LBB166_93:
	v_cmp_ne_u16_e32 vcc, 0, v1
	s_andn2_b64 s[6:7], s[6:7], exec
	s_and_b64 s[24:25], vcc, exec
	s_or_b64 s[6:7], s[6:7], s[24:25]
	s_or_b64 exec, exec, s[0:1]
	v_mov_b32_e32 v0, 0
	s_and_saveexec_b64 s[0:1], s[6:7]
	s_cbranch_execnz .LBB166_74
	s_branch .LBB166_75
.LBB166_94:
	s_mov_b64 s[20:21], -1
                                        ; implicit-def: $vgpr0
.LBB166_95:
	s_mov_b64 s[6:7], 0
.LBB166_96:
	s_and_b64 vcc, exec, s[6:7]
	s_cbranch_vccz .LBB166_100
; %bb.97:
	s_cmp_eq_u32 s19, 11
	s_cbranch_scc0 .LBB166_99
; %bb.98:
	global_load_ubyte v0, v[2:3], off
	s_mov_b64 s[0:1], -1
	s_mov_b64 s[20:21], 0
	s_waitcnt vmcnt(0)
	v_cmp_ne_u16_e32 vcc, 0, v0
	v_cndmask_b32_e64 v0, 0, 1, vcc
	s_branch .LBB166_100
.LBB166_99:
	s_mov_b64 s[20:21], -1
                                        ; implicit-def: $vgpr0
.LBB166_100:
	s_branch .LBB166_10
.LBB166_101:
	s_and_b32 s6, 0xffff, s18
	s_cmp_lt_i32 s6, 5
	s_cbranch_scc1 .LBB166_106
; %bb.102:
	s_cmp_lt_i32 s6, 8
	s_cbranch_scc1 .LBB166_107
; %bb.103:
	;; [unrolled: 3-line block ×3, first 2 shown]
	s_cmp_gt_i32 s6, 9
	s_cbranch_scc0 .LBB166_109
; %bb.105:
	global_load_dwordx2 v[0:1], v[2:3], off
	s_mov_b64 s[0:1], 0
	s_waitcnt vmcnt(0)
	v_cvt_i32_f64_e32 v0, v[0:1]
	s_branch .LBB166_110
.LBB166_106:
                                        ; implicit-def: $vgpr0
	s_branch .LBB166_128
.LBB166_107:
	s_mov_b64 s[0:1], -1
                                        ; implicit-def: $vgpr0
	s_branch .LBB166_116
.LBB166_108:
	s_mov_b64 s[0:1], -1
                                        ; implicit-def: $vgpr0
	s_branch .LBB166_113
.LBB166_109:
	s_mov_b64 s[0:1], -1
                                        ; implicit-def: $vgpr0
.LBB166_110:
	s_andn2_b64 vcc, exec, s[0:1]
	s_cbranch_vccnz .LBB166_112
; %bb.111:
	global_load_dword v0, v[2:3], off
	s_waitcnt vmcnt(0)
	v_cvt_i32_f32_e32 v0, v0
.LBB166_112:
	s_mov_b64 s[0:1], 0
.LBB166_113:
	s_andn2_b64 vcc, exec, s[0:1]
	s_cbranch_vccnz .LBB166_115
; %bb.114:
	global_load_dword v0, v[2:3], off
	s_waitcnt vmcnt(0)
	v_cvt_i16_f16_e32 v0, v0
.LBB166_115:
	s_mov_b64 s[0:1], 0
.LBB166_116:
	s_andn2_b64 vcc, exec, s[0:1]
	s_cbranch_vccnz .LBB166_127
; %bb.117:
	s_cmp_lt_i32 s6, 6
	s_cbranch_scc1 .LBB166_120
; %bb.118:
	s_cmp_gt_i32 s6, 6
	s_cbranch_scc0 .LBB166_121
; %bb.119:
	global_load_dwordx2 v[0:1], v[2:3], off
	s_mov_b64 s[0:1], 0
	s_waitcnt vmcnt(0)
	v_cvt_i32_f64_e32 v0, v[0:1]
	s_branch .LBB166_122
.LBB166_120:
	s_mov_b64 s[0:1], -1
                                        ; implicit-def: $vgpr0
	s_branch .LBB166_125
.LBB166_121:
	s_mov_b64 s[0:1], -1
                                        ; implicit-def: $vgpr0
.LBB166_122:
	s_andn2_b64 vcc, exec, s[0:1]
	s_cbranch_vccnz .LBB166_124
; %bb.123:
	global_load_dword v0, v[2:3], off
	s_waitcnt vmcnt(0)
	v_cvt_i32_f32_e32 v0, v0
.LBB166_124:
	s_mov_b64 s[0:1], 0
.LBB166_125:
	s_andn2_b64 vcc, exec, s[0:1]
	s_cbranch_vccnz .LBB166_127
; %bb.126:
	global_load_ushort v0, v[2:3], off
	s_waitcnt vmcnt(0)
	v_cvt_i16_f16_e32 v0, v0
.LBB166_127:
	s_cbranch_execnz .LBB166_147
.LBB166_128:
	s_cmp_lt_i32 s6, 2
	s_cbranch_scc1 .LBB166_132
; %bb.129:
	s_cmp_lt_i32 s6, 3
	s_cbranch_scc1 .LBB166_133
; %bb.130:
	s_cmp_gt_i32 s6, 3
	s_cbranch_scc0 .LBB166_134
; %bb.131:
	global_load_dwordx2 v[0:1], v[2:3], off
	s_mov_b64 s[0:1], 0
	s_branch .LBB166_135
.LBB166_132:
	s_mov_b64 s[0:1], -1
                                        ; implicit-def: $vgpr0
	s_branch .LBB166_141
.LBB166_133:
	s_mov_b64 s[0:1], -1
                                        ; implicit-def: $vgpr0
	s_branch .LBB166_138
.LBB166_134:
	s_mov_b64 s[0:1], -1
                                        ; implicit-def: $vgpr0
.LBB166_135:
	s_andn2_b64 vcc, exec, s[0:1]
	s_cbranch_vccnz .LBB166_137
; %bb.136:
	global_load_dword v0, v[2:3], off
.LBB166_137:
	s_mov_b64 s[0:1], 0
.LBB166_138:
	s_andn2_b64 vcc, exec, s[0:1]
	s_cbranch_vccnz .LBB166_140
; %bb.139:
	global_load_ushort v0, v[2:3], off
.LBB166_140:
	s_mov_b64 s[0:1], 0
.LBB166_141:
	s_andn2_b64 vcc, exec, s[0:1]
	s_cbranch_vccnz .LBB166_147
; %bb.142:
	s_cmp_gt_i32 s6, 0
	s_cbranch_scc0 .LBB166_144
; %bb.143:
	global_load_ubyte v0, v[2:3], off
	s_mov_b64 s[0:1], 0
	s_branch .LBB166_145
.LBB166_144:
	s_mov_b64 s[0:1], -1
                                        ; implicit-def: $vgpr0
.LBB166_145:
	s_andn2_b64 vcc, exec, s[0:1]
	s_cbranch_vccnz .LBB166_147
; %bb.146:
	global_load_ubyte v0, v[2:3], off
.LBB166_147:
	s_branch .LBB166_11
.LBB166_148:
	s_mov_b64 s[0:1], 0
	s_mov_b64 s[18:19], 0
	s_branch .LBB166_373
.LBB166_149:
	s_mov_b64 s[18:19], -1
.LBB166_150:
	s_mov_b64 s[0:1], 0
                                        ; implicit-def: $vgpr3
.LBB166_151:
	s_and_b64 vcc, exec, s[6:7]
	s_cbranch_vccz .LBB166_267
; %bb.152:
	s_cmp_eq_u32 s25, 44
	s_cbranch_scc0 .LBB166_266
; %bb.153:
	global_load_ubyte v3, v[1:2], off
	s_mov_b64 s[0:1], -1
	s_mov_b64 s[18:19], 0
	s_waitcnt vmcnt(0)
	v_lshlrev_b32_e32 v4, 23, v3
	v_cvt_i32_f32_e32 v4, v4
	v_cmp_ne_u32_e32 vcc, 0, v3
	v_cndmask_b32_e32 v3, 0, v4, vcc
	s_branch .LBB166_267
.LBB166_154:
	s_mov_b64 s[24:25], -1
	s_mov_b64 s[0:1], 0
	s_mov_b64 s[6:7], 0
.LBB166_155:
	s_and_b64 vcc, exec, s[24:25]
	s_cbranch_vccz .LBB166_160
; %bb.156:
	s_cmp_eq_u32 s31, 44
	s_mov_b64 s[0:1], -1
	s_cbranch_scc0 .LBB166_160
; %bb.157:
	v_cvt_f32_i32_sdwa v2, sext(v4) dst_sel:DWORD dst_unused:UNUSED_PAD src0_sel:WORD_0
	s_movk_i32 s0, 0xff
	v_mov_b32_e32 v5, 0xff
	v_bfe_u32 v3, v2, 23, 8
	v_cmp_ne_u32_e32 vcc, s0, v3
	s_and_saveexec_b64 s[6:7], vcc
; %bb.158:
	s_mov_b32 s0, 0x3fffff
	v_lshrrev_b32_e32 v5, 23, v2
	v_and_b32_e32 v6, 0x400000, v2
	v_and_or_b32 v2, v2, s0, v3
	v_cmp_ne_u32_e32 vcc, 0, v6
	v_cmp_ne_u32_e64 s[0:1], 0, v2
	s_and_b64 s[0:1], vcc, s[0:1]
	v_cndmask_b32_e64 v2, 0, 1, s[0:1]
	v_add_u32_e32 v5, v5, v2
; %bb.159:
	s_or_b64 exec, exec, s[6:7]
	s_mov_b64 s[6:7], -1
	s_mov_b64 s[0:1], 0
	global_store_byte v[0:1], v5, off
.LBB166_160:
	s_mov_b64 s[24:25], 0
.LBB166_161:
	s_and_b64 vcc, exec, s[24:25]
	s_cbranch_vccz .LBB166_164
; %bb.162:
	s_cmp_eq_u32 s31, 29
	s_mov_b64 s[0:1], -1
	s_cbranch_scc0 .LBB166_164
; %bb.163:
	v_bfe_i32 v2, v4, 0, 16
	v_ashrrev_i32_e32 v3, 31, v2
	global_store_dwordx2 v[0:1], v[2:3], off
	s_mov_b64 s[6:7], -1
	s_mov_b64 s[0:1], 0
.LBB166_164:
	s_mov_b64 s[24:25], 0
.LBB166_165:
	s_and_b64 vcc, exec, s[24:25]
	s_cbranch_vccz .LBB166_181
; %bb.166:
	s_cmp_lt_i32 s31, 27
	s_mov_b64 s[6:7], -1
	s_cbranch_scc1 .LBB166_172
; %bb.167:
	s_cmp_gt_i32 s31, 27
	s_cbranch_scc0 .LBB166_169
; %bb.168:
	v_bfe_i32 v2, v4, 0, 16
	s_mov_b64 s[6:7], 0
	global_store_dword v[0:1], v2, off
.LBB166_169:
	s_andn2_b64 vcc, exec, s[6:7]
	s_cbranch_vccnz .LBB166_171
; %bb.170:
	global_store_short v[0:1], v4, off
.LBB166_171:
	s_mov_b64 s[6:7], 0
.LBB166_172:
	s_andn2_b64 vcc, exec, s[6:7]
	s_cbranch_vccnz .LBB166_180
; %bb.173:
	v_cvt_f32_i32_sdwa v2, sext(v4) dst_sel:DWORD dst_unused:UNUSED_PAD src0_sel:WORD_0
	s_mov_b32 s6, 0x43800000
	v_mov_b32_e32 v5, 0x80
	v_and_b32_e32 v3, 0x7fffffff, v2
	v_cmp_gt_u32_e32 vcc, s6, v3
	s_and_saveexec_b64 s[6:7], vcc
	s_cbranch_execz .LBB166_179
; %bb.174:
	s_mov_b32 s24, 0x3bffffff
	v_cmp_lt_u32_e32 vcc, s24, v3
	s_mov_b64 s[24:25], 0
                                        ; implicit-def: $vgpr3
	s_and_saveexec_b64 s[28:29], vcc
	s_xor_b64 s[28:29], exec, s[28:29]
	s_cbranch_execz .LBB166_404
; %bb.175:
	v_bfe_u32 v3, v2, 20, 1
	s_mov_b32 s34, 0x487ffff
	v_add3_u32 v3, v2, v3, s34
	s_mov_b64 s[24:25], exec
	v_lshrrev_b32_e32 v3, 20, v3
	s_andn2_saveexec_b64 s[28:29], s[28:29]
	s_cbranch_execnz .LBB166_405
.LBB166_176:
	s_or_b64 exec, exec, s[28:29]
	v_mov_b32_e32 v5, 0
	s_and_saveexec_b64 s[28:29], s[24:25]
.LBB166_177:
	v_lshrrev_b32_e32 v2, 24, v2
	s_movk_i32 s24, 0x80
	v_and_or_b32 v5, v2, s24, v3
.LBB166_178:
	s_or_b64 exec, exec, s[28:29]
.LBB166_179:
	s_or_b64 exec, exec, s[6:7]
	global_store_byte v[0:1], v5, off
.LBB166_180:
	s_mov_b64 s[6:7], -1
.LBB166_181:
	s_mov_b64 s[24:25], 0
.LBB166_182:
	s_and_b64 vcc, exec, s[24:25]
	s_cbranch_vccz .LBB166_223
; %bb.183:
	s_cmp_gt_i32 s31, 22
	s_mov_b64 s[24:25], -1
	s_cbranch_scc0 .LBB166_215
; %bb.184:
	s_cmp_lt_i32 s31, 24
	s_mov_b64 s[6:7], -1
	s_cbranch_scc1 .LBB166_204
; %bb.185:
	s_cmp_gt_i32 s31, 24
	s_cbranch_scc0 .LBB166_193
; %bb.186:
	v_cvt_f32_i32_sdwa v2, sext(v4) dst_sel:DWORD dst_unused:UNUSED_PAD src0_sel:WORD_0
	s_mov_b32 s6, 0x47800000
	v_mov_b32_e32 v5, 0x80
	v_and_b32_e32 v3, 0x7fffffff, v2
	v_cmp_gt_u32_e32 vcc, s6, v3
	s_and_saveexec_b64 s[6:7], vcc
	s_cbranch_execz .LBB166_192
; %bb.187:
	s_mov_b32 s24, 0x37ffffff
	v_cmp_lt_u32_e32 vcc, s24, v3
	s_mov_b64 s[24:25], 0
                                        ; implicit-def: $vgpr3
	s_and_saveexec_b64 s[28:29], vcc
	s_xor_b64 s[28:29], exec, s[28:29]
	s_cbranch_execz .LBB166_519
; %bb.188:
	v_bfe_u32 v3, v2, 21, 1
	s_mov_b32 s34, 0x88fffff
	v_add3_u32 v3, v2, v3, s34
	s_mov_b64 s[24:25], exec
	v_lshrrev_b32_e32 v3, 21, v3
	s_andn2_saveexec_b64 s[28:29], s[28:29]
	s_cbranch_execnz .LBB166_520
.LBB166_189:
	s_or_b64 exec, exec, s[28:29]
	v_mov_b32_e32 v5, 0
	s_and_saveexec_b64 s[28:29], s[24:25]
.LBB166_190:
	v_lshrrev_b32_e32 v2, 24, v2
	s_movk_i32 s24, 0x80
	v_and_or_b32 v5, v2, s24, v3
.LBB166_191:
	s_or_b64 exec, exec, s[28:29]
.LBB166_192:
	s_or_b64 exec, exec, s[6:7]
	s_mov_b64 s[6:7], 0
	global_store_byte v[0:1], v5, off
.LBB166_193:
	s_and_b64 vcc, exec, s[6:7]
	s_cbranch_vccz .LBB166_203
; %bb.194:
	v_cvt_f32_i32_sdwa v2, sext(v4) dst_sel:DWORD dst_unused:UNUSED_PAD src0_sel:WORD_0
	s_mov_b32 s6, 0x43f00000
                                        ; implicit-def: $vgpr3
	v_and_b32_e32 v5, 0x7fffffff, v2
	v_cmp_gt_u32_e32 vcc, s6, v5
	s_and_saveexec_b64 s[6:7], vcc
	s_xor_b64 s[6:7], exec, s[6:7]
	s_cbranch_execz .LBB166_200
; %bb.195:
	s_mov_b32 s24, 0x3c7fffff
	v_cmp_lt_u32_e32 vcc, s24, v5
                                        ; implicit-def: $vgpr3
	s_and_saveexec_b64 s[24:25], vcc
	s_xor_b64 s[24:25], exec, s[24:25]
; %bb.196:
	v_bfe_u32 v3, v2, 20, 1
	s_mov_b32 s28, 0x407ffff
	v_add3_u32 v3, v2, v3, s28
	v_lshrrev_b32_e32 v5, 20, v3
	v_and_b32_e32 v3, 0xff00000, v3
	s_mov_b32 s28, 0x7f00000
	v_mov_b32_e32 v6, 0x7e
	v_cmp_ne_u32_e32 vcc, s28, v3
	v_cndmask_b32_e32 v3, v6, v5, vcc
; %bb.197:
	s_andn2_saveexec_b64 s[24:25], s[24:25]
; %bb.198:
	s_mov_b32 s28, 0x46800000
	v_add_f32_e64 v3, |v2|, s28
; %bb.199:
	s_or_b64 exec, exec, s[24:25]
                                        ; implicit-def: $vgpr5
.LBB166_200:
	s_andn2_saveexec_b64 s[6:7], s[6:7]
; %bb.201:
	s_mov_b32 s24, 0x7f800000
	v_mov_b32_e32 v3, 0x7e
	v_mov_b32_e32 v6, 0x7f
	v_cmp_lt_u32_e32 vcc, s24, v5
	v_cndmask_b32_e32 v3, v3, v6, vcc
; %bb.202:
	s_or_b64 exec, exec, s[6:7]
	v_lshrrev_b32_e32 v2, 24, v2
	s_movk_i32 s6, 0x80
	v_and_or_b32 v2, v2, s6, v3
	global_store_byte v[0:1], v2, off
.LBB166_203:
	s_mov_b64 s[6:7], 0
.LBB166_204:
	s_andn2_b64 vcc, exec, s[6:7]
	s_cbranch_vccnz .LBB166_214
; %bb.205:
	v_cvt_f32_i32_sdwa v2, sext(v4) dst_sel:DWORD dst_unused:UNUSED_PAD src0_sel:WORD_0
	s_mov_b32 s6, 0x47800000
                                        ; implicit-def: $vgpr3
	v_and_b32_e32 v5, 0x7fffffff, v2
	v_cmp_gt_u32_e32 vcc, s6, v5
	s_and_saveexec_b64 s[6:7], vcc
	s_xor_b64 s[6:7], exec, s[6:7]
	s_cbranch_execz .LBB166_211
; %bb.206:
	s_mov_b32 s24, 0x387fffff
	v_cmp_lt_u32_e32 vcc, s24, v5
                                        ; implicit-def: $vgpr3
	s_and_saveexec_b64 s[24:25], vcc
	s_xor_b64 s[24:25], exec, s[24:25]
; %bb.207:
	v_bfe_u32 v3, v2, 21, 1
	s_mov_b32 s28, 0x80fffff
	v_add3_u32 v3, v2, v3, s28
	v_lshrrev_b32_e32 v3, 21, v3
; %bb.208:
	s_andn2_saveexec_b64 s[24:25], s[24:25]
; %bb.209:
	s_mov_b32 s28, 0x43000000
	v_add_f32_e64 v3, |v2|, s28
; %bb.210:
	s_or_b64 exec, exec, s[24:25]
                                        ; implicit-def: $vgpr5
.LBB166_211:
	s_andn2_saveexec_b64 s[6:7], s[6:7]
; %bb.212:
	s_mov_b32 s24, 0x7f800000
	v_mov_b32_e32 v3, 0x7c
	v_mov_b32_e32 v6, 0x7f
	v_cmp_lt_u32_e32 vcc, s24, v5
	v_cndmask_b32_e32 v3, v3, v6, vcc
; %bb.213:
	s_or_b64 exec, exec, s[6:7]
	v_lshrrev_b32_e32 v2, 24, v2
	s_movk_i32 s6, 0x80
	v_and_or_b32 v2, v2, s6, v3
	global_store_byte v[0:1], v2, off
.LBB166_214:
	s_mov_b64 s[24:25], 0
	s_mov_b64 s[6:7], -1
.LBB166_215:
	s_andn2_b64 vcc, exec, s[24:25]
	s_cbranch_vccnz .LBB166_223
; %bb.216:
	s_cmp_gt_i32 s31, 14
	s_mov_b64 s[24:25], -1
	s_cbranch_scc0 .LBB166_220
; %bb.217:
	s_cmp_eq_u32 s31, 15
	s_mov_b64 s[0:1], -1
	s_cbranch_scc0 .LBB166_219
; %bb.218:
	v_cvt_f32_i32_sdwa v2, sext(v4) dst_sel:DWORD dst_unused:UNUSED_PAD src0_sel:WORD_0
	s_movk_i32 s0, 0x7fff
	s_mov_b64 s[6:7], -1
	v_bfe_u32 v3, v2, 16, 1
	v_add3_u32 v2, v2, v3, s0
	global_store_short_d16_hi v[0:1], v2, off
	s_mov_b64 s[0:1], 0
.LBB166_219:
	s_mov_b64 s[24:25], 0
.LBB166_220:
	s_and_b64 vcc, exec, s[24:25]
	s_cbranch_vccz .LBB166_223
; %bb.221:
	s_cmp_eq_u32 s31, 11
	s_mov_b64 s[0:1], -1
	s_cbranch_scc0 .LBB166_223
; %bb.222:
	v_cmp_ne_u16_e32 vcc, 0, v4
	v_cndmask_b32_e64 v2, 0, 1, vcc
	s_mov_b64 s[6:7], -1
	s_mov_b64 s[0:1], 0
	global_store_byte v[0:1], v2, off
.LBB166_223:
	s_mov_b64 s[24:25], 0
.LBB166_224:
	s_and_b64 vcc, exec, s[24:25]
	s_cbranch_vccz .LBB166_263
; %bb.225:
	s_and_b32 s24, 0xffff, s30
	s_cmp_lt_i32 s24, 5
	s_mov_b64 s[6:7], -1
	s_cbranch_scc1 .LBB166_246
; %bb.226:
	s_cmp_lt_i32 s24, 8
	s_cbranch_scc1 .LBB166_236
; %bb.227:
	s_cmp_lt_i32 s24, 9
	s_cbranch_scc1 .LBB166_233
; %bb.228:
	s_cmp_gt_i32 s24, 9
	s_cbranch_scc0 .LBB166_230
; %bb.229:
	v_bfe_i32 v2, v4, 0, 16
	v_cvt_f64_i32_e32 v[5:6], v2
	v_mov_b32_e32 v7, 0
	v_mov_b32_e32 v8, v7
	s_mov_b64 s[6:7], 0
	global_store_dwordx4 v[0:1], v[5:8], off
.LBB166_230:
	s_andn2_b64 vcc, exec, s[6:7]
	s_cbranch_vccnz .LBB166_232
; %bb.231:
	v_cvt_f32_i32_sdwa v2, sext(v4) dst_sel:DWORD dst_unused:UNUSED_PAD src0_sel:WORD_0
	v_mov_b32_e32 v3, 0
	global_store_dwordx2 v[0:1], v[2:3], off
.LBB166_232:
	s_mov_b64 s[6:7], 0
.LBB166_233:
	s_andn2_b64 vcc, exec, s[6:7]
	s_cbranch_vccnz .LBB166_235
; %bb.234:
	v_cvt_f16_i16_e32 v2, v4
	global_store_dword v[0:1], v2, off
.LBB166_235:
	s_mov_b64 s[6:7], 0
.LBB166_236:
	s_andn2_b64 vcc, exec, s[6:7]
	s_cbranch_vccnz .LBB166_245
; %bb.237:
	s_cmp_lt_i32 s24, 6
	s_mov_b64 s[6:7], -1
	s_cbranch_scc1 .LBB166_243
; %bb.238:
	s_cmp_gt_i32 s24, 6
	s_cbranch_scc0 .LBB166_240
; %bb.239:
	v_bfe_i32 v2, v4, 0, 16
	v_cvt_f64_i32_e32 v[2:3], v2
	s_mov_b64 s[6:7], 0
	global_store_dwordx2 v[0:1], v[2:3], off
.LBB166_240:
	s_andn2_b64 vcc, exec, s[6:7]
	s_cbranch_vccnz .LBB166_242
; %bb.241:
	v_cvt_f32_i32_sdwa v2, sext(v4) dst_sel:DWORD dst_unused:UNUSED_PAD src0_sel:WORD_0
	global_store_dword v[0:1], v2, off
.LBB166_242:
	s_mov_b64 s[6:7], 0
.LBB166_243:
	s_andn2_b64 vcc, exec, s[6:7]
	s_cbranch_vccnz .LBB166_245
; %bb.244:
	v_cvt_f16_i16_e32 v2, v4
	global_store_short v[0:1], v2, off
.LBB166_245:
	s_mov_b64 s[6:7], 0
.LBB166_246:
	s_andn2_b64 vcc, exec, s[6:7]
	s_cbranch_vccnz .LBB166_262
; %bb.247:
	s_cmp_lt_i32 s24, 2
	s_mov_b64 s[6:7], -1
	s_cbranch_scc1 .LBB166_257
; %bb.248:
	s_cmp_lt_i32 s24, 3
	s_cbranch_scc1 .LBB166_254
; %bb.249:
	s_cmp_gt_i32 s24, 3
	v_bfe_i32 v2, v4, 0, 16
	s_cbranch_scc0 .LBB166_251
; %bb.250:
	v_ashrrev_i32_e32 v3, 31, v2
	global_store_dwordx2 v[0:1], v[2:3], off
	s_mov_b64 s[6:7], 0
.LBB166_251:
	s_andn2_b64 vcc, exec, s[6:7]
	s_cbranch_vccnz .LBB166_253
; %bb.252:
	global_store_dword v[0:1], v2, off
.LBB166_253:
	s_mov_b64 s[6:7], 0
.LBB166_254:
	s_andn2_b64 vcc, exec, s[6:7]
	s_cbranch_vccnz .LBB166_256
; %bb.255:
	global_store_short v[0:1], v4, off
.LBB166_256:
	s_mov_b64 s[6:7], 0
.LBB166_257:
	s_andn2_b64 vcc, exec, s[6:7]
	s_cbranch_vccnz .LBB166_262
; %bb.258:
	s_cmp_gt_i32 s24, 0
	s_mov_b64 s[6:7], -1
	s_cbranch_scc0 .LBB166_260
; %bb.259:
	global_store_byte v[0:1], v4, off
	s_mov_b64 s[6:7], 0
.LBB166_260:
	s_andn2_b64 vcc, exec, s[6:7]
	s_cbranch_vccnz .LBB166_262
; %bb.261:
	global_store_byte v[0:1], v4, off
.LBB166_262:
	s_mov_b64 s[6:7], -1
.LBB166_263:
	s_andn2_b64 vcc, exec, s[6:7]
	s_cbranch_vccnz .LBB166_265
; %bb.264:
	v_add_u32_e32 v14, 0x80, v14
	s_mov_b64 s[24:25], -1
	s_branch .LBB166_374
.LBB166_265:
	s_mov_b64 s[24:25], 0
                                        ; implicit-def: $vgpr14
	s_branch .LBB166_374
.LBB166_266:
	s_mov_b64 s[18:19], -1
                                        ; implicit-def: $vgpr3
.LBB166_267:
	s_mov_b64 s[6:7], 0
.LBB166_268:
	s_and_b64 vcc, exec, s[6:7]
	s_cbranch_vccz .LBB166_272
; %bb.269:
	s_cmp_eq_u32 s25, 29
	s_cbranch_scc0 .LBB166_271
; %bb.270:
	global_load_dwordx2 v[3:4], v[1:2], off
	s_mov_b64 s[0:1], -1
	s_mov_b64 s[18:19], 0
	s_branch .LBB166_272
.LBB166_271:
	s_mov_b64 s[18:19], -1
                                        ; implicit-def: $vgpr3
.LBB166_272:
	s_mov_b64 s[6:7], 0
.LBB166_273:
	s_and_b64 vcc, exec, s[6:7]
	s_cbranch_vccz .LBB166_289
; %bb.274:
	s_cmp_lt_i32 s25, 27
	s_cbranch_scc1 .LBB166_277
; %bb.275:
	s_cmp_gt_i32 s25, 27
	s_cbranch_scc0 .LBB166_278
; %bb.276:
	global_load_dword v3, v[1:2], off
	s_mov_b64 s[0:1], 0
	s_branch .LBB166_279
.LBB166_277:
	s_mov_b64 s[0:1], -1
                                        ; implicit-def: $vgpr3
	s_branch .LBB166_282
.LBB166_278:
	s_mov_b64 s[0:1], -1
                                        ; implicit-def: $vgpr3
.LBB166_279:
	s_andn2_b64 vcc, exec, s[0:1]
	s_cbranch_vccnz .LBB166_281
; %bb.280:
	global_load_ushort v3, v[1:2], off
.LBB166_281:
	s_mov_b64 s[0:1], 0
.LBB166_282:
	s_andn2_b64 vcc, exec, s[0:1]
	s_cbranch_vccnz .LBB166_288
; %bb.283:
	global_load_ubyte v4, v[1:2], off
	s_movk_i32 s0, 0x7f
	s_mov_b64 s[6:7], 0
	s_waitcnt vmcnt(0)
	v_cmp_lt_i16_e32 vcc, s0, v4
	s_and_saveexec_b64 s[0:1], vcc
	s_xor_b64 s[0:1], exec, s[0:1]
	s_cbranch_execz .LBB166_300
; %bb.284:
	s_movk_i32 s6, 0x80
	v_cmp_ne_u16_e32 vcc, s6, v4
	s_and_b64 s[6:7], vcc, exec
	s_andn2_saveexec_b64 s[0:1], s[0:1]
	s_cbranch_execnz .LBB166_301
.LBB166_285:
	s_or_b64 exec, exec, s[0:1]
	v_mov_b32_e32 v3, 0
	s_and_saveexec_b64 s[0:1], s[6:7]
	s_cbranch_execz .LBB166_287
.LBB166_286:
	v_lshlrev_b32_e32 v3, 24, v4
	v_and_b32_e32 v4, 0xffff, v4
	v_and_b32_e32 v5, 7, v4
	v_ffbh_u32_e32 v7, v5
	v_min_u32_e32 v7, 32, v7
	v_subrev_u32_e32 v8, 28, v7
	v_bfe_u32 v6, v4, 3, 4
	v_lshlrev_b32_e32 v4, v8, v4
	v_sub_u32_e32 v7, 29, v7
	v_and_b32_e32 v4, 7, v4
	v_cmp_eq_u32_e32 vcc, 0, v6
	v_cndmask_b32_e32 v6, v6, v7, vcc
	v_cndmask_b32_e32 v4, v5, v4, vcc
	v_mov_b32_e32 v5, 0x3b800000
	v_lshlrev_b32_e32 v4, 20, v4
	v_and_b32_e32 v3, 0x80000000, v3
	v_lshl_add_u32 v5, v6, 23, v5
	v_or3_b32 v3, v3, v5, v4
	v_cvt_i32_f32_e32 v3, v3
.LBB166_287:
	s_or_b64 exec, exec, s[0:1]
.LBB166_288:
	s_mov_b64 s[0:1], -1
.LBB166_289:
	s_mov_b64 s[6:7], 0
.LBB166_290:
	s_and_b64 vcc, exec, s[6:7]
	s_cbranch_vccz .LBB166_323
; %bb.291:
	s_cmp_gt_i32 s25, 22
	s_cbranch_scc0 .LBB166_299
; %bb.292:
	s_cmp_lt_i32 s25, 24
	s_cbranch_scc1 .LBB166_302
; %bb.293:
	s_cmp_gt_i32 s25, 24
	s_cbranch_scc0 .LBB166_303
; %bb.294:
	global_load_ubyte v4, v[1:2], off
	s_movk_i32 s0, 0x7f
	s_mov_b64 s[6:7], 0
	s_waitcnt vmcnt(0)
	v_cmp_lt_i16_e32 vcc, s0, v4
	s_and_saveexec_b64 s[0:1], vcc
	s_xor_b64 s[0:1], exec, s[0:1]
	s_cbranch_execz .LBB166_315
; %bb.295:
	s_movk_i32 s6, 0x80
	v_cmp_ne_u16_e32 vcc, s6, v4
	s_and_b64 s[6:7], vcc, exec
	s_andn2_saveexec_b64 s[0:1], s[0:1]
	s_cbranch_execnz .LBB166_316
.LBB166_296:
	s_or_b64 exec, exec, s[0:1]
	v_mov_b32_e32 v3, 0
	s_and_saveexec_b64 s[0:1], s[6:7]
	s_cbranch_execz .LBB166_298
.LBB166_297:
	v_lshlrev_b32_e32 v3, 24, v4
	v_and_b32_e32 v4, 0xffff, v4
	v_and_b32_e32 v5, 3, v4
	v_ffbh_u32_e32 v7, v5
	v_min_u32_e32 v7, 32, v7
	v_subrev_u32_e32 v8, 29, v7
	v_bfe_u32 v6, v4, 2, 5
	v_lshlrev_b32_e32 v4, v8, v4
	v_sub_u32_e32 v7, 30, v7
	v_and_b32_e32 v4, 3, v4
	v_cmp_eq_u32_e32 vcc, 0, v6
	v_cndmask_b32_e32 v6, v6, v7, vcc
	v_cndmask_b32_e32 v4, v5, v4, vcc
	v_mov_b32_e32 v5, 0x37800000
	v_lshlrev_b32_e32 v4, 21, v4
	v_and_b32_e32 v3, 0x80000000, v3
	v_lshl_add_u32 v5, v6, 23, v5
	v_or3_b32 v3, v3, v5, v4
	v_cvt_i32_f32_e32 v3, v3
.LBB166_298:
	s_or_b64 exec, exec, s[0:1]
	s_mov_b64 s[0:1], 0
	s_branch .LBB166_304
.LBB166_299:
	s_mov_b64 s[6:7], -1
                                        ; implicit-def: $vgpr3
	s_branch .LBB166_310
.LBB166_300:
	s_andn2_saveexec_b64 s[0:1], s[0:1]
	s_cbranch_execz .LBB166_285
.LBB166_301:
	v_cmp_ne_u16_e32 vcc, 0, v4
	s_andn2_b64 s[6:7], s[6:7], exec
	s_and_b64 s[28:29], vcc, exec
	s_or_b64 s[6:7], s[6:7], s[28:29]
	s_or_b64 exec, exec, s[0:1]
	v_mov_b32_e32 v3, 0
	s_and_saveexec_b64 s[0:1], s[6:7]
	s_cbranch_execnz .LBB166_286
	s_branch .LBB166_287
.LBB166_302:
	s_mov_b64 s[0:1], -1
                                        ; implicit-def: $vgpr3
	s_branch .LBB166_307
.LBB166_303:
	s_mov_b64 s[0:1], -1
                                        ; implicit-def: $vgpr3
.LBB166_304:
	s_and_b64 vcc, exec, s[0:1]
	s_cbranch_vccz .LBB166_306
; %bb.305:
	global_load_ubyte v3, v[1:2], off
	s_mov_b32 s0, 0x7f800000
	s_waitcnt vmcnt(0)
	v_lshlrev_b32_e32 v3, 24, v3
	v_and_b32_e32 v4, 0x7f000000, v3
	v_ffbh_u32_e32 v5, v4
	v_min_u32_e32 v5, 32, v5
	v_sub_u32_e64 v5, v5, 4 clamp
	v_lshlrev_b32_e32 v7, v5, v4
	v_lshlrev_b32_e32 v5, 23, v5
	v_lshrrev_b32_e32 v7, 4, v7
	v_add_u32_e32 v6, 0x1000000, v4
	v_sub_u32_e32 v5, v7, v5
	v_ashrrev_i32_e32 v6, 8, v6
	v_add_u32_e32 v5, 0x3c000000, v5
	v_and_or_b32 v5, v6, s0, v5
	v_cmp_ne_u32_e32 vcc, 0, v4
	v_cndmask_b32_e32 v4, 0, v5, vcc
	s_brev_b32 s0, 1
	v_and_or_b32 v3, v3, s0, v4
	v_cvt_i32_f32_e32 v3, v3
.LBB166_306:
	s_mov_b64 s[0:1], 0
.LBB166_307:
	s_andn2_b64 vcc, exec, s[0:1]
	s_cbranch_vccnz .LBB166_309
; %bb.308:
	global_load_ubyte v3, v[1:2], off
	s_movk_i32 s0, 0x7f00
	s_brev_b32 s1, 16
	s_waitcnt vmcnt(0)
	v_lshlrev_b16_e32 v4, 8, v3
	v_lshlrev_b32_e32 v3, 25, v3
	v_lshrrev_b32_e32 v5, 4, v3
	v_and_or_b32 v6, v4, s0, 0.5
	v_or_b32_e32 v5, 0x70000000, v5
	v_add_f32_e32 v6, -0.5, v6
	v_mul_f32_e32 v5, 0x7800000, v5
	v_cmp_gt_u32_e32 vcc, s1, v3
	v_bfe_i32 v4, v4, 0, 16
	v_cndmask_b32_e32 v3, v5, v6, vcc
	s_brev_b32 s0, 1
	v_and_or_b32 v3, v4, s0, v3
	v_cvt_i32_f32_e32 v3, v3
.LBB166_309:
	s_mov_b64 s[6:7], 0
	s_mov_b64 s[0:1], -1
.LBB166_310:
	s_andn2_b64 vcc, exec, s[6:7]
	s_cbranch_vccnz .LBB166_323
; %bb.311:
	s_cmp_gt_i32 s25, 14
	s_cbranch_scc0 .LBB166_314
; %bb.312:
	s_cmp_eq_u32 s25, 15
	s_cbranch_scc0 .LBB166_317
; %bb.313:
	global_load_ushort v3, v[1:2], off
	s_mov_b64 s[0:1], -1
	s_mov_b64 s[18:19], 0
	s_waitcnt vmcnt(0)
	v_lshlrev_b32_e32 v3, 16, v3
	v_cvt_i32_f32_e32 v3, v3
	s_branch .LBB166_318
.LBB166_314:
	s_mov_b64 s[6:7], -1
                                        ; implicit-def: $vgpr3
	s_branch .LBB166_319
.LBB166_315:
	s_andn2_saveexec_b64 s[0:1], s[0:1]
	s_cbranch_execz .LBB166_296
.LBB166_316:
	v_cmp_ne_u16_e32 vcc, 0, v4
	s_andn2_b64 s[6:7], s[6:7], exec
	s_and_b64 s[28:29], vcc, exec
	s_or_b64 s[6:7], s[6:7], s[28:29]
	s_or_b64 exec, exec, s[0:1]
	v_mov_b32_e32 v3, 0
	s_and_saveexec_b64 s[0:1], s[6:7]
	s_cbranch_execnz .LBB166_297
	s_branch .LBB166_298
.LBB166_317:
	s_mov_b64 s[18:19], -1
                                        ; implicit-def: $vgpr3
.LBB166_318:
	s_mov_b64 s[6:7], 0
.LBB166_319:
	s_and_b64 vcc, exec, s[6:7]
	s_cbranch_vccz .LBB166_323
; %bb.320:
	s_cmp_eq_u32 s25, 11
	s_cbranch_scc0 .LBB166_322
; %bb.321:
	global_load_ubyte v3, v[1:2], off
	s_mov_b64 s[0:1], -1
	s_mov_b64 s[18:19], 0
	s_waitcnt vmcnt(0)
	v_cmp_ne_u16_e32 vcc, 0, v3
	v_cndmask_b32_e64 v3, 0, 1, vcc
	s_branch .LBB166_323
.LBB166_322:
	s_mov_b64 s[18:19], -1
                                        ; implicit-def: $vgpr3
.LBB166_323:
	s_branch .LBB166_20
.LBB166_324:
	s_and_b32 s6, 0xffff, s24
	s_cmp_lt_i32 s6, 5
	s_cbranch_scc1 .LBB166_329
; %bb.325:
	s_cmp_lt_i32 s6, 8
	s_cbranch_scc1 .LBB166_330
; %bb.326:
	;; [unrolled: 3-line block ×3, first 2 shown]
	s_cmp_gt_i32 s6, 9
	s_cbranch_scc0 .LBB166_332
; %bb.328:
	global_load_dwordx2 v[3:4], v[1:2], off
	s_mov_b64 s[0:1], 0
	s_waitcnt vmcnt(0)
	v_cvt_i32_f64_e32 v3, v[3:4]
	s_branch .LBB166_333
.LBB166_329:
	s_mov_b64 s[0:1], -1
                                        ; implicit-def: $vgpr3
	s_branch .LBB166_351
.LBB166_330:
	s_mov_b64 s[0:1], -1
                                        ; implicit-def: $vgpr3
	s_branch .LBB166_339
.LBB166_331:
	s_mov_b64 s[0:1], -1
                                        ; implicit-def: $vgpr3
	s_branch .LBB166_336
.LBB166_332:
	s_mov_b64 s[0:1], -1
                                        ; implicit-def: $vgpr3
.LBB166_333:
	s_andn2_b64 vcc, exec, s[0:1]
	s_cbranch_vccnz .LBB166_335
; %bb.334:
	global_load_dword v3, v[1:2], off
	s_waitcnt vmcnt(0)
	v_cvt_i32_f32_e32 v3, v3
.LBB166_335:
	s_mov_b64 s[0:1], 0
.LBB166_336:
	s_andn2_b64 vcc, exec, s[0:1]
	s_cbranch_vccnz .LBB166_338
; %bb.337:
	global_load_dword v3, v[1:2], off
	s_waitcnt vmcnt(0)
	v_cvt_i16_f16_e32 v3, v3
.LBB166_338:
	s_mov_b64 s[0:1], 0
.LBB166_339:
	s_andn2_b64 vcc, exec, s[0:1]
	s_cbranch_vccnz .LBB166_350
; %bb.340:
	s_cmp_lt_i32 s6, 6
	s_cbranch_scc1 .LBB166_343
; %bb.341:
	s_cmp_gt_i32 s6, 6
	s_cbranch_scc0 .LBB166_344
; %bb.342:
	global_load_dwordx2 v[3:4], v[1:2], off
	s_mov_b64 s[0:1], 0
	s_waitcnt vmcnt(0)
	v_cvt_i32_f64_e32 v3, v[3:4]
	s_branch .LBB166_345
.LBB166_343:
	s_mov_b64 s[0:1], -1
                                        ; implicit-def: $vgpr3
	s_branch .LBB166_348
.LBB166_344:
	s_mov_b64 s[0:1], -1
                                        ; implicit-def: $vgpr3
.LBB166_345:
	s_andn2_b64 vcc, exec, s[0:1]
	s_cbranch_vccnz .LBB166_347
; %bb.346:
	global_load_dword v3, v[1:2], off
	s_waitcnt vmcnt(0)
	v_cvt_i32_f32_e32 v3, v3
.LBB166_347:
	s_mov_b64 s[0:1], 0
.LBB166_348:
	s_andn2_b64 vcc, exec, s[0:1]
	s_cbranch_vccnz .LBB166_350
; %bb.349:
	global_load_ushort v3, v[1:2], off
	s_waitcnt vmcnt(0)
	v_cvt_i16_f16_e32 v3, v3
.LBB166_350:
	s_mov_b64 s[0:1], 0
.LBB166_351:
	s_andn2_b64 vcc, exec, s[0:1]
	s_cbranch_vccnz .LBB166_371
; %bb.352:
	s_cmp_lt_i32 s6, 2
	s_cbranch_scc1 .LBB166_356
; %bb.353:
	s_cmp_lt_i32 s6, 3
	s_cbranch_scc1 .LBB166_357
; %bb.354:
	s_cmp_gt_i32 s6, 3
	s_cbranch_scc0 .LBB166_358
; %bb.355:
	global_load_dwordx2 v[3:4], v[1:2], off
	s_mov_b64 s[0:1], 0
	s_branch .LBB166_359
.LBB166_356:
	s_mov_b64 s[0:1], -1
                                        ; implicit-def: $vgpr3
	s_branch .LBB166_365
.LBB166_357:
	s_mov_b64 s[0:1], -1
                                        ; implicit-def: $vgpr3
	s_branch .LBB166_362
.LBB166_358:
	s_mov_b64 s[0:1], -1
                                        ; implicit-def: $vgpr3
.LBB166_359:
	s_andn2_b64 vcc, exec, s[0:1]
	s_cbranch_vccnz .LBB166_361
; %bb.360:
	global_load_dword v3, v[1:2], off
.LBB166_361:
	s_mov_b64 s[0:1], 0
.LBB166_362:
	s_andn2_b64 vcc, exec, s[0:1]
	s_cbranch_vccnz .LBB166_364
; %bb.363:
	global_load_ushort v3, v[1:2], off
.LBB166_364:
	s_mov_b64 s[0:1], 0
.LBB166_365:
	s_andn2_b64 vcc, exec, s[0:1]
	s_cbranch_vccnz .LBB166_371
; %bb.366:
	s_cmp_gt_i32 s6, 0
	s_cbranch_scc0 .LBB166_368
; %bb.367:
	global_load_ubyte v3, v[1:2], off
	s_mov_b64 s[0:1], 0
	s_branch .LBB166_369
.LBB166_368:
	s_mov_b64 s[0:1], -1
                                        ; implicit-def: $vgpr3
.LBB166_369:
	s_andn2_b64 vcc, exec, s[0:1]
	s_cbranch_vccnz .LBB166_371
; %bb.370:
	global_load_ubyte v3, v[1:2], off
.LBB166_371:
	s_branch .LBB166_21
.LBB166_372:
	s_mov_b64 s[0:1], 0
.LBB166_373:
                                        ; implicit-def: $vgpr14
	s_mov_b64 s[24:25], 0
.LBB166_374:
	s_and_b64 s[6:7], s[0:1], exec
	s_and_b64 s[18:19], s[18:19], exec
	;; [unrolled: 1-line block ×3, first 2 shown]
	s_orn2_b64 s[0:1], s[24:25], exec
.LBB166_375:
	s_or_b64 exec, exec, s[22:23]
	s_mov_b64 s[30:31], 0
	s_mov_b64 s[28:29], 0
                                        ; implicit-def: $sgpr55
                                        ; implicit-def: $vgpr2_vgpr3
                                        ; implicit-def: $vgpr0
	s_and_saveexec_b64 s[22:23], s[0:1]
	s_cbranch_execz .LBB166_384
; %bb.376:
	v_cmp_gt_i32_e32 vcc, s48, v14
	s_mov_b64 s[0:1], -1
	s_mov_b64 s[24:25], s[20:21]
	s_mov_b64 s[26:27], s[18:19]
	;; [unrolled: 1-line block ×3, first 2 shown]
	s_and_saveexec_b64 s[30:31], vcc
	s_cbranch_execz .LBB166_757
; %bb.377:
	s_waitcnt vmcnt(0)
	v_mul_lo_u32 v0, v14, s13
	v_mov_b32_e32 v1, s11
	s_and_b32 s28, s54, 0xff
	s_cmp_lt_i32 s28, 11
	v_ashrrev_i32_e32 v3, 31, v0
	v_add_co_u32_e32 v2, vcc, s10, v0
	v_addc_co_u32_e32 v3, vcc, v1, v3, vcc
	s_cbranch_scc1 .LBB166_387
; %bb.378:
	s_and_b32 s29, 0xffff, s28
	s_cmp_gt_i32 s29, 25
	s_cbranch_scc0 .LBB166_396
; %bb.379:
	s_cmp_gt_i32 s29, 28
	s_cbranch_scc0 .LBB166_398
; %bb.380:
	s_cmp_gt_i32 s29, 43
	s_cbranch_scc0 .LBB166_400
; %bb.381:
	s_cmp_gt_i32 s29, 45
	s_cbranch_scc0 .LBB166_402
; %bb.382:
	s_cmp_eq_u32 s29, 46
	s_mov_b64 s[26:27], 0
	s_cbranch_scc0 .LBB166_406
; %bb.383:
	global_load_dword v0, v[2:3], off
	s_mov_b64 s[24:25], 0
	s_waitcnt vmcnt(0)
	v_lshlrev_b32_e32 v0, 16, v0
	v_cvt_i32_f32_e32 v0, v0
	s_branch .LBB166_407
.LBB166_384:
	s_or_b64 exec, exec, s[22:23]
	s_mov_b64 s[22:23], 0
	s_and_saveexec_b64 s[0:1], s[20:21]
	s_cbranch_execnz .LBB166_1220
.LBB166_385:
	s_or_b64 exec, exec, s[0:1]
	s_and_saveexec_b64 s[0:1], s[26:27]
	s_xor_b64 s[0:1], exec, s[0:1]
	s_cbranch_execz .LBB166_1221
.LBB166_386:
	s_waitcnt vmcnt(0)
	global_load_ubyte v0, v[2:3], off
	s_or_b64 s[28:29], s[28:29], exec
	s_waitcnt vmcnt(0)
	v_cmp_ne_u16_e32 vcc, 0, v0
	v_cndmask_b32_e64 v0, 0, 1, vcc
	s_or_b64 exec, exec, s[0:1]
	s_and_saveexec_b64 s[0:1], s[30:31]
	s_cbranch_execz .LBB166_1267
	s_branch .LBB166_1222
.LBB166_387:
	s_mov_b64 s[0:1], 0
                                        ; implicit-def: $vgpr0
	s_mov_b64 s[24:25], s[20:21]
	s_cbranch_execnz .LBB166_469
.LBB166_388:
	s_andn2_b64 vcc, exec, s[0:1]
	s_cbranch_vccnz .LBB166_517
.LBB166_389:
	s_waitcnt vmcnt(0)
	v_mul_lo_u32 v1, v14, s14
	v_mov_b32_e32 v2, s3
	s_and_b32 s34, s15, 0xff
	s_cmp_lt_i32 s34, 11
	v_ashrrev_i32_e32 v3, 31, v1
	v_add_co_u32_e32 v1, vcc, s2, v1
	v_addc_co_u32_e32 v2, vcc, v2, v3, vcc
	s_cbranch_scc1 .LBB166_397
; %bb.390:
	s_and_b32 s35, 0xffff, s34
	s_cmp_gt_i32 s35, 25
	s_cbranch_scc0 .LBB166_399
; %bb.391:
	s_cmp_gt_i32 s35, 28
	s_cbranch_scc0 .LBB166_401
; %bb.392:
	;; [unrolled: 3-line block ×4, first 2 shown]
	s_cmp_eq_u32 s35, 46
	s_mov_b64 s[28:29], 0
	s_cbranch_scc0 .LBB166_521
; %bb.395:
	global_load_dword v3, v[1:2], off
	s_mov_b64 s[0:1], -1
	s_mov_b64 s[26:27], 0
	s_waitcnt vmcnt(0)
	v_lshlrev_b32_e32 v3, 16, v3
	v_cvt_i32_f32_e32 v3, v3
	s_branch .LBB166_522
.LBB166_396:
	s_mov_b64 s[26:27], -1
	s_mov_b64 s[0:1], 0
	s_mov_b64 s[24:25], s[20:21]
                                        ; implicit-def: $vgpr0
	s_branch .LBB166_435
.LBB166_397:
	s_mov_b64 s[28:29], -1
	s_mov_b64 s[0:1], 0
                                        ; implicit-def: $vgpr3
	s_mov_b64 s[26:27], s[18:19]
	s_branch .LBB166_583
.LBB166_398:
	s_mov_b64 s[26:27], -1
	s_mov_b64 s[0:1], 0
	s_mov_b64 s[24:25], s[20:21]
                                        ; implicit-def: $vgpr0
	s_branch .LBB166_418
.LBB166_399:
	s_mov_b64 s[28:29], -1
	s_mov_b64 s[0:1], 0
	s_mov_b64 s[26:27], s[18:19]
                                        ; implicit-def: $vgpr3
	s_branch .LBB166_549
.LBB166_400:
	s_mov_b64 s[26:27], -1
	s_mov_b64 s[0:1], 0
	s_mov_b64 s[24:25], s[20:21]
                                        ; implicit-def: $vgpr0
	s_branch .LBB166_413
.LBB166_401:
	s_mov_b64 s[28:29], -1
	s_mov_b64 s[0:1], 0
	s_mov_b64 s[26:27], s[18:19]
                                        ; implicit-def: $vgpr3
	s_branch .LBB166_532
.LBB166_402:
	s_mov_b64 s[26:27], -1
	s_mov_b64 s[0:1], 0
	s_mov_b64 s[24:25], s[20:21]
                                        ; implicit-def: $vgpr0
	s_branch .LBB166_407
.LBB166_403:
	s_mov_b64 s[28:29], -1
	s_mov_b64 s[0:1], 0
	s_mov_b64 s[26:27], s[18:19]
                                        ; implicit-def: $vgpr3
	s_branch .LBB166_527
.LBB166_404:
	s_andn2_saveexec_b64 s[28:29], s[28:29]
	s_cbranch_execz .LBB166_176
.LBB166_405:
	s_mov_b32 s34, 0x46000000
	v_add_f32_e64 v3, |v2|, s34
	v_and_b32_e32 v3, 0xff, v3
	v_cmp_ne_u32_e32 vcc, 0, v3
	s_andn2_b64 s[24:25], s[24:25], exec
	s_and_b64 s[34:35], vcc, exec
	s_or_b64 s[24:25], s[24:25], s[34:35]
	s_or_b64 exec, exec, s[28:29]
	v_mov_b32_e32 v5, 0
	s_and_saveexec_b64 s[28:29], s[24:25]
	s_cbranch_execnz .LBB166_177
	s_branch .LBB166_178
.LBB166_406:
	s_mov_b64 s[24:25], -1
                                        ; implicit-def: $vgpr0
	s_mov_b64 s[0:1], 0
.LBB166_407:
	s_and_b64 vcc, exec, s[26:27]
	s_cbranch_vccz .LBB166_412
; %bb.408:
	s_cmp_eq_u32 s29, 44
	s_cbranch_scc0 .LBB166_411
; %bb.409:
	global_load_ubyte v0, v[2:3], off
	s_mov_b64 s[0:1], -1
	s_mov_b64 s[24:25], 0
	s_waitcnt vmcnt(0)
	v_lshlrev_b32_e32 v1, 23, v0
	v_cvt_i32_f32_e32 v1, v1
	v_cmp_ne_u32_e32 vcc, 0, v0
	v_cndmask_b32_e32 v0, 0, v1, vcc
	s_branch .LBB166_412
.LBB166_410:
	s_mov_b64 s[28:29], -1
	s_mov_b64 s[0:1], 0
	s_mov_b64 s[26:27], s[18:19]
                                        ; implicit-def: $vgpr3
	s_branch .LBB166_522
.LBB166_411:
	s_mov_b64 s[24:25], -1
                                        ; implicit-def: $vgpr0
.LBB166_412:
	s_mov_b64 s[26:27], 0
.LBB166_413:
	s_and_b64 vcc, exec, s[26:27]
	s_cbranch_vccz .LBB166_417
; %bb.414:
	s_cmp_eq_u32 s29, 29
	s_cbranch_scc0 .LBB166_416
; %bb.415:
	global_load_dwordx2 v[0:1], v[2:3], off
	s_mov_b64 s[0:1], -1
	s_mov_b64 s[24:25], 0
	s_branch .LBB166_417
.LBB166_416:
	s_mov_b64 s[24:25], -1
                                        ; implicit-def: $vgpr0
.LBB166_417:
	s_mov_b64 s[26:27], 0
.LBB166_418:
	s_and_b64 vcc, exec, s[26:27]
	s_cbranch_vccz .LBB166_434
; %bb.419:
	s_cmp_lt_i32 s29, 27
	s_cbranch_scc1 .LBB166_422
; %bb.420:
	s_cmp_gt_i32 s29, 27
	s_cbranch_scc0 .LBB166_423
; %bb.421:
	global_load_dword v0, v[2:3], off
	s_mov_b64 s[0:1], 0
	s_branch .LBB166_424
.LBB166_422:
	s_mov_b64 s[0:1], -1
                                        ; implicit-def: $vgpr0
	s_branch .LBB166_427
.LBB166_423:
	s_mov_b64 s[0:1], -1
                                        ; implicit-def: $vgpr0
.LBB166_424:
	s_andn2_b64 vcc, exec, s[0:1]
	s_cbranch_vccnz .LBB166_426
; %bb.425:
	global_load_ushort v0, v[2:3], off
.LBB166_426:
	s_mov_b64 s[0:1], 0
.LBB166_427:
	s_andn2_b64 vcc, exec, s[0:1]
	s_cbranch_vccnz .LBB166_433
; %bb.428:
	global_load_ubyte v1, v[2:3], off
	s_movk_i32 s0, 0x7f
	s_mov_b64 s[26:27], 0
	s_waitcnt vmcnt(0)
	v_cmp_lt_i16_e32 vcc, s0, v1
	s_and_saveexec_b64 s[0:1], vcc
	s_xor_b64 s[0:1], exec, s[0:1]
	s_cbranch_execz .LBB166_445
; %bb.429:
	s_movk_i32 s26, 0x80
	v_cmp_ne_u16_e32 vcc, s26, v1
	s_and_b64 s[26:27], vcc, exec
	s_andn2_saveexec_b64 s[0:1], s[0:1]
	s_cbranch_execnz .LBB166_446
.LBB166_430:
	s_or_b64 exec, exec, s[0:1]
	v_mov_b32_e32 v0, 0
	s_and_saveexec_b64 s[0:1], s[26:27]
	s_cbranch_execz .LBB166_432
.LBB166_431:
	v_lshlrev_b32_e32 v0, 24, v1
	v_and_b32_e32 v1, 0xffff, v1
	v_and_b32_e32 v4, 7, v1
	v_ffbh_u32_e32 v6, v4
	v_min_u32_e32 v6, 32, v6
	v_subrev_u32_e32 v7, 28, v6
	v_bfe_u32 v5, v1, 3, 4
	v_lshlrev_b32_e32 v1, v7, v1
	v_sub_u32_e32 v6, 29, v6
	v_and_b32_e32 v1, 7, v1
	v_cmp_eq_u32_e32 vcc, 0, v5
	v_cndmask_b32_e32 v5, v5, v6, vcc
	v_cndmask_b32_e32 v1, v4, v1, vcc
	v_mov_b32_e32 v4, 0x3b800000
	v_lshlrev_b32_e32 v1, 20, v1
	v_and_b32_e32 v0, 0x80000000, v0
	v_lshl_add_u32 v4, v5, 23, v4
	v_or3_b32 v0, v0, v4, v1
	v_cvt_i32_f32_e32 v0, v0
.LBB166_432:
	s_or_b64 exec, exec, s[0:1]
.LBB166_433:
	s_mov_b64 s[0:1], -1
.LBB166_434:
	s_mov_b64 s[26:27], 0
.LBB166_435:
	s_and_b64 vcc, exec, s[26:27]
	s_cbranch_vccz .LBB166_468
; %bb.436:
	s_cmp_gt_i32 s29, 22
	s_cbranch_scc0 .LBB166_444
; %bb.437:
	s_cmp_lt_i32 s29, 24
	s_cbranch_scc1 .LBB166_447
; %bb.438:
	s_cmp_gt_i32 s29, 24
	s_cbranch_scc0 .LBB166_448
; %bb.439:
	global_load_ubyte v1, v[2:3], off
	s_movk_i32 s0, 0x7f
	s_mov_b64 s[26:27], 0
	s_waitcnt vmcnt(0)
	v_cmp_lt_i16_e32 vcc, s0, v1
	s_and_saveexec_b64 s[0:1], vcc
	s_xor_b64 s[0:1], exec, s[0:1]
	s_cbranch_execz .LBB166_460
; %bb.440:
	s_movk_i32 s26, 0x80
	v_cmp_ne_u16_e32 vcc, s26, v1
	s_and_b64 s[26:27], vcc, exec
	s_andn2_saveexec_b64 s[0:1], s[0:1]
	s_cbranch_execnz .LBB166_461
.LBB166_441:
	s_or_b64 exec, exec, s[0:1]
	v_mov_b32_e32 v0, 0
	s_and_saveexec_b64 s[0:1], s[26:27]
	s_cbranch_execz .LBB166_443
.LBB166_442:
	v_lshlrev_b32_e32 v0, 24, v1
	v_and_b32_e32 v1, 0xffff, v1
	v_and_b32_e32 v4, 3, v1
	v_ffbh_u32_e32 v6, v4
	v_min_u32_e32 v6, 32, v6
	v_subrev_u32_e32 v7, 29, v6
	v_bfe_u32 v5, v1, 2, 5
	v_lshlrev_b32_e32 v1, v7, v1
	v_sub_u32_e32 v6, 30, v6
	v_and_b32_e32 v1, 3, v1
	v_cmp_eq_u32_e32 vcc, 0, v5
	v_cndmask_b32_e32 v5, v5, v6, vcc
	v_cndmask_b32_e32 v1, v4, v1, vcc
	v_mov_b32_e32 v4, 0x37800000
	v_lshlrev_b32_e32 v1, 21, v1
	v_and_b32_e32 v0, 0x80000000, v0
	v_lshl_add_u32 v4, v5, 23, v4
	v_or3_b32 v0, v0, v4, v1
	v_cvt_i32_f32_e32 v0, v0
.LBB166_443:
	s_or_b64 exec, exec, s[0:1]
	s_mov_b64 s[0:1], 0
	s_branch .LBB166_449
.LBB166_444:
	s_mov_b64 s[26:27], -1
                                        ; implicit-def: $vgpr0
	s_branch .LBB166_455
.LBB166_445:
	s_andn2_saveexec_b64 s[0:1], s[0:1]
	s_cbranch_execz .LBB166_430
.LBB166_446:
	v_cmp_ne_u16_e32 vcc, 0, v1
	s_andn2_b64 s[26:27], s[26:27], exec
	s_and_b64 s[34:35], vcc, exec
	s_or_b64 s[26:27], s[26:27], s[34:35]
	s_or_b64 exec, exec, s[0:1]
	v_mov_b32_e32 v0, 0
	s_and_saveexec_b64 s[0:1], s[26:27]
	s_cbranch_execnz .LBB166_431
	s_branch .LBB166_432
.LBB166_447:
	s_mov_b64 s[0:1], -1
                                        ; implicit-def: $vgpr0
	s_branch .LBB166_452
.LBB166_448:
	s_mov_b64 s[0:1], -1
                                        ; implicit-def: $vgpr0
.LBB166_449:
	s_and_b64 vcc, exec, s[0:1]
	s_cbranch_vccz .LBB166_451
; %bb.450:
	global_load_ubyte v0, v[2:3], off
	s_mov_b32 s0, 0x7f800000
	s_waitcnt vmcnt(0)
	v_lshlrev_b32_e32 v0, 24, v0
	v_and_b32_e32 v1, 0x7f000000, v0
	v_ffbh_u32_e32 v4, v1
	v_min_u32_e32 v4, 32, v4
	v_sub_u32_e64 v4, v4, 4 clamp
	v_lshlrev_b32_e32 v6, v4, v1
	v_lshlrev_b32_e32 v4, 23, v4
	v_lshrrev_b32_e32 v6, 4, v6
	v_add_u32_e32 v5, 0x1000000, v1
	v_sub_u32_e32 v4, v6, v4
	v_ashrrev_i32_e32 v5, 8, v5
	v_add_u32_e32 v4, 0x3c000000, v4
	v_and_or_b32 v4, v5, s0, v4
	v_cmp_ne_u32_e32 vcc, 0, v1
	v_cndmask_b32_e32 v1, 0, v4, vcc
	s_brev_b32 s0, 1
	v_and_or_b32 v0, v0, s0, v1
	v_cvt_i32_f32_e32 v0, v0
.LBB166_451:
	s_mov_b64 s[0:1], 0
.LBB166_452:
	s_andn2_b64 vcc, exec, s[0:1]
	s_cbranch_vccnz .LBB166_454
; %bb.453:
	global_load_ubyte v0, v[2:3], off
	s_movk_i32 s0, 0x7f00
	s_brev_b32 s1, 16
	s_waitcnt vmcnt(0)
	v_lshlrev_b16_e32 v1, 8, v0
	v_lshlrev_b32_e32 v0, 25, v0
	v_lshrrev_b32_e32 v4, 4, v0
	v_and_or_b32 v5, v1, s0, 0.5
	v_or_b32_e32 v4, 0x70000000, v4
	v_add_f32_e32 v5, -0.5, v5
	v_mul_f32_e32 v4, 0x7800000, v4
	v_cmp_gt_u32_e32 vcc, s1, v0
	v_bfe_i32 v1, v1, 0, 16
	v_cndmask_b32_e32 v0, v4, v5, vcc
	s_brev_b32 s0, 1
	v_and_or_b32 v0, v1, s0, v0
	v_cvt_i32_f32_e32 v0, v0
.LBB166_454:
	s_mov_b64 s[26:27], 0
	s_mov_b64 s[0:1], -1
.LBB166_455:
	s_andn2_b64 vcc, exec, s[26:27]
	s_cbranch_vccnz .LBB166_468
; %bb.456:
	s_cmp_gt_i32 s29, 14
	s_cbranch_scc0 .LBB166_459
; %bb.457:
	s_cmp_eq_u32 s29, 15
	s_cbranch_scc0 .LBB166_462
; %bb.458:
	global_load_ushort v0, v[2:3], off
	s_mov_b64 s[0:1], -1
	s_mov_b64 s[24:25], 0
	s_waitcnt vmcnt(0)
	v_lshlrev_b32_e32 v0, 16, v0
	v_cvt_i32_f32_e32 v0, v0
	s_branch .LBB166_463
.LBB166_459:
	s_mov_b64 s[26:27], -1
                                        ; implicit-def: $vgpr0
	s_branch .LBB166_464
.LBB166_460:
	s_andn2_saveexec_b64 s[0:1], s[0:1]
	s_cbranch_execz .LBB166_441
.LBB166_461:
	v_cmp_ne_u16_e32 vcc, 0, v1
	s_andn2_b64 s[26:27], s[26:27], exec
	s_and_b64 s[34:35], vcc, exec
	s_or_b64 s[26:27], s[26:27], s[34:35]
	s_or_b64 exec, exec, s[0:1]
	v_mov_b32_e32 v0, 0
	s_and_saveexec_b64 s[0:1], s[26:27]
	s_cbranch_execnz .LBB166_442
	s_branch .LBB166_443
.LBB166_462:
	s_mov_b64 s[24:25], -1
                                        ; implicit-def: $vgpr0
.LBB166_463:
	s_mov_b64 s[26:27], 0
.LBB166_464:
	s_and_b64 vcc, exec, s[26:27]
	s_cbranch_vccz .LBB166_468
; %bb.465:
	s_cmp_eq_u32 s29, 11
	s_cbranch_scc0 .LBB166_467
; %bb.466:
	global_load_ubyte v0, v[2:3], off
	s_mov_b64 s[0:1], -1
	s_mov_b64 s[24:25], 0
	s_waitcnt vmcnt(0)
	v_cmp_ne_u16_e32 vcc, 0, v0
	v_cndmask_b32_e64 v0, 0, 1, vcc
	s_branch .LBB166_468
.LBB166_467:
	s_mov_b64 s[24:25], -1
                                        ; implicit-def: $vgpr0
.LBB166_468:
	s_branch .LBB166_388
.LBB166_469:
	s_and_b32 s26, 0xffff, s28
	s_cmp_lt_i32 s26, 5
	s_cbranch_scc1 .LBB166_474
; %bb.470:
	s_cmp_lt_i32 s26, 8
	s_cbranch_scc1 .LBB166_475
; %bb.471:
	;; [unrolled: 3-line block ×3, first 2 shown]
	s_cmp_gt_i32 s26, 9
	s_cbranch_scc0 .LBB166_477
; %bb.473:
	global_load_dwordx2 v[0:1], v[2:3], off
	s_mov_b64 s[0:1], 0
	s_waitcnt vmcnt(0)
	v_cvt_i32_f64_e32 v0, v[0:1]
	s_branch .LBB166_478
.LBB166_474:
	s_mov_b64 s[0:1], -1
                                        ; implicit-def: $vgpr0
	s_branch .LBB166_496
.LBB166_475:
	s_mov_b64 s[0:1], -1
                                        ; implicit-def: $vgpr0
	s_branch .LBB166_484
.LBB166_476:
	s_mov_b64 s[0:1], -1
                                        ; implicit-def: $vgpr0
	s_branch .LBB166_481
.LBB166_477:
	s_mov_b64 s[0:1], -1
                                        ; implicit-def: $vgpr0
.LBB166_478:
	s_andn2_b64 vcc, exec, s[0:1]
	s_cbranch_vccnz .LBB166_480
; %bb.479:
	global_load_dword v0, v[2:3], off
	s_waitcnt vmcnt(0)
	v_cvt_i32_f32_e32 v0, v0
.LBB166_480:
	s_mov_b64 s[0:1], 0
.LBB166_481:
	s_andn2_b64 vcc, exec, s[0:1]
	s_cbranch_vccnz .LBB166_483
; %bb.482:
	global_load_dword v0, v[2:3], off
	s_waitcnt vmcnt(0)
	v_cvt_i16_f16_e32 v0, v0
.LBB166_483:
	s_mov_b64 s[0:1], 0
.LBB166_484:
	s_andn2_b64 vcc, exec, s[0:1]
	s_cbranch_vccnz .LBB166_495
; %bb.485:
	s_cmp_lt_i32 s26, 6
	s_cbranch_scc1 .LBB166_488
; %bb.486:
	s_cmp_gt_i32 s26, 6
	s_cbranch_scc0 .LBB166_489
; %bb.487:
	global_load_dwordx2 v[0:1], v[2:3], off
	s_mov_b64 s[0:1], 0
	s_waitcnt vmcnt(0)
	v_cvt_i32_f64_e32 v0, v[0:1]
	s_branch .LBB166_490
.LBB166_488:
	s_mov_b64 s[0:1], -1
                                        ; implicit-def: $vgpr0
	s_branch .LBB166_493
.LBB166_489:
	s_mov_b64 s[0:1], -1
                                        ; implicit-def: $vgpr0
.LBB166_490:
	s_andn2_b64 vcc, exec, s[0:1]
	s_cbranch_vccnz .LBB166_492
; %bb.491:
	global_load_dword v0, v[2:3], off
	s_waitcnt vmcnt(0)
	v_cvt_i32_f32_e32 v0, v0
.LBB166_492:
	s_mov_b64 s[0:1], 0
.LBB166_493:
	s_andn2_b64 vcc, exec, s[0:1]
	s_cbranch_vccnz .LBB166_495
; %bb.494:
	global_load_ushort v0, v[2:3], off
	s_waitcnt vmcnt(0)
	v_cvt_i16_f16_e32 v0, v0
.LBB166_495:
	s_mov_b64 s[0:1], 0
.LBB166_496:
	s_andn2_b64 vcc, exec, s[0:1]
	s_cbranch_vccnz .LBB166_516
; %bb.497:
	s_cmp_lt_i32 s26, 2
	s_cbranch_scc1 .LBB166_501
; %bb.498:
	s_cmp_lt_i32 s26, 3
	s_cbranch_scc1 .LBB166_502
; %bb.499:
	s_cmp_gt_i32 s26, 3
	s_cbranch_scc0 .LBB166_503
; %bb.500:
	global_load_dwordx2 v[0:1], v[2:3], off
	s_mov_b64 s[0:1], 0
	s_branch .LBB166_504
.LBB166_501:
	s_mov_b64 s[0:1], -1
                                        ; implicit-def: $vgpr0
	s_branch .LBB166_510
.LBB166_502:
	s_mov_b64 s[0:1], -1
                                        ; implicit-def: $vgpr0
	s_branch .LBB166_507
.LBB166_503:
	s_mov_b64 s[0:1], -1
                                        ; implicit-def: $vgpr0
.LBB166_504:
	s_andn2_b64 vcc, exec, s[0:1]
	s_cbranch_vccnz .LBB166_506
; %bb.505:
	global_load_dword v0, v[2:3], off
.LBB166_506:
	s_mov_b64 s[0:1], 0
.LBB166_507:
	s_andn2_b64 vcc, exec, s[0:1]
	s_cbranch_vccnz .LBB166_509
; %bb.508:
	global_load_ushort v0, v[2:3], off
.LBB166_509:
	s_mov_b64 s[0:1], 0
.LBB166_510:
	s_andn2_b64 vcc, exec, s[0:1]
	s_cbranch_vccnz .LBB166_516
; %bb.511:
	s_cmp_gt_i32 s26, 0
	s_cbranch_scc0 .LBB166_513
; %bb.512:
	global_load_ubyte v0, v[2:3], off
	s_mov_b64 s[0:1], 0
	s_branch .LBB166_514
.LBB166_513:
	s_mov_b64 s[0:1], -1
                                        ; implicit-def: $vgpr0
.LBB166_514:
	s_andn2_b64 vcc, exec, s[0:1]
	s_cbranch_vccnz .LBB166_516
; %bb.515:
	global_load_ubyte v0, v[2:3], off
.LBB166_516:
	s_branch .LBB166_389
.LBB166_517:
	s_mov_b64 s[34:35], 0
	s_mov_b64 s[0:1], s[6:7]
	;; [unrolled: 1-line block ×3, first 2 shown]
.LBB166_518:
                                        ; implicit-def: $vgpr14
	s_branch .LBB166_756
.LBB166_519:
	s_andn2_saveexec_b64 s[28:29], s[28:29]
	s_cbranch_execz .LBB166_189
.LBB166_520:
	s_mov_b32 s34, 0x42800000
	v_add_f32_e64 v3, |v2|, s34
	v_and_b32_e32 v3, 0xff, v3
	v_cmp_ne_u32_e32 vcc, 0, v3
	s_andn2_b64 s[24:25], s[24:25], exec
	s_and_b64 s[34:35], vcc, exec
	s_or_b64 s[24:25], s[24:25], s[34:35]
	s_or_b64 exec, exec, s[28:29]
	v_mov_b32_e32 v5, 0
	s_and_saveexec_b64 s[28:29], s[24:25]
	s_cbranch_execnz .LBB166_190
	s_branch .LBB166_191
.LBB166_521:
	s_mov_b64 s[26:27], -1
                                        ; implicit-def: $vgpr3
	s_mov_b64 s[0:1], 0
.LBB166_522:
	s_and_b64 vcc, exec, s[28:29]
	s_cbranch_vccz .LBB166_526
; %bb.523:
	s_cmp_eq_u32 s35, 44
	s_cbranch_scc0 .LBB166_525
; %bb.524:
	global_load_ubyte v3, v[1:2], off
	s_mov_b64 s[0:1], -1
	s_mov_b64 s[26:27], 0
	s_waitcnt vmcnt(0)
	v_lshlrev_b32_e32 v4, 23, v3
	v_cvt_i32_f32_e32 v4, v4
	v_cmp_ne_u32_e32 vcc, 0, v3
	v_cndmask_b32_e32 v3, 0, v4, vcc
	s_branch .LBB166_526
.LBB166_525:
	s_mov_b64 s[26:27], -1
                                        ; implicit-def: $vgpr3
.LBB166_526:
	s_mov_b64 s[28:29], 0
.LBB166_527:
	s_and_b64 vcc, exec, s[28:29]
	s_cbranch_vccz .LBB166_531
; %bb.528:
	s_cmp_eq_u32 s35, 29
	s_cbranch_scc0 .LBB166_530
; %bb.529:
	global_load_dwordx2 v[3:4], v[1:2], off
	s_mov_b64 s[0:1], -1
	s_mov_b64 s[26:27], 0
	s_branch .LBB166_531
.LBB166_530:
	s_mov_b64 s[26:27], -1
                                        ; implicit-def: $vgpr3
.LBB166_531:
	s_mov_b64 s[28:29], 0
.LBB166_532:
	s_and_b64 vcc, exec, s[28:29]
	s_cbranch_vccz .LBB166_548
; %bb.533:
	s_cmp_lt_i32 s35, 27
	s_cbranch_scc1 .LBB166_536
; %bb.534:
	s_cmp_gt_i32 s35, 27
	s_cbranch_scc0 .LBB166_537
; %bb.535:
	global_load_dword v3, v[1:2], off
	s_mov_b64 s[0:1], 0
	s_branch .LBB166_538
.LBB166_536:
	s_mov_b64 s[0:1], -1
                                        ; implicit-def: $vgpr3
	s_branch .LBB166_541
.LBB166_537:
	s_mov_b64 s[0:1], -1
                                        ; implicit-def: $vgpr3
.LBB166_538:
	s_andn2_b64 vcc, exec, s[0:1]
	s_cbranch_vccnz .LBB166_540
; %bb.539:
	global_load_ushort v3, v[1:2], off
.LBB166_540:
	s_mov_b64 s[0:1], 0
.LBB166_541:
	s_andn2_b64 vcc, exec, s[0:1]
	s_cbranch_vccnz .LBB166_547
; %bb.542:
	global_load_ubyte v4, v[1:2], off
	s_movk_i32 s0, 0x7f
	s_mov_b64 s[28:29], 0
	s_waitcnt vmcnt(0)
	v_cmp_lt_i16_e32 vcc, s0, v4
	s_and_saveexec_b64 s[0:1], vcc
	s_xor_b64 s[0:1], exec, s[0:1]
	s_cbranch_execz .LBB166_559
; %bb.543:
	s_movk_i32 s28, 0x80
	v_cmp_ne_u16_e32 vcc, s28, v4
	s_and_b64 s[28:29], vcc, exec
	s_andn2_saveexec_b64 s[0:1], s[0:1]
	s_cbranch_execnz .LBB166_560
.LBB166_544:
	s_or_b64 exec, exec, s[0:1]
	v_mov_b32_e32 v3, 0
	s_and_saveexec_b64 s[0:1], s[28:29]
	s_cbranch_execz .LBB166_546
.LBB166_545:
	v_lshlrev_b32_e32 v3, 24, v4
	v_and_b32_e32 v4, 0xffff, v4
	v_and_b32_e32 v5, 7, v4
	v_ffbh_u32_e32 v7, v5
	v_min_u32_e32 v7, 32, v7
	v_subrev_u32_e32 v8, 28, v7
	v_bfe_u32 v6, v4, 3, 4
	v_lshlrev_b32_e32 v4, v8, v4
	v_sub_u32_e32 v7, 29, v7
	v_and_b32_e32 v4, 7, v4
	v_cmp_eq_u32_e32 vcc, 0, v6
	v_cndmask_b32_e32 v6, v6, v7, vcc
	v_cndmask_b32_e32 v4, v5, v4, vcc
	v_mov_b32_e32 v5, 0x3b800000
	v_lshlrev_b32_e32 v4, 20, v4
	v_and_b32_e32 v3, 0x80000000, v3
	v_lshl_add_u32 v5, v6, 23, v5
	v_or3_b32 v3, v3, v5, v4
	v_cvt_i32_f32_e32 v3, v3
.LBB166_546:
	s_or_b64 exec, exec, s[0:1]
.LBB166_547:
	s_mov_b64 s[0:1], -1
.LBB166_548:
	s_mov_b64 s[28:29], 0
.LBB166_549:
	s_and_b64 vcc, exec, s[28:29]
	s_cbranch_vccz .LBB166_582
; %bb.550:
	s_cmp_gt_i32 s35, 22
	s_cbranch_scc0 .LBB166_558
; %bb.551:
	s_cmp_lt_i32 s35, 24
	s_cbranch_scc1 .LBB166_561
; %bb.552:
	s_cmp_gt_i32 s35, 24
	s_cbranch_scc0 .LBB166_562
; %bb.553:
	global_load_ubyte v4, v[1:2], off
	s_movk_i32 s0, 0x7f
	s_mov_b64 s[28:29], 0
	s_waitcnt vmcnt(0)
	v_cmp_lt_i16_e32 vcc, s0, v4
	s_and_saveexec_b64 s[0:1], vcc
	s_xor_b64 s[0:1], exec, s[0:1]
	s_cbranch_execz .LBB166_574
; %bb.554:
	s_movk_i32 s28, 0x80
	v_cmp_ne_u16_e32 vcc, s28, v4
	s_and_b64 s[28:29], vcc, exec
	s_andn2_saveexec_b64 s[0:1], s[0:1]
	s_cbranch_execnz .LBB166_575
.LBB166_555:
	s_or_b64 exec, exec, s[0:1]
	v_mov_b32_e32 v3, 0
	s_and_saveexec_b64 s[0:1], s[28:29]
	s_cbranch_execz .LBB166_557
.LBB166_556:
	v_lshlrev_b32_e32 v3, 24, v4
	v_and_b32_e32 v4, 0xffff, v4
	v_and_b32_e32 v5, 3, v4
	v_ffbh_u32_e32 v7, v5
	v_min_u32_e32 v7, 32, v7
	v_subrev_u32_e32 v8, 29, v7
	v_bfe_u32 v6, v4, 2, 5
	v_lshlrev_b32_e32 v4, v8, v4
	v_sub_u32_e32 v7, 30, v7
	v_and_b32_e32 v4, 3, v4
	v_cmp_eq_u32_e32 vcc, 0, v6
	v_cndmask_b32_e32 v6, v6, v7, vcc
	v_cndmask_b32_e32 v4, v5, v4, vcc
	v_mov_b32_e32 v5, 0x37800000
	v_lshlrev_b32_e32 v4, 21, v4
	v_and_b32_e32 v3, 0x80000000, v3
	v_lshl_add_u32 v5, v6, 23, v5
	v_or3_b32 v3, v3, v5, v4
	v_cvt_i32_f32_e32 v3, v3
.LBB166_557:
	s_or_b64 exec, exec, s[0:1]
	s_mov_b64 s[0:1], 0
	s_branch .LBB166_563
.LBB166_558:
	s_mov_b64 s[28:29], -1
                                        ; implicit-def: $vgpr3
	s_branch .LBB166_569
.LBB166_559:
	s_andn2_saveexec_b64 s[0:1], s[0:1]
	s_cbranch_execz .LBB166_544
.LBB166_560:
	v_cmp_ne_u16_e32 vcc, 0, v4
	s_andn2_b64 s[28:29], s[28:29], exec
	s_and_b64 s[36:37], vcc, exec
	s_or_b64 s[28:29], s[28:29], s[36:37]
	s_or_b64 exec, exec, s[0:1]
	v_mov_b32_e32 v3, 0
	s_and_saveexec_b64 s[0:1], s[28:29]
	s_cbranch_execnz .LBB166_545
	s_branch .LBB166_546
.LBB166_561:
	s_mov_b64 s[0:1], -1
                                        ; implicit-def: $vgpr3
	s_branch .LBB166_566
.LBB166_562:
	s_mov_b64 s[0:1], -1
                                        ; implicit-def: $vgpr3
.LBB166_563:
	s_and_b64 vcc, exec, s[0:1]
	s_cbranch_vccz .LBB166_565
; %bb.564:
	global_load_ubyte v3, v[1:2], off
	s_mov_b32 s0, 0x7f800000
	s_waitcnt vmcnt(0)
	v_lshlrev_b32_e32 v3, 24, v3
	v_and_b32_e32 v4, 0x7f000000, v3
	v_ffbh_u32_e32 v5, v4
	v_min_u32_e32 v5, 32, v5
	v_sub_u32_e64 v5, v5, 4 clamp
	v_lshlrev_b32_e32 v7, v5, v4
	v_lshlrev_b32_e32 v5, 23, v5
	v_lshrrev_b32_e32 v7, 4, v7
	v_add_u32_e32 v6, 0x1000000, v4
	v_sub_u32_e32 v5, v7, v5
	v_ashrrev_i32_e32 v6, 8, v6
	v_add_u32_e32 v5, 0x3c000000, v5
	v_and_or_b32 v5, v6, s0, v5
	v_cmp_ne_u32_e32 vcc, 0, v4
	v_cndmask_b32_e32 v4, 0, v5, vcc
	s_brev_b32 s0, 1
	v_and_or_b32 v3, v3, s0, v4
	v_cvt_i32_f32_e32 v3, v3
.LBB166_565:
	s_mov_b64 s[0:1], 0
.LBB166_566:
	s_andn2_b64 vcc, exec, s[0:1]
	s_cbranch_vccnz .LBB166_568
; %bb.567:
	global_load_ubyte v3, v[1:2], off
	s_movk_i32 s0, 0x7f00
	s_brev_b32 s1, 16
	s_waitcnt vmcnt(0)
	v_lshlrev_b16_e32 v4, 8, v3
	v_lshlrev_b32_e32 v3, 25, v3
	v_lshrrev_b32_e32 v5, 4, v3
	v_and_or_b32 v6, v4, s0, 0.5
	v_or_b32_e32 v5, 0x70000000, v5
	v_add_f32_e32 v6, -0.5, v6
	v_mul_f32_e32 v5, 0x7800000, v5
	v_cmp_gt_u32_e32 vcc, s1, v3
	v_bfe_i32 v4, v4, 0, 16
	v_cndmask_b32_e32 v3, v5, v6, vcc
	s_brev_b32 s0, 1
	v_and_or_b32 v3, v4, s0, v3
	v_cvt_i32_f32_e32 v3, v3
.LBB166_568:
	s_mov_b64 s[28:29], 0
	s_mov_b64 s[0:1], -1
.LBB166_569:
	s_andn2_b64 vcc, exec, s[28:29]
	s_cbranch_vccnz .LBB166_582
; %bb.570:
	s_cmp_gt_i32 s35, 14
	s_cbranch_scc0 .LBB166_573
; %bb.571:
	s_cmp_eq_u32 s35, 15
	s_cbranch_scc0 .LBB166_576
; %bb.572:
	global_load_ushort v3, v[1:2], off
	s_mov_b64 s[0:1], -1
	s_mov_b64 s[26:27], 0
	s_waitcnt vmcnt(0)
	v_lshlrev_b32_e32 v3, 16, v3
	v_cvt_i32_f32_e32 v3, v3
	s_branch .LBB166_577
.LBB166_573:
	s_mov_b64 s[28:29], -1
                                        ; implicit-def: $vgpr3
	s_branch .LBB166_578
.LBB166_574:
	s_andn2_saveexec_b64 s[0:1], s[0:1]
	s_cbranch_execz .LBB166_555
.LBB166_575:
	v_cmp_ne_u16_e32 vcc, 0, v4
	s_andn2_b64 s[28:29], s[28:29], exec
	s_and_b64 s[36:37], vcc, exec
	s_or_b64 s[28:29], s[28:29], s[36:37]
	s_or_b64 exec, exec, s[0:1]
	v_mov_b32_e32 v3, 0
	s_and_saveexec_b64 s[0:1], s[28:29]
	s_cbranch_execnz .LBB166_556
	s_branch .LBB166_557
.LBB166_576:
	s_mov_b64 s[26:27], -1
                                        ; implicit-def: $vgpr3
.LBB166_577:
	s_mov_b64 s[28:29], 0
.LBB166_578:
	s_and_b64 vcc, exec, s[28:29]
	s_cbranch_vccz .LBB166_582
; %bb.579:
	s_cmp_eq_u32 s35, 11
	s_cbranch_scc0 .LBB166_581
; %bb.580:
	global_load_ubyte v3, v[1:2], off
	s_mov_b64 s[0:1], -1
	s_mov_b64 s[26:27], 0
	s_waitcnt vmcnt(0)
	v_cmp_ne_u16_e32 vcc, 0, v3
	v_cndmask_b32_e64 v3, 0, 1, vcc
	s_branch .LBB166_582
.LBB166_581:
	s_mov_b64 s[26:27], -1
                                        ; implicit-def: $vgpr3
.LBB166_582:
	s_mov_b64 s[28:29], 0
.LBB166_583:
	s_and_b64 vcc, exec, s[28:29]
	s_cbranch_vccz .LBB166_632
; %bb.584:
	s_and_b32 s28, 0xffff, s34
	s_cmp_lt_i32 s28, 5
	s_cbranch_scc1 .LBB166_589
; %bb.585:
	s_cmp_lt_i32 s28, 8
	s_cbranch_scc1 .LBB166_590
; %bb.586:
	;; [unrolled: 3-line block ×3, first 2 shown]
	s_cmp_gt_i32 s28, 9
	s_cbranch_scc0 .LBB166_592
; %bb.588:
	global_load_dwordx2 v[3:4], v[1:2], off
	s_mov_b64 s[0:1], 0
	s_waitcnt vmcnt(0)
	v_cvt_i32_f64_e32 v3, v[3:4]
	s_branch .LBB166_593
.LBB166_589:
	s_mov_b64 s[0:1], -1
                                        ; implicit-def: $vgpr3
	s_branch .LBB166_611
.LBB166_590:
	s_mov_b64 s[0:1], -1
                                        ; implicit-def: $vgpr3
	s_branch .LBB166_599
.LBB166_591:
	s_mov_b64 s[0:1], -1
                                        ; implicit-def: $vgpr3
	s_branch .LBB166_596
.LBB166_592:
	s_mov_b64 s[0:1], -1
                                        ; implicit-def: $vgpr3
.LBB166_593:
	s_andn2_b64 vcc, exec, s[0:1]
	s_cbranch_vccnz .LBB166_595
; %bb.594:
	global_load_dword v3, v[1:2], off
	s_waitcnt vmcnt(0)
	v_cvt_i32_f32_e32 v3, v3
.LBB166_595:
	s_mov_b64 s[0:1], 0
.LBB166_596:
	s_andn2_b64 vcc, exec, s[0:1]
	s_cbranch_vccnz .LBB166_598
; %bb.597:
	global_load_dword v3, v[1:2], off
	s_waitcnt vmcnt(0)
	v_cvt_i16_f16_e32 v3, v3
.LBB166_598:
	s_mov_b64 s[0:1], 0
.LBB166_599:
	s_andn2_b64 vcc, exec, s[0:1]
	s_cbranch_vccnz .LBB166_610
; %bb.600:
	s_cmp_lt_i32 s28, 6
	s_cbranch_scc1 .LBB166_603
; %bb.601:
	s_cmp_gt_i32 s28, 6
	s_cbranch_scc0 .LBB166_604
; %bb.602:
	global_load_dwordx2 v[3:4], v[1:2], off
	s_mov_b64 s[0:1], 0
	s_waitcnt vmcnt(0)
	v_cvt_i32_f64_e32 v3, v[3:4]
	s_branch .LBB166_605
.LBB166_603:
	s_mov_b64 s[0:1], -1
                                        ; implicit-def: $vgpr3
	s_branch .LBB166_608
.LBB166_604:
	s_mov_b64 s[0:1], -1
                                        ; implicit-def: $vgpr3
.LBB166_605:
	s_andn2_b64 vcc, exec, s[0:1]
	s_cbranch_vccnz .LBB166_607
; %bb.606:
	global_load_dword v3, v[1:2], off
	s_waitcnt vmcnt(0)
	v_cvt_i32_f32_e32 v3, v3
.LBB166_607:
	s_mov_b64 s[0:1], 0
.LBB166_608:
	s_andn2_b64 vcc, exec, s[0:1]
	s_cbranch_vccnz .LBB166_610
; %bb.609:
	global_load_ushort v3, v[1:2], off
	s_waitcnt vmcnt(0)
	v_cvt_i16_f16_e32 v3, v3
.LBB166_610:
	s_mov_b64 s[0:1], 0
.LBB166_611:
	s_andn2_b64 vcc, exec, s[0:1]
	s_cbranch_vccnz .LBB166_631
; %bb.612:
	s_cmp_lt_i32 s28, 2
	s_cbranch_scc1 .LBB166_616
; %bb.613:
	s_cmp_lt_i32 s28, 3
	s_cbranch_scc1 .LBB166_617
; %bb.614:
	s_cmp_gt_i32 s28, 3
	s_cbranch_scc0 .LBB166_618
; %bb.615:
	global_load_dwordx2 v[3:4], v[1:2], off
	s_mov_b64 s[0:1], 0
	s_branch .LBB166_619
.LBB166_616:
	s_mov_b64 s[0:1], -1
                                        ; implicit-def: $vgpr3
	s_branch .LBB166_625
.LBB166_617:
	s_mov_b64 s[0:1], -1
                                        ; implicit-def: $vgpr3
	s_branch .LBB166_622
.LBB166_618:
	s_mov_b64 s[0:1], -1
                                        ; implicit-def: $vgpr3
.LBB166_619:
	s_andn2_b64 vcc, exec, s[0:1]
	s_cbranch_vccnz .LBB166_621
; %bb.620:
	global_load_dword v3, v[1:2], off
.LBB166_621:
	s_mov_b64 s[0:1], 0
.LBB166_622:
	s_andn2_b64 vcc, exec, s[0:1]
	s_cbranch_vccnz .LBB166_624
; %bb.623:
	global_load_ushort v3, v[1:2], off
.LBB166_624:
	s_mov_b64 s[0:1], 0
.LBB166_625:
	s_andn2_b64 vcc, exec, s[0:1]
	s_cbranch_vccnz .LBB166_631
; %bb.626:
	s_cmp_gt_i32 s28, 0
	s_cbranch_scc0 .LBB166_628
; %bb.627:
	global_load_ubyte v3, v[1:2], off
	s_mov_b64 s[0:1], 0
	s_branch .LBB166_629
.LBB166_628:
	s_mov_b64 s[0:1], -1
                                        ; implicit-def: $vgpr3
.LBB166_629:
	s_andn2_b64 vcc, exec, s[0:1]
	s_cbranch_vccnz .LBB166_631
; %bb.630:
	global_load_ubyte v3, v[1:2], off
.LBB166_631:
	s_mov_b64 s[0:1], -1
.LBB166_632:
	s_andn2_b64 vcc, exec, s[0:1]
	s_cbranch_vccnz .LBB166_640
; %bb.633:
	v_mul_lo_u32 v5, v14, s12
	v_mov_b32_e32 v1, 6
	v_mov_b32_e32 v2, 7
	v_ashrrev_i16_sdwa v2, v2, sext(v0) dst_sel:DWORD dst_unused:UNUSED_PAD src0_sel:DWORD src1_sel:BYTE_0
	s_waitcnt vmcnt(0)
	v_ashrrev_i32_sdwa v0, v3, sext(v0) dst_sel:DWORD dst_unused:UNUSED_PAD src0_sel:DWORD src1_sel:BYTE_0
	v_cmp_gt_u16_sdwa vcc, v3, v1 src0_sel:BYTE_0 src1_sel:DWORD
	v_cndmask_b32_e32 v4, v0, v2, vcc
	v_ashrrev_i32_e32 v1, 31, v5
	v_mov_b32_e32 v2, s9
	s_and_b32 s38, s33, 0xff
	v_add_co_u32_e32 v0, vcc, s8, v5
	s_cmp_lt_i32 s38, 11
	v_addc_co_u32_e32 v1, vcc, v2, v1, vcc
	s_cbranch_scc1 .LBB166_641
; %bb.634:
	s_and_b32 s39, 0xffff, s38
	s_cmp_gt_i32 s39, 25
	s_cbranch_scc0 .LBB166_642
; %bb.635:
	s_cmp_gt_i32 s39, 28
	s_cbranch_scc0 .LBB166_643
; %bb.636:
	;; [unrolled: 3-line block ×4, first 2 shown]
	s_mov_b64 s[34:35], 0
	s_mov_b64 s[0:1], -1
	s_cmp_eq_u32 s39, 46
	s_mov_b64 s[28:29], 0
	s_cbranch_scc0 .LBB166_646
; %bb.639:
	v_cvt_f32_i32_sdwa v2, sext(v4) dst_sel:DWORD dst_unused:UNUSED_PAD src0_sel:WORD_0
	s_movk_i32 s0, 0x7fff
	s_mov_b64 s[28:29], -1
	v_bfe_u32 v3, v2, 16, 1
	v_add3_u32 v2, v2, v3, s0
	v_lshrrev_b32_e32 v2, 16, v2
	global_store_dword v[0:1], v2, off
	s_mov_b64 s[0:1], 0
	s_branch .LBB166_646
.LBB166_640:
	s_mov_b64 s[34:35], 0
                                        ; implicit-def: $vgpr14
	s_mov_b64 s[0:1], s[6:7]
	s_branch .LBB166_756
.LBB166_641:
	s_mov_b64 s[34:35], -1
	s_mov_b64 s[28:29], 0
	s_mov_b64 s[0:1], s[6:7]
	s_branch .LBB166_715
.LBB166_642:
	s_mov_b64 s[34:35], -1
	s_mov_b64 s[28:29], 0
	s_mov_b64 s[0:1], s[6:7]
	s_branch .LBB166_673
.LBB166_643:
	s_mov_b64 s[34:35], -1
	s_mov_b64 s[28:29], 0
	s_mov_b64 s[0:1], s[6:7]
	s_branch .LBB166_656
.LBB166_644:
	s_mov_b64 s[34:35], -1
	s_mov_b64 s[28:29], 0
	s_mov_b64 s[0:1], s[6:7]
	s_branch .LBB166_652
.LBB166_645:
	s_mov_b64 s[34:35], -1
	s_mov_b64 s[28:29], 0
	s_mov_b64 s[0:1], s[6:7]
.LBB166_646:
	s_and_b64 vcc, exec, s[34:35]
	s_cbranch_vccz .LBB166_651
; %bb.647:
	s_cmp_eq_u32 s39, 44
	s_mov_b64 s[0:1], -1
	s_cbranch_scc0 .LBB166_651
; %bb.648:
	v_cvt_f32_i32_sdwa v2, sext(v4) dst_sel:DWORD dst_unused:UNUSED_PAD src0_sel:WORD_0
	s_movk_i32 s0, 0xff
	v_mov_b32_e32 v5, 0xff
	v_bfe_u32 v3, v2, 23, 8
	v_cmp_ne_u32_e32 vcc, s0, v3
	s_and_saveexec_b64 s[28:29], vcc
; %bb.649:
	s_mov_b32 s0, 0x3fffff
	v_lshrrev_b32_e32 v5, 23, v2
	v_and_b32_e32 v6, 0x400000, v2
	v_and_or_b32 v2, v2, s0, v3
	v_cmp_ne_u32_e32 vcc, 0, v6
	v_cmp_ne_u32_e64 s[0:1], 0, v2
	s_and_b64 s[0:1], vcc, s[0:1]
	v_cndmask_b32_e64 v2, 0, 1, s[0:1]
	v_add_u32_e32 v5, v5, v2
; %bb.650:
	s_or_b64 exec, exec, s[28:29]
	s_mov_b64 s[28:29], -1
	s_mov_b64 s[0:1], 0
	global_store_byte v[0:1], v5, off
.LBB166_651:
	s_mov_b64 s[34:35], 0
.LBB166_652:
	s_and_b64 vcc, exec, s[34:35]
	s_cbranch_vccz .LBB166_655
; %bb.653:
	s_cmp_eq_u32 s39, 29
	s_mov_b64 s[0:1], -1
	s_cbranch_scc0 .LBB166_655
; %bb.654:
	v_bfe_i32 v2, v4, 0, 16
	v_ashrrev_i32_e32 v3, 31, v2
	global_store_dwordx2 v[0:1], v[2:3], off
	s_mov_b64 s[28:29], -1
	s_mov_b64 s[0:1], 0
.LBB166_655:
	s_mov_b64 s[34:35], 0
.LBB166_656:
	s_and_b64 vcc, exec, s[34:35]
	s_cbranch_vccz .LBB166_672
; %bb.657:
	s_cmp_lt_i32 s39, 27
	s_mov_b64 s[28:29], -1
	s_cbranch_scc1 .LBB166_663
; %bb.658:
	s_cmp_gt_i32 s39, 27
	s_cbranch_scc0 .LBB166_660
; %bb.659:
	v_bfe_i32 v2, v4, 0, 16
	s_mov_b64 s[28:29], 0
	global_store_dword v[0:1], v2, off
.LBB166_660:
	s_andn2_b64 vcc, exec, s[28:29]
	s_cbranch_vccnz .LBB166_662
; %bb.661:
	global_store_short v[0:1], v4, off
.LBB166_662:
	s_mov_b64 s[28:29], 0
.LBB166_663:
	s_andn2_b64 vcc, exec, s[28:29]
	s_cbranch_vccnz .LBB166_671
; %bb.664:
	v_cvt_f32_i32_sdwa v2, sext(v4) dst_sel:DWORD dst_unused:UNUSED_PAD src0_sel:WORD_0
	s_mov_b32 s28, 0x43800000
	v_mov_b32_e32 v5, 0x80
	v_and_b32_e32 v3, 0x7fffffff, v2
	v_cmp_gt_u32_e32 vcc, s28, v3
	s_and_saveexec_b64 s[28:29], vcc
	s_cbranch_execz .LBB166_670
; %bb.665:
	s_mov_b32 s34, 0x3bffffff
	v_cmp_lt_u32_e32 vcc, s34, v3
	s_mov_b64 s[34:35], 0
                                        ; implicit-def: $vgpr3
	s_and_saveexec_b64 s[36:37], vcc
	s_xor_b64 s[36:37], exec, s[36:37]
	s_cbranch_execz .LBB166_772
; %bb.666:
	v_bfe_u32 v3, v2, 20, 1
	s_mov_b32 s40, 0x487ffff
	v_add3_u32 v3, v2, v3, s40
	s_mov_b64 s[34:35], exec
	v_lshrrev_b32_e32 v3, 20, v3
	s_andn2_saveexec_b64 s[36:37], s[36:37]
	s_cbranch_execnz .LBB166_773
.LBB166_667:
	s_or_b64 exec, exec, s[36:37]
	v_mov_b32_e32 v5, 0
	s_and_saveexec_b64 s[36:37], s[34:35]
.LBB166_668:
	v_lshrrev_b32_e32 v2, 24, v2
	s_movk_i32 s34, 0x80
	v_and_or_b32 v5, v2, s34, v3
.LBB166_669:
	s_or_b64 exec, exec, s[36:37]
.LBB166_670:
	s_or_b64 exec, exec, s[28:29]
	global_store_byte v[0:1], v5, off
.LBB166_671:
	s_mov_b64 s[28:29], -1
.LBB166_672:
	s_mov_b64 s[34:35], 0
.LBB166_673:
	s_and_b64 vcc, exec, s[34:35]
	s_cbranch_vccz .LBB166_714
; %bb.674:
	s_cmp_gt_i32 s39, 22
	s_mov_b64 s[34:35], -1
	s_cbranch_scc0 .LBB166_706
; %bb.675:
	s_cmp_lt_i32 s39, 24
	s_mov_b64 s[28:29], -1
	s_cbranch_scc1 .LBB166_695
; %bb.676:
	s_cmp_gt_i32 s39, 24
	s_cbranch_scc0 .LBB166_684
; %bb.677:
	v_cvt_f32_i32_sdwa v2, sext(v4) dst_sel:DWORD dst_unused:UNUSED_PAD src0_sel:WORD_0
	s_mov_b32 s28, 0x47800000
	v_mov_b32_e32 v5, 0x80
	v_and_b32_e32 v3, 0x7fffffff, v2
	v_cmp_gt_u32_e32 vcc, s28, v3
	s_and_saveexec_b64 s[28:29], vcc
	s_cbranch_execz .LBB166_683
; %bb.678:
	s_mov_b32 s34, 0x37ffffff
	v_cmp_lt_u32_e32 vcc, s34, v3
	s_mov_b64 s[34:35], 0
                                        ; implicit-def: $vgpr3
	s_and_saveexec_b64 s[36:37], vcc
	s_xor_b64 s[36:37], exec, s[36:37]
	s_cbranch_execz .LBB166_900
; %bb.679:
	v_bfe_u32 v3, v2, 21, 1
	s_mov_b32 s40, 0x88fffff
	v_add3_u32 v3, v2, v3, s40
	s_mov_b64 s[34:35], exec
	v_lshrrev_b32_e32 v3, 21, v3
	s_andn2_saveexec_b64 s[36:37], s[36:37]
	s_cbranch_execnz .LBB166_901
.LBB166_680:
	s_or_b64 exec, exec, s[36:37]
	v_mov_b32_e32 v5, 0
	s_and_saveexec_b64 s[36:37], s[34:35]
.LBB166_681:
	v_lshrrev_b32_e32 v2, 24, v2
	s_movk_i32 s34, 0x80
	v_and_or_b32 v5, v2, s34, v3
.LBB166_682:
	s_or_b64 exec, exec, s[36:37]
.LBB166_683:
	s_or_b64 exec, exec, s[28:29]
	s_mov_b64 s[28:29], 0
	global_store_byte v[0:1], v5, off
.LBB166_684:
	s_and_b64 vcc, exec, s[28:29]
	s_cbranch_vccz .LBB166_694
; %bb.685:
	v_cvt_f32_i32_sdwa v2, sext(v4) dst_sel:DWORD dst_unused:UNUSED_PAD src0_sel:WORD_0
	s_mov_b32 s28, 0x43f00000
                                        ; implicit-def: $vgpr3
	v_and_b32_e32 v5, 0x7fffffff, v2
	v_cmp_gt_u32_e32 vcc, s28, v5
	s_and_saveexec_b64 s[28:29], vcc
	s_xor_b64 s[28:29], exec, s[28:29]
	s_cbranch_execz .LBB166_691
; %bb.686:
	s_mov_b32 s34, 0x3c7fffff
	v_cmp_lt_u32_e32 vcc, s34, v5
                                        ; implicit-def: $vgpr3
	s_and_saveexec_b64 s[34:35], vcc
	s_xor_b64 s[34:35], exec, s[34:35]
; %bb.687:
	v_bfe_u32 v3, v2, 20, 1
	s_mov_b32 s36, 0x407ffff
	v_add3_u32 v3, v2, v3, s36
	v_lshrrev_b32_e32 v5, 20, v3
	v_and_b32_e32 v3, 0xff00000, v3
	s_mov_b32 s36, 0x7f00000
	v_mov_b32_e32 v6, 0x7e
	v_cmp_ne_u32_e32 vcc, s36, v3
	v_cndmask_b32_e32 v3, v6, v5, vcc
; %bb.688:
	s_andn2_saveexec_b64 s[34:35], s[34:35]
; %bb.689:
	s_mov_b32 s36, 0x46800000
	v_add_f32_e64 v3, |v2|, s36
; %bb.690:
	s_or_b64 exec, exec, s[34:35]
                                        ; implicit-def: $vgpr5
.LBB166_691:
	s_andn2_saveexec_b64 s[28:29], s[28:29]
; %bb.692:
	s_mov_b32 s34, 0x7f800000
	v_mov_b32_e32 v3, 0x7e
	v_mov_b32_e32 v6, 0x7f
	v_cmp_lt_u32_e32 vcc, s34, v5
	v_cndmask_b32_e32 v3, v3, v6, vcc
; %bb.693:
	s_or_b64 exec, exec, s[28:29]
	v_lshrrev_b32_e32 v2, 24, v2
	s_movk_i32 s28, 0x80
	v_and_or_b32 v2, v2, s28, v3
	global_store_byte v[0:1], v2, off
.LBB166_694:
	s_mov_b64 s[28:29], 0
.LBB166_695:
	s_andn2_b64 vcc, exec, s[28:29]
	s_cbranch_vccnz .LBB166_705
; %bb.696:
	v_cvt_f32_i32_sdwa v2, sext(v4) dst_sel:DWORD dst_unused:UNUSED_PAD src0_sel:WORD_0
	s_mov_b32 s28, 0x47800000
                                        ; implicit-def: $vgpr3
	v_and_b32_e32 v5, 0x7fffffff, v2
	v_cmp_gt_u32_e32 vcc, s28, v5
	s_and_saveexec_b64 s[28:29], vcc
	s_xor_b64 s[28:29], exec, s[28:29]
	s_cbranch_execz .LBB166_702
; %bb.697:
	s_mov_b32 s34, 0x387fffff
	v_cmp_lt_u32_e32 vcc, s34, v5
                                        ; implicit-def: $vgpr3
	s_and_saveexec_b64 s[34:35], vcc
	s_xor_b64 s[34:35], exec, s[34:35]
; %bb.698:
	v_bfe_u32 v3, v2, 21, 1
	s_mov_b32 s36, 0x80fffff
	v_add3_u32 v3, v2, v3, s36
	v_lshrrev_b32_e32 v3, 21, v3
; %bb.699:
	s_andn2_saveexec_b64 s[34:35], s[34:35]
; %bb.700:
	s_mov_b32 s36, 0x43000000
	v_add_f32_e64 v3, |v2|, s36
; %bb.701:
	s_or_b64 exec, exec, s[34:35]
                                        ; implicit-def: $vgpr5
.LBB166_702:
	s_andn2_saveexec_b64 s[28:29], s[28:29]
; %bb.703:
	s_mov_b32 s34, 0x7f800000
	v_mov_b32_e32 v3, 0x7c
	v_mov_b32_e32 v6, 0x7f
	v_cmp_lt_u32_e32 vcc, s34, v5
	v_cndmask_b32_e32 v3, v3, v6, vcc
; %bb.704:
	s_or_b64 exec, exec, s[28:29]
	v_lshrrev_b32_e32 v2, 24, v2
	s_movk_i32 s28, 0x80
	v_and_or_b32 v2, v2, s28, v3
	global_store_byte v[0:1], v2, off
.LBB166_705:
	s_mov_b64 s[34:35], 0
	s_mov_b64 s[28:29], -1
.LBB166_706:
	s_andn2_b64 vcc, exec, s[34:35]
	s_cbranch_vccnz .LBB166_714
; %bb.707:
	s_cmp_gt_i32 s39, 14
	s_mov_b64 s[34:35], -1
	s_cbranch_scc0 .LBB166_711
; %bb.708:
	s_cmp_eq_u32 s39, 15
	s_mov_b64 s[0:1], -1
	s_cbranch_scc0 .LBB166_710
; %bb.709:
	v_cvt_f32_i32_sdwa v2, sext(v4) dst_sel:DWORD dst_unused:UNUSED_PAD src0_sel:WORD_0
	s_movk_i32 s0, 0x7fff
	s_mov_b64 s[28:29], -1
	v_bfe_u32 v3, v2, 16, 1
	v_add3_u32 v2, v2, v3, s0
	global_store_short_d16_hi v[0:1], v2, off
	s_mov_b64 s[0:1], 0
.LBB166_710:
	s_mov_b64 s[34:35], 0
.LBB166_711:
	s_and_b64 vcc, exec, s[34:35]
	s_cbranch_vccz .LBB166_714
; %bb.712:
	s_cmp_eq_u32 s39, 11
	s_mov_b64 s[0:1], -1
	s_cbranch_scc0 .LBB166_714
; %bb.713:
	v_cmp_ne_u16_e32 vcc, 0, v4
	v_cndmask_b32_e64 v2, 0, 1, vcc
	s_mov_b64 s[28:29], -1
	s_mov_b64 s[0:1], 0
	global_store_byte v[0:1], v2, off
.LBB166_714:
	s_mov_b64 s[34:35], 0
.LBB166_715:
	s_and_b64 vcc, exec, s[34:35]
	s_cbranch_vccz .LBB166_754
; %bb.716:
	s_and_b32 s34, 0xffff, s38
	s_cmp_lt_i32 s34, 5
	s_mov_b64 s[28:29], -1
	s_cbranch_scc1 .LBB166_737
; %bb.717:
	s_cmp_lt_i32 s34, 8
	s_cbranch_scc1 .LBB166_727
; %bb.718:
	s_cmp_lt_i32 s34, 9
	s_cbranch_scc1 .LBB166_724
; %bb.719:
	s_cmp_gt_i32 s34, 9
	s_cbranch_scc0 .LBB166_721
; %bb.720:
	v_bfe_i32 v2, v4, 0, 16
	v_cvt_f64_i32_e32 v[5:6], v2
	v_mov_b32_e32 v7, 0
	v_mov_b32_e32 v8, v7
	s_mov_b64 s[28:29], 0
	global_store_dwordx4 v[0:1], v[5:8], off
.LBB166_721:
	s_andn2_b64 vcc, exec, s[28:29]
	s_cbranch_vccnz .LBB166_723
; %bb.722:
	v_cvt_f32_i32_sdwa v2, sext(v4) dst_sel:DWORD dst_unused:UNUSED_PAD src0_sel:WORD_0
	v_mov_b32_e32 v3, 0
	global_store_dwordx2 v[0:1], v[2:3], off
.LBB166_723:
	s_mov_b64 s[28:29], 0
.LBB166_724:
	s_andn2_b64 vcc, exec, s[28:29]
	s_cbranch_vccnz .LBB166_726
; %bb.725:
	v_cvt_f16_i16_e32 v2, v4
	global_store_dword v[0:1], v2, off
.LBB166_726:
	s_mov_b64 s[28:29], 0
.LBB166_727:
	s_andn2_b64 vcc, exec, s[28:29]
	s_cbranch_vccnz .LBB166_736
; %bb.728:
	s_cmp_lt_i32 s34, 6
	s_mov_b64 s[28:29], -1
	s_cbranch_scc1 .LBB166_734
; %bb.729:
	s_cmp_gt_i32 s34, 6
	s_cbranch_scc0 .LBB166_731
; %bb.730:
	v_bfe_i32 v2, v4, 0, 16
	v_cvt_f64_i32_e32 v[2:3], v2
	s_mov_b64 s[28:29], 0
	global_store_dwordx2 v[0:1], v[2:3], off
.LBB166_731:
	s_andn2_b64 vcc, exec, s[28:29]
	s_cbranch_vccnz .LBB166_733
; %bb.732:
	v_cvt_f32_i32_sdwa v2, sext(v4) dst_sel:DWORD dst_unused:UNUSED_PAD src0_sel:WORD_0
	global_store_dword v[0:1], v2, off
.LBB166_733:
	s_mov_b64 s[28:29], 0
.LBB166_734:
	s_andn2_b64 vcc, exec, s[28:29]
	s_cbranch_vccnz .LBB166_736
; %bb.735:
	v_cvt_f16_i16_e32 v2, v4
	global_store_short v[0:1], v2, off
.LBB166_736:
	s_mov_b64 s[28:29], 0
.LBB166_737:
	s_andn2_b64 vcc, exec, s[28:29]
	s_cbranch_vccnz .LBB166_753
; %bb.738:
	s_cmp_lt_i32 s34, 2
	s_mov_b64 s[28:29], -1
	s_cbranch_scc1 .LBB166_748
; %bb.739:
	s_cmp_lt_i32 s34, 3
	s_cbranch_scc1 .LBB166_745
; %bb.740:
	s_cmp_gt_i32 s34, 3
	v_bfe_i32 v2, v4, 0, 16
	s_cbranch_scc0 .LBB166_742
; %bb.741:
	v_ashrrev_i32_e32 v3, 31, v2
	s_mov_b64 s[28:29], 0
	global_store_dwordx2 v[0:1], v[2:3], off
.LBB166_742:
	s_andn2_b64 vcc, exec, s[28:29]
	s_cbranch_vccnz .LBB166_744
; %bb.743:
	global_store_dword v[0:1], v2, off
.LBB166_744:
	s_mov_b64 s[28:29], 0
.LBB166_745:
	s_andn2_b64 vcc, exec, s[28:29]
	s_cbranch_vccnz .LBB166_747
; %bb.746:
	global_store_short v[0:1], v4, off
.LBB166_747:
	s_mov_b64 s[28:29], 0
.LBB166_748:
	s_andn2_b64 vcc, exec, s[28:29]
	s_cbranch_vccnz .LBB166_753
; %bb.749:
	s_cmp_gt_i32 s34, 0
	s_mov_b64 s[28:29], -1
	s_cbranch_scc0 .LBB166_751
; %bb.750:
	s_mov_b64 s[28:29], 0
	global_store_byte v[0:1], v4, off
.LBB166_751:
	s_andn2_b64 vcc, exec, s[28:29]
	s_cbranch_vccnz .LBB166_753
; %bb.752:
	global_store_byte v[0:1], v4, off
.LBB166_753:
	s_mov_b64 s[28:29], -1
.LBB166_754:
	s_andn2_b64 vcc, exec, s[28:29]
	s_cbranch_vccnz .LBB166_767
; %bb.755:
	v_add_u32_e32 v14, 0x80, v14
	s_mov_b64 s[34:35], -1
.LBB166_756:
	s_andn2_b64 s[28:29], s[6:7], exec
	s_and_b64 s[0:1], s[0:1], exec
	s_or_b64 s[28:29], s[28:29], s[0:1]
	s_andn2_b64 s[0:1], s[18:19], exec
	s_and_b64 s[26:27], s[26:27], exec
	s_or_b64 s[26:27], s[0:1], s[26:27]
	;; [unrolled: 3-line block ×3, first 2 shown]
	s_orn2_b64 s[0:1], s[34:35], exec
.LBB166_757:
	s_or_b64 exec, exec, s[30:31]
	s_mov_b64 s[34:35], 0
	s_mov_b64 s[36:37], 0
	s_mov_b64 s[38:39], 0
                                        ; implicit-def: $sgpr55
                                        ; implicit-def: $vgpr2_vgpr3
                                        ; implicit-def: $vgpr0
	s_and_saveexec_b64 s[30:31], s[0:1]
	s_cbranch_execz .LBB166_1219
; %bb.758:
	v_cmp_gt_i32_e32 vcc, s48, v14
	s_mov_b64 s[46:47], -1
	s_mov_b64 s[0:1], s[24:25]
	s_mov_b64 s[38:39], s[26:27]
	;; [unrolled: 1-line block ×3, first 2 shown]
	s_and_saveexec_b64 s[34:35], vcc
	s_cbranch_execz .LBB166_1138
; %bb.759:
	s_waitcnt vmcnt(0)
	v_mul_lo_u32 v0, v14, s13
	v_mov_b32_e32 v1, s11
	s_and_b32 s40, s54, 0xff
	s_cmp_lt_i32 s40, 11
	v_ashrrev_i32_e32 v3, 31, v0
	v_add_co_u32_e32 v2, vcc, s10, v0
	v_addc_co_u32_e32 v3, vcc, v1, v3, vcc
	s_cbranch_scc1 .LBB166_766
; %bb.760:
	s_and_b32 s41, 0xffff, s40
	s_cmp_gt_i32 s41, 25
	s_cbranch_scc0 .LBB166_768
; %bb.761:
	s_cmp_gt_i32 s41, 28
	s_cbranch_scc0 .LBB166_769
; %bb.762:
	;; [unrolled: 3-line block ×4, first 2 shown]
	s_cmp_eq_u32 s41, 46
	s_mov_b64 s[38:39], 0
	s_cbranch_scc0 .LBB166_774
; %bb.765:
	global_load_dword v0, v[2:3], off
	s_mov_b64 s[0:1], -1
	s_waitcnt vmcnt(0)
	v_lshlrev_b32_e32 v0, 16, v0
	v_cvt_i32_f32_e32 v0, v0
	s_branch .LBB166_775
.LBB166_766:
	s_mov_b64 s[38:39], -1
	s_mov_b64 s[0:1], 0
                                        ; implicit-def: $vgpr0
	s_mov_b64 s[36:37], s[24:25]
	s_branch .LBB166_836
.LBB166_767:
	s_mov_b64 s[34:35], 0
	s_branch .LBB166_518
.LBB166_768:
	s_mov_b64 s[38:39], -1
	s_mov_b64 s[0:1], 0
	s_mov_b64 s[36:37], s[24:25]
                                        ; implicit-def: $vgpr0
	s_branch .LBB166_802
.LBB166_769:
	s_mov_b64 s[38:39], -1
	s_mov_b64 s[0:1], 0
	s_mov_b64 s[36:37], s[24:25]
                                        ; implicit-def: $vgpr0
	s_branch .LBB166_785
.LBB166_770:
	s_mov_b64 s[38:39], -1
	s_mov_b64 s[0:1], 0
	s_mov_b64 s[36:37], s[24:25]
                                        ; implicit-def: $vgpr0
	s_branch .LBB166_780
.LBB166_771:
	s_mov_b64 s[38:39], -1
	s_mov_b64 s[0:1], 0
	s_mov_b64 s[36:37], s[24:25]
                                        ; implicit-def: $vgpr0
	s_branch .LBB166_775
.LBB166_772:
	s_andn2_saveexec_b64 s[36:37], s[36:37]
	s_cbranch_execz .LBB166_667
.LBB166_773:
	s_mov_b32 s40, 0x46000000
	v_add_f32_e64 v3, |v2|, s40
	v_and_b32_e32 v3, 0xff, v3
	v_cmp_ne_u32_e32 vcc, 0, v3
	s_andn2_b64 s[34:35], s[34:35], exec
	s_and_b64 s[40:41], vcc, exec
	s_or_b64 s[34:35], s[34:35], s[40:41]
	s_or_b64 exec, exec, s[36:37]
	v_mov_b32_e32 v5, 0
	s_and_saveexec_b64 s[36:37], s[34:35]
	s_cbranch_execnz .LBB166_668
	s_branch .LBB166_669
.LBB166_774:
	s_mov_b64 s[36:37], -1
                                        ; implicit-def: $vgpr0
	s_mov_b64 s[0:1], 0
.LBB166_775:
	s_and_b64 vcc, exec, s[38:39]
	s_cbranch_vccz .LBB166_779
; %bb.776:
	s_cmp_eq_u32 s41, 44
	s_cbranch_scc0 .LBB166_778
; %bb.777:
	global_load_ubyte v0, v[2:3], off
	s_mov_b64 s[0:1], -1
	s_mov_b64 s[36:37], 0
	s_waitcnt vmcnt(0)
	v_lshlrev_b32_e32 v1, 23, v0
	v_cvt_i32_f32_e32 v1, v1
	v_cmp_ne_u32_e32 vcc, 0, v0
	v_cndmask_b32_e32 v0, 0, v1, vcc
	s_branch .LBB166_779
.LBB166_778:
	s_mov_b64 s[36:37], -1
                                        ; implicit-def: $vgpr0
.LBB166_779:
	s_mov_b64 s[38:39], 0
.LBB166_780:
	s_and_b64 vcc, exec, s[38:39]
	s_cbranch_vccz .LBB166_784
; %bb.781:
	s_cmp_eq_u32 s41, 29
	s_cbranch_scc0 .LBB166_783
; %bb.782:
	global_load_dwordx2 v[0:1], v[2:3], off
	s_mov_b64 s[0:1], -1
	s_mov_b64 s[36:37], 0
	s_branch .LBB166_784
.LBB166_783:
	s_mov_b64 s[36:37], -1
                                        ; implicit-def: $vgpr0
.LBB166_784:
	s_mov_b64 s[38:39], 0
.LBB166_785:
	s_and_b64 vcc, exec, s[38:39]
	s_cbranch_vccz .LBB166_801
; %bb.786:
	s_cmp_lt_i32 s41, 27
	s_cbranch_scc1 .LBB166_789
; %bb.787:
	s_cmp_gt_i32 s41, 27
	s_cbranch_scc0 .LBB166_790
; %bb.788:
	global_load_dword v0, v[2:3], off
	s_mov_b64 s[0:1], 0
	s_branch .LBB166_791
.LBB166_789:
	s_mov_b64 s[0:1], -1
                                        ; implicit-def: $vgpr0
	s_branch .LBB166_794
.LBB166_790:
	s_mov_b64 s[0:1], -1
                                        ; implicit-def: $vgpr0
.LBB166_791:
	s_andn2_b64 vcc, exec, s[0:1]
	s_cbranch_vccnz .LBB166_793
; %bb.792:
	global_load_ushort v0, v[2:3], off
.LBB166_793:
	s_mov_b64 s[0:1], 0
.LBB166_794:
	s_andn2_b64 vcc, exec, s[0:1]
	s_cbranch_vccnz .LBB166_800
; %bb.795:
	global_load_ubyte v1, v[2:3], off
	s_movk_i32 s0, 0x7f
	s_mov_b64 s[38:39], 0
	s_waitcnt vmcnt(0)
	v_cmp_lt_i16_e32 vcc, s0, v1
	s_and_saveexec_b64 s[0:1], vcc
	s_xor_b64 s[0:1], exec, s[0:1]
	s_cbranch_execz .LBB166_812
; %bb.796:
	s_movk_i32 s38, 0x80
	v_cmp_ne_u16_e32 vcc, s38, v1
	s_and_b64 s[38:39], vcc, exec
	s_andn2_saveexec_b64 s[0:1], s[0:1]
	s_cbranch_execnz .LBB166_813
.LBB166_797:
	s_or_b64 exec, exec, s[0:1]
	v_mov_b32_e32 v0, 0
	s_and_saveexec_b64 s[0:1], s[38:39]
	s_cbranch_execz .LBB166_799
.LBB166_798:
	v_lshlrev_b32_e32 v0, 24, v1
	v_and_b32_e32 v1, 0xffff, v1
	v_and_b32_e32 v4, 7, v1
	v_ffbh_u32_e32 v6, v4
	v_min_u32_e32 v6, 32, v6
	v_subrev_u32_e32 v7, 28, v6
	v_bfe_u32 v5, v1, 3, 4
	v_lshlrev_b32_e32 v1, v7, v1
	v_sub_u32_e32 v6, 29, v6
	v_and_b32_e32 v1, 7, v1
	v_cmp_eq_u32_e32 vcc, 0, v5
	v_cndmask_b32_e32 v5, v5, v6, vcc
	v_cndmask_b32_e32 v1, v4, v1, vcc
	v_mov_b32_e32 v4, 0x3b800000
	v_lshlrev_b32_e32 v1, 20, v1
	v_and_b32_e32 v0, 0x80000000, v0
	v_lshl_add_u32 v4, v5, 23, v4
	v_or3_b32 v0, v0, v4, v1
	v_cvt_i32_f32_e32 v0, v0
.LBB166_799:
	s_or_b64 exec, exec, s[0:1]
.LBB166_800:
	s_mov_b64 s[0:1], -1
.LBB166_801:
	s_mov_b64 s[38:39], 0
.LBB166_802:
	s_and_b64 vcc, exec, s[38:39]
	s_cbranch_vccz .LBB166_835
; %bb.803:
	s_cmp_gt_i32 s41, 22
	s_cbranch_scc0 .LBB166_811
; %bb.804:
	s_cmp_lt_i32 s41, 24
	s_cbranch_scc1 .LBB166_814
; %bb.805:
	s_cmp_gt_i32 s41, 24
	s_cbranch_scc0 .LBB166_815
; %bb.806:
	global_load_ubyte v1, v[2:3], off
	s_movk_i32 s0, 0x7f
	s_mov_b64 s[38:39], 0
	s_waitcnt vmcnt(0)
	v_cmp_lt_i16_e32 vcc, s0, v1
	s_and_saveexec_b64 s[0:1], vcc
	s_xor_b64 s[0:1], exec, s[0:1]
	s_cbranch_execz .LBB166_827
; %bb.807:
	s_movk_i32 s38, 0x80
	v_cmp_ne_u16_e32 vcc, s38, v1
	s_and_b64 s[38:39], vcc, exec
	s_andn2_saveexec_b64 s[0:1], s[0:1]
	s_cbranch_execnz .LBB166_828
.LBB166_808:
	s_or_b64 exec, exec, s[0:1]
	v_mov_b32_e32 v0, 0
	s_and_saveexec_b64 s[0:1], s[38:39]
	s_cbranch_execz .LBB166_810
.LBB166_809:
	v_lshlrev_b32_e32 v0, 24, v1
	v_and_b32_e32 v1, 0xffff, v1
	v_and_b32_e32 v4, 3, v1
	v_ffbh_u32_e32 v6, v4
	v_min_u32_e32 v6, 32, v6
	v_subrev_u32_e32 v7, 29, v6
	v_bfe_u32 v5, v1, 2, 5
	v_lshlrev_b32_e32 v1, v7, v1
	v_sub_u32_e32 v6, 30, v6
	v_and_b32_e32 v1, 3, v1
	v_cmp_eq_u32_e32 vcc, 0, v5
	v_cndmask_b32_e32 v5, v5, v6, vcc
	v_cndmask_b32_e32 v1, v4, v1, vcc
	v_mov_b32_e32 v4, 0x37800000
	v_lshlrev_b32_e32 v1, 21, v1
	v_and_b32_e32 v0, 0x80000000, v0
	v_lshl_add_u32 v4, v5, 23, v4
	v_or3_b32 v0, v0, v4, v1
	v_cvt_i32_f32_e32 v0, v0
.LBB166_810:
	s_or_b64 exec, exec, s[0:1]
	s_mov_b64 s[0:1], 0
	s_branch .LBB166_816
.LBB166_811:
	s_mov_b64 s[38:39], -1
                                        ; implicit-def: $vgpr0
	s_branch .LBB166_822
.LBB166_812:
	s_andn2_saveexec_b64 s[0:1], s[0:1]
	s_cbranch_execz .LBB166_797
.LBB166_813:
	v_cmp_ne_u16_e32 vcc, 0, v1
	s_andn2_b64 s[38:39], s[38:39], exec
	s_and_b64 s[42:43], vcc, exec
	s_or_b64 s[38:39], s[38:39], s[42:43]
	s_or_b64 exec, exec, s[0:1]
	v_mov_b32_e32 v0, 0
	s_and_saveexec_b64 s[0:1], s[38:39]
	s_cbranch_execnz .LBB166_798
	s_branch .LBB166_799
.LBB166_814:
	s_mov_b64 s[0:1], -1
                                        ; implicit-def: $vgpr0
	s_branch .LBB166_819
.LBB166_815:
	s_mov_b64 s[0:1], -1
                                        ; implicit-def: $vgpr0
.LBB166_816:
	s_and_b64 vcc, exec, s[0:1]
	s_cbranch_vccz .LBB166_818
; %bb.817:
	global_load_ubyte v0, v[2:3], off
	s_mov_b32 s0, 0x7f800000
	s_waitcnt vmcnt(0)
	v_lshlrev_b32_e32 v0, 24, v0
	v_and_b32_e32 v1, 0x7f000000, v0
	v_ffbh_u32_e32 v4, v1
	v_min_u32_e32 v4, 32, v4
	v_sub_u32_e64 v4, v4, 4 clamp
	v_lshlrev_b32_e32 v6, v4, v1
	v_lshlrev_b32_e32 v4, 23, v4
	v_lshrrev_b32_e32 v6, 4, v6
	v_add_u32_e32 v5, 0x1000000, v1
	v_sub_u32_e32 v4, v6, v4
	v_ashrrev_i32_e32 v5, 8, v5
	v_add_u32_e32 v4, 0x3c000000, v4
	v_and_or_b32 v4, v5, s0, v4
	v_cmp_ne_u32_e32 vcc, 0, v1
	v_cndmask_b32_e32 v1, 0, v4, vcc
	s_brev_b32 s0, 1
	v_and_or_b32 v0, v0, s0, v1
	v_cvt_i32_f32_e32 v0, v0
.LBB166_818:
	s_mov_b64 s[0:1], 0
.LBB166_819:
	s_andn2_b64 vcc, exec, s[0:1]
	s_cbranch_vccnz .LBB166_821
; %bb.820:
	global_load_ubyte v0, v[2:3], off
	s_movk_i32 s0, 0x7f00
	s_brev_b32 s1, 16
	s_waitcnt vmcnt(0)
	v_lshlrev_b16_e32 v1, 8, v0
	v_lshlrev_b32_e32 v0, 25, v0
	v_lshrrev_b32_e32 v4, 4, v0
	v_and_or_b32 v5, v1, s0, 0.5
	v_or_b32_e32 v4, 0x70000000, v4
	v_add_f32_e32 v5, -0.5, v5
	v_mul_f32_e32 v4, 0x7800000, v4
	v_cmp_gt_u32_e32 vcc, s1, v0
	v_bfe_i32 v1, v1, 0, 16
	v_cndmask_b32_e32 v0, v4, v5, vcc
	s_brev_b32 s0, 1
	v_and_or_b32 v0, v1, s0, v0
	v_cvt_i32_f32_e32 v0, v0
.LBB166_821:
	s_mov_b64 s[38:39], 0
	s_mov_b64 s[0:1], -1
.LBB166_822:
	s_andn2_b64 vcc, exec, s[38:39]
	s_cbranch_vccnz .LBB166_835
; %bb.823:
	s_cmp_gt_i32 s41, 14
	s_cbranch_scc0 .LBB166_826
; %bb.824:
	s_cmp_eq_u32 s41, 15
	s_cbranch_scc0 .LBB166_829
; %bb.825:
	global_load_ushort v0, v[2:3], off
	s_mov_b64 s[0:1], -1
	s_mov_b64 s[36:37], 0
	s_waitcnt vmcnt(0)
	v_lshlrev_b32_e32 v0, 16, v0
	v_cvt_i32_f32_e32 v0, v0
	s_branch .LBB166_830
.LBB166_826:
	s_mov_b64 s[38:39], -1
                                        ; implicit-def: $vgpr0
	s_branch .LBB166_831
.LBB166_827:
	s_andn2_saveexec_b64 s[0:1], s[0:1]
	s_cbranch_execz .LBB166_808
.LBB166_828:
	v_cmp_ne_u16_e32 vcc, 0, v1
	s_andn2_b64 s[38:39], s[38:39], exec
	s_and_b64 s[42:43], vcc, exec
	s_or_b64 s[38:39], s[38:39], s[42:43]
	s_or_b64 exec, exec, s[0:1]
	v_mov_b32_e32 v0, 0
	s_and_saveexec_b64 s[0:1], s[38:39]
	s_cbranch_execnz .LBB166_809
	s_branch .LBB166_810
.LBB166_829:
	s_mov_b64 s[36:37], -1
                                        ; implicit-def: $vgpr0
.LBB166_830:
	s_mov_b64 s[38:39], 0
.LBB166_831:
	s_and_b64 vcc, exec, s[38:39]
	s_cbranch_vccz .LBB166_835
; %bb.832:
	s_cmp_eq_u32 s41, 11
	s_cbranch_scc0 .LBB166_834
; %bb.833:
	global_load_ubyte v0, v[2:3], off
	s_mov_b64 s[0:1], -1
	s_mov_b64 s[36:37], 0
	s_waitcnt vmcnt(0)
	v_cmp_ne_u16_e32 vcc, 0, v0
	v_cndmask_b32_e64 v0, 0, 1, vcc
	s_branch .LBB166_835
.LBB166_834:
	s_mov_b64 s[36:37], -1
                                        ; implicit-def: $vgpr0
.LBB166_835:
	s_mov_b64 s[38:39], 0
.LBB166_836:
	s_and_b64 vcc, exec, s[38:39]
	s_cbranch_vccz .LBB166_885
; %bb.837:
	s_and_b32 s38, 0xffff, s40
	s_cmp_lt_i32 s38, 5
	s_cbranch_scc1 .LBB166_842
; %bb.838:
	s_cmp_lt_i32 s38, 8
	s_cbranch_scc1 .LBB166_843
; %bb.839:
	;; [unrolled: 3-line block ×3, first 2 shown]
	s_cmp_gt_i32 s38, 9
	s_cbranch_scc0 .LBB166_845
; %bb.841:
	global_load_dwordx2 v[0:1], v[2:3], off
	s_mov_b64 s[0:1], 0
	s_waitcnt vmcnt(0)
	v_cvt_i32_f64_e32 v0, v[0:1]
	s_branch .LBB166_846
.LBB166_842:
	s_mov_b64 s[0:1], -1
                                        ; implicit-def: $vgpr0
	s_branch .LBB166_864
.LBB166_843:
	s_mov_b64 s[0:1], -1
                                        ; implicit-def: $vgpr0
	s_branch .LBB166_852
.LBB166_844:
	s_mov_b64 s[0:1], -1
                                        ; implicit-def: $vgpr0
	s_branch .LBB166_849
.LBB166_845:
	s_mov_b64 s[0:1], -1
                                        ; implicit-def: $vgpr0
.LBB166_846:
	s_andn2_b64 vcc, exec, s[0:1]
	s_cbranch_vccnz .LBB166_848
; %bb.847:
	global_load_dword v0, v[2:3], off
	s_waitcnt vmcnt(0)
	v_cvt_i32_f32_e32 v0, v0
.LBB166_848:
	s_mov_b64 s[0:1], 0
.LBB166_849:
	s_andn2_b64 vcc, exec, s[0:1]
	s_cbranch_vccnz .LBB166_851
; %bb.850:
	global_load_dword v0, v[2:3], off
	s_waitcnt vmcnt(0)
	v_cvt_i16_f16_e32 v0, v0
.LBB166_851:
	s_mov_b64 s[0:1], 0
.LBB166_852:
	s_andn2_b64 vcc, exec, s[0:1]
	s_cbranch_vccnz .LBB166_863
; %bb.853:
	s_cmp_lt_i32 s38, 6
	s_cbranch_scc1 .LBB166_856
; %bb.854:
	s_cmp_gt_i32 s38, 6
	s_cbranch_scc0 .LBB166_857
; %bb.855:
	global_load_dwordx2 v[0:1], v[2:3], off
	s_mov_b64 s[0:1], 0
	s_waitcnt vmcnt(0)
	v_cvt_i32_f64_e32 v0, v[0:1]
	s_branch .LBB166_858
.LBB166_856:
	s_mov_b64 s[0:1], -1
                                        ; implicit-def: $vgpr0
	s_branch .LBB166_861
.LBB166_857:
	s_mov_b64 s[0:1], -1
                                        ; implicit-def: $vgpr0
.LBB166_858:
	s_andn2_b64 vcc, exec, s[0:1]
	s_cbranch_vccnz .LBB166_860
; %bb.859:
	global_load_dword v0, v[2:3], off
	s_waitcnt vmcnt(0)
	v_cvt_i32_f32_e32 v0, v0
.LBB166_860:
	s_mov_b64 s[0:1], 0
.LBB166_861:
	s_andn2_b64 vcc, exec, s[0:1]
	s_cbranch_vccnz .LBB166_863
; %bb.862:
	global_load_ushort v0, v[2:3], off
	s_waitcnt vmcnt(0)
	v_cvt_i16_f16_e32 v0, v0
.LBB166_863:
	s_mov_b64 s[0:1], 0
.LBB166_864:
	s_andn2_b64 vcc, exec, s[0:1]
	s_cbranch_vccnz .LBB166_884
; %bb.865:
	s_cmp_lt_i32 s38, 2
	s_cbranch_scc1 .LBB166_869
; %bb.866:
	s_cmp_lt_i32 s38, 3
	s_cbranch_scc1 .LBB166_870
; %bb.867:
	s_cmp_gt_i32 s38, 3
	s_cbranch_scc0 .LBB166_871
; %bb.868:
	global_load_dwordx2 v[0:1], v[2:3], off
	s_mov_b64 s[0:1], 0
	s_branch .LBB166_872
.LBB166_869:
	s_mov_b64 s[0:1], -1
                                        ; implicit-def: $vgpr0
	s_branch .LBB166_878
.LBB166_870:
	s_mov_b64 s[0:1], -1
                                        ; implicit-def: $vgpr0
	s_branch .LBB166_875
.LBB166_871:
	s_mov_b64 s[0:1], -1
                                        ; implicit-def: $vgpr0
.LBB166_872:
	s_andn2_b64 vcc, exec, s[0:1]
	s_cbranch_vccnz .LBB166_874
; %bb.873:
	global_load_dword v0, v[2:3], off
.LBB166_874:
	s_mov_b64 s[0:1], 0
.LBB166_875:
	s_andn2_b64 vcc, exec, s[0:1]
	s_cbranch_vccnz .LBB166_877
; %bb.876:
	global_load_ushort v0, v[2:3], off
.LBB166_877:
	s_mov_b64 s[0:1], 0
.LBB166_878:
	s_andn2_b64 vcc, exec, s[0:1]
	s_cbranch_vccnz .LBB166_884
; %bb.879:
	s_cmp_gt_i32 s38, 0
	s_cbranch_scc0 .LBB166_881
; %bb.880:
	global_load_ubyte v0, v[2:3], off
	s_mov_b64 s[0:1], 0
	s_branch .LBB166_882
.LBB166_881:
	s_mov_b64 s[0:1], -1
                                        ; implicit-def: $vgpr0
.LBB166_882:
	s_andn2_b64 vcc, exec, s[0:1]
	s_cbranch_vccnz .LBB166_884
; %bb.883:
	global_load_ubyte v0, v[2:3], off
.LBB166_884:
	s_mov_b64 s[0:1], -1
.LBB166_885:
	s_andn2_b64 vcc, exec, s[0:1]
	s_cbranch_vccnz .LBB166_893
; %bb.886:
	s_waitcnt vmcnt(0)
	v_mul_lo_u32 v1, v14, s14
	v_mov_b32_e32 v2, s3
	s_and_b32 s42, s15, 0xff
	s_cmp_lt_i32 s42, 11
	v_ashrrev_i32_e32 v3, 31, v1
	v_add_co_u32_e32 v1, vcc, s2, v1
	v_addc_co_u32_e32 v2, vcc, v2, v3, vcc
	s_cbranch_scc1 .LBB166_895
; %bb.887:
	s_and_b32 s43, 0xffff, s42
	s_cmp_gt_i32 s43, 25
	s_cbranch_scc0 .LBB166_896
; %bb.888:
	s_cmp_gt_i32 s43, 28
	s_cbranch_scc0 .LBB166_897
; %bb.889:
	;; [unrolled: 3-line block ×4, first 2 shown]
	s_cmp_eq_u32 s43, 46
	s_mov_b64 s[40:41], 0
	s_cbranch_scc0 .LBB166_902
; %bb.892:
	global_load_dword v3, v[1:2], off
	s_mov_b64 s[0:1], -1
	s_mov_b64 s[38:39], 0
	s_waitcnt vmcnt(0)
	v_lshlrev_b32_e32 v3, 16, v3
	v_cvt_i32_f32_e32 v3, v3
	s_branch .LBB166_903
.LBB166_893:
	s_mov_b64 s[42:43], 0
	s_mov_b64 s[0:1], s[28:29]
	;; [unrolled: 1-line block ×3, first 2 shown]
.LBB166_894:
                                        ; implicit-def: $vgpr14
	s_branch .LBB166_1137
.LBB166_895:
	s_mov_b64 s[40:41], -1
	s_mov_b64 s[0:1], 0
                                        ; implicit-def: $vgpr3
	s_mov_b64 s[38:39], s[26:27]
	s_branch .LBB166_964
.LBB166_896:
	s_mov_b64 s[40:41], -1
	s_mov_b64 s[0:1], 0
	s_mov_b64 s[38:39], s[26:27]
                                        ; implicit-def: $vgpr3
	s_branch .LBB166_930
.LBB166_897:
	s_mov_b64 s[40:41], -1
	s_mov_b64 s[0:1], 0
	s_mov_b64 s[38:39], s[26:27]
                                        ; implicit-def: $vgpr3
	s_branch .LBB166_913
.LBB166_898:
	s_mov_b64 s[40:41], -1
	s_mov_b64 s[0:1], 0
	s_mov_b64 s[38:39], s[26:27]
                                        ; implicit-def: $vgpr3
	s_branch .LBB166_908
.LBB166_899:
	s_mov_b64 s[40:41], -1
	s_mov_b64 s[0:1], 0
	s_mov_b64 s[38:39], s[26:27]
                                        ; implicit-def: $vgpr3
	s_branch .LBB166_903
.LBB166_900:
	s_andn2_saveexec_b64 s[36:37], s[36:37]
	s_cbranch_execz .LBB166_680
.LBB166_901:
	s_mov_b32 s40, 0x42800000
	v_add_f32_e64 v3, |v2|, s40
	v_and_b32_e32 v3, 0xff, v3
	v_cmp_ne_u32_e32 vcc, 0, v3
	s_andn2_b64 s[34:35], s[34:35], exec
	s_and_b64 s[40:41], vcc, exec
	s_or_b64 s[34:35], s[34:35], s[40:41]
	s_or_b64 exec, exec, s[36:37]
	v_mov_b32_e32 v5, 0
	s_and_saveexec_b64 s[36:37], s[34:35]
	s_cbranch_execnz .LBB166_681
	s_branch .LBB166_682
.LBB166_902:
	s_mov_b64 s[38:39], -1
                                        ; implicit-def: $vgpr3
	s_mov_b64 s[0:1], 0
.LBB166_903:
	s_and_b64 vcc, exec, s[40:41]
	s_cbranch_vccz .LBB166_907
; %bb.904:
	s_cmp_eq_u32 s43, 44
	s_cbranch_scc0 .LBB166_906
; %bb.905:
	global_load_ubyte v3, v[1:2], off
	s_mov_b64 s[0:1], -1
	s_mov_b64 s[38:39], 0
	s_waitcnt vmcnt(0)
	v_lshlrev_b32_e32 v4, 23, v3
	v_cvt_i32_f32_e32 v4, v4
	v_cmp_ne_u32_e32 vcc, 0, v3
	v_cndmask_b32_e32 v3, 0, v4, vcc
	s_branch .LBB166_907
.LBB166_906:
	s_mov_b64 s[38:39], -1
                                        ; implicit-def: $vgpr3
.LBB166_907:
	s_mov_b64 s[40:41], 0
.LBB166_908:
	s_and_b64 vcc, exec, s[40:41]
	s_cbranch_vccz .LBB166_912
; %bb.909:
	s_cmp_eq_u32 s43, 29
	s_cbranch_scc0 .LBB166_911
; %bb.910:
	global_load_dwordx2 v[3:4], v[1:2], off
	s_mov_b64 s[0:1], -1
	s_mov_b64 s[38:39], 0
	s_branch .LBB166_912
.LBB166_911:
	s_mov_b64 s[38:39], -1
                                        ; implicit-def: $vgpr3
.LBB166_912:
	s_mov_b64 s[40:41], 0
.LBB166_913:
	s_and_b64 vcc, exec, s[40:41]
	s_cbranch_vccz .LBB166_929
; %bb.914:
	s_cmp_lt_i32 s43, 27
	s_cbranch_scc1 .LBB166_917
; %bb.915:
	s_cmp_gt_i32 s43, 27
	s_cbranch_scc0 .LBB166_918
; %bb.916:
	global_load_dword v3, v[1:2], off
	s_mov_b64 s[0:1], 0
	s_branch .LBB166_919
.LBB166_917:
	s_mov_b64 s[0:1], -1
                                        ; implicit-def: $vgpr3
	s_branch .LBB166_922
.LBB166_918:
	s_mov_b64 s[0:1], -1
                                        ; implicit-def: $vgpr3
.LBB166_919:
	s_andn2_b64 vcc, exec, s[0:1]
	s_cbranch_vccnz .LBB166_921
; %bb.920:
	global_load_ushort v3, v[1:2], off
.LBB166_921:
	s_mov_b64 s[0:1], 0
.LBB166_922:
	s_andn2_b64 vcc, exec, s[0:1]
	s_cbranch_vccnz .LBB166_928
; %bb.923:
	global_load_ubyte v4, v[1:2], off
	s_movk_i32 s0, 0x7f
	s_mov_b64 s[40:41], 0
	s_waitcnt vmcnt(0)
	v_cmp_lt_i16_e32 vcc, s0, v4
	s_and_saveexec_b64 s[0:1], vcc
	s_xor_b64 s[0:1], exec, s[0:1]
	s_cbranch_execz .LBB166_940
; %bb.924:
	s_movk_i32 s40, 0x80
	v_cmp_ne_u16_e32 vcc, s40, v4
	s_and_b64 s[40:41], vcc, exec
	s_andn2_saveexec_b64 s[0:1], s[0:1]
	s_cbranch_execnz .LBB166_941
.LBB166_925:
	s_or_b64 exec, exec, s[0:1]
	v_mov_b32_e32 v3, 0
	s_and_saveexec_b64 s[0:1], s[40:41]
	s_cbranch_execz .LBB166_927
.LBB166_926:
	v_lshlrev_b32_e32 v3, 24, v4
	v_and_b32_e32 v4, 0xffff, v4
	v_and_b32_e32 v5, 7, v4
	v_ffbh_u32_e32 v7, v5
	v_min_u32_e32 v7, 32, v7
	v_subrev_u32_e32 v8, 28, v7
	v_bfe_u32 v6, v4, 3, 4
	v_lshlrev_b32_e32 v4, v8, v4
	v_sub_u32_e32 v7, 29, v7
	v_and_b32_e32 v4, 7, v4
	v_cmp_eq_u32_e32 vcc, 0, v6
	v_cndmask_b32_e32 v6, v6, v7, vcc
	v_cndmask_b32_e32 v4, v5, v4, vcc
	v_mov_b32_e32 v5, 0x3b800000
	v_lshlrev_b32_e32 v4, 20, v4
	v_and_b32_e32 v3, 0x80000000, v3
	v_lshl_add_u32 v5, v6, 23, v5
	v_or3_b32 v3, v3, v5, v4
	v_cvt_i32_f32_e32 v3, v3
.LBB166_927:
	s_or_b64 exec, exec, s[0:1]
.LBB166_928:
	s_mov_b64 s[0:1], -1
.LBB166_929:
	s_mov_b64 s[40:41], 0
.LBB166_930:
	s_and_b64 vcc, exec, s[40:41]
	s_cbranch_vccz .LBB166_963
; %bb.931:
	s_cmp_gt_i32 s43, 22
	s_cbranch_scc0 .LBB166_939
; %bb.932:
	s_cmp_lt_i32 s43, 24
	s_cbranch_scc1 .LBB166_942
; %bb.933:
	s_cmp_gt_i32 s43, 24
	s_cbranch_scc0 .LBB166_943
; %bb.934:
	global_load_ubyte v4, v[1:2], off
	s_movk_i32 s0, 0x7f
	s_mov_b64 s[40:41], 0
	s_waitcnt vmcnt(0)
	v_cmp_lt_i16_e32 vcc, s0, v4
	s_and_saveexec_b64 s[0:1], vcc
	s_xor_b64 s[0:1], exec, s[0:1]
	s_cbranch_execz .LBB166_955
; %bb.935:
	s_movk_i32 s40, 0x80
	v_cmp_ne_u16_e32 vcc, s40, v4
	s_and_b64 s[40:41], vcc, exec
	s_andn2_saveexec_b64 s[0:1], s[0:1]
	s_cbranch_execnz .LBB166_956
.LBB166_936:
	s_or_b64 exec, exec, s[0:1]
	v_mov_b32_e32 v3, 0
	s_and_saveexec_b64 s[0:1], s[40:41]
	s_cbranch_execz .LBB166_938
.LBB166_937:
	v_lshlrev_b32_e32 v3, 24, v4
	v_and_b32_e32 v4, 0xffff, v4
	v_and_b32_e32 v5, 3, v4
	v_ffbh_u32_e32 v7, v5
	v_min_u32_e32 v7, 32, v7
	v_subrev_u32_e32 v8, 29, v7
	v_bfe_u32 v6, v4, 2, 5
	v_lshlrev_b32_e32 v4, v8, v4
	v_sub_u32_e32 v7, 30, v7
	v_and_b32_e32 v4, 3, v4
	v_cmp_eq_u32_e32 vcc, 0, v6
	v_cndmask_b32_e32 v6, v6, v7, vcc
	v_cndmask_b32_e32 v4, v5, v4, vcc
	v_mov_b32_e32 v5, 0x37800000
	v_lshlrev_b32_e32 v4, 21, v4
	v_and_b32_e32 v3, 0x80000000, v3
	v_lshl_add_u32 v5, v6, 23, v5
	v_or3_b32 v3, v3, v5, v4
	v_cvt_i32_f32_e32 v3, v3
.LBB166_938:
	s_or_b64 exec, exec, s[0:1]
	s_mov_b64 s[0:1], 0
	s_branch .LBB166_944
.LBB166_939:
	s_mov_b64 s[40:41], -1
                                        ; implicit-def: $vgpr3
	s_branch .LBB166_950
.LBB166_940:
	s_andn2_saveexec_b64 s[0:1], s[0:1]
	s_cbranch_execz .LBB166_925
.LBB166_941:
	v_cmp_ne_u16_e32 vcc, 0, v4
	s_andn2_b64 s[40:41], s[40:41], exec
	s_and_b64 s[44:45], vcc, exec
	s_or_b64 s[40:41], s[40:41], s[44:45]
	s_or_b64 exec, exec, s[0:1]
	v_mov_b32_e32 v3, 0
	s_and_saveexec_b64 s[0:1], s[40:41]
	s_cbranch_execnz .LBB166_926
	s_branch .LBB166_927
.LBB166_942:
	s_mov_b64 s[0:1], -1
                                        ; implicit-def: $vgpr3
	s_branch .LBB166_947
.LBB166_943:
	s_mov_b64 s[0:1], -1
                                        ; implicit-def: $vgpr3
.LBB166_944:
	s_and_b64 vcc, exec, s[0:1]
	s_cbranch_vccz .LBB166_946
; %bb.945:
	global_load_ubyte v3, v[1:2], off
	s_mov_b32 s0, 0x7f800000
	s_waitcnt vmcnt(0)
	v_lshlrev_b32_e32 v3, 24, v3
	v_and_b32_e32 v4, 0x7f000000, v3
	v_ffbh_u32_e32 v5, v4
	v_min_u32_e32 v5, 32, v5
	v_sub_u32_e64 v5, v5, 4 clamp
	v_lshlrev_b32_e32 v7, v5, v4
	v_lshlrev_b32_e32 v5, 23, v5
	v_lshrrev_b32_e32 v7, 4, v7
	v_add_u32_e32 v6, 0x1000000, v4
	v_sub_u32_e32 v5, v7, v5
	v_ashrrev_i32_e32 v6, 8, v6
	v_add_u32_e32 v5, 0x3c000000, v5
	v_and_or_b32 v5, v6, s0, v5
	v_cmp_ne_u32_e32 vcc, 0, v4
	v_cndmask_b32_e32 v4, 0, v5, vcc
	s_brev_b32 s0, 1
	v_and_or_b32 v3, v3, s0, v4
	v_cvt_i32_f32_e32 v3, v3
.LBB166_946:
	s_mov_b64 s[0:1], 0
.LBB166_947:
	s_andn2_b64 vcc, exec, s[0:1]
	s_cbranch_vccnz .LBB166_949
; %bb.948:
	global_load_ubyte v3, v[1:2], off
	s_movk_i32 s0, 0x7f00
	s_brev_b32 s1, 16
	s_waitcnt vmcnt(0)
	v_lshlrev_b16_e32 v4, 8, v3
	v_lshlrev_b32_e32 v3, 25, v3
	v_lshrrev_b32_e32 v5, 4, v3
	v_and_or_b32 v6, v4, s0, 0.5
	v_or_b32_e32 v5, 0x70000000, v5
	v_add_f32_e32 v6, -0.5, v6
	v_mul_f32_e32 v5, 0x7800000, v5
	v_cmp_gt_u32_e32 vcc, s1, v3
	v_bfe_i32 v4, v4, 0, 16
	v_cndmask_b32_e32 v3, v5, v6, vcc
	s_brev_b32 s0, 1
	v_and_or_b32 v3, v4, s0, v3
	v_cvt_i32_f32_e32 v3, v3
.LBB166_949:
	s_mov_b64 s[40:41], 0
	s_mov_b64 s[0:1], -1
.LBB166_950:
	s_andn2_b64 vcc, exec, s[40:41]
	s_cbranch_vccnz .LBB166_963
; %bb.951:
	s_cmp_gt_i32 s43, 14
	s_cbranch_scc0 .LBB166_954
; %bb.952:
	s_cmp_eq_u32 s43, 15
	s_cbranch_scc0 .LBB166_957
; %bb.953:
	global_load_ushort v3, v[1:2], off
	s_mov_b64 s[0:1], -1
	s_mov_b64 s[38:39], 0
	s_waitcnt vmcnt(0)
	v_lshlrev_b32_e32 v3, 16, v3
	v_cvt_i32_f32_e32 v3, v3
	s_branch .LBB166_958
.LBB166_954:
	s_mov_b64 s[40:41], -1
                                        ; implicit-def: $vgpr3
	s_branch .LBB166_959
.LBB166_955:
	s_andn2_saveexec_b64 s[0:1], s[0:1]
	s_cbranch_execz .LBB166_936
.LBB166_956:
	v_cmp_ne_u16_e32 vcc, 0, v4
	s_andn2_b64 s[40:41], s[40:41], exec
	s_and_b64 s[44:45], vcc, exec
	s_or_b64 s[40:41], s[40:41], s[44:45]
	s_or_b64 exec, exec, s[0:1]
	v_mov_b32_e32 v3, 0
	s_and_saveexec_b64 s[0:1], s[40:41]
	s_cbranch_execnz .LBB166_937
	s_branch .LBB166_938
.LBB166_957:
	s_mov_b64 s[38:39], -1
                                        ; implicit-def: $vgpr3
.LBB166_958:
	s_mov_b64 s[40:41], 0
.LBB166_959:
	s_and_b64 vcc, exec, s[40:41]
	s_cbranch_vccz .LBB166_963
; %bb.960:
	s_cmp_eq_u32 s43, 11
	s_cbranch_scc0 .LBB166_962
; %bb.961:
	global_load_ubyte v3, v[1:2], off
	s_mov_b64 s[0:1], -1
	s_mov_b64 s[38:39], 0
	s_waitcnt vmcnt(0)
	v_cmp_ne_u16_e32 vcc, 0, v3
	v_cndmask_b32_e64 v3, 0, 1, vcc
	s_branch .LBB166_963
.LBB166_962:
	s_mov_b64 s[38:39], -1
                                        ; implicit-def: $vgpr3
.LBB166_963:
	s_mov_b64 s[40:41], 0
.LBB166_964:
	s_and_b64 vcc, exec, s[40:41]
	s_cbranch_vccz .LBB166_1013
; %bb.965:
	s_and_b32 s40, 0xffff, s42
	s_cmp_lt_i32 s40, 5
	s_cbranch_scc1 .LBB166_970
; %bb.966:
	s_cmp_lt_i32 s40, 8
	s_cbranch_scc1 .LBB166_971
; %bb.967:
	;; [unrolled: 3-line block ×3, first 2 shown]
	s_cmp_gt_i32 s40, 9
	s_cbranch_scc0 .LBB166_973
; %bb.969:
	global_load_dwordx2 v[3:4], v[1:2], off
	s_mov_b64 s[0:1], 0
	s_waitcnt vmcnt(0)
	v_cvt_i32_f64_e32 v3, v[3:4]
	s_branch .LBB166_974
.LBB166_970:
	s_mov_b64 s[0:1], -1
                                        ; implicit-def: $vgpr3
	s_branch .LBB166_992
.LBB166_971:
	s_mov_b64 s[0:1], -1
                                        ; implicit-def: $vgpr3
	s_branch .LBB166_980
.LBB166_972:
	s_mov_b64 s[0:1], -1
                                        ; implicit-def: $vgpr3
	s_branch .LBB166_977
.LBB166_973:
	s_mov_b64 s[0:1], -1
                                        ; implicit-def: $vgpr3
.LBB166_974:
	s_andn2_b64 vcc, exec, s[0:1]
	s_cbranch_vccnz .LBB166_976
; %bb.975:
	global_load_dword v3, v[1:2], off
	s_waitcnt vmcnt(0)
	v_cvt_i32_f32_e32 v3, v3
.LBB166_976:
	s_mov_b64 s[0:1], 0
.LBB166_977:
	s_andn2_b64 vcc, exec, s[0:1]
	s_cbranch_vccnz .LBB166_979
; %bb.978:
	global_load_dword v3, v[1:2], off
	s_waitcnt vmcnt(0)
	v_cvt_i16_f16_e32 v3, v3
.LBB166_979:
	s_mov_b64 s[0:1], 0
.LBB166_980:
	s_andn2_b64 vcc, exec, s[0:1]
	s_cbranch_vccnz .LBB166_991
; %bb.981:
	s_cmp_lt_i32 s40, 6
	s_cbranch_scc1 .LBB166_984
; %bb.982:
	s_cmp_gt_i32 s40, 6
	s_cbranch_scc0 .LBB166_985
; %bb.983:
	global_load_dwordx2 v[3:4], v[1:2], off
	s_mov_b64 s[0:1], 0
	s_waitcnt vmcnt(0)
	v_cvt_i32_f64_e32 v3, v[3:4]
	s_branch .LBB166_986
.LBB166_984:
	s_mov_b64 s[0:1], -1
                                        ; implicit-def: $vgpr3
	s_branch .LBB166_989
.LBB166_985:
	s_mov_b64 s[0:1], -1
                                        ; implicit-def: $vgpr3
.LBB166_986:
	s_andn2_b64 vcc, exec, s[0:1]
	s_cbranch_vccnz .LBB166_988
; %bb.987:
	global_load_dword v3, v[1:2], off
	s_waitcnt vmcnt(0)
	v_cvt_i32_f32_e32 v3, v3
.LBB166_988:
	s_mov_b64 s[0:1], 0
.LBB166_989:
	s_andn2_b64 vcc, exec, s[0:1]
	s_cbranch_vccnz .LBB166_991
; %bb.990:
	global_load_ushort v3, v[1:2], off
	s_waitcnt vmcnt(0)
	v_cvt_i16_f16_e32 v3, v3
.LBB166_991:
	s_mov_b64 s[0:1], 0
.LBB166_992:
	s_andn2_b64 vcc, exec, s[0:1]
	s_cbranch_vccnz .LBB166_1012
; %bb.993:
	s_cmp_lt_i32 s40, 2
	s_cbranch_scc1 .LBB166_997
; %bb.994:
	s_cmp_lt_i32 s40, 3
	s_cbranch_scc1 .LBB166_998
; %bb.995:
	s_cmp_gt_i32 s40, 3
	s_cbranch_scc0 .LBB166_999
; %bb.996:
	global_load_dwordx2 v[3:4], v[1:2], off
	s_mov_b64 s[0:1], 0
	s_branch .LBB166_1000
.LBB166_997:
	s_mov_b64 s[0:1], -1
                                        ; implicit-def: $vgpr3
	s_branch .LBB166_1006
.LBB166_998:
	s_mov_b64 s[0:1], -1
                                        ; implicit-def: $vgpr3
	s_branch .LBB166_1003
.LBB166_999:
	s_mov_b64 s[0:1], -1
                                        ; implicit-def: $vgpr3
.LBB166_1000:
	s_andn2_b64 vcc, exec, s[0:1]
	s_cbranch_vccnz .LBB166_1002
; %bb.1001:
	global_load_dword v3, v[1:2], off
.LBB166_1002:
	s_mov_b64 s[0:1], 0
.LBB166_1003:
	s_andn2_b64 vcc, exec, s[0:1]
	s_cbranch_vccnz .LBB166_1005
; %bb.1004:
	global_load_ushort v3, v[1:2], off
.LBB166_1005:
	s_mov_b64 s[0:1], 0
.LBB166_1006:
	s_andn2_b64 vcc, exec, s[0:1]
	s_cbranch_vccnz .LBB166_1012
; %bb.1007:
	s_cmp_gt_i32 s40, 0
	s_cbranch_scc0 .LBB166_1009
; %bb.1008:
	global_load_ubyte v3, v[1:2], off
	s_mov_b64 s[0:1], 0
	s_branch .LBB166_1010
.LBB166_1009:
	s_mov_b64 s[0:1], -1
                                        ; implicit-def: $vgpr3
.LBB166_1010:
	s_andn2_b64 vcc, exec, s[0:1]
	s_cbranch_vccnz .LBB166_1012
; %bb.1011:
	global_load_ubyte v3, v[1:2], off
.LBB166_1012:
	s_mov_b64 s[0:1], -1
.LBB166_1013:
	s_andn2_b64 vcc, exec, s[0:1]
	s_cbranch_vccnz .LBB166_1021
; %bb.1014:
	v_mul_lo_u32 v5, v14, s12
	v_mov_b32_e32 v1, 6
	v_mov_b32_e32 v2, 7
	v_ashrrev_i16_sdwa v2, v2, sext(v0) dst_sel:DWORD dst_unused:UNUSED_PAD src0_sel:DWORD src1_sel:BYTE_0
	s_waitcnt vmcnt(0)
	v_ashrrev_i32_sdwa v0, v3, sext(v0) dst_sel:DWORD dst_unused:UNUSED_PAD src0_sel:DWORD src1_sel:BYTE_0
	v_cmp_gt_u16_sdwa vcc, v3, v1 src0_sel:BYTE_0 src1_sel:DWORD
	v_cndmask_b32_e32 v4, v0, v2, vcc
	v_ashrrev_i32_e32 v1, 31, v5
	v_mov_b32_e32 v2, s9
	s_and_b32 s46, s33, 0xff
	v_add_co_u32_e32 v0, vcc, s8, v5
	s_cmp_lt_i32 s46, 11
	v_addc_co_u32_e32 v1, vcc, v2, v1, vcc
	s_cbranch_scc1 .LBB166_1022
; %bb.1015:
	s_and_b32 s47, 0xffff, s46
	s_cmp_gt_i32 s47, 25
	s_cbranch_scc0 .LBB166_1023
; %bb.1016:
	s_cmp_gt_i32 s47, 28
	s_cbranch_scc0 .LBB166_1024
; %bb.1017:
	;; [unrolled: 3-line block ×4, first 2 shown]
	s_mov_b64 s[42:43], 0
	s_mov_b64 s[0:1], -1
	s_cmp_eq_u32 s47, 46
	s_mov_b64 s[40:41], 0
	s_cbranch_scc0 .LBB166_1027
; %bb.1020:
	v_cvt_f32_i32_sdwa v2, sext(v4) dst_sel:DWORD dst_unused:UNUSED_PAD src0_sel:WORD_0
	s_movk_i32 s0, 0x7fff
	s_mov_b64 s[40:41], -1
	v_bfe_u32 v3, v2, 16, 1
	v_add3_u32 v2, v2, v3, s0
	v_lshrrev_b32_e32 v2, 16, v2
	global_store_dword v[0:1], v2, off
	s_mov_b64 s[0:1], 0
	s_branch .LBB166_1027
.LBB166_1021:
	s_mov_b64 s[42:43], 0
                                        ; implicit-def: $vgpr14
	s_mov_b64 s[0:1], s[28:29]
	s_branch .LBB166_1137
.LBB166_1022:
	s_mov_b64 s[42:43], -1
	s_mov_b64 s[40:41], 0
	s_mov_b64 s[0:1], s[28:29]
	s_branch .LBB166_1096
.LBB166_1023:
	s_mov_b64 s[42:43], -1
	s_mov_b64 s[40:41], 0
	s_mov_b64 s[0:1], s[28:29]
	s_branch .LBB166_1054
.LBB166_1024:
	s_mov_b64 s[42:43], -1
	s_mov_b64 s[40:41], 0
	s_mov_b64 s[0:1], s[28:29]
	s_branch .LBB166_1037
.LBB166_1025:
	s_mov_b64 s[42:43], -1
	s_mov_b64 s[40:41], 0
	s_mov_b64 s[0:1], s[28:29]
	s_branch .LBB166_1033
.LBB166_1026:
	s_mov_b64 s[42:43], -1
	s_mov_b64 s[40:41], 0
	s_mov_b64 s[0:1], s[28:29]
.LBB166_1027:
	s_and_b64 vcc, exec, s[42:43]
	s_cbranch_vccz .LBB166_1032
; %bb.1028:
	s_cmp_eq_u32 s47, 44
	s_mov_b64 s[0:1], -1
	s_cbranch_scc0 .LBB166_1032
; %bb.1029:
	v_cvt_f32_i32_sdwa v2, sext(v4) dst_sel:DWORD dst_unused:UNUSED_PAD src0_sel:WORD_0
	s_movk_i32 s0, 0xff
	v_mov_b32_e32 v5, 0xff
	v_bfe_u32 v3, v2, 23, 8
	v_cmp_ne_u32_e32 vcc, s0, v3
	s_and_saveexec_b64 s[40:41], vcc
; %bb.1030:
	s_mov_b32 s0, 0x3fffff
	v_lshrrev_b32_e32 v5, 23, v2
	v_and_b32_e32 v6, 0x400000, v2
	v_and_or_b32 v2, v2, s0, v3
	v_cmp_ne_u32_e32 vcc, 0, v6
	v_cmp_ne_u32_e64 s[0:1], 0, v2
	s_and_b64 s[0:1], vcc, s[0:1]
	v_cndmask_b32_e64 v2, 0, 1, s[0:1]
	v_add_u32_e32 v5, v5, v2
; %bb.1031:
	s_or_b64 exec, exec, s[40:41]
	s_mov_b64 s[40:41], -1
	s_mov_b64 s[0:1], 0
	global_store_byte v[0:1], v5, off
.LBB166_1032:
	s_mov_b64 s[42:43], 0
.LBB166_1033:
	s_and_b64 vcc, exec, s[42:43]
	s_cbranch_vccz .LBB166_1036
; %bb.1034:
	s_cmp_eq_u32 s47, 29
	s_mov_b64 s[0:1], -1
	s_cbranch_scc0 .LBB166_1036
; %bb.1035:
	v_bfe_i32 v2, v4, 0, 16
	v_ashrrev_i32_e32 v3, 31, v2
	global_store_dwordx2 v[0:1], v[2:3], off
	s_mov_b64 s[40:41], -1
	s_mov_b64 s[0:1], 0
.LBB166_1036:
	s_mov_b64 s[42:43], 0
.LBB166_1037:
	s_and_b64 vcc, exec, s[42:43]
	s_cbranch_vccz .LBB166_1053
; %bb.1038:
	s_cmp_lt_i32 s47, 27
	s_mov_b64 s[40:41], -1
	s_cbranch_scc1 .LBB166_1044
; %bb.1039:
	s_cmp_gt_i32 s47, 27
	s_cbranch_scc0 .LBB166_1041
; %bb.1040:
	v_bfe_i32 v2, v4, 0, 16
	s_mov_b64 s[40:41], 0
	global_store_dword v[0:1], v2, off
.LBB166_1041:
	s_andn2_b64 vcc, exec, s[40:41]
	s_cbranch_vccnz .LBB166_1043
; %bb.1042:
	global_store_short v[0:1], v4, off
.LBB166_1043:
	s_mov_b64 s[40:41], 0
.LBB166_1044:
	s_andn2_b64 vcc, exec, s[40:41]
	s_cbranch_vccnz .LBB166_1052
; %bb.1045:
	v_cvt_f32_i32_sdwa v2, sext(v4) dst_sel:DWORD dst_unused:UNUSED_PAD src0_sel:WORD_0
	s_mov_b32 s40, 0x43800000
	v_mov_b32_e32 v5, 0x80
	v_and_b32_e32 v3, 0x7fffffff, v2
	v_cmp_gt_u32_e32 vcc, s40, v3
	s_and_saveexec_b64 s[40:41], vcc
	s_cbranch_execz .LBB166_1051
; %bb.1046:
	s_mov_b32 s42, 0x3bffffff
	v_cmp_lt_u32_e32 vcc, s42, v3
	s_mov_b64 s[42:43], 0
                                        ; implicit-def: $vgpr3
	s_and_saveexec_b64 s[44:45], vcc
	s_xor_b64 s[44:45], exec, s[44:45]
	s_cbranch_execz .LBB166_1153
; %bb.1047:
	v_bfe_u32 v3, v2, 20, 1
	s_mov_b32 s49, 0x487ffff
	v_add3_u32 v3, v2, v3, s49
	s_mov_b64 s[42:43], exec
	v_lshrrev_b32_e32 v3, 20, v3
	s_andn2_saveexec_b64 s[44:45], s[44:45]
	s_cbranch_execnz .LBB166_1154
.LBB166_1048:
	s_or_b64 exec, exec, s[44:45]
	v_mov_b32_e32 v5, 0
	s_and_saveexec_b64 s[44:45], s[42:43]
.LBB166_1049:
	v_lshrrev_b32_e32 v2, 24, v2
	s_movk_i32 s42, 0x80
	v_and_or_b32 v5, v2, s42, v3
.LBB166_1050:
	s_or_b64 exec, exec, s[44:45]
.LBB166_1051:
	s_or_b64 exec, exec, s[40:41]
	global_store_byte v[0:1], v5, off
.LBB166_1052:
	s_mov_b64 s[40:41], -1
.LBB166_1053:
	s_mov_b64 s[42:43], 0
.LBB166_1054:
	s_and_b64 vcc, exec, s[42:43]
	s_cbranch_vccz .LBB166_1095
; %bb.1055:
	s_cmp_gt_i32 s47, 22
	s_mov_b64 s[42:43], -1
	s_cbranch_scc0 .LBB166_1087
; %bb.1056:
	s_cmp_lt_i32 s47, 24
	s_mov_b64 s[40:41], -1
	s_cbranch_scc1 .LBB166_1076
; %bb.1057:
	s_cmp_gt_i32 s47, 24
	s_cbranch_scc0 .LBB166_1065
; %bb.1058:
	v_cvt_f32_i32_sdwa v2, sext(v4) dst_sel:DWORD dst_unused:UNUSED_PAD src0_sel:WORD_0
	s_mov_b32 s40, 0x47800000
	v_mov_b32_e32 v5, 0x80
	v_and_b32_e32 v3, 0x7fffffff, v2
	v_cmp_gt_u32_e32 vcc, s40, v3
	s_and_saveexec_b64 s[40:41], vcc
	s_cbranch_execz .LBB166_1064
; %bb.1059:
	s_mov_b32 s42, 0x37ffffff
	v_cmp_lt_u32_e32 vcc, s42, v3
	s_mov_b64 s[42:43], 0
                                        ; implicit-def: $vgpr3
	s_and_saveexec_b64 s[44:45], vcc
	s_xor_b64 s[44:45], exec, s[44:45]
	s_cbranch_execz .LBB166_2147
; %bb.1060:
	v_bfe_u32 v3, v2, 21, 1
	s_mov_b32 s49, 0x88fffff
	v_add3_u32 v3, v2, v3, s49
	s_mov_b64 s[42:43], exec
	v_lshrrev_b32_e32 v3, 21, v3
	s_andn2_saveexec_b64 s[44:45], s[44:45]
	s_cbranch_execnz .LBB166_2148
.LBB166_1061:
	s_or_b64 exec, exec, s[44:45]
	v_mov_b32_e32 v5, 0
	s_and_saveexec_b64 s[44:45], s[42:43]
.LBB166_1062:
	v_lshrrev_b32_e32 v2, 24, v2
	s_movk_i32 s42, 0x80
	v_and_or_b32 v5, v2, s42, v3
.LBB166_1063:
	s_or_b64 exec, exec, s[44:45]
.LBB166_1064:
	s_or_b64 exec, exec, s[40:41]
	s_mov_b64 s[40:41], 0
	global_store_byte v[0:1], v5, off
.LBB166_1065:
	s_and_b64 vcc, exec, s[40:41]
	s_cbranch_vccz .LBB166_1075
; %bb.1066:
	v_cvt_f32_i32_sdwa v2, sext(v4) dst_sel:DWORD dst_unused:UNUSED_PAD src0_sel:WORD_0
	s_mov_b32 s40, 0x43f00000
                                        ; implicit-def: $vgpr3
	v_and_b32_e32 v5, 0x7fffffff, v2
	v_cmp_gt_u32_e32 vcc, s40, v5
	s_and_saveexec_b64 s[40:41], vcc
	s_xor_b64 s[40:41], exec, s[40:41]
	s_cbranch_execz .LBB166_1072
; %bb.1067:
	s_mov_b32 s42, 0x3c7fffff
	v_cmp_lt_u32_e32 vcc, s42, v5
                                        ; implicit-def: $vgpr3
	s_and_saveexec_b64 s[42:43], vcc
	s_xor_b64 s[42:43], exec, s[42:43]
; %bb.1068:
	v_bfe_u32 v3, v2, 20, 1
	s_mov_b32 s44, 0x407ffff
	v_add3_u32 v3, v2, v3, s44
	v_lshrrev_b32_e32 v5, 20, v3
	v_and_b32_e32 v3, 0xff00000, v3
	s_mov_b32 s44, 0x7f00000
	v_mov_b32_e32 v6, 0x7e
	v_cmp_ne_u32_e32 vcc, s44, v3
	v_cndmask_b32_e32 v3, v6, v5, vcc
; %bb.1069:
	s_andn2_saveexec_b64 s[42:43], s[42:43]
; %bb.1070:
	s_mov_b32 s44, 0x46800000
	v_add_f32_e64 v3, |v2|, s44
; %bb.1071:
	s_or_b64 exec, exec, s[42:43]
                                        ; implicit-def: $vgpr5
.LBB166_1072:
	s_andn2_saveexec_b64 s[40:41], s[40:41]
; %bb.1073:
	s_mov_b32 s42, 0x7f800000
	v_mov_b32_e32 v3, 0x7e
	v_mov_b32_e32 v6, 0x7f
	v_cmp_lt_u32_e32 vcc, s42, v5
	v_cndmask_b32_e32 v3, v3, v6, vcc
; %bb.1074:
	s_or_b64 exec, exec, s[40:41]
	v_lshrrev_b32_e32 v2, 24, v2
	s_movk_i32 s40, 0x80
	v_and_or_b32 v2, v2, s40, v3
	global_store_byte v[0:1], v2, off
.LBB166_1075:
	s_mov_b64 s[40:41], 0
.LBB166_1076:
	s_andn2_b64 vcc, exec, s[40:41]
	s_cbranch_vccnz .LBB166_1086
; %bb.1077:
	v_cvt_f32_i32_sdwa v2, sext(v4) dst_sel:DWORD dst_unused:UNUSED_PAD src0_sel:WORD_0
	s_mov_b32 s40, 0x47800000
                                        ; implicit-def: $vgpr3
	v_and_b32_e32 v5, 0x7fffffff, v2
	v_cmp_gt_u32_e32 vcc, s40, v5
	s_and_saveexec_b64 s[40:41], vcc
	s_xor_b64 s[40:41], exec, s[40:41]
	s_cbranch_execz .LBB166_1083
; %bb.1078:
	s_mov_b32 s42, 0x387fffff
	v_cmp_lt_u32_e32 vcc, s42, v5
                                        ; implicit-def: $vgpr3
	s_and_saveexec_b64 s[42:43], vcc
	s_xor_b64 s[42:43], exec, s[42:43]
; %bb.1079:
	v_bfe_u32 v3, v2, 21, 1
	s_mov_b32 s44, 0x80fffff
	v_add3_u32 v3, v2, v3, s44
	v_lshrrev_b32_e32 v3, 21, v3
; %bb.1080:
	s_andn2_saveexec_b64 s[42:43], s[42:43]
; %bb.1081:
	s_mov_b32 s44, 0x43000000
	v_add_f32_e64 v3, |v2|, s44
; %bb.1082:
	s_or_b64 exec, exec, s[42:43]
                                        ; implicit-def: $vgpr5
.LBB166_1083:
	s_andn2_saveexec_b64 s[40:41], s[40:41]
; %bb.1084:
	s_mov_b32 s42, 0x7f800000
	v_mov_b32_e32 v3, 0x7c
	v_mov_b32_e32 v6, 0x7f
	v_cmp_lt_u32_e32 vcc, s42, v5
	v_cndmask_b32_e32 v3, v3, v6, vcc
; %bb.1085:
	s_or_b64 exec, exec, s[40:41]
	v_lshrrev_b32_e32 v2, 24, v2
	s_movk_i32 s40, 0x80
	v_and_or_b32 v2, v2, s40, v3
	global_store_byte v[0:1], v2, off
.LBB166_1086:
	s_mov_b64 s[42:43], 0
	s_mov_b64 s[40:41], -1
.LBB166_1087:
	s_andn2_b64 vcc, exec, s[42:43]
	s_cbranch_vccnz .LBB166_1095
; %bb.1088:
	s_cmp_gt_i32 s47, 14
	s_mov_b64 s[42:43], -1
	s_cbranch_scc0 .LBB166_1092
; %bb.1089:
	s_cmp_eq_u32 s47, 15
	s_mov_b64 s[0:1], -1
	s_cbranch_scc0 .LBB166_1091
; %bb.1090:
	v_cvt_f32_i32_sdwa v2, sext(v4) dst_sel:DWORD dst_unused:UNUSED_PAD src0_sel:WORD_0
	s_movk_i32 s0, 0x7fff
	s_mov_b64 s[40:41], -1
	v_bfe_u32 v3, v2, 16, 1
	v_add3_u32 v2, v2, v3, s0
	global_store_short_d16_hi v[0:1], v2, off
	s_mov_b64 s[0:1], 0
.LBB166_1091:
	s_mov_b64 s[42:43], 0
.LBB166_1092:
	s_and_b64 vcc, exec, s[42:43]
	s_cbranch_vccz .LBB166_1095
; %bb.1093:
	s_cmp_eq_u32 s47, 11
	s_mov_b64 s[0:1], -1
	s_cbranch_scc0 .LBB166_1095
; %bb.1094:
	v_cmp_ne_u16_e32 vcc, 0, v4
	v_cndmask_b32_e64 v2, 0, 1, vcc
	s_mov_b64 s[40:41], -1
	s_mov_b64 s[0:1], 0
	global_store_byte v[0:1], v2, off
.LBB166_1095:
	s_mov_b64 s[42:43], 0
.LBB166_1096:
	s_and_b64 vcc, exec, s[42:43]
	s_cbranch_vccz .LBB166_1135
; %bb.1097:
	s_and_b32 s42, 0xffff, s46
	s_cmp_lt_i32 s42, 5
	s_mov_b64 s[40:41], -1
	s_cbranch_scc1 .LBB166_1118
; %bb.1098:
	s_cmp_lt_i32 s42, 8
	s_cbranch_scc1 .LBB166_1108
; %bb.1099:
	s_cmp_lt_i32 s42, 9
	s_cbranch_scc1 .LBB166_1105
; %bb.1100:
	s_cmp_gt_i32 s42, 9
	s_cbranch_scc0 .LBB166_1102
; %bb.1101:
	v_bfe_i32 v2, v4, 0, 16
	v_cvt_f64_i32_e32 v[5:6], v2
	v_mov_b32_e32 v7, 0
	v_mov_b32_e32 v8, v7
	s_mov_b64 s[40:41], 0
	global_store_dwordx4 v[0:1], v[5:8], off
.LBB166_1102:
	s_andn2_b64 vcc, exec, s[40:41]
	s_cbranch_vccnz .LBB166_1104
; %bb.1103:
	v_cvt_f32_i32_sdwa v2, sext(v4) dst_sel:DWORD dst_unused:UNUSED_PAD src0_sel:WORD_0
	v_mov_b32_e32 v3, 0
	global_store_dwordx2 v[0:1], v[2:3], off
.LBB166_1104:
	s_mov_b64 s[40:41], 0
.LBB166_1105:
	s_andn2_b64 vcc, exec, s[40:41]
	s_cbranch_vccnz .LBB166_1107
; %bb.1106:
	v_cvt_f16_i16_e32 v2, v4
	global_store_dword v[0:1], v2, off
.LBB166_1107:
	s_mov_b64 s[40:41], 0
.LBB166_1108:
	s_andn2_b64 vcc, exec, s[40:41]
	s_cbranch_vccnz .LBB166_1117
; %bb.1109:
	s_cmp_lt_i32 s42, 6
	s_mov_b64 s[40:41], -1
	s_cbranch_scc1 .LBB166_1115
; %bb.1110:
	s_cmp_gt_i32 s42, 6
	s_cbranch_scc0 .LBB166_1112
; %bb.1111:
	v_bfe_i32 v2, v4, 0, 16
	v_cvt_f64_i32_e32 v[2:3], v2
	s_mov_b64 s[40:41], 0
	global_store_dwordx2 v[0:1], v[2:3], off
.LBB166_1112:
	s_andn2_b64 vcc, exec, s[40:41]
	s_cbranch_vccnz .LBB166_1114
; %bb.1113:
	v_cvt_f32_i32_sdwa v2, sext(v4) dst_sel:DWORD dst_unused:UNUSED_PAD src0_sel:WORD_0
	global_store_dword v[0:1], v2, off
.LBB166_1114:
	s_mov_b64 s[40:41], 0
.LBB166_1115:
	s_andn2_b64 vcc, exec, s[40:41]
	s_cbranch_vccnz .LBB166_1117
; %bb.1116:
	v_cvt_f16_i16_e32 v2, v4
	global_store_short v[0:1], v2, off
.LBB166_1117:
	s_mov_b64 s[40:41], 0
.LBB166_1118:
	s_andn2_b64 vcc, exec, s[40:41]
	s_cbranch_vccnz .LBB166_1134
; %bb.1119:
	s_cmp_lt_i32 s42, 2
	s_mov_b64 s[40:41], -1
	s_cbranch_scc1 .LBB166_1129
; %bb.1120:
	s_cmp_lt_i32 s42, 3
	s_cbranch_scc1 .LBB166_1126
; %bb.1121:
	s_cmp_gt_i32 s42, 3
	v_bfe_i32 v2, v4, 0, 16
	s_cbranch_scc0 .LBB166_1123
; %bb.1122:
	v_ashrrev_i32_e32 v3, 31, v2
	s_mov_b64 s[40:41], 0
	global_store_dwordx2 v[0:1], v[2:3], off
.LBB166_1123:
	s_andn2_b64 vcc, exec, s[40:41]
	s_cbranch_vccnz .LBB166_1125
; %bb.1124:
	global_store_dword v[0:1], v2, off
.LBB166_1125:
	s_mov_b64 s[40:41], 0
.LBB166_1126:
	s_andn2_b64 vcc, exec, s[40:41]
	s_cbranch_vccnz .LBB166_1128
; %bb.1127:
	global_store_short v[0:1], v4, off
.LBB166_1128:
	s_mov_b64 s[40:41], 0
.LBB166_1129:
	s_andn2_b64 vcc, exec, s[40:41]
	s_cbranch_vccnz .LBB166_1134
; %bb.1130:
	s_cmp_gt_i32 s42, 0
	s_mov_b64 s[40:41], -1
	s_cbranch_scc0 .LBB166_1132
; %bb.1131:
	s_mov_b64 s[40:41], 0
	global_store_byte v[0:1], v4, off
.LBB166_1132:
	s_andn2_b64 vcc, exec, s[40:41]
	s_cbranch_vccnz .LBB166_1134
; %bb.1133:
	global_store_byte v[0:1], v4, off
.LBB166_1134:
	s_mov_b64 s[40:41], -1
.LBB166_1135:
	s_andn2_b64 vcc, exec, s[40:41]
	s_cbranch_vccnz .LBB166_1148
; %bb.1136:
	v_add_u32_e32 v14, 0x80, v14
	s_mov_b64 s[42:43], -1
.LBB166_1137:
	s_andn2_b64 s[40:41], s[28:29], exec
	s_and_b64 s[0:1], s[0:1], exec
	s_or_b64 s[40:41], s[40:41], s[0:1]
	s_andn2_b64 s[0:1], s[26:27], exec
	s_and_b64 s[38:39], s[38:39], exec
	s_or_b64 s[38:39], s[0:1], s[38:39]
	;; [unrolled: 3-line block ×3, first 2 shown]
	s_orn2_b64 s[46:47], s[42:43], exec
.LBB166_1138:
	s_or_b64 exec, exec, s[34:35]
	s_mov_b64 s[42:43], 0
	s_mov_b64 s[36:37], 0
	;; [unrolled: 1-line block ×3, first 2 shown]
                                        ; implicit-def: $sgpr55
                                        ; implicit-def: $vgpr2_vgpr3
                                        ; implicit-def: $vgpr0
	s_and_saveexec_b64 s[34:35], s[46:47]
	s_cbranch_execz .LBB166_1218
; %bb.1139:
	v_cmp_gt_i32_e32 vcc, s48, v14
	s_mov_b64 s[46:47], 0
	s_mov_b64 s[48:49], s[0:1]
	;; [unrolled: 1-line block ×4, first 2 shown]
                                        ; implicit-def: $sgpr55
                                        ; implicit-def: $vgpr2_vgpr3
                                        ; implicit-def: $vgpr0
	s_and_saveexec_b64 s[36:37], vcc
	s_cbranch_execz .LBB166_1217
; %bb.1140:
	s_waitcnt vmcnt(0)
	v_mul_lo_u32 v0, v14, s13
	v_mov_b32_e32 v1, s11
	s_and_b32 s55, s54, 0xff
	s_cmp_lt_i32 s55, 11
	v_ashrrev_i32_e32 v3, 31, v0
	v_add_co_u32_e32 v2, vcc, s10, v0
	v_addc_co_u32_e32 v3, vcc, v1, v3, vcc
	s_cbranch_scc1 .LBB166_1147
; %bb.1141:
	s_and_b32 s50, 0xffff, s55
	s_cmp_gt_i32 s50, 25
	s_cbranch_scc0 .LBB166_1149
; %bb.1142:
	s_cmp_gt_i32 s50, 28
	s_cbranch_scc0 .LBB166_1150
; %bb.1143:
	;; [unrolled: 3-line block ×4, first 2 shown]
	s_cmp_eq_u32 s50, 46
	s_mov_b64 s[48:49], 0
	s_cbranch_scc0 .LBB166_1155
; %bb.1146:
	global_load_dword v0, v[2:3], off
	s_mov_b64 s[46:47], -1
	s_waitcnt vmcnt(0)
	v_lshlrev_b32_e32 v0, 16, v0
	v_cvt_i32_f32_e32 v0, v0
	s_branch .LBB166_1157
.LBB166_1147:
	s_mov_b64 s[48:49], -1
                                        ; implicit-def: $vgpr0
	s_mov_b64 s[42:43], s[0:1]
	s_branch .LBB166_1216
.LBB166_1148:
	s_mov_b64 s[42:43], 0
	s_branch .LBB166_894
.LBB166_1149:
	s_mov_b64 s[48:49], -1
	s_mov_b64 s[42:43], s[0:1]
                                        ; implicit-def: $vgpr0
	s_branch .LBB166_1184
.LBB166_1150:
	s_mov_b64 s[48:49], -1
	s_mov_b64 s[42:43], s[0:1]
                                        ; implicit-def: $vgpr0
	s_branch .LBB166_1167
.LBB166_1151:
	s_mov_b64 s[48:49], -1
	s_mov_b64 s[42:43], s[0:1]
                                        ; implicit-def: $vgpr0
	s_branch .LBB166_1162
.LBB166_1152:
	s_mov_b64 s[48:49], -1
	s_mov_b64 s[42:43], s[0:1]
	s_branch .LBB166_1156
.LBB166_1153:
	s_andn2_saveexec_b64 s[44:45], s[44:45]
	s_cbranch_execz .LBB166_1048
.LBB166_1154:
	s_mov_b32 s49, 0x46000000
	v_add_f32_e64 v3, |v2|, s49
	v_and_b32_e32 v3, 0xff, v3
	v_cmp_ne_u32_e32 vcc, 0, v3
	s_andn2_b64 s[42:43], s[42:43], exec
	s_and_b64 s[50:51], vcc, exec
	s_or_b64 s[42:43], s[42:43], s[50:51]
	s_or_b64 exec, exec, s[44:45]
	v_mov_b32_e32 v5, 0
	s_and_saveexec_b64 s[44:45], s[42:43]
	s_cbranch_execnz .LBB166_1049
	s_branch .LBB166_1050
.LBB166_1155:
	s_mov_b64 s[42:43], -1
.LBB166_1156:
                                        ; implicit-def: $vgpr0
.LBB166_1157:
	s_and_b64 vcc, exec, s[48:49]
	s_cbranch_vccz .LBB166_1161
; %bb.1158:
	s_cmp_eq_u32 s50, 44
	s_cbranch_scc0 .LBB166_1160
; %bb.1159:
	global_load_ubyte v0, v[2:3], off
	s_mov_b64 s[42:43], 0
	s_mov_b64 s[46:47], -1
	s_waitcnt vmcnt(0)
	v_lshlrev_b32_e32 v1, 23, v0
	v_cvt_i32_f32_e32 v1, v1
	v_cmp_ne_u32_e32 vcc, 0, v0
	v_cndmask_b32_e32 v0, 0, v1, vcc
	s_branch .LBB166_1161
.LBB166_1160:
	s_mov_b64 s[42:43], -1
                                        ; implicit-def: $vgpr0
.LBB166_1161:
	s_mov_b64 s[48:49], 0
.LBB166_1162:
	s_and_b64 vcc, exec, s[48:49]
	s_cbranch_vccz .LBB166_1166
; %bb.1163:
	s_cmp_eq_u32 s50, 29
	s_cbranch_scc0 .LBB166_1165
; %bb.1164:
	global_load_dwordx2 v[0:1], v[2:3], off
	s_mov_b64 s[42:43], 0
	s_mov_b64 s[46:47], -1
	s_branch .LBB166_1166
.LBB166_1165:
	s_mov_b64 s[42:43], -1
                                        ; implicit-def: $vgpr0
.LBB166_1166:
	s_mov_b64 s[48:49], 0
.LBB166_1167:
	s_and_b64 vcc, exec, s[48:49]
	s_cbranch_vccz .LBB166_1183
; %bb.1168:
	s_cmp_lt_i32 s50, 27
	s_cbranch_scc1 .LBB166_1171
; %bb.1169:
	s_cmp_gt_i32 s50, 27
	s_cbranch_scc0 .LBB166_1172
; %bb.1170:
	global_load_dword v0, v[2:3], off
	s_mov_b64 s[46:47], 0
	s_branch .LBB166_1173
.LBB166_1171:
	s_mov_b64 s[46:47], -1
                                        ; implicit-def: $vgpr0
	s_branch .LBB166_1176
.LBB166_1172:
	s_mov_b64 s[46:47], -1
                                        ; implicit-def: $vgpr0
.LBB166_1173:
	s_andn2_b64 vcc, exec, s[46:47]
	s_cbranch_vccnz .LBB166_1175
; %bb.1174:
	global_load_ushort v0, v[2:3], off
.LBB166_1175:
	s_mov_b64 s[46:47], 0
.LBB166_1176:
	s_andn2_b64 vcc, exec, s[46:47]
	s_cbranch_vccnz .LBB166_1182
; %bb.1177:
	global_load_ubyte v1, v[2:3], off
	s_movk_i32 s46, 0x7f
	s_mov_b64 s[48:49], 0
	s_waitcnt vmcnt(0)
	v_cmp_lt_i16_e32 vcc, s46, v1
	s_and_saveexec_b64 s[46:47], vcc
	s_xor_b64 s[46:47], exec, s[46:47]
	s_cbranch_execz .LBB166_1194
; %bb.1178:
	s_movk_i32 s48, 0x80
	v_cmp_ne_u16_e32 vcc, s48, v1
	s_and_b64 s[48:49], vcc, exec
	s_andn2_saveexec_b64 s[46:47], s[46:47]
	s_cbranch_execnz .LBB166_1195
.LBB166_1179:
	s_or_b64 exec, exec, s[46:47]
	v_mov_b32_e32 v0, 0
	s_and_saveexec_b64 s[46:47], s[48:49]
	s_cbranch_execz .LBB166_1181
.LBB166_1180:
	v_lshlrev_b32_e32 v0, 24, v1
	v_and_b32_e32 v1, 0xffff, v1
	v_and_b32_e32 v4, 7, v1
	v_ffbh_u32_e32 v6, v4
	v_min_u32_e32 v6, 32, v6
	v_subrev_u32_e32 v7, 28, v6
	v_bfe_u32 v5, v1, 3, 4
	v_lshlrev_b32_e32 v1, v7, v1
	v_sub_u32_e32 v6, 29, v6
	v_and_b32_e32 v1, 7, v1
	v_cmp_eq_u32_e32 vcc, 0, v5
	v_cndmask_b32_e32 v5, v5, v6, vcc
	v_cndmask_b32_e32 v1, v4, v1, vcc
	v_mov_b32_e32 v4, 0x3b800000
	v_lshlrev_b32_e32 v1, 20, v1
	v_and_b32_e32 v0, 0x80000000, v0
	v_lshl_add_u32 v4, v5, 23, v4
	v_or3_b32 v0, v0, v4, v1
	v_cvt_i32_f32_e32 v0, v0
.LBB166_1181:
	s_or_b64 exec, exec, s[46:47]
.LBB166_1182:
	s_mov_b64 s[46:47], -1
.LBB166_1183:
	s_mov_b64 s[48:49], 0
.LBB166_1184:
	s_and_b64 vcc, exec, s[48:49]
	s_cbranch_vccz .LBB166_1215
; %bb.1185:
	s_cmp_gt_i32 s50, 22
	s_cbranch_scc0 .LBB166_1193
; %bb.1186:
	s_cmp_lt_i32 s50, 24
	s_cbranch_scc1 .LBB166_1196
; %bb.1187:
	s_cmp_gt_i32 s50, 24
	s_cbranch_scc0 .LBB166_1197
; %bb.1188:
	global_load_ubyte v1, v[2:3], off
	s_movk_i32 s44, 0x7f
	s_mov_b64 s[46:47], 0
	s_waitcnt vmcnt(0)
	v_cmp_lt_i16_e32 vcc, s44, v1
	s_and_saveexec_b64 s[44:45], vcc
	s_xor_b64 s[44:45], exec, s[44:45]
	s_cbranch_execz .LBB166_1209
; %bb.1189:
	s_movk_i32 s46, 0x80
	v_cmp_ne_u16_e32 vcc, s46, v1
	s_and_b64 s[46:47], vcc, exec
	s_andn2_saveexec_b64 s[44:45], s[44:45]
	s_cbranch_execnz .LBB166_1210
.LBB166_1190:
	s_or_b64 exec, exec, s[44:45]
	v_mov_b32_e32 v0, 0
	s_and_saveexec_b64 s[44:45], s[46:47]
	s_cbranch_execz .LBB166_1192
.LBB166_1191:
	v_lshlrev_b32_e32 v0, 24, v1
	v_and_b32_e32 v1, 0xffff, v1
	v_and_b32_e32 v4, 3, v1
	v_ffbh_u32_e32 v6, v4
	v_min_u32_e32 v6, 32, v6
	v_subrev_u32_e32 v7, 29, v6
	v_bfe_u32 v5, v1, 2, 5
	v_lshlrev_b32_e32 v1, v7, v1
	v_sub_u32_e32 v6, 30, v6
	v_and_b32_e32 v1, 3, v1
	v_cmp_eq_u32_e32 vcc, 0, v5
	v_cndmask_b32_e32 v5, v5, v6, vcc
	v_cndmask_b32_e32 v1, v4, v1, vcc
	v_mov_b32_e32 v4, 0x37800000
	v_lshlrev_b32_e32 v1, 21, v1
	v_and_b32_e32 v0, 0x80000000, v0
	v_lshl_add_u32 v4, v5, 23, v4
	v_or3_b32 v0, v0, v4, v1
	v_cvt_i32_f32_e32 v0, v0
.LBB166_1192:
	s_or_b64 exec, exec, s[44:45]
	s_mov_b64 s[44:45], 0
	s_branch .LBB166_1198
.LBB166_1193:
	s_mov_b64 s[44:45], -1
                                        ; implicit-def: $vgpr0
	s_branch .LBB166_1204
.LBB166_1194:
	s_andn2_saveexec_b64 s[46:47], s[46:47]
	s_cbranch_execz .LBB166_1179
.LBB166_1195:
	v_cmp_ne_u16_e32 vcc, 0, v1
	s_andn2_b64 s[48:49], s[48:49], exec
	s_and_b64 s[52:53], vcc, exec
	s_or_b64 s[48:49], s[48:49], s[52:53]
	s_or_b64 exec, exec, s[46:47]
	v_mov_b32_e32 v0, 0
	s_and_saveexec_b64 s[46:47], s[48:49]
	s_cbranch_execnz .LBB166_1180
	s_branch .LBB166_1181
.LBB166_1196:
	s_mov_b64 s[44:45], -1
                                        ; implicit-def: $vgpr0
	s_branch .LBB166_1201
.LBB166_1197:
	s_mov_b64 s[44:45], -1
                                        ; implicit-def: $vgpr0
.LBB166_1198:
	s_and_b64 vcc, exec, s[44:45]
	s_cbranch_vccz .LBB166_1200
; %bb.1199:
	global_load_ubyte v0, v[2:3], off
	s_mov_b32 s44, 0x7f800000
	s_waitcnt vmcnt(0)
	v_lshlrev_b32_e32 v0, 24, v0
	v_and_b32_e32 v1, 0x7f000000, v0
	v_ffbh_u32_e32 v4, v1
	v_min_u32_e32 v4, 32, v4
	v_sub_u32_e64 v4, v4, 4 clamp
	v_lshlrev_b32_e32 v6, v4, v1
	v_lshlrev_b32_e32 v4, 23, v4
	v_lshrrev_b32_e32 v6, 4, v6
	v_add_u32_e32 v5, 0x1000000, v1
	v_sub_u32_e32 v4, v6, v4
	v_ashrrev_i32_e32 v5, 8, v5
	v_add_u32_e32 v4, 0x3c000000, v4
	v_and_or_b32 v4, v5, s44, v4
	v_cmp_ne_u32_e32 vcc, 0, v1
	v_cndmask_b32_e32 v1, 0, v4, vcc
	s_brev_b32 s44, 1
	v_and_or_b32 v0, v0, s44, v1
	v_cvt_i32_f32_e32 v0, v0
.LBB166_1200:
	s_mov_b64 s[44:45], 0
.LBB166_1201:
	s_andn2_b64 vcc, exec, s[44:45]
	s_cbranch_vccnz .LBB166_1203
; %bb.1202:
	global_load_ubyte v0, v[2:3], off
	s_movk_i32 s44, 0x7f00
	s_brev_b32 s45, 16
	s_waitcnt vmcnt(0)
	v_lshlrev_b16_e32 v1, 8, v0
	v_lshlrev_b32_e32 v0, 25, v0
	v_lshrrev_b32_e32 v4, 4, v0
	v_and_or_b32 v5, v1, s44, 0.5
	v_or_b32_e32 v4, 0x70000000, v4
	v_add_f32_e32 v5, -0.5, v5
	v_mul_f32_e32 v4, 0x7800000, v4
	v_cmp_gt_u32_e32 vcc, s45, v0
	v_bfe_i32 v1, v1, 0, 16
	v_cndmask_b32_e32 v0, v4, v5, vcc
	s_brev_b32 s44, 1
	v_and_or_b32 v0, v1, s44, v0
	v_cvt_i32_f32_e32 v0, v0
.LBB166_1203:
	s_mov_b64 s[44:45], 0
	s_mov_b64 s[46:47], -1
.LBB166_1204:
	s_andn2_b64 vcc, exec, s[44:45]
	s_mov_b64 s[44:45], 0
	s_cbranch_vccnz .LBB166_1215
; %bb.1205:
	s_cmp_gt_i32 s50, 14
	s_cbranch_scc0 .LBB166_1208
; %bb.1206:
	s_cmp_eq_u32 s50, 15
	s_cbranch_scc0 .LBB166_1211
; %bb.1207:
	global_load_ushort v0, v[2:3], off
	s_mov_b64 s[42:43], 0
	s_mov_b64 s[46:47], -1
	s_waitcnt vmcnt(0)
	v_lshlrev_b32_e32 v0, 16, v0
	v_cvt_i32_f32_e32 v0, v0
	s_branch .LBB166_1212
.LBB166_1208:
	s_mov_b64 s[48:49], -1
                                        ; implicit-def: $vgpr0
	s_branch .LBB166_1213
.LBB166_1209:
	s_andn2_saveexec_b64 s[44:45], s[44:45]
	s_cbranch_execz .LBB166_1190
.LBB166_1210:
	v_cmp_ne_u16_e32 vcc, 0, v1
	s_andn2_b64 s[46:47], s[46:47], exec
	s_and_b64 s[48:49], vcc, exec
	s_or_b64 s[46:47], s[46:47], s[48:49]
	s_or_b64 exec, exec, s[44:45]
	v_mov_b32_e32 v0, 0
	s_and_saveexec_b64 s[44:45], s[46:47]
	s_cbranch_execnz .LBB166_1191
	s_branch .LBB166_1192
.LBB166_1211:
	s_mov_b64 s[42:43], -1
                                        ; implicit-def: $vgpr0
.LBB166_1212:
	s_mov_b64 s[48:49], 0
.LBB166_1213:
	s_and_b64 vcc, exec, s[48:49]
	s_cbranch_vccz .LBB166_1215
; %bb.1214:
	s_cmp_lg_u32 s50, 11
	s_cselect_b64 s[48:49], -1, 0
	s_andn2_b64 s[42:43], s[42:43], exec
	s_and_b64 s[48:49], s[48:49], exec
	s_mov_b64 s[44:45], -1
	s_or_b64 s[42:43], s[42:43], s[48:49]
.LBB166_1215:
	s_mov_b64 s[48:49], 0
.LBB166_1216:
	s_and_b64 s[52:53], s[46:47], exec
	s_and_b64 s[46:47], s[44:45], exec
	s_andn2_b64 s[44:45], s[0:1], exec
	s_and_b64 s[42:43], s[42:43], exec
	s_and_b64 s[50:51], s[48:49], exec
	s_or_b64 s[48:49], s[44:45], s[42:43]
.LBB166_1217:
	s_or_b64 exec, exec, s[36:37]
	s_and_b64 s[42:43], s[46:47], exec
	s_andn2_b64 s[0:1], s[0:1], exec
	s_and_b64 s[46:47], s[48:49], exec
	s_and_b64 s[44:45], s[52:53], exec
	;; [unrolled: 1-line block ×3, first 2 shown]
	s_or_b64 s[0:1], s[0:1], s[46:47]
.LBB166_1218:
	s_or_b64 exec, exec, s[34:35]
	s_andn2_b64 s[28:29], s[28:29], exec
	s_and_b64 s[34:35], s[40:41], exec
	s_or_b64 s[28:29], s[28:29], s[34:35]
	s_andn2_b64 s[26:27], s[26:27], exec
	s_and_b64 s[34:35], s[38:39], exec
	s_andn2_b64 s[24:25], s[24:25], exec
	s_and_b64 s[0:1], s[0:1], exec
	s_or_b64 s[26:27], s[26:27], s[34:35]
	s_and_b64 s[38:39], s[44:45], exec
	s_and_b64 s[36:37], s[36:37], exec
	;; [unrolled: 1-line block ×3, first 2 shown]
	s_or_b64 s[24:25], s[24:25], s[0:1]
.LBB166_1219:
	s_or_b64 exec, exec, s[30:31]
	s_andn2_b64 s[0:1], s[6:7], exec
	s_and_b64 s[6:7], s[28:29], exec
	s_or_b64 s[6:7], s[0:1], s[6:7]
	s_andn2_b64 s[0:1], s[18:19], exec
	s_and_b64 s[18:19], s[26:27], exec
	s_or_b64 s[18:19], s[0:1], s[18:19]
	s_andn2_b64 s[0:1], s[20:21], exec
	s_and_b64 s[20:21], s[24:25], exec
	s_and_b64 s[28:29], s[38:39], exec
	s_and_b64 s[30:31], s[36:37], exec
	s_and_b64 s[26:27], s[34:35], exec
	s_or_b64 s[20:21], s[0:1], s[20:21]
	s_or_b64 exec, exec, s[22:23]
	s_mov_b64 s[22:23], 0
	s_and_saveexec_b64 s[0:1], s[20:21]
	s_cbranch_execz .LBB166_385
.LBB166_1220:
	s_mov_b64 s[22:23], exec
	s_andn2_b64 s[26:27], s[26:27], exec
	s_trap 2
	s_or_b64 exec, exec, s[0:1]
	s_and_saveexec_b64 s[0:1], s[26:27]
	s_xor_b64 s[0:1], exec, s[0:1]
	s_cbranch_execnz .LBB166_386
.LBB166_1221:
	s_or_b64 exec, exec, s[0:1]
	s_and_saveexec_b64 s[0:1], s[30:31]
	s_cbranch_execz .LBB166_1267
.LBB166_1222:
	s_sext_i32_i16 s20, s55
	s_cmp_lt_i32 s20, 5
	s_cbranch_scc1 .LBB166_1227
; %bb.1223:
	s_cmp_lt_i32 s20, 8
	s_cbranch_scc1 .LBB166_1228
; %bb.1224:
	;; [unrolled: 3-line block ×3, first 2 shown]
	s_cmp_gt_i32 s20, 9
	s_cbranch_scc0 .LBB166_1230
; %bb.1226:
	s_waitcnt vmcnt(0)
	global_load_dwordx2 v[0:1], v[2:3], off
	s_mov_b64 s[20:21], 0
	s_waitcnt vmcnt(0)
	v_cvt_i32_f64_e32 v0, v[0:1]
	s_branch .LBB166_1231
.LBB166_1227:
                                        ; implicit-def: $vgpr0
	s_branch .LBB166_1248
.LBB166_1228:
                                        ; implicit-def: $vgpr0
	s_branch .LBB166_1237
.LBB166_1229:
	s_mov_b64 s[20:21], -1
                                        ; implicit-def: $vgpr0
	s_branch .LBB166_1234
.LBB166_1230:
	s_mov_b64 s[20:21], -1
                                        ; implicit-def: $vgpr0
.LBB166_1231:
	s_andn2_b64 vcc, exec, s[20:21]
	s_cbranch_vccnz .LBB166_1233
; %bb.1232:
	s_waitcnt vmcnt(0)
	global_load_dword v0, v[2:3], off
	s_waitcnt vmcnt(0)
	v_cvt_i32_f32_e32 v0, v0
.LBB166_1233:
	s_mov_b64 s[20:21], 0
.LBB166_1234:
	s_andn2_b64 vcc, exec, s[20:21]
	s_cbranch_vccnz .LBB166_1236
; %bb.1235:
	s_waitcnt vmcnt(0)
	global_load_dword v0, v[2:3], off
	s_waitcnt vmcnt(0)
	v_cvt_i16_f16_e32 v0, v0
.LBB166_1236:
	s_cbranch_execnz .LBB166_1247
.LBB166_1237:
	s_sext_i32_i16 s20, s55
	s_cmp_lt_i32 s20, 6
	s_cbranch_scc1 .LBB166_1240
; %bb.1238:
	s_cmp_gt_i32 s20, 6
	s_cbranch_scc0 .LBB166_1241
; %bb.1239:
	s_waitcnt vmcnt(0)
	global_load_dwordx2 v[0:1], v[2:3], off
	s_mov_b64 s[20:21], 0
	s_waitcnt vmcnt(0)
	v_cvt_i32_f64_e32 v0, v[0:1]
	s_branch .LBB166_1242
.LBB166_1240:
	s_mov_b64 s[20:21], -1
                                        ; implicit-def: $vgpr0
	s_branch .LBB166_1245
.LBB166_1241:
	s_mov_b64 s[20:21], -1
                                        ; implicit-def: $vgpr0
.LBB166_1242:
	s_andn2_b64 vcc, exec, s[20:21]
	s_cbranch_vccnz .LBB166_1244
; %bb.1243:
	s_waitcnt vmcnt(0)
	global_load_dword v0, v[2:3], off
	s_waitcnt vmcnt(0)
	v_cvt_i32_f32_e32 v0, v0
.LBB166_1244:
	s_mov_b64 s[20:21], 0
.LBB166_1245:
	s_andn2_b64 vcc, exec, s[20:21]
	s_cbranch_vccnz .LBB166_1247
; %bb.1246:
	s_waitcnt vmcnt(0)
	global_load_ushort v0, v[2:3], off
	s_waitcnt vmcnt(0)
	v_cvt_i16_f16_e32 v0, v0
.LBB166_1247:
	s_cbranch_execnz .LBB166_1266
.LBB166_1248:
	s_sext_i32_i16 s20, s55
	s_cmp_lt_i32 s20, 2
	s_cbranch_scc1 .LBB166_1252
; %bb.1249:
	s_cmp_lt_i32 s20, 3
	s_cbranch_scc1 .LBB166_1253
; %bb.1250:
	s_cmp_gt_i32 s20, 3
	s_cbranch_scc0 .LBB166_1254
; %bb.1251:
	s_waitcnt vmcnt(0)
	global_load_dwordx2 v[0:1], v[2:3], off
	s_mov_b64 s[20:21], 0
	s_branch .LBB166_1255
.LBB166_1252:
                                        ; implicit-def: $vgpr0
	s_branch .LBB166_1261
.LBB166_1253:
	s_mov_b64 s[20:21], -1
                                        ; implicit-def: $vgpr0
	s_branch .LBB166_1258
.LBB166_1254:
	s_mov_b64 s[20:21], -1
                                        ; implicit-def: $vgpr0
.LBB166_1255:
	s_andn2_b64 vcc, exec, s[20:21]
	s_cbranch_vccnz .LBB166_1257
; %bb.1256:
	s_waitcnt vmcnt(0)
	global_load_dword v0, v[2:3], off
.LBB166_1257:
	s_mov_b64 s[20:21], 0
.LBB166_1258:
	s_andn2_b64 vcc, exec, s[20:21]
	s_cbranch_vccnz .LBB166_1260
; %bb.1259:
	s_waitcnt vmcnt(0)
	global_load_ushort v0, v[2:3], off
.LBB166_1260:
	s_cbranch_execnz .LBB166_1266
.LBB166_1261:
	s_sext_i32_i16 s20, s55
	s_cmp_gt_i32 s20, 0
	s_cbranch_scc0 .LBB166_1263
; %bb.1262:
	s_waitcnt vmcnt(0)
	global_load_ubyte v0, v[2:3], off
	s_mov_b64 s[20:21], 0
	s_branch .LBB166_1264
.LBB166_1263:
	s_mov_b64 s[20:21], -1
                                        ; implicit-def: $vgpr0
.LBB166_1264:
	s_andn2_b64 vcc, exec, s[20:21]
	s_cbranch_vccnz .LBB166_1266
; %bb.1265:
	s_waitcnt vmcnt(0)
	global_load_ubyte v0, v[2:3], off
.LBB166_1266:
	s_or_b64 s[28:29], s[28:29], exec
.LBB166_1267:
	s_or_b64 exec, exec, s[0:1]
	s_mov_b64 s[26:27], 0
	s_mov_b64 s[30:31], 0
	;; [unrolled: 1-line block ×3, first 2 shown]
                                        ; implicit-def: $sgpr34
                                        ; implicit-def: $vgpr1_vgpr2
                                        ; implicit-def: $vgpr3
	s_and_saveexec_b64 s[0:1], s[28:29]
	s_cbranch_execz .LBB166_1275
; %bb.1268:
	s_waitcnt vmcnt(0)
	v_mul_lo_u32 v1, v14, s14
	v_mov_b32_e32 v2, s3
	s_and_b32 s34, s15, 0xff
	s_cmp_lt_i32 s34, 11
	v_ashrrev_i32_e32 v3, 31, v1
	v_add_co_u32_e32 v1, vcc, s2, v1
	v_addc_co_u32_e32 v2, vcc, v2, v3, vcc
	s_cbranch_scc1 .LBB166_1278
; %bb.1269:
	s_and_b32 s30, 0xffff, s34
	s_cmp_gt_i32 s30, 25
	s_cbranch_scc0 .LBB166_1279
; %bb.1270:
	s_cmp_gt_i32 s30, 28
	s_cbranch_scc0 .LBB166_1280
; %bb.1271:
	;; [unrolled: 3-line block ×4, first 2 shown]
	s_cmp_eq_u32 s30, 46
	s_mov_b64 s[28:29], 0
	s_cbranch_scc0 .LBB166_1283
; %bb.1274:
	global_load_dword v3, v[1:2], off
	s_mov_b64 s[20:21], 0
	s_mov_b64 s[24:25], -1
	s_waitcnt vmcnt(0)
	v_lshlrev_b32_e32 v3, 16, v3
	v_cvt_i32_f32_e32 v3, v3
	s_branch .LBB166_1285
.LBB166_1275:
	s_or_b64 exec, exec, s[0:1]
	s_and_saveexec_b64 s[0:1], s[18:19]
	s_cbranch_execnz .LBB166_1344
.LBB166_1276:
	s_or_b64 exec, exec, s[0:1]
	s_and_saveexec_b64 s[0:1], s[26:27]
	s_xor_b64 s[0:1], exec, s[0:1]
	s_cbranch_execz .LBB166_1345
.LBB166_1277:
	s_waitcnt vmcnt(0)
	global_load_ubyte v3, v[1:2], off
	s_or_b64 s[24:25], s[24:25], exec
	s_waitcnt vmcnt(0)
	v_cmp_ne_u16_e32 vcc, 0, v3
	v_cndmask_b32_e64 v3, 0, 1, vcc
	s_or_b64 exec, exec, s[0:1]
	s_and_saveexec_b64 s[0:1], s[30:31]
	s_cbranch_execz .LBB166_1391
	s_branch .LBB166_1346
.LBB166_1278:
	s_mov_b64 s[28:29], -1
                                        ; implicit-def: $vgpr3
	s_mov_b64 s[20:21], s[18:19]
	s_branch .LBB166_1343
.LBB166_1279:
	s_mov_b64 s[20:21], s[18:19]
                                        ; implicit-def: $vgpr3
	s_cbranch_execnz .LBB166_1312
	s_branch .LBB166_1342
.LBB166_1280:
	s_mov_b64 s[28:29], -1
	s_mov_b64 s[20:21], s[18:19]
                                        ; implicit-def: $vgpr3
	s_branch .LBB166_1295
.LBB166_1281:
	s_mov_b64 s[28:29], -1
	s_mov_b64 s[20:21], s[18:19]
                                        ; implicit-def: $vgpr3
	s_branch .LBB166_1290
.LBB166_1282:
	s_mov_b64 s[28:29], -1
	s_mov_b64 s[20:21], s[18:19]
	s_branch .LBB166_1284
.LBB166_1283:
	s_mov_b64 s[20:21], -1
.LBB166_1284:
                                        ; implicit-def: $vgpr3
.LBB166_1285:
	s_and_b64 vcc, exec, s[28:29]
	s_cbranch_vccz .LBB166_1289
; %bb.1286:
	s_cmp_eq_u32 s30, 44
	s_cbranch_scc0 .LBB166_1288
; %bb.1287:
	global_load_ubyte v3, v[1:2], off
	s_mov_b64 s[20:21], 0
	s_mov_b64 s[24:25], -1
	s_waitcnt vmcnt(0)
	v_lshlrev_b32_e32 v4, 23, v3
	v_cvt_i32_f32_e32 v4, v4
	v_cmp_ne_u32_e32 vcc, 0, v3
	v_cndmask_b32_e32 v3, 0, v4, vcc
	s_branch .LBB166_1289
.LBB166_1288:
	s_mov_b64 s[20:21], -1
                                        ; implicit-def: $vgpr3
.LBB166_1289:
	s_mov_b64 s[28:29], 0
.LBB166_1290:
	s_and_b64 vcc, exec, s[28:29]
	s_cbranch_vccz .LBB166_1294
; %bb.1291:
	s_cmp_eq_u32 s30, 29
	s_cbranch_scc0 .LBB166_1293
; %bb.1292:
	global_load_dwordx2 v[3:4], v[1:2], off
	s_mov_b64 s[20:21], 0
	s_mov_b64 s[24:25], -1
	s_branch .LBB166_1294
.LBB166_1293:
	s_mov_b64 s[20:21], -1
                                        ; implicit-def: $vgpr3
.LBB166_1294:
	s_mov_b64 s[28:29], 0
.LBB166_1295:
	s_and_b64 vcc, exec, s[28:29]
	s_cbranch_vccz .LBB166_1311
; %bb.1296:
	s_cmp_lt_i32 s30, 27
	s_cbranch_scc1 .LBB166_1299
; %bb.1297:
	s_cmp_gt_i32 s30, 27
	s_cbranch_scc0 .LBB166_1300
; %bb.1298:
	global_load_dword v3, v[1:2], off
	s_mov_b64 s[24:25], 0
	s_branch .LBB166_1301
.LBB166_1299:
	s_mov_b64 s[24:25], -1
                                        ; implicit-def: $vgpr3
	s_branch .LBB166_1304
.LBB166_1300:
	s_mov_b64 s[24:25], -1
                                        ; implicit-def: $vgpr3
.LBB166_1301:
	s_andn2_b64 vcc, exec, s[24:25]
	s_cbranch_vccnz .LBB166_1303
; %bb.1302:
	global_load_ushort v3, v[1:2], off
.LBB166_1303:
	s_mov_b64 s[24:25], 0
.LBB166_1304:
	s_andn2_b64 vcc, exec, s[24:25]
	s_cbranch_vccnz .LBB166_1310
; %bb.1305:
	global_load_ubyte v4, v[1:2], off
	s_movk_i32 s24, 0x7f
	s_mov_b64 s[28:29], 0
	s_waitcnt vmcnt(0)
	v_cmp_lt_i16_e32 vcc, s24, v4
	s_and_saveexec_b64 s[24:25], vcc
	s_xor_b64 s[24:25], exec, s[24:25]
	s_cbranch_execz .LBB166_1321
; %bb.1306:
	s_movk_i32 s28, 0x80
	v_cmp_ne_u16_e32 vcc, s28, v4
	s_and_b64 s[28:29], vcc, exec
	s_andn2_saveexec_b64 s[24:25], s[24:25]
	s_cbranch_execnz .LBB166_1322
.LBB166_1307:
	s_or_b64 exec, exec, s[24:25]
	v_mov_b32_e32 v3, 0
	s_and_saveexec_b64 s[24:25], s[28:29]
	s_cbranch_execz .LBB166_1309
.LBB166_1308:
	v_lshlrev_b32_e32 v3, 24, v4
	v_and_b32_e32 v4, 0xffff, v4
	v_and_b32_e32 v5, 7, v4
	v_ffbh_u32_e32 v7, v5
	v_min_u32_e32 v7, 32, v7
	v_subrev_u32_e32 v8, 28, v7
	v_bfe_u32 v6, v4, 3, 4
	v_lshlrev_b32_e32 v4, v8, v4
	v_sub_u32_e32 v7, 29, v7
	v_and_b32_e32 v4, 7, v4
	v_cmp_eq_u32_e32 vcc, 0, v6
	v_cndmask_b32_e32 v6, v6, v7, vcc
	v_cndmask_b32_e32 v4, v5, v4, vcc
	v_mov_b32_e32 v5, 0x3b800000
	v_lshlrev_b32_e32 v4, 20, v4
	v_and_b32_e32 v3, 0x80000000, v3
	v_lshl_add_u32 v5, v6, 23, v5
	v_or3_b32 v3, v3, v5, v4
	v_cvt_i32_f32_e32 v3, v3
.LBB166_1309:
	s_or_b64 exec, exec, s[24:25]
.LBB166_1310:
	s_mov_b64 s[24:25], -1
.LBB166_1311:
	s_branch .LBB166_1342
.LBB166_1312:
	s_cmp_gt_i32 s30, 22
	s_cbranch_scc0 .LBB166_1320
; %bb.1313:
	s_cmp_lt_i32 s30, 24
	s_cbranch_scc1 .LBB166_1323
; %bb.1314:
	s_cmp_gt_i32 s30, 24
	s_cbranch_scc0 .LBB166_1324
; %bb.1315:
	global_load_ubyte v4, v[1:2], off
	s_movk_i32 s24, 0x7f
	s_waitcnt vmcnt(0)
	v_cmp_lt_i16_e32 vcc, s24, v4
	s_and_saveexec_b64 s[24:25], vcc
	s_xor_b64 s[24:25], exec, s[24:25]
	s_cbranch_execz .LBB166_1336
; %bb.1316:
	s_movk_i32 s26, 0x80
	v_cmp_ne_u16_e32 vcc, s26, v4
	s_and_b64 s[26:27], vcc, exec
	s_andn2_saveexec_b64 s[24:25], s[24:25]
	s_cbranch_execnz .LBB166_1337
.LBB166_1317:
	s_or_b64 exec, exec, s[24:25]
	v_mov_b32_e32 v3, 0
	s_and_saveexec_b64 s[24:25], s[26:27]
	s_cbranch_execz .LBB166_1319
.LBB166_1318:
	v_lshlrev_b32_e32 v3, 24, v4
	v_and_b32_e32 v4, 0xffff, v4
	v_and_b32_e32 v5, 3, v4
	v_ffbh_u32_e32 v7, v5
	v_min_u32_e32 v7, 32, v7
	v_subrev_u32_e32 v8, 29, v7
	v_bfe_u32 v6, v4, 2, 5
	v_lshlrev_b32_e32 v4, v8, v4
	v_sub_u32_e32 v7, 30, v7
	v_and_b32_e32 v4, 3, v4
	v_cmp_eq_u32_e32 vcc, 0, v6
	v_cndmask_b32_e32 v6, v6, v7, vcc
	v_cndmask_b32_e32 v4, v5, v4, vcc
	v_mov_b32_e32 v5, 0x37800000
	v_lshlrev_b32_e32 v4, 21, v4
	v_and_b32_e32 v3, 0x80000000, v3
	v_lshl_add_u32 v5, v6, 23, v5
	v_or3_b32 v3, v3, v5, v4
	v_cvt_i32_f32_e32 v3, v3
.LBB166_1319:
	s_or_b64 exec, exec, s[24:25]
	s_mov_b64 s[24:25], 0
	s_branch .LBB166_1325
.LBB166_1320:
	s_mov_b64 s[26:27], -1
                                        ; implicit-def: $vgpr3
	s_branch .LBB166_1331
.LBB166_1321:
	s_andn2_saveexec_b64 s[24:25], s[24:25]
	s_cbranch_execz .LBB166_1307
.LBB166_1322:
	v_cmp_ne_u16_e32 vcc, 0, v4
	s_andn2_b64 s[28:29], s[28:29], exec
	s_and_b64 s[36:37], vcc, exec
	s_or_b64 s[28:29], s[28:29], s[36:37]
	s_or_b64 exec, exec, s[24:25]
	v_mov_b32_e32 v3, 0
	s_and_saveexec_b64 s[24:25], s[28:29]
	s_cbranch_execnz .LBB166_1308
	s_branch .LBB166_1309
.LBB166_1323:
	s_mov_b64 s[24:25], -1
                                        ; implicit-def: $vgpr3
	s_branch .LBB166_1328
.LBB166_1324:
	s_mov_b64 s[24:25], -1
                                        ; implicit-def: $vgpr3
.LBB166_1325:
	s_and_b64 vcc, exec, s[24:25]
	s_cbranch_vccz .LBB166_1327
; %bb.1326:
	global_load_ubyte v3, v[1:2], off
	s_mov_b32 s24, 0x7f800000
	s_waitcnt vmcnt(0)
	v_lshlrev_b32_e32 v3, 24, v3
	v_and_b32_e32 v4, 0x7f000000, v3
	v_ffbh_u32_e32 v5, v4
	v_min_u32_e32 v5, 32, v5
	v_sub_u32_e64 v5, v5, 4 clamp
	v_lshlrev_b32_e32 v7, v5, v4
	v_lshlrev_b32_e32 v5, 23, v5
	v_lshrrev_b32_e32 v7, 4, v7
	v_add_u32_e32 v6, 0x1000000, v4
	v_sub_u32_e32 v5, v7, v5
	v_ashrrev_i32_e32 v6, 8, v6
	v_add_u32_e32 v5, 0x3c000000, v5
	v_and_or_b32 v5, v6, s24, v5
	v_cmp_ne_u32_e32 vcc, 0, v4
	v_cndmask_b32_e32 v4, 0, v5, vcc
	s_brev_b32 s24, 1
	v_and_or_b32 v3, v3, s24, v4
	v_cvt_i32_f32_e32 v3, v3
.LBB166_1327:
	s_mov_b64 s[24:25], 0
.LBB166_1328:
	s_andn2_b64 vcc, exec, s[24:25]
	s_cbranch_vccnz .LBB166_1330
; %bb.1329:
	global_load_ubyte v3, v[1:2], off
	s_movk_i32 s24, 0x7f00
	s_brev_b32 s25, 16
	s_waitcnt vmcnt(0)
	v_lshlrev_b16_e32 v4, 8, v3
	v_lshlrev_b32_e32 v3, 25, v3
	v_lshrrev_b32_e32 v5, 4, v3
	v_and_or_b32 v6, v4, s24, 0.5
	v_or_b32_e32 v5, 0x70000000, v5
	v_add_f32_e32 v6, -0.5, v6
	v_mul_f32_e32 v5, 0x7800000, v5
	v_cmp_gt_u32_e32 vcc, s25, v3
	v_bfe_i32 v4, v4, 0, 16
	v_cndmask_b32_e32 v3, v5, v6, vcc
	s_brev_b32 s24, 1
	v_and_or_b32 v3, v4, s24, v3
	v_cvt_i32_f32_e32 v3, v3
.LBB166_1330:
	s_mov_b64 s[26:27], 0
	s_mov_b64 s[24:25], -1
.LBB166_1331:
	s_andn2_b64 vcc, exec, s[26:27]
	s_mov_b64 s[26:27], 0
	s_cbranch_vccnz .LBB166_1342
; %bb.1332:
	s_cmp_gt_i32 s30, 14
	s_cbranch_scc0 .LBB166_1335
; %bb.1333:
	s_cmp_eq_u32 s30, 15
	s_cbranch_scc0 .LBB166_1338
; %bb.1334:
	global_load_ushort v3, v[1:2], off
	s_mov_b64 s[20:21], 0
	s_mov_b64 s[24:25], -1
	s_waitcnt vmcnt(0)
	v_lshlrev_b32_e32 v3, 16, v3
	v_cvt_i32_f32_e32 v3, v3
	s_branch .LBB166_1339
.LBB166_1335:
	s_mov_b64 s[28:29], -1
                                        ; implicit-def: $vgpr3
	s_branch .LBB166_1340
.LBB166_1336:
	s_andn2_saveexec_b64 s[24:25], s[24:25]
	s_cbranch_execz .LBB166_1317
.LBB166_1337:
	v_cmp_ne_u16_e32 vcc, 0, v4
	s_andn2_b64 s[26:27], s[26:27], exec
	s_and_b64 s[28:29], vcc, exec
	s_or_b64 s[26:27], s[26:27], s[28:29]
	s_or_b64 exec, exec, s[24:25]
	v_mov_b32_e32 v3, 0
	s_and_saveexec_b64 s[24:25], s[26:27]
	s_cbranch_execnz .LBB166_1318
	s_branch .LBB166_1319
.LBB166_1338:
	s_mov_b64 s[20:21], -1
                                        ; implicit-def: $vgpr3
.LBB166_1339:
	s_mov_b64 s[28:29], 0
.LBB166_1340:
	s_and_b64 vcc, exec, s[28:29]
	s_cbranch_vccz .LBB166_1342
; %bb.1341:
	s_cmp_lg_u32 s30, 11
	s_cselect_b64 s[28:29], -1, 0
	s_andn2_b64 s[20:21], s[20:21], exec
	s_and_b64 s[28:29], s[28:29], exec
	s_mov_b64 s[26:27], -1
	s_or_b64 s[20:21], s[20:21], s[28:29]
.LBB166_1342:
	s_mov_b64 s[28:29], 0
.LBB166_1343:
	s_andn2_b64 s[18:19], s[18:19], exec
	s_and_b64 s[20:21], s[20:21], exec
	s_and_b64 s[24:25], s[24:25], exec
	;; [unrolled: 1-line block ×4, first 2 shown]
	s_or_b64 s[18:19], s[18:19], s[20:21]
	s_or_b64 exec, exec, s[0:1]
	s_and_saveexec_b64 s[0:1], s[18:19]
	s_cbranch_execz .LBB166_1276
.LBB166_1344:
	s_or_b64 s[22:23], s[22:23], exec
	s_andn2_b64 s[26:27], s[26:27], exec
	s_trap 2
	s_or_b64 exec, exec, s[0:1]
	s_and_saveexec_b64 s[0:1], s[26:27]
	s_xor_b64 s[0:1], exec, s[0:1]
	s_cbranch_execnz .LBB166_1277
.LBB166_1345:
	s_or_b64 exec, exec, s[0:1]
	s_and_saveexec_b64 s[0:1], s[30:31]
	s_cbranch_execz .LBB166_1391
.LBB166_1346:
	s_sext_i32_i16 s18, s34
	s_cmp_lt_i32 s18, 5
	s_cbranch_scc1 .LBB166_1351
; %bb.1347:
	s_cmp_lt_i32 s18, 8
	s_cbranch_scc1 .LBB166_1352
; %bb.1348:
	;; [unrolled: 3-line block ×3, first 2 shown]
	s_cmp_gt_i32 s18, 9
	s_cbranch_scc0 .LBB166_1354
; %bb.1350:
	s_waitcnt vmcnt(0)
	global_load_dwordx2 v[3:4], v[1:2], off
	s_mov_b64 s[18:19], 0
	s_waitcnt vmcnt(0)
	v_cvt_i32_f64_e32 v3, v[3:4]
	s_branch .LBB166_1355
.LBB166_1351:
                                        ; implicit-def: $vgpr3
	s_branch .LBB166_1372
.LBB166_1352:
                                        ; implicit-def: $vgpr3
	s_branch .LBB166_1361
.LBB166_1353:
	s_mov_b64 s[18:19], -1
                                        ; implicit-def: $vgpr3
	s_branch .LBB166_1358
.LBB166_1354:
	s_mov_b64 s[18:19], -1
                                        ; implicit-def: $vgpr3
.LBB166_1355:
	s_andn2_b64 vcc, exec, s[18:19]
	s_cbranch_vccnz .LBB166_1357
; %bb.1356:
	s_waitcnt vmcnt(0)
	global_load_dword v3, v[1:2], off
	s_waitcnt vmcnt(0)
	v_cvt_i32_f32_e32 v3, v3
.LBB166_1357:
	s_mov_b64 s[18:19], 0
.LBB166_1358:
	s_andn2_b64 vcc, exec, s[18:19]
	s_cbranch_vccnz .LBB166_1360
; %bb.1359:
	s_waitcnt vmcnt(0)
	global_load_dword v3, v[1:2], off
	s_waitcnt vmcnt(0)
	v_cvt_i16_f16_e32 v3, v3
.LBB166_1360:
	s_cbranch_execnz .LBB166_1371
.LBB166_1361:
	s_sext_i32_i16 s18, s34
	s_cmp_lt_i32 s18, 6
	s_cbranch_scc1 .LBB166_1364
; %bb.1362:
	s_cmp_gt_i32 s18, 6
	s_cbranch_scc0 .LBB166_1365
; %bb.1363:
	s_waitcnt vmcnt(0)
	global_load_dwordx2 v[3:4], v[1:2], off
	s_mov_b64 s[18:19], 0
	s_waitcnt vmcnt(0)
	v_cvt_i32_f64_e32 v3, v[3:4]
	s_branch .LBB166_1366
.LBB166_1364:
	s_mov_b64 s[18:19], -1
                                        ; implicit-def: $vgpr3
	s_branch .LBB166_1369
.LBB166_1365:
	s_mov_b64 s[18:19], -1
                                        ; implicit-def: $vgpr3
.LBB166_1366:
	s_andn2_b64 vcc, exec, s[18:19]
	s_cbranch_vccnz .LBB166_1368
; %bb.1367:
	s_waitcnt vmcnt(0)
	global_load_dword v3, v[1:2], off
	s_waitcnt vmcnt(0)
	v_cvt_i32_f32_e32 v3, v3
.LBB166_1368:
	s_mov_b64 s[18:19], 0
.LBB166_1369:
	s_andn2_b64 vcc, exec, s[18:19]
	s_cbranch_vccnz .LBB166_1371
; %bb.1370:
	s_waitcnt vmcnt(0)
	global_load_ushort v3, v[1:2], off
	s_waitcnt vmcnt(0)
	v_cvt_i16_f16_e32 v3, v3
.LBB166_1371:
	s_cbranch_execnz .LBB166_1390
.LBB166_1372:
	s_sext_i32_i16 s18, s34
	s_cmp_lt_i32 s18, 2
	s_cbranch_scc1 .LBB166_1376
; %bb.1373:
	s_cmp_lt_i32 s18, 3
	s_cbranch_scc1 .LBB166_1377
; %bb.1374:
	s_cmp_gt_i32 s18, 3
	s_cbranch_scc0 .LBB166_1378
; %bb.1375:
	s_waitcnt vmcnt(0)
	global_load_dwordx2 v[3:4], v[1:2], off
	s_mov_b64 s[18:19], 0
	s_branch .LBB166_1379
.LBB166_1376:
                                        ; implicit-def: $vgpr3
	s_branch .LBB166_1385
.LBB166_1377:
	s_mov_b64 s[18:19], -1
                                        ; implicit-def: $vgpr3
	s_branch .LBB166_1382
.LBB166_1378:
	s_mov_b64 s[18:19], -1
                                        ; implicit-def: $vgpr3
.LBB166_1379:
	s_andn2_b64 vcc, exec, s[18:19]
	s_cbranch_vccnz .LBB166_1381
; %bb.1380:
	s_waitcnt vmcnt(0)
	global_load_dword v3, v[1:2], off
.LBB166_1381:
	s_mov_b64 s[18:19], 0
.LBB166_1382:
	s_andn2_b64 vcc, exec, s[18:19]
	s_cbranch_vccnz .LBB166_1384
; %bb.1383:
	s_waitcnt vmcnt(0)
	global_load_ushort v3, v[1:2], off
.LBB166_1384:
	s_cbranch_execnz .LBB166_1390
.LBB166_1385:
	s_sext_i32_i16 s18, s34
	s_cmp_gt_i32 s18, 0
	s_cbranch_scc0 .LBB166_1387
; %bb.1386:
	s_waitcnt vmcnt(0)
	global_load_ubyte v3, v[1:2], off
	s_mov_b64 s[18:19], 0
	s_branch .LBB166_1388
.LBB166_1387:
	s_mov_b64 s[18:19], -1
                                        ; implicit-def: $vgpr3
.LBB166_1388:
	s_andn2_b64 vcc, exec, s[18:19]
	s_cbranch_vccnz .LBB166_1390
; %bb.1389:
	s_waitcnt vmcnt(0)
	global_load_ubyte v3, v[1:2], off
.LBB166_1390:
	s_or_b64 s[24:25], s[24:25], exec
.LBB166_1391:
	s_or_b64 exec, exec, s[0:1]
	s_mov_b64 s[26:27], 0
	s_mov_b64 s[20:21], 0
                                        ; implicit-def: $sgpr30
                                        ; implicit-def: $vgpr1_vgpr2
                                        ; implicit-def: $vgpr4
	s_and_saveexec_b64 s[18:19], s[24:25]
	s_cbranch_execz .LBB166_1399
; %bb.1392:
	v_mul_lo_u32 v5, v14, s12
	s_waitcnt vmcnt(0)
	v_mov_b32_e32 v1, 6
	v_mov_b32_e32 v2, 7
	v_ashrrev_i16_sdwa v2, v2, sext(v0) dst_sel:DWORD dst_unused:UNUSED_PAD src0_sel:DWORD src1_sel:BYTE_0
	v_ashrrev_i32_sdwa v0, v3, sext(v0) dst_sel:DWORD dst_unused:UNUSED_PAD src0_sel:DWORD src1_sel:BYTE_0
	v_cmp_gt_u16_sdwa vcc, v3, v1 src0_sel:BYTE_0 src1_sel:DWORD
	v_cndmask_b32_e32 v4, v0, v2, vcc
	v_ashrrev_i32_e32 v0, 31, v5
	v_mov_b32_e32 v2, s9
	s_and_b32 s30, s33, 0xff
	v_add_co_u32_e32 v1, vcc, s8, v5
	s_cmp_lt_i32 s30, 11
	v_addc_co_u32_e32 v2, vcc, v2, v0, vcc
	s_cbranch_scc1 .LBB166_1402
; %bb.1393:
	s_and_b32 s31, 0xffff, s30
	s_mov_b64 s[24:25], -1
	s_cmp_gt_i32 s31, 25
	s_mov_b64 s[0:1], s[6:7]
	s_cbranch_scc0 .LBB166_1430
; %bb.1394:
	s_mov_b64 s[20:21], -1
	s_cmp_gt_i32 s31, 28
	s_mov_b64 s[0:1], s[6:7]
	s_cbranch_scc0 .LBB166_1414
; %bb.1395:
	s_cmp_gt_i32 s31, 43
	s_mov_b64 s[0:1], s[6:7]
	s_cbranch_scc0 .LBB166_1410
; %bb.1396:
	;; [unrolled: 4-line block ×3, first 2 shown]
	s_cmp_eq_u32 s31, 46
	s_mov_b64 s[0:1], -1
	s_cbranch_scc0 .LBB166_1403
; %bb.1398:
	v_cvt_f32_i32_sdwa v0, sext(v4) dst_sel:DWORD dst_unused:UNUSED_PAD src0_sel:WORD_0
	s_movk_i32 s0, 0x7fff
	s_mov_b64 s[20:21], 0
	v_bfe_u32 v3, v0, 16, 1
	v_add3_u32 v0, v0, v3, s0
	v_lshrrev_b32_e32 v0, 16, v0
	global_store_dword v[1:2], v0, off
	s_mov_b64 s[0:1], 0
	s_branch .LBB166_1404
.LBB166_1399:
	s_or_b64 exec, exec, s[18:19]
	s_and_saveexec_b64 s[0:1], s[6:7]
	s_cbranch_execnz .LBB166_1472
.LBB166_1400:
	s_or_b64 exec, exec, s[0:1]
	s_and_saveexec_b64 s[0:1], s[26:27]
	s_xor_b64 s[0:1], exec, s[0:1]
	s_cbranch_execz .LBB166_1473
.LBB166_1401:
	s_waitcnt vmcnt(0)
	v_mov_b32_e32 v0, 0
	v_cmp_ne_u16_sdwa s[6:7], v4, v0 src0_sel:BYTE_0 src1_sel:DWORD
	v_cndmask_b32_e64 v0, 0, 1, s[6:7]
	global_store_byte v[1:2], v0, off
	s_or_b64 exec, exec, s[0:1]
	s_and_saveexec_b64 s[0:1], s[20:21]
	s_xor_b64 s[0:1], exec, s[0:1]
	s_cbranch_execz .LBB166_1511
	s_branch .LBB166_1474
.LBB166_1402:
	s_mov_b64 s[24:25], 0
	s_mov_b64 s[20:21], -1
	s_mov_b64 s[0:1], s[6:7]
	s_branch .LBB166_1471
.LBB166_1403:
	s_mov_b64 s[20:21], 0
.LBB166_1404:
	s_and_b64 vcc, exec, s[20:21]
	s_cbranch_vccz .LBB166_1409
; %bb.1405:
	s_cmp_eq_u32 s31, 44
	s_mov_b64 s[0:1], -1
	s_cbranch_scc0 .LBB166_1409
; %bb.1406:
	v_cvt_f32_i32_sdwa v0, sext(v4) dst_sel:DWORD dst_unused:UNUSED_PAD src0_sel:WORD_0
	s_movk_i32 s0, 0xff
	v_mov_b32_e32 v5, 0xff
	v_bfe_u32 v3, v0, 23, 8
	v_cmp_ne_u32_e32 vcc, s0, v3
	s_and_saveexec_b64 s[20:21], vcc
; %bb.1407:
	s_mov_b32 s0, 0x3fffff
	v_lshrrev_b32_e32 v5, 23, v0
	v_and_b32_e32 v6, 0x400000, v0
	v_and_or_b32 v0, v0, s0, v3
	v_cmp_ne_u32_e32 vcc, 0, v6
	v_cmp_ne_u32_e64 s[0:1], 0, v0
	s_and_b64 s[0:1], vcc, s[0:1]
	v_cndmask_b32_e64 v0, 0, 1, s[0:1]
	v_add_u32_e32 v5, v5, v0
; %bb.1408:
	s_or_b64 exec, exec, s[20:21]
	s_mov_b64 s[0:1], 0
	global_store_byte v[1:2], v5, off
.LBB166_1409:
	s_mov_b64 s[20:21], 0
.LBB166_1410:
	s_and_b64 vcc, exec, s[20:21]
	s_cbranch_vccz .LBB166_1413
; %bb.1411:
	s_cmp_eq_u32 s31, 29
	s_mov_b64 s[0:1], -1
	s_cbranch_scc0 .LBB166_1413
; %bb.1412:
	v_bfe_i32 v5, v4, 0, 16
	v_ashrrev_i32_e32 v6, 31, v5
	global_store_dwordx2 v[1:2], v[5:6], off
	s_mov_b64 s[0:1], 0
.LBB166_1413:
	s_mov_b64 s[20:21], 0
.LBB166_1414:
	s_and_b64 vcc, exec, s[20:21]
	s_cbranch_vccz .LBB166_1429
; %bb.1415:
	s_cmp_lt_i32 s31, 27
	s_mov_b64 s[20:21], -1
	s_cbranch_scc1 .LBB166_1421
; %bb.1416:
	s_cmp_gt_i32 s31, 27
	s_cbranch_scc0 .LBB166_1418
; %bb.1417:
	v_bfe_i32 v0, v4, 0, 16
	s_mov_b64 s[20:21], 0
	global_store_dword v[1:2], v0, off
.LBB166_1418:
	s_andn2_b64 vcc, exec, s[20:21]
	s_cbranch_vccnz .LBB166_1420
; %bb.1419:
	global_store_short v[1:2], v4, off
.LBB166_1420:
	s_mov_b64 s[20:21], 0
.LBB166_1421:
	s_andn2_b64 vcc, exec, s[20:21]
	s_cbranch_vccnz .LBB166_1429
; %bb.1422:
	v_cvt_f32_i32_sdwa v0, sext(v4) dst_sel:DWORD dst_unused:UNUSED_PAD src0_sel:WORD_0
	s_mov_b32 s20, 0x43800000
	v_mov_b32_e32 v5, 0x80
	v_and_b32_e32 v3, 0x7fffffff, v0
	v_cmp_gt_u32_e32 vcc, s20, v3
	s_and_saveexec_b64 s[20:21], vcc
	s_cbranch_execz .LBB166_1428
; %bb.1423:
	s_mov_b32 s24, 0x3bffffff
	v_cmp_lt_u32_e32 vcc, s24, v3
	s_mov_b64 s[24:25], 0
                                        ; implicit-def: $vgpr3
	s_and_saveexec_b64 s[26:27], vcc
	s_xor_b64 s[26:27], exec, s[26:27]
	s_cbranch_execz .LBB166_1526
; %bb.1424:
	v_bfe_u32 v3, v0, 20, 1
	s_mov_b32 s28, 0x487ffff
	v_add3_u32 v3, v0, v3, s28
	s_mov_b64 s[24:25], exec
	v_lshrrev_b32_e32 v3, 20, v3
	s_andn2_saveexec_b64 s[26:27], s[26:27]
	s_cbranch_execnz .LBB166_1527
.LBB166_1425:
	s_or_b64 exec, exec, s[26:27]
	v_mov_b32_e32 v5, 0
	s_and_saveexec_b64 s[26:27], s[24:25]
.LBB166_1426:
	v_lshrrev_b32_e32 v0, 24, v0
	s_movk_i32 s24, 0x80
	v_and_or_b32 v5, v0, s24, v3
.LBB166_1427:
	s_or_b64 exec, exec, s[26:27]
.LBB166_1428:
	s_or_b64 exec, exec, s[20:21]
	global_store_byte v[1:2], v5, off
.LBB166_1429:
	s_mov_b64 s[24:25], 0
.LBB166_1430:
	s_mov_b64 s[20:21], 0
	s_and_b64 vcc, exec, s[24:25]
	s_cbranch_vccz .LBB166_1470
; %bb.1431:
	s_cmp_gt_i32 s31, 22
	s_mov_b64 s[24:25], -1
	s_cbranch_scc0 .LBB166_1463
; %bb.1432:
	s_cmp_lt_i32 s31, 24
	s_cbranch_scc1 .LBB166_1452
; %bb.1433:
	s_cmp_gt_i32 s31, 24
	s_cbranch_scc0 .LBB166_1441
; %bb.1434:
	v_cvt_f32_i32_sdwa v0, sext(v4) dst_sel:DWORD dst_unused:UNUSED_PAD src0_sel:WORD_0
	s_mov_b32 s24, 0x47800000
	v_mov_b32_e32 v5, 0x80
	v_and_b32_e32 v3, 0x7fffffff, v0
	v_cmp_gt_u32_e32 vcc, s24, v3
	s_and_saveexec_b64 s[24:25], vcc
	s_cbranch_execz .LBB166_1440
; %bb.1435:
	s_mov_b32 s26, 0x37ffffff
	v_cmp_lt_u32_e32 vcc, s26, v3
	s_mov_b64 s[26:27], 0
                                        ; implicit-def: $vgpr3
	s_and_saveexec_b64 s[28:29], vcc
	s_xor_b64 s[28:29], exec, s[28:29]
	s_cbranch_execz .LBB166_1646
; %bb.1436:
	v_bfe_u32 v3, v0, 21, 1
	s_mov_b32 s34, 0x88fffff
	v_add3_u32 v3, v0, v3, s34
	s_mov_b64 s[26:27], exec
	v_lshrrev_b32_e32 v3, 21, v3
	s_andn2_saveexec_b64 s[28:29], s[28:29]
	s_cbranch_execnz .LBB166_1647
.LBB166_1437:
	s_or_b64 exec, exec, s[28:29]
	v_mov_b32_e32 v5, 0
	s_and_saveexec_b64 s[28:29], s[26:27]
.LBB166_1438:
	v_lshrrev_b32_e32 v0, 24, v0
	s_movk_i32 s26, 0x80
	v_and_or_b32 v5, v0, s26, v3
.LBB166_1439:
	s_or_b64 exec, exec, s[28:29]
.LBB166_1440:
	s_or_b64 exec, exec, s[24:25]
	s_mov_b64 s[24:25], 0
	global_store_byte v[1:2], v5, off
.LBB166_1441:
	s_and_b64 vcc, exec, s[24:25]
	s_cbranch_vccz .LBB166_1451
; %bb.1442:
	v_cvt_f32_i32_sdwa v0, sext(v4) dst_sel:DWORD dst_unused:UNUSED_PAD src0_sel:WORD_0
	s_mov_b32 s24, 0x43f00000
                                        ; implicit-def: $vgpr3
	v_and_b32_e32 v5, 0x7fffffff, v0
	v_cmp_gt_u32_e32 vcc, s24, v5
	s_and_saveexec_b64 s[24:25], vcc
	s_xor_b64 s[24:25], exec, s[24:25]
	s_cbranch_execz .LBB166_1448
; %bb.1443:
	s_mov_b32 s26, 0x3c7fffff
	v_cmp_lt_u32_e32 vcc, s26, v5
                                        ; implicit-def: $vgpr3
	s_and_saveexec_b64 s[26:27], vcc
	s_xor_b64 s[26:27], exec, s[26:27]
; %bb.1444:
	v_bfe_u32 v3, v0, 20, 1
	s_mov_b32 s28, 0x407ffff
	v_add3_u32 v3, v0, v3, s28
	v_lshrrev_b32_e32 v5, 20, v3
	v_and_b32_e32 v3, 0xff00000, v3
	s_mov_b32 s28, 0x7f00000
	v_mov_b32_e32 v6, 0x7e
	v_cmp_ne_u32_e32 vcc, s28, v3
	v_cndmask_b32_e32 v3, v6, v5, vcc
; %bb.1445:
	s_andn2_saveexec_b64 s[26:27], s[26:27]
; %bb.1446:
	s_mov_b32 s28, 0x46800000
	v_add_f32_e64 v3, |v0|, s28
; %bb.1447:
	s_or_b64 exec, exec, s[26:27]
                                        ; implicit-def: $vgpr5
.LBB166_1448:
	s_andn2_saveexec_b64 s[24:25], s[24:25]
; %bb.1449:
	s_mov_b32 s26, 0x7f800000
	v_mov_b32_e32 v3, 0x7e
	v_mov_b32_e32 v6, 0x7f
	v_cmp_lt_u32_e32 vcc, s26, v5
	v_cndmask_b32_e32 v3, v3, v6, vcc
; %bb.1450:
	s_or_b64 exec, exec, s[24:25]
	v_lshrrev_b32_e32 v0, 24, v0
	s_movk_i32 s24, 0x80
	v_and_or_b32 v0, v0, s24, v3
	global_store_byte v[1:2], v0, off
.LBB166_1451:
	s_mov_b64 s[24:25], 0
.LBB166_1452:
	s_andn2_b64 vcc, exec, s[24:25]
	s_cbranch_vccnz .LBB166_1462
; %bb.1453:
	v_cvt_f32_i32_sdwa v0, sext(v4) dst_sel:DWORD dst_unused:UNUSED_PAD src0_sel:WORD_0
	s_mov_b32 s24, 0x47800000
                                        ; implicit-def: $vgpr3
	v_and_b32_e32 v5, 0x7fffffff, v0
	v_cmp_gt_u32_e32 vcc, s24, v5
	s_and_saveexec_b64 s[24:25], vcc
	s_xor_b64 s[24:25], exec, s[24:25]
	s_cbranch_execz .LBB166_1459
; %bb.1454:
	s_mov_b32 s26, 0x387fffff
	v_cmp_lt_u32_e32 vcc, s26, v5
                                        ; implicit-def: $vgpr3
	s_and_saveexec_b64 s[26:27], vcc
	s_xor_b64 s[26:27], exec, s[26:27]
; %bb.1455:
	v_bfe_u32 v3, v0, 21, 1
	s_mov_b32 s28, 0x80fffff
	v_add3_u32 v3, v0, v3, s28
	v_lshrrev_b32_e32 v3, 21, v3
; %bb.1456:
	s_andn2_saveexec_b64 s[26:27], s[26:27]
; %bb.1457:
	s_mov_b32 s28, 0x43000000
	v_add_f32_e64 v3, |v0|, s28
; %bb.1458:
	s_or_b64 exec, exec, s[26:27]
                                        ; implicit-def: $vgpr5
.LBB166_1459:
	s_andn2_saveexec_b64 s[24:25], s[24:25]
; %bb.1460:
	s_mov_b32 s26, 0x7f800000
	v_mov_b32_e32 v3, 0x7c
	v_mov_b32_e32 v6, 0x7f
	v_cmp_lt_u32_e32 vcc, s26, v5
	v_cndmask_b32_e32 v3, v3, v6, vcc
; %bb.1461:
	s_or_b64 exec, exec, s[24:25]
	v_lshrrev_b32_e32 v0, 24, v0
	s_movk_i32 s24, 0x80
	v_and_or_b32 v0, v0, s24, v3
	global_store_byte v[1:2], v0, off
.LBB166_1462:
	s_mov_b64 s[24:25], 0
.LBB166_1463:
	s_andn2_b64 vcc, exec, s[24:25]
	s_mov_b64 s[24:25], 0
	s_cbranch_vccnz .LBB166_1471
; %bb.1464:
	s_cmp_gt_i32 s31, 14
	s_mov_b64 s[26:27], -1
	s_cbranch_scc0 .LBB166_1468
; %bb.1465:
	s_cmp_eq_u32 s31, 15
	s_mov_b64 s[0:1], -1
	s_cbranch_scc0 .LBB166_1467
; %bb.1466:
	v_cvt_f32_i32_sdwa v0, sext(v4) dst_sel:DWORD dst_unused:UNUSED_PAD src0_sel:WORD_0
	s_movk_i32 s0, 0x7fff
	v_bfe_u32 v3, v0, 16, 1
	v_add3_u32 v0, v0, v3, s0
	global_store_short_d16_hi v[1:2], v0, off
	s_mov_b64 s[0:1], 0
.LBB166_1467:
	s_mov_b64 s[26:27], 0
.LBB166_1468:
	s_and_b64 vcc, exec, s[26:27]
	s_cbranch_vccz .LBB166_1471
; %bb.1469:
	s_cmp_lg_u32 s31, 11
	s_cselect_b64 s[26:27], -1, 0
	s_andn2_b64 s[0:1], s[0:1], exec
	s_and_b64 s[26:27], s[26:27], exec
	s_mov_b64 s[24:25], -1
	s_or_b64 s[0:1], s[0:1], s[26:27]
	s_branch .LBB166_1471
.LBB166_1470:
	s_mov_b64 s[24:25], 0
.LBB166_1471:
	s_andn2_b64 s[6:7], s[6:7], exec
	s_and_b64 s[0:1], s[0:1], exec
	s_and_b64 s[20:21], s[20:21], exec
	;; [unrolled: 1-line block ×3, first 2 shown]
	s_or_b64 s[6:7], s[6:7], s[0:1]
	s_or_b64 exec, exec, s[18:19]
	s_and_saveexec_b64 s[0:1], s[6:7]
	s_cbranch_execz .LBB166_1400
.LBB166_1472:
	s_or_b64 s[22:23], s[22:23], exec
	s_andn2_b64 s[26:27], s[26:27], exec
	s_trap 2
	s_or_b64 exec, exec, s[0:1]
	s_and_saveexec_b64 s[0:1], s[26:27]
	s_xor_b64 s[0:1], exec, s[0:1]
	s_cbranch_execnz .LBB166_1401
.LBB166_1473:
	s_or_b64 exec, exec, s[0:1]
	s_and_saveexec_b64 s[0:1], s[20:21]
	s_xor_b64 s[0:1], exec, s[0:1]
	s_cbranch_execz .LBB166_1511
.LBB166_1474:
	s_sext_i32_i16 s18, s30
	s_cmp_lt_i32 s18, 5
	s_mov_b64 s[6:7], -1
	s_cbranch_scc1 .LBB166_1495
; %bb.1475:
	s_cmp_lt_i32 s18, 8
	s_cbranch_scc1 .LBB166_1485
; %bb.1476:
	s_cmp_lt_i32 s18, 9
	s_cbranch_scc1 .LBB166_1482
; %bb.1477:
	s_cmp_gt_i32 s18, 9
	s_cbranch_scc0 .LBB166_1479
; %bb.1478:
	s_waitcnt vmcnt(0)
	v_bfe_i32 v0, v4, 0, 8
	v_bfe_i32 v0, v0, 0, 16
	v_cvt_f64_i32_e32 v[5:6], v0
	v_mov_b32_e32 v7, 0
	v_mov_b32_e32 v8, v7
	s_mov_b64 s[6:7], 0
	global_store_dwordx4 v[1:2], v[5:8], off
.LBB166_1479:
	s_andn2_b64 vcc, exec, s[6:7]
	s_cbranch_vccnz .LBB166_1481
; %bb.1480:
	s_waitcnt vmcnt(0)
	v_bfe_i32 v0, v4, 0, 8
	v_cvt_f32_i32_sdwa v5, sext(v0) dst_sel:DWORD dst_unused:UNUSED_PAD src0_sel:WORD_0
	v_mov_b32_e32 v6, 0
	global_store_dwordx2 v[1:2], v[5:6], off
.LBB166_1481:
	s_mov_b64 s[6:7], 0
.LBB166_1482:
	s_andn2_b64 vcc, exec, s[6:7]
	s_cbranch_vccnz .LBB166_1484
; %bb.1483:
	s_waitcnt vmcnt(0)
	v_cvt_f16_i16_sdwa v0, sext(v4) dst_sel:DWORD dst_unused:UNUSED_PAD src0_sel:BYTE_0
	global_store_dword v[1:2], v0, off
.LBB166_1484:
	s_mov_b64 s[6:7], 0
.LBB166_1485:
	s_andn2_b64 vcc, exec, s[6:7]
	s_cbranch_vccnz .LBB166_1494
; %bb.1486:
	s_sext_i32_i16 s18, s30
	s_cmp_lt_i32 s18, 6
	s_mov_b64 s[6:7], -1
	s_cbranch_scc1 .LBB166_1492
; %bb.1487:
	s_cmp_gt_i32 s18, 6
	s_cbranch_scc0 .LBB166_1489
; %bb.1488:
	s_waitcnt vmcnt(0)
	v_bfe_i32 v0, v4, 0, 8
	v_bfe_i32 v0, v0, 0, 16
	v_cvt_f64_i32_e32 v[5:6], v0
	s_mov_b64 s[6:7], 0
	global_store_dwordx2 v[1:2], v[5:6], off
.LBB166_1489:
	s_andn2_b64 vcc, exec, s[6:7]
	s_cbranch_vccnz .LBB166_1491
; %bb.1490:
	s_waitcnt vmcnt(0)
	v_bfe_i32 v0, v4, 0, 8
	v_cvt_f32_i32_sdwa v0, sext(v0) dst_sel:DWORD dst_unused:UNUSED_PAD src0_sel:WORD_0
	global_store_dword v[1:2], v0, off
.LBB166_1491:
	s_mov_b64 s[6:7], 0
.LBB166_1492:
	s_andn2_b64 vcc, exec, s[6:7]
	s_cbranch_vccnz .LBB166_1494
; %bb.1493:
	s_waitcnt vmcnt(0)
	v_cvt_f16_i16_sdwa v0, sext(v4) dst_sel:DWORD dst_unused:UNUSED_PAD src0_sel:BYTE_0
	global_store_short v[1:2], v0, off
.LBB166_1494:
	s_mov_b64 s[6:7], 0
.LBB166_1495:
	s_andn2_b64 vcc, exec, s[6:7]
	s_cbranch_vccnz .LBB166_1511
; %bb.1496:
	s_sext_i32_i16 s18, s30
	s_cmp_lt_i32 s18, 2
	s_mov_b64 s[6:7], -1
	s_cbranch_scc1 .LBB166_1506
; %bb.1497:
	s_cmp_lt_i32 s18, 3
	s_cbranch_scc1 .LBB166_1503
; %bb.1498:
	s_cmp_gt_i32 s18, 3
	s_cbranch_scc0 .LBB166_1500
; %bb.1499:
	s_waitcnt vmcnt(0)
	v_bfe_i32 v5, v4, 0, 8
	v_ashrrev_i32_e32 v6, 31, v5
	s_mov_b64 s[6:7], 0
	global_store_dwordx2 v[1:2], v[5:6], off
.LBB166_1500:
	s_andn2_b64 vcc, exec, s[6:7]
	s_cbranch_vccnz .LBB166_1502
; %bb.1501:
	s_waitcnt vmcnt(0)
	v_bfe_i32 v0, v4, 0, 8
	global_store_dword v[1:2], v0, off
.LBB166_1502:
	s_mov_b64 s[6:7], 0
.LBB166_1503:
	s_andn2_b64 vcc, exec, s[6:7]
	s_cbranch_vccnz .LBB166_1505
; %bb.1504:
	s_waitcnt vmcnt(0)
	v_bfe_i32 v0, v4, 0, 8
	global_store_short v[1:2], v0, off
.LBB166_1505:
	s_mov_b64 s[6:7], 0
.LBB166_1506:
	s_andn2_b64 vcc, exec, s[6:7]
	s_cbranch_vccnz .LBB166_1511
; %bb.1507:
	s_sext_i32_i16 s6, s30
	s_cmp_gt_i32 s6, 0
	s_mov_b64 s[6:7], -1
	s_cbranch_scc0 .LBB166_1509
; %bb.1508:
	s_mov_b64 s[6:7], 0
	s_waitcnt vmcnt(0)
	global_store_byte v[1:2], v4, off
.LBB166_1509:
	s_andn2_b64 vcc, exec, s[6:7]
	s_cbranch_vccnz .LBB166_1511
; %bb.1510:
	s_waitcnt vmcnt(0)
	global_store_byte v[1:2], v4, off
.LBB166_1511:
	s_or_b64 exec, exec, s[0:1]
	s_and_b64 s[6:7], s[22:23], exec
                                        ; implicit-def: $vgpr14
.LBB166_1512:
	s_or_saveexec_b64 s[4:5], s[4:5]
	s_mov_b64 s[0:1], 0
                                        ; implicit-def: $sgpr20
                                        ; implicit-def: $vgpr0_vgpr1
                                        ; implicit-def: $vgpr2
	s_xor_b64 exec, exec, s[4:5]
	s_cbranch_execz .LBB166_2949
; %bb.1513:
	v_mul_lo_u32 v5, s13, v14
	s_waitcnt vmcnt(0)
	v_mov_b32_e32 v0, s11
	s_and_b32 s24, s54, 0xff
	s_cmp_lt_i32 s24, 11
	v_ashrrev_i32_e32 v1, 31, v5
	v_add_co_u32_e32 v2, vcc, s10, v5
	v_addc_co_u32_e32 v3, vcc, v0, v1, vcc
	s_cbranch_scc1 .LBB166_1520
; %bb.1514:
	s_and_b32 s22, 0xffff, s24
	s_cmp_gt_i32 s22, 25
	s_cbranch_scc0 .LBB166_1522
; %bb.1515:
	s_cmp_gt_i32 s22, 28
	s_cbranch_scc0 .LBB166_1523
; %bb.1516:
	;; [unrolled: 3-line block ×4, first 2 shown]
	s_cmp_eq_u32 s22, 46
	s_mov_b64 s[18:19], 0
	s_cbranch_scc0 .LBB166_1528
; %bb.1519:
	global_load_dword v0, v[2:3], off
	s_mov_b64 s[20:21], -1
	s_waitcnt vmcnt(0)
	v_lshlrev_b32_e32 v0, 16, v0
	v_cvt_i32_f32_e32 v0, v0
	s_branch .LBB166_1529
.LBB166_1520:
	s_mov_b64 s[20:21], 0
                                        ; implicit-def: $vgpr0
	s_mov_b64 s[18:19], s[6:7]
	s_cbranch_execnz .LBB166_1587
.LBB166_1521:
	s_andn2_b64 vcc, exec, s[20:21]
	s_cbranch_vccz .LBB166_1632
	s_branch .LBB166_2947
.LBB166_1522:
	s_mov_b64 s[20:21], 0
                                        ; implicit-def: $vgpr0
	s_cbranch_execnz .LBB166_1554
	s_branch .LBB166_1583
.LBB166_1523:
	s_mov_b64 s[20:21], 0
                                        ; implicit-def: $vgpr0
	s_cbranch_execz .LBB166_1553
	s_branch .LBB166_1538
.LBB166_1524:
	s_mov_b64 s[20:21], 0
                                        ; implicit-def: $vgpr0
	s_cbranch_execnz .LBB166_1534
	s_branch .LBB166_1537
.LBB166_1525:
	s_mov_b64 s[18:19], -1
	s_mov_b64 s[20:21], 0
                                        ; implicit-def: $vgpr0
	s_branch .LBB166_1529
.LBB166_1526:
	s_andn2_saveexec_b64 s[26:27], s[26:27]
	s_cbranch_execz .LBB166_1425
.LBB166_1527:
	s_mov_b32 s28, 0x46000000
	v_add_f32_e64 v3, |v0|, s28
	v_and_b32_e32 v3, 0xff, v3
	v_cmp_ne_u32_e32 vcc, 0, v3
	s_andn2_b64 s[24:25], s[24:25], exec
	s_and_b64 s[28:29], vcc, exec
	s_or_b64 s[24:25], s[24:25], s[28:29]
	s_or_b64 exec, exec, s[26:27]
	v_mov_b32_e32 v5, 0
	s_and_saveexec_b64 s[26:27], s[24:25]
	s_cbranch_execnz .LBB166_1426
	s_branch .LBB166_1427
.LBB166_1528:
	s_mov_b64 s[0:1], -1
                                        ; implicit-def: $vgpr0
	s_mov_b64 s[20:21], 0
.LBB166_1529:
	s_and_b64 vcc, exec, s[18:19]
	s_cbranch_vccz .LBB166_1532
; %bb.1530:
	s_cmp_eq_u32 s22, 44
	s_cbranch_scc0 .LBB166_1533
; %bb.1531:
	global_load_ubyte v0, v[2:3], off
	s_mov_b64 s[0:1], 0
	s_mov_b64 s[20:21], -1
	s_waitcnt vmcnt(0)
	v_lshlrev_b32_e32 v1, 23, v0
	v_cvt_i32_f32_e32 v1, v1
	v_cmp_ne_u32_e32 vcc, 0, v0
	v_cndmask_b32_e32 v0, 0, v1, vcc
.LBB166_1532:
	s_branch .LBB166_1537
.LBB166_1533:
	s_mov_b64 s[0:1], -1
                                        ; implicit-def: $vgpr0
	s_branch .LBB166_1537
.LBB166_1534:
	s_cmp_eq_u32 s22, 29
	s_cbranch_scc0 .LBB166_1536
; %bb.1535:
	global_load_dwordx2 v[0:1], v[2:3], off
	s_mov_b64 s[0:1], 0
	s_mov_b64 s[20:21], -1
	s_branch .LBB166_1537
.LBB166_1536:
	s_mov_b64 s[0:1], -1
                                        ; implicit-def: $vgpr0
.LBB166_1537:
	s_branch .LBB166_1553
.LBB166_1538:
	s_cmp_lt_i32 s22, 27
	s_cbranch_scc1 .LBB166_1541
; %bb.1539:
	s_cmp_gt_i32 s22, 27
	s_cbranch_scc0 .LBB166_1542
; %bb.1540:
	global_load_dword v0, v[2:3], off
	s_mov_b64 s[18:19], 0
	s_branch .LBB166_1543
.LBB166_1541:
	s_mov_b64 s[18:19], -1
                                        ; implicit-def: $vgpr0
	s_branch .LBB166_1546
.LBB166_1542:
	s_mov_b64 s[18:19], -1
                                        ; implicit-def: $vgpr0
.LBB166_1543:
	s_andn2_b64 vcc, exec, s[18:19]
	s_cbranch_vccnz .LBB166_1545
; %bb.1544:
	global_load_ushort v0, v[2:3], off
.LBB166_1545:
	s_mov_b64 s[18:19], 0
.LBB166_1546:
	s_andn2_b64 vcc, exec, s[18:19]
	s_cbranch_vccnz .LBB166_1552
; %bb.1547:
	global_load_ubyte v1, v[2:3], off
	s_movk_i32 s18, 0x7f
	s_mov_b64 s[20:21], 0
	s_waitcnt vmcnt(0)
	v_cmp_lt_i16_e32 vcc, s18, v1
	s_and_saveexec_b64 s[18:19], vcc
	s_xor_b64 s[18:19], exec, s[18:19]
	s_cbranch_execz .LBB166_1563
; %bb.1548:
	s_movk_i32 s20, 0x80
	v_cmp_ne_u16_e32 vcc, s20, v1
	s_and_b64 s[20:21], vcc, exec
	s_andn2_saveexec_b64 s[18:19], s[18:19]
	s_cbranch_execnz .LBB166_1564
.LBB166_1549:
	s_or_b64 exec, exec, s[18:19]
	v_mov_b32_e32 v0, 0
	s_and_saveexec_b64 s[18:19], s[20:21]
	s_cbranch_execz .LBB166_1551
.LBB166_1550:
	v_lshlrev_b32_e32 v0, 24, v1
	v_and_b32_e32 v1, 0xffff, v1
	v_and_b32_e32 v4, 7, v1
	v_ffbh_u32_e32 v7, v4
	v_min_u32_e32 v7, 32, v7
	v_subrev_u32_e32 v8, 28, v7
	v_bfe_u32 v6, v1, 3, 4
	v_lshlrev_b32_e32 v1, v8, v1
	v_sub_u32_e32 v7, 29, v7
	v_and_b32_e32 v1, 7, v1
	v_cmp_eq_u32_e32 vcc, 0, v6
	v_cndmask_b32_e32 v6, v6, v7, vcc
	v_cndmask_b32_e32 v1, v4, v1, vcc
	v_mov_b32_e32 v4, 0x3b800000
	v_lshlrev_b32_e32 v1, 20, v1
	v_and_b32_e32 v0, 0x80000000, v0
	v_lshl_add_u32 v4, v6, 23, v4
	v_or3_b32 v0, v0, v4, v1
	v_cvt_i32_f32_e32 v0, v0
.LBB166_1551:
	s_or_b64 exec, exec, s[18:19]
.LBB166_1552:
	s_mov_b64 s[20:21], -1
.LBB166_1553:
	s_branch .LBB166_1583
.LBB166_1554:
	s_cmp_gt_i32 s22, 22
	s_cbranch_scc0 .LBB166_1562
; %bb.1555:
	s_cmp_lt_i32 s22, 24
	s_cbranch_scc1 .LBB166_1565
; %bb.1556:
	s_cmp_gt_i32 s22, 24
	s_cbranch_scc0 .LBB166_1566
; %bb.1557:
	global_load_ubyte v1, v[2:3], off
	s_movk_i32 s16, 0x7f
	s_mov_b64 s[18:19], 0
	s_waitcnt vmcnt(0)
	v_cmp_lt_i16_e32 vcc, s16, v1
	s_and_saveexec_b64 s[16:17], vcc
	s_xor_b64 s[16:17], exec, s[16:17]
	s_cbranch_execz .LBB166_1577
; %bb.1558:
	s_movk_i32 s18, 0x80
	v_cmp_ne_u16_e32 vcc, s18, v1
	s_and_b64 s[18:19], vcc, exec
	s_andn2_saveexec_b64 s[16:17], s[16:17]
	s_cbranch_execnz .LBB166_1578
.LBB166_1559:
	s_or_b64 exec, exec, s[16:17]
	v_mov_b32_e32 v0, 0
	s_and_saveexec_b64 s[16:17], s[18:19]
	s_cbranch_execz .LBB166_1561
.LBB166_1560:
	v_lshlrev_b32_e32 v0, 24, v1
	v_and_b32_e32 v1, 0xffff, v1
	v_and_b32_e32 v4, 3, v1
	v_ffbh_u32_e32 v7, v4
	v_min_u32_e32 v7, 32, v7
	v_subrev_u32_e32 v8, 29, v7
	v_bfe_u32 v6, v1, 2, 5
	v_lshlrev_b32_e32 v1, v8, v1
	v_sub_u32_e32 v7, 30, v7
	v_and_b32_e32 v1, 3, v1
	v_cmp_eq_u32_e32 vcc, 0, v6
	v_cndmask_b32_e32 v6, v6, v7, vcc
	v_cndmask_b32_e32 v1, v4, v1, vcc
	v_mov_b32_e32 v4, 0x37800000
	v_lshlrev_b32_e32 v1, 21, v1
	v_and_b32_e32 v0, 0x80000000, v0
	v_lshl_add_u32 v4, v6, 23, v4
	v_or3_b32 v0, v0, v4, v1
	v_cvt_i32_f32_e32 v0, v0
.LBB166_1561:
	s_or_b64 exec, exec, s[16:17]
	s_mov_b64 s[16:17], 0
	s_branch .LBB166_1567
.LBB166_1562:
                                        ; implicit-def: $vgpr0
	s_mov_b64 s[16:17], 0
	s_branch .LBB166_1573
.LBB166_1563:
	s_andn2_saveexec_b64 s[18:19], s[18:19]
	s_cbranch_execz .LBB166_1549
.LBB166_1564:
	v_cmp_ne_u16_e32 vcc, 0, v1
	s_andn2_b64 s[20:21], s[20:21], exec
	s_and_b64 s[26:27], vcc, exec
	s_or_b64 s[20:21], s[20:21], s[26:27]
	s_or_b64 exec, exec, s[18:19]
	v_mov_b32_e32 v0, 0
	s_and_saveexec_b64 s[18:19], s[20:21]
	s_cbranch_execnz .LBB166_1550
	s_branch .LBB166_1551
.LBB166_1565:
	s_mov_b64 s[16:17], -1
                                        ; implicit-def: $vgpr0
	s_branch .LBB166_1570
.LBB166_1566:
	s_mov_b64 s[16:17], -1
                                        ; implicit-def: $vgpr0
.LBB166_1567:
	s_and_b64 vcc, exec, s[16:17]
	s_cbranch_vccz .LBB166_1569
; %bb.1568:
	global_load_ubyte v0, v[2:3], off
	s_mov_b32 s16, 0x7f800000
	s_waitcnt vmcnt(0)
	v_lshlrev_b32_e32 v0, 24, v0
	v_and_b32_e32 v1, 0x7f000000, v0
	v_ffbh_u32_e32 v4, v1
	v_min_u32_e32 v4, 32, v4
	v_sub_u32_e64 v4, v4, 4 clamp
	v_lshlrev_b32_e32 v7, v4, v1
	v_lshlrev_b32_e32 v4, 23, v4
	v_lshrrev_b32_e32 v7, 4, v7
	v_add_u32_e32 v6, 0x1000000, v1
	v_sub_u32_e32 v4, v7, v4
	v_ashrrev_i32_e32 v6, 8, v6
	v_add_u32_e32 v4, 0x3c000000, v4
	v_and_or_b32 v4, v6, s16, v4
	v_cmp_ne_u32_e32 vcc, 0, v1
	v_cndmask_b32_e32 v1, 0, v4, vcc
	s_brev_b32 s16, 1
	v_and_or_b32 v0, v0, s16, v1
	v_cvt_i32_f32_e32 v0, v0
.LBB166_1569:
	s_mov_b64 s[16:17], 0
.LBB166_1570:
	s_andn2_b64 vcc, exec, s[16:17]
	s_cbranch_vccnz .LBB166_1572
; %bb.1571:
	global_load_ubyte v0, v[2:3], off
	s_movk_i32 s16, 0x7f00
	s_brev_b32 s17, 16
	s_waitcnt vmcnt(0)
	v_lshlrev_b16_e32 v1, 8, v0
	v_lshlrev_b32_e32 v0, 25, v0
	v_lshrrev_b32_e32 v4, 4, v0
	v_and_or_b32 v6, v1, s16, 0.5
	v_or_b32_e32 v4, 0x70000000, v4
	v_add_f32_e32 v6, -0.5, v6
	v_mul_f32_e32 v4, 0x7800000, v4
	v_cmp_gt_u32_e32 vcc, s17, v0
	v_bfe_i32 v1, v1, 0, 16
	v_cndmask_b32_e32 v0, v4, v6, vcc
	s_brev_b32 s16, 1
	v_and_or_b32 v0, v1, s16, v0
	v_cvt_i32_f32_e32 v0, v0
.LBB166_1572:
	s_mov_b64 s[20:21], -1
	s_mov_b64 s[16:17], 0
	s_cbranch_execnz .LBB166_1583
.LBB166_1573:
	s_cmp_gt_i32 s22, 14
	s_cbranch_scc0 .LBB166_1576
; %bb.1574:
	s_cmp_eq_u32 s22, 15
	s_cbranch_scc0 .LBB166_1579
; %bb.1575:
	global_load_ushort v0, v[2:3], off
	s_mov_b64 s[0:1], 0
	s_mov_b64 s[20:21], -1
	s_waitcnt vmcnt(0)
	v_lshlrev_b32_e32 v0, 16, v0
	v_cvt_i32_f32_e32 v0, v0
	s_branch .LBB166_1580
.LBB166_1576:
	s_mov_b64 s[18:19], -1
                                        ; implicit-def: $vgpr0
	s_branch .LBB166_1581
.LBB166_1577:
	s_andn2_saveexec_b64 s[16:17], s[16:17]
	s_cbranch_execz .LBB166_1559
.LBB166_1578:
	v_cmp_ne_u16_e32 vcc, 0, v1
	s_andn2_b64 s[18:19], s[18:19], exec
	s_and_b64 s[20:21], vcc, exec
	s_or_b64 s[18:19], s[18:19], s[20:21]
	s_or_b64 exec, exec, s[16:17]
	v_mov_b32_e32 v0, 0
	s_and_saveexec_b64 s[16:17], s[18:19]
	s_cbranch_execnz .LBB166_1560
	s_branch .LBB166_1561
.LBB166_1579:
	s_mov_b64 s[0:1], -1
                                        ; implicit-def: $vgpr0
.LBB166_1580:
	s_mov_b64 s[18:19], 0
.LBB166_1581:
	s_and_b64 vcc, exec, s[18:19]
	s_cbranch_vccz .LBB166_1583
; %bb.1582:
	s_cmp_lg_u32 s22, 11
	s_mov_b64 s[16:17], -1
	s_cselect_b64 s[0:1], -1, 0
.LBB166_1583:
	s_and_b64 vcc, exec, s[0:1]
	s_mov_b64 s[18:19], s[6:7]
	s_cbranch_vccnz .LBB166_1644
; %bb.1584:
	s_andn2_b64 vcc, exec, s[16:17]
	s_cbranch_vccnz .LBB166_1586
.LBB166_1585:
	global_load_ubyte v0, v[2:3], off
	s_mov_b64 s[20:21], -1
	s_waitcnt vmcnt(0)
	v_cmp_ne_u16_e32 vcc, 0, v0
	v_cndmask_b32_e64 v0, 0, 1, vcc
.LBB166_1586:
	s_branch .LBB166_1521
.LBB166_1587:
	s_and_b32 s16, 0xffff, s24
	s_cmp_lt_i32 s16, 5
	s_cbranch_scc1 .LBB166_1592
; %bb.1588:
	s_cmp_lt_i32 s16, 8
	s_cbranch_scc1 .LBB166_1593
; %bb.1589:
	;; [unrolled: 3-line block ×3, first 2 shown]
	s_cmp_gt_i32 s16, 9
	s_cbranch_scc0 .LBB166_1595
; %bb.1591:
	global_load_dwordx2 v[0:1], v[2:3], off
	s_mov_b64 s[0:1], 0
	s_waitcnt vmcnt(0)
	v_cvt_i32_f64_e32 v0, v[0:1]
	s_branch .LBB166_1596
.LBB166_1592:
                                        ; implicit-def: $vgpr0
	s_branch .LBB166_1613
.LBB166_1593:
                                        ; implicit-def: $vgpr0
	s_branch .LBB166_1602
.LBB166_1594:
	s_mov_b64 s[0:1], -1
                                        ; implicit-def: $vgpr0
	s_branch .LBB166_1599
.LBB166_1595:
	s_mov_b64 s[0:1], -1
                                        ; implicit-def: $vgpr0
.LBB166_1596:
	s_andn2_b64 vcc, exec, s[0:1]
	s_cbranch_vccnz .LBB166_1598
; %bb.1597:
	global_load_dword v0, v[2:3], off
	s_waitcnt vmcnt(0)
	v_cvt_i32_f32_e32 v0, v0
.LBB166_1598:
	s_mov_b64 s[0:1], 0
.LBB166_1599:
	s_andn2_b64 vcc, exec, s[0:1]
	s_cbranch_vccnz .LBB166_1601
; %bb.1600:
	global_load_dword v0, v[2:3], off
	s_waitcnt vmcnt(0)
	v_cvt_i16_f16_e32 v0, v0
.LBB166_1601:
	s_cbranch_execnz .LBB166_1612
.LBB166_1602:
	s_cmp_lt_i32 s16, 6
	s_cbranch_scc1 .LBB166_1605
; %bb.1603:
	s_cmp_gt_i32 s16, 6
	s_cbranch_scc0 .LBB166_1606
; %bb.1604:
	global_load_dwordx2 v[0:1], v[2:3], off
	s_mov_b64 s[0:1], 0
	s_waitcnt vmcnt(0)
	v_cvt_i32_f64_e32 v0, v[0:1]
	s_branch .LBB166_1607
.LBB166_1605:
	s_mov_b64 s[0:1], -1
                                        ; implicit-def: $vgpr0
	s_branch .LBB166_1610
.LBB166_1606:
	s_mov_b64 s[0:1], -1
                                        ; implicit-def: $vgpr0
.LBB166_1607:
	s_andn2_b64 vcc, exec, s[0:1]
	s_cbranch_vccnz .LBB166_1609
; %bb.1608:
	global_load_dword v0, v[2:3], off
	s_waitcnt vmcnt(0)
	v_cvt_i32_f32_e32 v0, v0
.LBB166_1609:
	s_mov_b64 s[0:1], 0
.LBB166_1610:
	s_andn2_b64 vcc, exec, s[0:1]
	s_cbranch_vccnz .LBB166_1612
; %bb.1611:
	global_load_ushort v0, v[2:3], off
	s_waitcnt vmcnt(0)
	v_cvt_i16_f16_e32 v0, v0
.LBB166_1612:
	s_cbranch_execnz .LBB166_1631
.LBB166_1613:
	s_cmp_lt_i32 s16, 2
	s_cbranch_scc1 .LBB166_1617
; %bb.1614:
	s_cmp_lt_i32 s16, 3
	s_cbranch_scc1 .LBB166_1618
; %bb.1615:
	s_cmp_gt_i32 s16, 3
	s_cbranch_scc0 .LBB166_1619
; %bb.1616:
	global_load_dwordx2 v[0:1], v[2:3], off
	s_mov_b64 s[0:1], 0
	s_branch .LBB166_1620
.LBB166_1617:
                                        ; implicit-def: $vgpr0
	s_branch .LBB166_1626
.LBB166_1618:
	s_mov_b64 s[0:1], -1
                                        ; implicit-def: $vgpr0
	s_branch .LBB166_1623
.LBB166_1619:
	s_mov_b64 s[0:1], -1
                                        ; implicit-def: $vgpr0
.LBB166_1620:
	s_andn2_b64 vcc, exec, s[0:1]
	s_cbranch_vccnz .LBB166_1622
; %bb.1621:
	global_load_dword v0, v[2:3], off
.LBB166_1622:
	s_mov_b64 s[0:1], 0
.LBB166_1623:
	s_andn2_b64 vcc, exec, s[0:1]
	s_cbranch_vccnz .LBB166_1625
; %bb.1624:
	global_load_ushort v0, v[2:3], off
.LBB166_1625:
	s_cbranch_execnz .LBB166_1631
.LBB166_1626:
	s_cmp_gt_i32 s16, 0
	s_cbranch_scc0 .LBB166_1628
; %bb.1627:
	global_load_ubyte v0, v[2:3], off
	s_mov_b64 s[0:1], 0
	s_branch .LBB166_1629
.LBB166_1628:
	s_mov_b64 s[0:1], -1
                                        ; implicit-def: $vgpr0
.LBB166_1629:
	s_andn2_b64 vcc, exec, s[0:1]
	s_cbranch_vccnz .LBB166_1631
; %bb.1630:
	global_load_ubyte v0, v[2:3], off
.LBB166_1631:
.LBB166_1632:
	v_mul_lo_u32 v6, s14, v14
	v_mov_b32_e32 v2, s3
	s_and_b32 s25, s15, 0xff
	s_cmp_lt_i32 s25, 11
	v_ashrrev_i32_e32 v3, 31, v6
	s_waitcnt vmcnt(0)
	v_add_co_u32_e32 v1, vcc, s2, v6
	v_addc_co_u32_e32 v2, vcc, v2, v3, vcc
	s_cbranch_scc1 .LBB166_1639
; %bb.1633:
	s_and_b32 s15, 0xffff, s25
	s_cmp_gt_i32 s15, 25
	s_mov_b64 s[16:17], 0
	s_cbranch_scc0 .LBB166_1641
; %bb.1634:
	s_cmp_gt_i32 s15, 28
	s_cbranch_scc0 .LBB166_1642
; %bb.1635:
	s_cmp_gt_i32 s15, 43
	;; [unrolled: 3-line block ×3, first 2 shown]
	s_cbranch_scc0 .LBB166_1645
; %bb.1637:
	s_cmp_eq_u32 s15, 46
	s_mov_b64 s[22:23], 0
	s_cbranch_scc0 .LBB166_1648
; %bb.1638:
	global_load_dword v3, v[1:2], off
	s_mov_b64 s[0:1], 0
	s_mov_b64 s[20:21], -1
	s_waitcnt vmcnt(0)
	v_lshlrev_b32_e32 v3, 16, v3
	v_cvt_i32_f32_e32 v3, v3
	s_branch .LBB166_1649
.LBB166_1639:
	s_mov_b64 s[20:21], 0
                                        ; implicit-def: $vgpr3
	s_cbranch_execnz .LBB166_1710
.LBB166_1640:
	s_andn2_b64 vcc, exec, s[20:21]
	s_cbranch_vccnz .LBB166_2947
	s_branch .LBB166_1757
.LBB166_1641:
	s_mov_b64 s[20:21], 0
	s_mov_b64 s[0:1], 0
                                        ; implicit-def: $vgpr3
	s_cbranch_execnz .LBB166_1676
	s_branch .LBB166_1706
.LBB166_1642:
	s_mov_b64 s[22:23], -1
	s_mov_b64 s[20:21], 0
	s_mov_b64 s[0:1], 0
                                        ; implicit-def: $vgpr3
	s_branch .LBB166_1659
.LBB166_1643:
	s_mov_b64 s[22:23], -1
	s_mov_b64 s[20:21], 0
	s_mov_b64 s[0:1], 0
                                        ; implicit-def: $vgpr3
	s_branch .LBB166_1654
.LBB166_1644:
	s_or_b64 s[18:19], s[6:7], exec
	s_trap 2
	s_cbranch_execz .LBB166_1585
	s_branch .LBB166_1586
.LBB166_1645:
	s_mov_b64 s[22:23], -1
	s_mov_b64 s[20:21], 0
	s_mov_b64 s[0:1], 0
                                        ; implicit-def: $vgpr3
	s_branch .LBB166_1649
.LBB166_1646:
	s_andn2_saveexec_b64 s[28:29], s[28:29]
	s_cbranch_execz .LBB166_1437
.LBB166_1647:
	s_mov_b32 s34, 0x42800000
	v_add_f32_e64 v3, |v0|, s34
	v_and_b32_e32 v3, 0xff, v3
	v_cmp_ne_u32_e32 vcc, 0, v3
	s_andn2_b64 s[26:27], s[26:27], exec
	s_and_b64 s[34:35], vcc, exec
	s_or_b64 s[26:27], s[26:27], s[34:35]
	s_or_b64 exec, exec, s[28:29]
	v_mov_b32_e32 v5, 0
	s_and_saveexec_b64 s[28:29], s[26:27]
	s_cbranch_execnz .LBB166_1438
	s_branch .LBB166_1439
.LBB166_1648:
	s_mov_b64 s[0:1], -1
                                        ; implicit-def: $vgpr3
	s_mov_b64 s[20:21], 0
.LBB166_1649:
	s_and_b64 vcc, exec, s[22:23]
	s_cbranch_vccz .LBB166_1653
; %bb.1650:
	s_cmp_eq_u32 s15, 44
	s_cbranch_scc0 .LBB166_1652
; %bb.1651:
	global_load_ubyte v3, v[1:2], off
	s_mov_b64 s[0:1], 0
	s_mov_b64 s[20:21], -1
	s_waitcnt vmcnt(0)
	v_lshlrev_b32_e32 v4, 23, v3
	v_cvt_i32_f32_e32 v4, v4
	v_cmp_ne_u32_e32 vcc, 0, v3
	v_cndmask_b32_e32 v3, 0, v4, vcc
	s_branch .LBB166_1653
.LBB166_1652:
	s_mov_b64 s[0:1], -1
                                        ; implicit-def: $vgpr3
.LBB166_1653:
	s_mov_b64 s[22:23], 0
.LBB166_1654:
	s_and_b64 vcc, exec, s[22:23]
	s_cbranch_vccz .LBB166_1658
; %bb.1655:
	s_cmp_eq_u32 s15, 29
	s_cbranch_scc0 .LBB166_1657
; %bb.1656:
	global_load_dwordx2 v[3:4], v[1:2], off
	s_mov_b64 s[0:1], 0
	s_mov_b64 s[20:21], -1
	s_branch .LBB166_1658
.LBB166_1657:
	s_mov_b64 s[0:1], -1
                                        ; implicit-def: $vgpr3
.LBB166_1658:
	s_mov_b64 s[22:23], 0
.LBB166_1659:
	s_and_b64 vcc, exec, s[22:23]
	s_cbranch_vccz .LBB166_1675
; %bb.1660:
	s_cmp_lt_i32 s15, 27
	s_cbranch_scc1 .LBB166_1663
; %bb.1661:
	s_cmp_gt_i32 s15, 27
	s_cbranch_scc0 .LBB166_1664
; %bb.1662:
	global_load_dword v3, v[1:2], off
	s_mov_b64 s[20:21], 0
	s_branch .LBB166_1665
.LBB166_1663:
	s_mov_b64 s[20:21], -1
                                        ; implicit-def: $vgpr3
	s_branch .LBB166_1668
.LBB166_1664:
	s_mov_b64 s[20:21], -1
                                        ; implicit-def: $vgpr3
.LBB166_1665:
	s_andn2_b64 vcc, exec, s[20:21]
	s_cbranch_vccnz .LBB166_1667
; %bb.1666:
	global_load_ushort v3, v[1:2], off
.LBB166_1667:
	s_mov_b64 s[20:21], 0
.LBB166_1668:
	s_andn2_b64 vcc, exec, s[20:21]
	s_cbranch_vccnz .LBB166_1674
; %bb.1669:
	global_load_ubyte v4, v[1:2], off
	s_movk_i32 s20, 0x7f
	s_mov_b64 s[22:23], 0
	s_waitcnt vmcnt(0)
	v_cmp_lt_i16_e32 vcc, s20, v4
	s_and_saveexec_b64 s[20:21], vcc
	s_xor_b64 s[20:21], exec, s[20:21]
	s_cbranch_execz .LBB166_1685
; %bb.1670:
	s_movk_i32 s22, 0x80
	v_cmp_ne_u16_e32 vcc, s22, v4
	s_and_b64 s[22:23], vcc, exec
	s_andn2_saveexec_b64 s[20:21], s[20:21]
	s_cbranch_execnz .LBB166_1686
.LBB166_1671:
	s_or_b64 exec, exec, s[20:21]
	v_mov_b32_e32 v3, 0
	s_and_saveexec_b64 s[20:21], s[22:23]
	s_cbranch_execz .LBB166_1673
.LBB166_1672:
	v_lshlrev_b32_e32 v3, 24, v4
	v_and_b32_e32 v4, 0xffff, v4
	v_and_b32_e32 v7, 7, v4
	v_ffbh_u32_e32 v9, v7
	v_min_u32_e32 v9, 32, v9
	v_subrev_u32_e32 v10, 28, v9
	v_bfe_u32 v8, v4, 3, 4
	v_lshlrev_b32_e32 v4, v10, v4
	v_sub_u32_e32 v9, 29, v9
	v_and_b32_e32 v4, 7, v4
	v_cmp_eq_u32_e32 vcc, 0, v8
	v_cndmask_b32_e32 v8, v8, v9, vcc
	v_cndmask_b32_e32 v4, v7, v4, vcc
	v_mov_b32_e32 v7, 0x3b800000
	v_lshlrev_b32_e32 v4, 20, v4
	v_and_b32_e32 v3, 0x80000000, v3
	v_lshl_add_u32 v7, v8, 23, v7
	v_or3_b32 v3, v3, v7, v4
	v_cvt_i32_f32_e32 v3, v3
.LBB166_1673:
	s_or_b64 exec, exec, s[20:21]
.LBB166_1674:
	s_mov_b64 s[20:21], -1
.LBB166_1675:
	s_branch .LBB166_1706
.LBB166_1676:
	s_cmp_gt_i32 s15, 22
	s_cbranch_scc0 .LBB166_1684
; %bb.1677:
	s_cmp_lt_i32 s15, 24
	s_cbranch_scc1 .LBB166_1687
; %bb.1678:
	s_cmp_gt_i32 s15, 24
	s_cbranch_scc0 .LBB166_1688
; %bb.1679:
	global_load_ubyte v4, v[1:2], off
	s_movk_i32 s16, 0x7f
	s_mov_b64 s[20:21], 0
	s_waitcnt vmcnt(0)
	v_cmp_lt_i16_e32 vcc, s16, v4
	s_and_saveexec_b64 s[16:17], vcc
	s_xor_b64 s[16:17], exec, s[16:17]
	s_cbranch_execz .LBB166_1700
; %bb.1680:
	s_movk_i32 s20, 0x80
	v_cmp_ne_u16_e32 vcc, s20, v4
	s_and_b64 s[20:21], vcc, exec
	s_andn2_saveexec_b64 s[16:17], s[16:17]
	s_cbranch_execnz .LBB166_1701
.LBB166_1681:
	s_or_b64 exec, exec, s[16:17]
	v_mov_b32_e32 v3, 0
	s_and_saveexec_b64 s[16:17], s[20:21]
	s_cbranch_execz .LBB166_1683
.LBB166_1682:
	v_lshlrev_b32_e32 v3, 24, v4
	v_and_b32_e32 v4, 0xffff, v4
	v_and_b32_e32 v7, 3, v4
	v_ffbh_u32_e32 v9, v7
	v_min_u32_e32 v9, 32, v9
	v_subrev_u32_e32 v10, 29, v9
	v_bfe_u32 v8, v4, 2, 5
	v_lshlrev_b32_e32 v4, v10, v4
	v_sub_u32_e32 v9, 30, v9
	v_and_b32_e32 v4, 3, v4
	v_cmp_eq_u32_e32 vcc, 0, v8
	v_cndmask_b32_e32 v8, v8, v9, vcc
	v_cndmask_b32_e32 v4, v7, v4, vcc
	v_mov_b32_e32 v7, 0x37800000
	v_lshlrev_b32_e32 v4, 21, v4
	v_and_b32_e32 v3, 0x80000000, v3
	v_lshl_add_u32 v7, v8, 23, v7
	v_or3_b32 v3, v3, v7, v4
	v_cvt_i32_f32_e32 v3, v3
.LBB166_1683:
	s_or_b64 exec, exec, s[16:17]
	s_mov_b64 s[16:17], 0
	s_branch .LBB166_1689
.LBB166_1684:
	s_mov_b64 s[16:17], -1
                                        ; implicit-def: $vgpr3
	s_branch .LBB166_1695
.LBB166_1685:
	s_andn2_saveexec_b64 s[20:21], s[20:21]
	s_cbranch_execz .LBB166_1671
.LBB166_1686:
	v_cmp_ne_u16_e32 vcc, 0, v4
	s_andn2_b64 s[22:23], s[22:23], exec
	s_and_b64 s[26:27], vcc, exec
	s_or_b64 s[22:23], s[22:23], s[26:27]
	s_or_b64 exec, exec, s[20:21]
	v_mov_b32_e32 v3, 0
	s_and_saveexec_b64 s[20:21], s[22:23]
	s_cbranch_execnz .LBB166_1672
	s_branch .LBB166_1673
.LBB166_1687:
	s_mov_b64 s[16:17], -1
                                        ; implicit-def: $vgpr3
	s_branch .LBB166_1692
.LBB166_1688:
	s_mov_b64 s[16:17], -1
                                        ; implicit-def: $vgpr3
.LBB166_1689:
	s_and_b64 vcc, exec, s[16:17]
	s_cbranch_vccz .LBB166_1691
; %bb.1690:
	global_load_ubyte v3, v[1:2], off
	s_mov_b32 s16, 0x7f800000
	s_waitcnt vmcnt(0)
	v_lshlrev_b32_e32 v3, 24, v3
	v_and_b32_e32 v4, 0x7f000000, v3
	v_ffbh_u32_e32 v7, v4
	v_min_u32_e32 v7, 32, v7
	v_sub_u32_e64 v7, v7, 4 clamp
	v_lshlrev_b32_e32 v9, v7, v4
	v_lshlrev_b32_e32 v7, 23, v7
	v_lshrrev_b32_e32 v9, 4, v9
	v_add_u32_e32 v8, 0x1000000, v4
	v_sub_u32_e32 v7, v9, v7
	v_ashrrev_i32_e32 v8, 8, v8
	v_add_u32_e32 v7, 0x3c000000, v7
	v_and_or_b32 v7, v8, s16, v7
	v_cmp_ne_u32_e32 vcc, 0, v4
	v_cndmask_b32_e32 v4, 0, v7, vcc
	s_brev_b32 s16, 1
	v_and_or_b32 v3, v3, s16, v4
	v_cvt_i32_f32_e32 v3, v3
.LBB166_1691:
	s_mov_b64 s[16:17], 0
.LBB166_1692:
	s_andn2_b64 vcc, exec, s[16:17]
	s_cbranch_vccnz .LBB166_1694
; %bb.1693:
	global_load_ubyte v3, v[1:2], off
	s_movk_i32 s16, 0x7f00
	s_brev_b32 s17, 16
	s_waitcnt vmcnt(0)
	v_lshlrev_b16_e32 v4, 8, v3
	v_lshlrev_b32_e32 v3, 25, v3
	v_lshrrev_b32_e32 v7, 4, v3
	v_and_or_b32 v8, v4, s16, 0.5
	v_or_b32_e32 v7, 0x70000000, v7
	v_add_f32_e32 v8, -0.5, v8
	v_mul_f32_e32 v7, 0x7800000, v7
	v_cmp_gt_u32_e32 vcc, s17, v3
	v_bfe_i32 v4, v4, 0, 16
	v_cndmask_b32_e32 v3, v7, v8, vcc
	s_brev_b32 s16, 1
	v_and_or_b32 v3, v4, s16, v3
	v_cvt_i32_f32_e32 v3, v3
.LBB166_1694:
	s_mov_b64 s[16:17], 0
	s_mov_b64 s[20:21], -1
.LBB166_1695:
	s_andn2_b64 vcc, exec, s[16:17]
	s_mov_b64 s[16:17], 0
	s_cbranch_vccnz .LBB166_1706
; %bb.1696:
	s_cmp_gt_i32 s15, 14
	s_cbranch_scc0 .LBB166_1699
; %bb.1697:
	s_cmp_eq_u32 s15, 15
	s_cbranch_scc0 .LBB166_1702
; %bb.1698:
	global_load_ushort v3, v[1:2], off
	s_mov_b64 s[0:1], 0
	s_mov_b64 s[20:21], -1
	s_waitcnt vmcnt(0)
	v_lshlrev_b32_e32 v3, 16, v3
	v_cvt_i32_f32_e32 v3, v3
	s_branch .LBB166_1703
.LBB166_1699:
	s_mov_b64 s[22:23], -1
                                        ; implicit-def: $vgpr3
	s_branch .LBB166_1704
.LBB166_1700:
	s_andn2_saveexec_b64 s[16:17], s[16:17]
	s_cbranch_execz .LBB166_1681
.LBB166_1701:
	v_cmp_ne_u16_e32 vcc, 0, v4
	s_andn2_b64 s[20:21], s[20:21], exec
	s_and_b64 s[22:23], vcc, exec
	s_or_b64 s[20:21], s[20:21], s[22:23]
	s_or_b64 exec, exec, s[16:17]
	v_mov_b32_e32 v3, 0
	s_and_saveexec_b64 s[16:17], s[20:21]
	s_cbranch_execnz .LBB166_1682
	s_branch .LBB166_1683
.LBB166_1702:
	s_mov_b64 s[0:1], -1
                                        ; implicit-def: $vgpr3
.LBB166_1703:
	s_mov_b64 s[22:23], 0
.LBB166_1704:
	s_and_b64 vcc, exec, s[22:23]
	s_cbranch_vccz .LBB166_1706
; %bb.1705:
	s_cmp_lg_u32 s15, 11
	s_mov_b64 s[16:17], -1
	s_cselect_b64 s[0:1], -1, 0
.LBB166_1706:
	s_and_b64 vcc, exec, s[0:1]
	s_cbranch_vccnz .LBB166_1769
; %bb.1707:
	s_andn2_b64 vcc, exec, s[16:17]
	s_cbranch_vccnz .LBB166_1709
.LBB166_1708:
	global_load_ubyte v3, v[1:2], off
	s_mov_b64 s[20:21], -1
	s_waitcnt vmcnt(0)
	v_cmp_ne_u16_e32 vcc, 0, v3
	v_cndmask_b32_e64 v3, 0, 1, vcc
.LBB166_1709:
	s_branch .LBB166_1640
.LBB166_1710:
	s_and_b32 s15, 0xffff, s25
	s_cmp_lt_i32 s15, 5
	s_cbranch_scc1 .LBB166_1715
; %bb.1711:
	s_cmp_lt_i32 s15, 8
	s_cbranch_scc1 .LBB166_1716
; %bb.1712:
	;; [unrolled: 3-line block ×3, first 2 shown]
	s_cmp_gt_i32 s15, 9
	s_cbranch_scc0 .LBB166_1718
; %bb.1714:
	global_load_dwordx2 v[3:4], v[1:2], off
	s_mov_b64 s[0:1], 0
	s_waitcnt vmcnt(0)
	v_cvt_i32_f64_e32 v3, v[3:4]
	s_branch .LBB166_1719
.LBB166_1715:
                                        ; implicit-def: $vgpr3
	s_branch .LBB166_1737
.LBB166_1716:
	s_mov_b64 s[0:1], -1
                                        ; implicit-def: $vgpr3
	s_branch .LBB166_1725
.LBB166_1717:
	s_mov_b64 s[0:1], -1
                                        ; implicit-def: $vgpr3
	s_branch .LBB166_1722
.LBB166_1718:
	s_mov_b64 s[0:1], -1
                                        ; implicit-def: $vgpr3
.LBB166_1719:
	s_andn2_b64 vcc, exec, s[0:1]
	s_cbranch_vccnz .LBB166_1721
; %bb.1720:
	global_load_dword v3, v[1:2], off
	s_waitcnt vmcnt(0)
	v_cvt_i32_f32_e32 v3, v3
.LBB166_1721:
	s_mov_b64 s[0:1], 0
.LBB166_1722:
	s_andn2_b64 vcc, exec, s[0:1]
	s_cbranch_vccnz .LBB166_1724
; %bb.1723:
	global_load_dword v3, v[1:2], off
	s_waitcnt vmcnt(0)
	v_cvt_i16_f16_e32 v3, v3
.LBB166_1724:
	s_mov_b64 s[0:1], 0
.LBB166_1725:
	s_andn2_b64 vcc, exec, s[0:1]
	s_cbranch_vccnz .LBB166_1736
; %bb.1726:
	s_cmp_lt_i32 s15, 6
	s_cbranch_scc1 .LBB166_1729
; %bb.1727:
	s_cmp_gt_i32 s15, 6
	s_cbranch_scc0 .LBB166_1730
; %bb.1728:
	global_load_dwordx2 v[3:4], v[1:2], off
	s_mov_b64 s[0:1], 0
	s_waitcnt vmcnt(0)
	v_cvt_i32_f64_e32 v3, v[3:4]
	s_branch .LBB166_1731
.LBB166_1729:
	s_mov_b64 s[0:1], -1
                                        ; implicit-def: $vgpr3
	s_branch .LBB166_1734
.LBB166_1730:
	s_mov_b64 s[0:1], -1
                                        ; implicit-def: $vgpr3
.LBB166_1731:
	s_andn2_b64 vcc, exec, s[0:1]
	s_cbranch_vccnz .LBB166_1733
; %bb.1732:
	global_load_dword v3, v[1:2], off
	s_waitcnt vmcnt(0)
	v_cvt_i32_f32_e32 v3, v3
.LBB166_1733:
	s_mov_b64 s[0:1], 0
.LBB166_1734:
	s_andn2_b64 vcc, exec, s[0:1]
	s_cbranch_vccnz .LBB166_1736
; %bb.1735:
	global_load_ushort v3, v[1:2], off
	s_waitcnt vmcnt(0)
	v_cvt_i16_f16_e32 v3, v3
.LBB166_1736:
	s_cbranch_execnz .LBB166_1756
.LBB166_1737:
	s_cmp_lt_i32 s15, 2
	s_cbranch_scc1 .LBB166_1741
; %bb.1738:
	s_cmp_lt_i32 s15, 3
	s_cbranch_scc1 .LBB166_1742
; %bb.1739:
	s_cmp_gt_i32 s15, 3
	s_cbranch_scc0 .LBB166_1743
; %bb.1740:
	global_load_dwordx2 v[3:4], v[1:2], off
	s_mov_b64 s[0:1], 0
	s_branch .LBB166_1744
.LBB166_1741:
	s_mov_b64 s[0:1], -1
                                        ; implicit-def: $vgpr3
	s_branch .LBB166_1750
.LBB166_1742:
	s_mov_b64 s[0:1], -1
                                        ; implicit-def: $vgpr3
	s_branch .LBB166_1747
.LBB166_1743:
	s_mov_b64 s[0:1], -1
                                        ; implicit-def: $vgpr3
.LBB166_1744:
	s_andn2_b64 vcc, exec, s[0:1]
	s_cbranch_vccnz .LBB166_1746
; %bb.1745:
	global_load_dword v3, v[1:2], off
.LBB166_1746:
	s_mov_b64 s[0:1], 0
.LBB166_1747:
	s_andn2_b64 vcc, exec, s[0:1]
	s_cbranch_vccnz .LBB166_1749
; %bb.1748:
	global_load_ushort v3, v[1:2], off
.LBB166_1749:
	s_mov_b64 s[0:1], 0
.LBB166_1750:
	s_andn2_b64 vcc, exec, s[0:1]
	s_cbranch_vccnz .LBB166_1756
; %bb.1751:
	s_cmp_gt_i32 s15, 0
	s_cbranch_scc0 .LBB166_1753
; %bb.1752:
	global_load_ubyte v3, v[1:2], off
	s_mov_b64 s[0:1], 0
	s_branch .LBB166_1754
.LBB166_1753:
	s_mov_b64 s[0:1], -1
                                        ; implicit-def: $vgpr3
.LBB166_1754:
	s_andn2_b64 vcc, exec, s[0:1]
	s_cbranch_vccnz .LBB166_1756
; %bb.1755:
	global_load_ubyte v3, v[1:2], off
.LBB166_1756:
.LBB166_1757:
	s_lshl_b32 s13, s13, 7
	v_add_u32_e32 v8, s13, v5
	v_ashrrev_i32_e32 v1, 31, v8
	v_mov_b32_e32 v2, s11
	s_waitcnt vmcnt(0)
	v_add_co_u32_e32 v4, vcc, s10, v8
	s_cmp_lt_i32 s24, 11
	v_addc_co_u32_e32 v5, vcc, v2, v1, vcc
	s_cbranch_scc1 .LBB166_1764
; %bb.1758:
	s_and_b32 s15, 0xffff, s24
	s_cmp_gt_i32 s15, 25
	s_mov_b64 s[16:17], 0
	s_cbranch_scc0 .LBB166_1766
; %bb.1759:
	s_cmp_gt_i32 s15, 28
	s_cbranch_scc0 .LBB166_1767
; %bb.1760:
	s_cmp_gt_i32 s15, 43
	;; [unrolled: 3-line block ×3, first 2 shown]
	s_cbranch_scc0 .LBB166_1770
; %bb.1762:
	s_cmp_eq_u32 s15, 46
	s_mov_b64 s[22:23], 0
	s_cbranch_scc0 .LBB166_1771
; %bb.1763:
	global_load_dword v1, v[4:5], off
	s_mov_b64 s[0:1], 0
	s_mov_b64 s[20:21], -1
	s_waitcnt vmcnt(0)
	v_lshlrev_b32_e32 v1, 16, v1
	v_cvt_i32_f32_e32 v1, v1
	s_branch .LBB166_1772
.LBB166_1764:
	s_mov_b64 s[20:21], 0
                                        ; implicit-def: $vgpr1
	s_cbranch_execnz .LBB166_1834
.LBB166_1765:
	s_andn2_b64 vcc, exec, s[20:21]
	s_cbranch_vccnz .LBB166_2947
	s_branch .LBB166_1882
.LBB166_1766:
	s_mov_b64 s[22:23], -1
	s_mov_b64 s[20:21], 0
	s_mov_b64 s[0:1], 0
                                        ; implicit-def: $vgpr1
	s_branch .LBB166_1799
.LBB166_1767:
	s_mov_b64 s[22:23], -1
	s_mov_b64 s[20:21], 0
	s_mov_b64 s[0:1], 0
                                        ; implicit-def: $vgpr1
	s_branch .LBB166_1782
.LBB166_1768:
	s_mov_b64 s[22:23], -1
	s_mov_b64 s[20:21], 0
	s_mov_b64 s[0:1], 0
                                        ; implicit-def: $vgpr1
	s_branch .LBB166_1777
.LBB166_1769:
	s_trap 2
	s_or_b64 s[18:19], s[18:19], exec
	s_cbranch_execz .LBB166_1708
	s_branch .LBB166_1709
.LBB166_1770:
	s_mov_b64 s[22:23], -1
	s_mov_b64 s[20:21], 0
	s_mov_b64 s[0:1], 0
                                        ; implicit-def: $vgpr1
	s_branch .LBB166_1772
.LBB166_1771:
	s_mov_b64 s[0:1], -1
                                        ; implicit-def: $vgpr1
	s_mov_b64 s[20:21], 0
.LBB166_1772:
	s_and_b64 vcc, exec, s[22:23]
	s_cbranch_vccz .LBB166_1776
; %bb.1773:
	s_cmp_eq_u32 s15, 44
	s_cbranch_scc0 .LBB166_1775
; %bb.1774:
	global_load_ubyte v1, v[4:5], off
	s_mov_b64 s[0:1], 0
	s_mov_b64 s[20:21], -1
	s_waitcnt vmcnt(0)
	v_lshlrev_b32_e32 v2, 23, v1
	v_cvt_i32_f32_e32 v2, v2
	v_cmp_ne_u32_e32 vcc, 0, v1
	v_cndmask_b32_e32 v1, 0, v2, vcc
	s_branch .LBB166_1776
.LBB166_1775:
	s_mov_b64 s[0:1], -1
                                        ; implicit-def: $vgpr1
.LBB166_1776:
	s_mov_b64 s[22:23], 0
.LBB166_1777:
	s_and_b64 vcc, exec, s[22:23]
	s_cbranch_vccz .LBB166_1781
; %bb.1778:
	s_cmp_eq_u32 s15, 29
	s_cbranch_scc0 .LBB166_1780
; %bb.1779:
	global_load_dwordx2 v[1:2], v[4:5], off
	s_mov_b64 s[0:1], 0
	s_mov_b64 s[20:21], -1
	s_branch .LBB166_1781
.LBB166_1780:
	s_mov_b64 s[0:1], -1
                                        ; implicit-def: $vgpr1
.LBB166_1781:
	s_mov_b64 s[22:23], 0
.LBB166_1782:
	s_and_b64 vcc, exec, s[22:23]
	s_cbranch_vccz .LBB166_1798
; %bb.1783:
	s_cmp_lt_i32 s15, 27
	s_cbranch_scc1 .LBB166_1786
; %bb.1784:
	s_cmp_gt_i32 s15, 27
	s_cbranch_scc0 .LBB166_1787
; %bb.1785:
	global_load_dword v1, v[4:5], off
	s_mov_b64 s[20:21], 0
	s_branch .LBB166_1788
.LBB166_1786:
	s_mov_b64 s[20:21], -1
                                        ; implicit-def: $vgpr1
	s_branch .LBB166_1791
.LBB166_1787:
	s_mov_b64 s[20:21], -1
                                        ; implicit-def: $vgpr1
.LBB166_1788:
	s_andn2_b64 vcc, exec, s[20:21]
	s_cbranch_vccnz .LBB166_1790
; %bb.1789:
	global_load_ushort v1, v[4:5], off
.LBB166_1790:
	s_mov_b64 s[20:21], 0
.LBB166_1791:
	s_andn2_b64 vcc, exec, s[20:21]
	s_cbranch_vccnz .LBB166_1797
; %bb.1792:
	global_load_ubyte v2, v[4:5], off
	s_movk_i32 s20, 0x7f
	s_mov_b64 s[22:23], 0
	s_waitcnt vmcnt(0)
	v_cmp_lt_i16_e32 vcc, s20, v2
	s_and_saveexec_b64 s[20:21], vcc
	s_xor_b64 s[20:21], exec, s[20:21]
	s_cbranch_execz .LBB166_1809
; %bb.1793:
	s_movk_i32 s22, 0x80
	v_cmp_ne_u16_e32 vcc, s22, v2
	s_and_b64 s[22:23], vcc, exec
	s_andn2_saveexec_b64 s[20:21], s[20:21]
	s_cbranch_execnz .LBB166_1810
.LBB166_1794:
	s_or_b64 exec, exec, s[20:21]
	v_mov_b32_e32 v1, 0
	s_and_saveexec_b64 s[20:21], s[22:23]
	s_cbranch_execz .LBB166_1796
.LBB166_1795:
	v_lshlrev_b32_e32 v1, 24, v2
	v_and_b32_e32 v2, 0xffff, v2
	v_and_b32_e32 v7, 7, v2
	v_ffbh_u32_e32 v10, v7
	v_min_u32_e32 v10, 32, v10
	v_subrev_u32_e32 v11, 28, v10
	v_bfe_u32 v9, v2, 3, 4
	v_lshlrev_b32_e32 v2, v11, v2
	v_sub_u32_e32 v10, 29, v10
	v_and_b32_e32 v2, 7, v2
	v_cmp_eq_u32_e32 vcc, 0, v9
	v_cndmask_b32_e32 v9, v9, v10, vcc
	v_cndmask_b32_e32 v2, v7, v2, vcc
	v_mov_b32_e32 v7, 0x3b800000
	v_lshlrev_b32_e32 v2, 20, v2
	v_and_b32_e32 v1, 0x80000000, v1
	v_lshl_add_u32 v7, v9, 23, v7
	v_or3_b32 v1, v1, v7, v2
	v_cvt_i32_f32_e32 v1, v1
.LBB166_1796:
	s_or_b64 exec, exec, s[20:21]
.LBB166_1797:
	s_mov_b64 s[20:21], -1
.LBB166_1798:
	s_mov_b64 s[22:23], 0
.LBB166_1799:
	s_and_b64 vcc, exec, s[22:23]
	s_cbranch_vccz .LBB166_1830
; %bb.1800:
	s_cmp_gt_i32 s15, 22
	s_cbranch_scc0 .LBB166_1808
; %bb.1801:
	s_cmp_lt_i32 s15, 24
	s_cbranch_scc1 .LBB166_1811
; %bb.1802:
	s_cmp_gt_i32 s15, 24
	s_cbranch_scc0 .LBB166_1812
; %bb.1803:
	global_load_ubyte v2, v[4:5], off
	s_movk_i32 s16, 0x7f
	s_mov_b64 s[20:21], 0
	s_waitcnt vmcnt(0)
	v_cmp_lt_i16_e32 vcc, s16, v2
	s_and_saveexec_b64 s[16:17], vcc
	s_xor_b64 s[16:17], exec, s[16:17]
	s_cbranch_execz .LBB166_1824
; %bb.1804:
	s_movk_i32 s20, 0x80
	v_cmp_ne_u16_e32 vcc, s20, v2
	s_and_b64 s[20:21], vcc, exec
	s_andn2_saveexec_b64 s[16:17], s[16:17]
	s_cbranch_execnz .LBB166_1825
.LBB166_1805:
	s_or_b64 exec, exec, s[16:17]
	v_mov_b32_e32 v1, 0
	s_and_saveexec_b64 s[16:17], s[20:21]
	s_cbranch_execz .LBB166_1807
.LBB166_1806:
	v_lshlrev_b32_e32 v1, 24, v2
	v_and_b32_e32 v2, 0xffff, v2
	v_and_b32_e32 v7, 3, v2
	v_ffbh_u32_e32 v10, v7
	v_min_u32_e32 v10, 32, v10
	v_subrev_u32_e32 v11, 29, v10
	v_bfe_u32 v9, v2, 2, 5
	v_lshlrev_b32_e32 v2, v11, v2
	v_sub_u32_e32 v10, 30, v10
	v_and_b32_e32 v2, 3, v2
	v_cmp_eq_u32_e32 vcc, 0, v9
	v_cndmask_b32_e32 v9, v9, v10, vcc
	v_cndmask_b32_e32 v2, v7, v2, vcc
	v_mov_b32_e32 v7, 0x37800000
	v_lshlrev_b32_e32 v2, 21, v2
	v_and_b32_e32 v1, 0x80000000, v1
	v_lshl_add_u32 v7, v9, 23, v7
	v_or3_b32 v1, v1, v7, v2
	v_cvt_i32_f32_e32 v1, v1
.LBB166_1807:
	s_or_b64 exec, exec, s[16:17]
	s_mov_b64 s[16:17], 0
	s_branch .LBB166_1813
.LBB166_1808:
	s_mov_b64 s[16:17], -1
                                        ; implicit-def: $vgpr1
	s_branch .LBB166_1819
.LBB166_1809:
	s_andn2_saveexec_b64 s[20:21], s[20:21]
	s_cbranch_execz .LBB166_1794
.LBB166_1810:
	v_cmp_ne_u16_e32 vcc, 0, v2
	s_andn2_b64 s[22:23], s[22:23], exec
	s_and_b64 s[26:27], vcc, exec
	s_or_b64 s[22:23], s[22:23], s[26:27]
	s_or_b64 exec, exec, s[20:21]
	v_mov_b32_e32 v1, 0
	s_and_saveexec_b64 s[20:21], s[22:23]
	s_cbranch_execnz .LBB166_1795
	s_branch .LBB166_1796
.LBB166_1811:
	s_mov_b64 s[16:17], -1
                                        ; implicit-def: $vgpr1
	s_branch .LBB166_1816
.LBB166_1812:
	s_mov_b64 s[16:17], -1
                                        ; implicit-def: $vgpr1
.LBB166_1813:
	s_and_b64 vcc, exec, s[16:17]
	s_cbranch_vccz .LBB166_1815
; %bb.1814:
	global_load_ubyte v1, v[4:5], off
	s_mov_b32 s16, 0x7f800000
	s_waitcnt vmcnt(0)
	v_lshlrev_b32_e32 v1, 24, v1
	v_and_b32_e32 v2, 0x7f000000, v1
	v_ffbh_u32_e32 v7, v2
	v_min_u32_e32 v7, 32, v7
	v_sub_u32_e64 v7, v7, 4 clamp
	v_lshlrev_b32_e32 v10, v7, v2
	v_lshlrev_b32_e32 v7, 23, v7
	v_lshrrev_b32_e32 v10, 4, v10
	v_add_u32_e32 v9, 0x1000000, v2
	v_sub_u32_e32 v7, v10, v7
	v_ashrrev_i32_e32 v9, 8, v9
	v_add_u32_e32 v7, 0x3c000000, v7
	v_and_or_b32 v7, v9, s16, v7
	v_cmp_ne_u32_e32 vcc, 0, v2
	v_cndmask_b32_e32 v2, 0, v7, vcc
	s_brev_b32 s16, 1
	v_and_or_b32 v1, v1, s16, v2
	v_cvt_i32_f32_e32 v1, v1
.LBB166_1815:
	s_mov_b64 s[16:17], 0
.LBB166_1816:
	s_andn2_b64 vcc, exec, s[16:17]
	s_cbranch_vccnz .LBB166_1818
; %bb.1817:
	global_load_ubyte v1, v[4:5], off
	s_movk_i32 s16, 0x7f00
	s_brev_b32 s17, 16
	s_waitcnt vmcnt(0)
	v_lshlrev_b16_e32 v2, 8, v1
	v_lshlrev_b32_e32 v1, 25, v1
	v_lshrrev_b32_e32 v7, 4, v1
	v_and_or_b32 v9, v2, s16, 0.5
	v_or_b32_e32 v7, 0x70000000, v7
	v_add_f32_e32 v9, -0.5, v9
	v_mul_f32_e32 v7, 0x7800000, v7
	v_cmp_gt_u32_e32 vcc, s17, v1
	v_bfe_i32 v2, v2, 0, 16
	v_cndmask_b32_e32 v1, v7, v9, vcc
	s_brev_b32 s16, 1
	v_and_or_b32 v1, v2, s16, v1
	v_cvt_i32_f32_e32 v1, v1
.LBB166_1818:
	s_mov_b64 s[16:17], 0
	s_mov_b64 s[20:21], -1
.LBB166_1819:
	s_andn2_b64 vcc, exec, s[16:17]
	s_mov_b64 s[16:17], 0
	s_cbranch_vccnz .LBB166_1830
; %bb.1820:
	s_cmp_gt_i32 s15, 14
	s_cbranch_scc0 .LBB166_1823
; %bb.1821:
	s_cmp_eq_u32 s15, 15
	s_cbranch_scc0 .LBB166_1826
; %bb.1822:
	global_load_ushort v1, v[4:5], off
	s_mov_b64 s[0:1], 0
	s_mov_b64 s[20:21], -1
	s_waitcnt vmcnt(0)
	v_lshlrev_b32_e32 v1, 16, v1
	v_cvt_i32_f32_e32 v1, v1
	s_branch .LBB166_1827
.LBB166_1823:
	s_mov_b64 s[22:23], -1
                                        ; implicit-def: $vgpr1
	s_branch .LBB166_1828
.LBB166_1824:
	s_andn2_saveexec_b64 s[16:17], s[16:17]
	s_cbranch_execz .LBB166_1805
.LBB166_1825:
	v_cmp_ne_u16_e32 vcc, 0, v2
	s_andn2_b64 s[20:21], s[20:21], exec
	s_and_b64 s[22:23], vcc, exec
	s_or_b64 s[20:21], s[20:21], s[22:23]
	s_or_b64 exec, exec, s[16:17]
	v_mov_b32_e32 v1, 0
	s_and_saveexec_b64 s[16:17], s[20:21]
	s_cbranch_execnz .LBB166_1806
	s_branch .LBB166_1807
.LBB166_1826:
	s_mov_b64 s[0:1], -1
                                        ; implicit-def: $vgpr1
.LBB166_1827:
	s_mov_b64 s[22:23], 0
.LBB166_1828:
	s_and_b64 vcc, exec, s[22:23]
	s_cbranch_vccz .LBB166_1830
; %bb.1829:
	s_cmp_lg_u32 s15, 11
	s_mov_b64 s[16:17], -1
	s_cselect_b64 s[0:1], -1, 0
.LBB166_1830:
	s_and_b64 vcc, exec, s[0:1]
	s_cbranch_vccnz .LBB166_1893
; %bb.1831:
	s_andn2_b64 vcc, exec, s[16:17]
	s_cbranch_vccnz .LBB166_1833
.LBB166_1832:
	global_load_ubyte v1, v[4:5], off
	s_mov_b64 s[20:21], -1
	s_waitcnt vmcnt(0)
	v_cmp_ne_u16_e32 vcc, 0, v1
	v_cndmask_b32_e64 v1, 0, 1, vcc
.LBB166_1833:
	s_branch .LBB166_1765
.LBB166_1834:
	s_and_b32 s15, 0xffff, s24
	s_cmp_lt_i32 s15, 5
	s_cbranch_scc1 .LBB166_1839
; %bb.1835:
	s_cmp_lt_i32 s15, 8
	s_cbranch_scc1 .LBB166_1840
; %bb.1836:
	;; [unrolled: 3-line block ×3, first 2 shown]
	s_cmp_gt_i32 s15, 9
	s_cbranch_scc0 .LBB166_1842
; %bb.1838:
	global_load_dwordx2 v[1:2], v[4:5], off
	s_mov_b64 s[0:1], 0
	s_waitcnt vmcnt(0)
	v_cvt_i32_f64_e32 v1, v[1:2]
	s_branch .LBB166_1843
.LBB166_1839:
	s_mov_b64 s[0:1], -1
                                        ; implicit-def: $vgpr1
	s_branch .LBB166_1861
.LBB166_1840:
	s_mov_b64 s[0:1], -1
                                        ; implicit-def: $vgpr1
	s_branch .LBB166_1849
.LBB166_1841:
	s_mov_b64 s[0:1], -1
                                        ; implicit-def: $vgpr1
	s_branch .LBB166_1846
.LBB166_1842:
	s_mov_b64 s[0:1], -1
                                        ; implicit-def: $vgpr1
.LBB166_1843:
	s_andn2_b64 vcc, exec, s[0:1]
	s_cbranch_vccnz .LBB166_1845
; %bb.1844:
	global_load_dword v1, v[4:5], off
	s_waitcnt vmcnt(0)
	v_cvt_i32_f32_e32 v1, v1
.LBB166_1845:
	s_mov_b64 s[0:1], 0
.LBB166_1846:
	s_andn2_b64 vcc, exec, s[0:1]
	s_cbranch_vccnz .LBB166_1848
; %bb.1847:
	global_load_dword v1, v[4:5], off
	s_waitcnt vmcnt(0)
	v_cvt_i16_f16_e32 v1, v1
.LBB166_1848:
	s_mov_b64 s[0:1], 0
.LBB166_1849:
	s_andn2_b64 vcc, exec, s[0:1]
	s_cbranch_vccnz .LBB166_1860
; %bb.1850:
	s_cmp_lt_i32 s15, 6
	s_cbranch_scc1 .LBB166_1853
; %bb.1851:
	s_cmp_gt_i32 s15, 6
	s_cbranch_scc0 .LBB166_1854
; %bb.1852:
	global_load_dwordx2 v[1:2], v[4:5], off
	s_mov_b64 s[0:1], 0
	s_waitcnt vmcnt(0)
	v_cvt_i32_f64_e32 v1, v[1:2]
	s_branch .LBB166_1855
.LBB166_1853:
	s_mov_b64 s[0:1], -1
                                        ; implicit-def: $vgpr1
	s_branch .LBB166_1858
.LBB166_1854:
	s_mov_b64 s[0:1], -1
                                        ; implicit-def: $vgpr1
.LBB166_1855:
	s_andn2_b64 vcc, exec, s[0:1]
	s_cbranch_vccnz .LBB166_1857
; %bb.1856:
	global_load_dword v1, v[4:5], off
	s_waitcnt vmcnt(0)
	v_cvt_i32_f32_e32 v1, v1
.LBB166_1857:
	s_mov_b64 s[0:1], 0
.LBB166_1858:
	s_andn2_b64 vcc, exec, s[0:1]
	s_cbranch_vccnz .LBB166_1860
; %bb.1859:
	global_load_ushort v1, v[4:5], off
	s_waitcnt vmcnt(0)
	v_cvt_i16_f16_e32 v1, v1
.LBB166_1860:
	s_mov_b64 s[0:1], 0
.LBB166_1861:
	s_andn2_b64 vcc, exec, s[0:1]
	s_cbranch_vccnz .LBB166_1881
; %bb.1862:
	s_cmp_lt_i32 s15, 2
	s_cbranch_scc1 .LBB166_1866
; %bb.1863:
	s_cmp_lt_i32 s15, 3
	s_cbranch_scc1 .LBB166_1867
; %bb.1864:
	s_cmp_gt_i32 s15, 3
	s_cbranch_scc0 .LBB166_1868
; %bb.1865:
	global_load_dwordx2 v[1:2], v[4:5], off
	s_mov_b64 s[0:1], 0
	s_branch .LBB166_1869
.LBB166_1866:
	s_mov_b64 s[0:1], -1
                                        ; implicit-def: $vgpr1
	s_branch .LBB166_1875
.LBB166_1867:
	s_mov_b64 s[0:1], -1
                                        ; implicit-def: $vgpr1
	s_branch .LBB166_1872
.LBB166_1868:
	s_mov_b64 s[0:1], -1
                                        ; implicit-def: $vgpr1
.LBB166_1869:
	s_andn2_b64 vcc, exec, s[0:1]
	s_cbranch_vccnz .LBB166_1871
; %bb.1870:
	global_load_dword v1, v[4:5], off
.LBB166_1871:
	s_mov_b64 s[0:1], 0
.LBB166_1872:
	s_andn2_b64 vcc, exec, s[0:1]
	s_cbranch_vccnz .LBB166_1874
; %bb.1873:
	global_load_ushort v1, v[4:5], off
.LBB166_1874:
	s_mov_b64 s[0:1], 0
.LBB166_1875:
	s_andn2_b64 vcc, exec, s[0:1]
	s_cbranch_vccnz .LBB166_1881
; %bb.1876:
	s_cmp_gt_i32 s15, 0
	s_cbranch_scc0 .LBB166_1878
; %bb.1877:
	global_load_ubyte v1, v[4:5], off
	s_mov_b64 s[0:1], 0
	s_branch .LBB166_1879
.LBB166_1878:
	s_mov_b64 s[0:1], -1
                                        ; implicit-def: $vgpr1
.LBB166_1879:
	s_andn2_b64 vcc, exec, s[0:1]
	s_cbranch_vccnz .LBB166_1881
; %bb.1880:
	global_load_ubyte v1, v[4:5], off
.LBB166_1881:
.LBB166_1882:
	s_lshl_b32 s22, s14, 7
	s_waitcnt vmcnt(0)
	v_add_u32_e32 v2, s22, v6
	v_ashrrev_i32_e32 v5, 31, v2
	v_mov_b32_e32 v6, s3
	v_add_co_u32_e32 v4, vcc, s2, v2
	s_cmp_lt_i32 s25, 11
	v_addc_co_u32_e32 v5, vcc, v6, v5, vcc
	s_cbranch_scc1 .LBB166_1889
; %bb.1883:
	s_and_b32 s23, 0xffff, s25
	s_cmp_gt_i32 s23, 25
	s_mov_b64 s[14:15], 0
	s_cbranch_scc0 .LBB166_1890
; %bb.1884:
	s_cmp_gt_i32 s23, 28
	s_cbranch_scc0 .LBB166_1891
; %bb.1885:
	s_cmp_gt_i32 s23, 43
	;; [unrolled: 3-line block ×3, first 2 shown]
	s_cbranch_scc0 .LBB166_1894
; %bb.1887:
	s_cmp_eq_u32 s23, 46
	s_mov_b64 s[20:21], 0
	s_cbranch_scc0 .LBB166_1895
; %bb.1888:
	global_load_dword v6, v[4:5], off
	s_mov_b64 s[0:1], 0
	s_mov_b64 s[16:17], -1
	s_waitcnt vmcnt(0)
	v_lshlrev_b32_e32 v6, 16, v6
	v_cvt_i32_f32_e32 v6, v6
	s_branch .LBB166_1896
.LBB166_1889:
	s_mov_b64 s[0:1], -1
	s_mov_b64 s[16:17], 0
                                        ; implicit-def: $vgpr6
	s_branch .LBB166_1958
.LBB166_1890:
	s_mov_b64 s[20:21], -1
	s_mov_b64 s[16:17], 0
	s_mov_b64 s[0:1], 0
                                        ; implicit-def: $vgpr6
	s_branch .LBB166_1923
.LBB166_1891:
	s_mov_b64 s[20:21], -1
	s_mov_b64 s[16:17], 0
	s_mov_b64 s[0:1], 0
                                        ; implicit-def: $vgpr6
	s_branch .LBB166_1906
.LBB166_1892:
	s_mov_b64 s[20:21], -1
	s_mov_b64 s[16:17], 0
	s_mov_b64 s[0:1], 0
                                        ; implicit-def: $vgpr6
	s_branch .LBB166_1901
.LBB166_1893:
	s_trap 2
	s_or_b64 s[18:19], s[18:19], exec
	s_cbranch_execz .LBB166_1832
	s_branch .LBB166_1833
.LBB166_1894:
	s_mov_b64 s[20:21], -1
	s_mov_b64 s[16:17], 0
	s_mov_b64 s[0:1], 0
                                        ; implicit-def: $vgpr6
	s_branch .LBB166_1896
.LBB166_1895:
	s_mov_b64 s[0:1], -1
                                        ; implicit-def: $vgpr6
	s_mov_b64 s[16:17], 0
.LBB166_1896:
	s_and_b64 vcc, exec, s[20:21]
	s_cbranch_vccz .LBB166_1900
; %bb.1897:
	s_cmp_eq_u32 s23, 44
	s_cbranch_scc0 .LBB166_1899
; %bb.1898:
	global_load_ubyte v6, v[4:5], off
	s_mov_b64 s[0:1], 0
	s_mov_b64 s[16:17], -1
	s_waitcnt vmcnt(0)
	v_lshlrev_b32_e32 v7, 23, v6
	v_cvt_i32_f32_e32 v7, v7
	v_cmp_ne_u32_e32 vcc, 0, v6
	v_cndmask_b32_e32 v6, 0, v7, vcc
	s_branch .LBB166_1900
.LBB166_1899:
	s_mov_b64 s[0:1], -1
                                        ; implicit-def: $vgpr6
.LBB166_1900:
	s_mov_b64 s[20:21], 0
.LBB166_1901:
	s_and_b64 vcc, exec, s[20:21]
	s_cbranch_vccz .LBB166_1905
; %bb.1902:
	s_cmp_eq_u32 s23, 29
	s_cbranch_scc0 .LBB166_1904
; %bb.1903:
	global_load_dwordx2 v[6:7], v[4:5], off
	s_mov_b64 s[0:1], 0
	s_mov_b64 s[16:17], -1
	s_branch .LBB166_1905
.LBB166_1904:
	s_mov_b64 s[0:1], -1
                                        ; implicit-def: $vgpr6
.LBB166_1905:
	s_mov_b64 s[20:21], 0
.LBB166_1906:
	s_and_b64 vcc, exec, s[20:21]
	s_cbranch_vccz .LBB166_1922
; %bb.1907:
	s_cmp_lt_i32 s23, 27
	s_cbranch_scc1 .LBB166_1910
; %bb.1908:
	s_cmp_gt_i32 s23, 27
	s_cbranch_scc0 .LBB166_1911
; %bb.1909:
	global_load_dword v6, v[4:5], off
	s_mov_b64 s[16:17], 0
	s_branch .LBB166_1912
.LBB166_1910:
	s_mov_b64 s[16:17], -1
                                        ; implicit-def: $vgpr6
	s_branch .LBB166_1915
.LBB166_1911:
	s_mov_b64 s[16:17], -1
                                        ; implicit-def: $vgpr6
.LBB166_1912:
	s_andn2_b64 vcc, exec, s[16:17]
	s_cbranch_vccnz .LBB166_1914
; %bb.1913:
	global_load_ushort v6, v[4:5], off
.LBB166_1914:
	s_mov_b64 s[16:17], 0
.LBB166_1915:
	s_andn2_b64 vcc, exec, s[16:17]
	s_cbranch_vccnz .LBB166_1921
; %bb.1916:
	global_load_ubyte v7, v[4:5], off
	s_movk_i32 s16, 0x7f
	s_mov_b64 s[20:21], 0
	s_waitcnt vmcnt(0)
	v_cmp_lt_i16_e32 vcc, s16, v7
	s_and_saveexec_b64 s[16:17], vcc
	s_xor_b64 s[16:17], exec, s[16:17]
	s_cbranch_execz .LBB166_1933
; %bb.1917:
	s_movk_i32 s20, 0x80
	v_cmp_ne_u16_e32 vcc, s20, v7
	s_and_b64 s[20:21], vcc, exec
	s_andn2_saveexec_b64 s[16:17], s[16:17]
	s_cbranch_execnz .LBB166_1934
.LBB166_1918:
	s_or_b64 exec, exec, s[16:17]
	v_mov_b32_e32 v6, 0
	s_and_saveexec_b64 s[16:17], s[20:21]
	s_cbranch_execz .LBB166_1920
.LBB166_1919:
	v_lshlrev_b32_e32 v6, 24, v7
	v_and_b32_e32 v7, 0xffff, v7
	v_and_b32_e32 v9, 7, v7
	v_ffbh_u32_e32 v11, v9
	v_min_u32_e32 v11, 32, v11
	v_subrev_u32_e32 v12, 28, v11
	v_bfe_u32 v10, v7, 3, 4
	v_lshlrev_b32_e32 v7, v12, v7
	v_sub_u32_e32 v11, 29, v11
	v_and_b32_e32 v7, 7, v7
	v_cmp_eq_u32_e32 vcc, 0, v10
	v_cndmask_b32_e32 v10, v10, v11, vcc
	v_cndmask_b32_e32 v7, v9, v7, vcc
	v_mov_b32_e32 v9, 0x3b800000
	v_lshlrev_b32_e32 v7, 20, v7
	v_and_b32_e32 v6, 0x80000000, v6
	v_lshl_add_u32 v9, v10, 23, v9
	v_or3_b32 v6, v6, v9, v7
	v_cvt_i32_f32_e32 v6, v6
.LBB166_1920:
	s_or_b64 exec, exec, s[16:17]
.LBB166_1921:
	s_mov_b64 s[16:17], -1
.LBB166_1922:
	s_mov_b64 s[20:21], 0
.LBB166_1923:
	s_and_b64 vcc, exec, s[20:21]
	s_cbranch_vccz .LBB166_1954
; %bb.1924:
	s_cmp_gt_i32 s23, 22
	s_cbranch_scc0 .LBB166_1932
; %bb.1925:
	s_cmp_lt_i32 s23, 24
	s_cbranch_scc1 .LBB166_1935
; %bb.1926:
	s_cmp_gt_i32 s23, 24
	s_cbranch_scc0 .LBB166_1936
; %bb.1927:
	global_load_ubyte v7, v[4:5], off
	s_movk_i32 s14, 0x7f
	s_mov_b64 s[16:17], 0
	s_waitcnt vmcnt(0)
	v_cmp_lt_i16_e32 vcc, s14, v7
	s_and_saveexec_b64 s[14:15], vcc
	s_xor_b64 s[14:15], exec, s[14:15]
	s_cbranch_execz .LBB166_1948
; %bb.1928:
	s_movk_i32 s16, 0x80
	v_cmp_ne_u16_e32 vcc, s16, v7
	s_and_b64 s[16:17], vcc, exec
	s_andn2_saveexec_b64 s[14:15], s[14:15]
	s_cbranch_execnz .LBB166_1949
.LBB166_1929:
	s_or_b64 exec, exec, s[14:15]
	v_mov_b32_e32 v6, 0
	s_and_saveexec_b64 s[14:15], s[16:17]
	s_cbranch_execz .LBB166_1931
.LBB166_1930:
	v_lshlrev_b32_e32 v6, 24, v7
	v_and_b32_e32 v7, 0xffff, v7
	v_and_b32_e32 v9, 3, v7
	v_ffbh_u32_e32 v11, v9
	v_min_u32_e32 v11, 32, v11
	v_subrev_u32_e32 v12, 29, v11
	v_bfe_u32 v10, v7, 2, 5
	v_lshlrev_b32_e32 v7, v12, v7
	v_sub_u32_e32 v11, 30, v11
	v_and_b32_e32 v7, 3, v7
	v_cmp_eq_u32_e32 vcc, 0, v10
	v_cndmask_b32_e32 v10, v10, v11, vcc
	v_cndmask_b32_e32 v7, v9, v7, vcc
	v_mov_b32_e32 v9, 0x37800000
	v_lshlrev_b32_e32 v7, 21, v7
	v_and_b32_e32 v6, 0x80000000, v6
	v_lshl_add_u32 v9, v10, 23, v9
	v_or3_b32 v6, v6, v9, v7
	v_cvt_i32_f32_e32 v6, v6
.LBB166_1931:
	s_or_b64 exec, exec, s[14:15]
	s_mov_b64 s[14:15], 0
	s_branch .LBB166_1937
.LBB166_1932:
	s_mov_b64 s[14:15], -1
                                        ; implicit-def: $vgpr6
	s_branch .LBB166_1943
.LBB166_1933:
	s_andn2_saveexec_b64 s[16:17], s[16:17]
	s_cbranch_execz .LBB166_1918
.LBB166_1934:
	v_cmp_ne_u16_e32 vcc, 0, v7
	s_andn2_b64 s[20:21], s[20:21], exec
	s_and_b64 s[26:27], vcc, exec
	s_or_b64 s[20:21], s[20:21], s[26:27]
	s_or_b64 exec, exec, s[16:17]
	v_mov_b32_e32 v6, 0
	s_and_saveexec_b64 s[16:17], s[20:21]
	s_cbranch_execnz .LBB166_1919
	s_branch .LBB166_1920
.LBB166_1935:
	s_mov_b64 s[14:15], -1
                                        ; implicit-def: $vgpr6
	s_branch .LBB166_1940
.LBB166_1936:
	s_mov_b64 s[14:15], -1
                                        ; implicit-def: $vgpr6
.LBB166_1937:
	s_and_b64 vcc, exec, s[14:15]
	s_cbranch_vccz .LBB166_1939
; %bb.1938:
	global_load_ubyte v6, v[4:5], off
	s_mov_b32 s14, 0x7f800000
	s_waitcnt vmcnt(0)
	v_lshlrev_b32_e32 v6, 24, v6
	v_and_b32_e32 v7, 0x7f000000, v6
	v_ffbh_u32_e32 v9, v7
	v_min_u32_e32 v9, 32, v9
	v_sub_u32_e64 v9, v9, 4 clamp
	v_lshlrev_b32_e32 v11, v9, v7
	v_lshlrev_b32_e32 v9, 23, v9
	v_lshrrev_b32_e32 v11, 4, v11
	v_add_u32_e32 v10, 0x1000000, v7
	v_sub_u32_e32 v9, v11, v9
	v_ashrrev_i32_e32 v10, 8, v10
	v_add_u32_e32 v9, 0x3c000000, v9
	v_and_or_b32 v9, v10, s14, v9
	v_cmp_ne_u32_e32 vcc, 0, v7
	v_cndmask_b32_e32 v7, 0, v9, vcc
	s_brev_b32 s14, 1
	v_and_or_b32 v6, v6, s14, v7
	v_cvt_i32_f32_e32 v6, v6
.LBB166_1939:
	s_mov_b64 s[14:15], 0
.LBB166_1940:
	s_andn2_b64 vcc, exec, s[14:15]
	s_cbranch_vccnz .LBB166_1942
; %bb.1941:
	global_load_ubyte v6, v[4:5], off
	s_movk_i32 s14, 0x7f00
	s_brev_b32 s15, 16
	s_waitcnt vmcnt(0)
	v_lshlrev_b16_e32 v7, 8, v6
	v_lshlrev_b32_e32 v6, 25, v6
	v_lshrrev_b32_e32 v9, 4, v6
	v_and_or_b32 v10, v7, s14, 0.5
	v_or_b32_e32 v9, 0x70000000, v9
	v_add_f32_e32 v10, -0.5, v10
	v_mul_f32_e32 v9, 0x7800000, v9
	v_cmp_gt_u32_e32 vcc, s15, v6
	v_bfe_i32 v7, v7, 0, 16
	v_cndmask_b32_e32 v6, v9, v10, vcc
	s_brev_b32 s14, 1
	v_and_or_b32 v6, v7, s14, v6
	v_cvt_i32_f32_e32 v6, v6
.LBB166_1942:
	s_mov_b64 s[14:15], 0
	s_mov_b64 s[16:17], -1
.LBB166_1943:
	s_andn2_b64 vcc, exec, s[14:15]
	s_mov_b64 s[14:15], 0
	s_cbranch_vccnz .LBB166_1954
; %bb.1944:
	s_cmp_gt_i32 s23, 14
	s_cbranch_scc0 .LBB166_1947
; %bb.1945:
	s_cmp_eq_u32 s23, 15
	s_cbranch_scc0 .LBB166_1950
; %bb.1946:
	global_load_ushort v6, v[4:5], off
	s_mov_b64 s[0:1], 0
	s_mov_b64 s[16:17], -1
	s_waitcnt vmcnt(0)
	v_lshlrev_b32_e32 v6, 16, v6
	v_cvt_i32_f32_e32 v6, v6
	s_branch .LBB166_1951
.LBB166_1947:
	s_mov_b64 s[20:21], -1
                                        ; implicit-def: $vgpr6
	s_branch .LBB166_1952
.LBB166_1948:
	s_andn2_saveexec_b64 s[14:15], s[14:15]
	s_cbranch_execz .LBB166_1929
.LBB166_1949:
	v_cmp_ne_u16_e32 vcc, 0, v7
	s_andn2_b64 s[16:17], s[16:17], exec
	s_and_b64 s[20:21], vcc, exec
	s_or_b64 s[16:17], s[16:17], s[20:21]
	s_or_b64 exec, exec, s[14:15]
	v_mov_b32_e32 v6, 0
	s_and_saveexec_b64 s[14:15], s[16:17]
	s_cbranch_execnz .LBB166_1930
	s_branch .LBB166_1931
.LBB166_1950:
	s_mov_b64 s[0:1], -1
                                        ; implicit-def: $vgpr6
.LBB166_1951:
	s_mov_b64 s[20:21], 0
.LBB166_1952:
	s_and_b64 vcc, exec, s[20:21]
	s_cbranch_vccz .LBB166_1954
; %bb.1953:
	s_cmp_lg_u32 s23, 11
	s_mov_b64 s[14:15], -1
	s_cselect_b64 s[0:1], -1, 0
.LBB166_1954:
	s_and_b64 vcc, exec, s[0:1]
	s_cbranch_vccnz .LBB166_2019
; %bb.1955:
	s_andn2_b64 vcc, exec, s[14:15]
	s_cbranch_vccnz .LBB166_1957
.LBB166_1956:
	global_load_ubyte v6, v[4:5], off
	s_mov_b64 s[16:17], -1
	s_waitcnt vmcnt(0)
	v_cmp_ne_u16_e32 vcc, 0, v6
	v_cndmask_b32_e64 v6, 0, 1, vcc
.LBB166_1957:
	s_mov_b64 s[0:1], 0
.LBB166_1958:
	s_and_b64 vcc, exec, s[0:1]
	s_cbranch_vccz .LBB166_2007
; %bb.1959:
	s_and_b32 s14, 0xffff, s25
	s_cmp_lt_i32 s14, 5
	s_cbranch_scc1 .LBB166_1964
; %bb.1960:
	s_cmp_lt_i32 s14, 8
	s_cbranch_scc1 .LBB166_1965
; %bb.1961:
	;; [unrolled: 3-line block ×3, first 2 shown]
	s_cmp_gt_i32 s14, 9
	s_cbranch_scc0 .LBB166_1967
; %bb.1963:
	global_load_dwordx2 v[6:7], v[4:5], off
	s_mov_b64 s[0:1], 0
	s_waitcnt vmcnt(0)
	v_cvt_i32_f64_e32 v6, v[6:7]
	s_branch .LBB166_1968
.LBB166_1964:
	s_mov_b64 s[0:1], -1
                                        ; implicit-def: $vgpr6
	s_branch .LBB166_1986
.LBB166_1965:
	s_mov_b64 s[0:1], -1
                                        ; implicit-def: $vgpr6
	s_branch .LBB166_1974
.LBB166_1966:
	s_mov_b64 s[0:1], -1
                                        ; implicit-def: $vgpr6
	s_branch .LBB166_1971
.LBB166_1967:
	s_mov_b64 s[0:1], -1
                                        ; implicit-def: $vgpr6
.LBB166_1968:
	s_andn2_b64 vcc, exec, s[0:1]
	s_cbranch_vccnz .LBB166_1970
; %bb.1969:
	global_load_dword v6, v[4:5], off
	s_waitcnt vmcnt(0)
	v_cvt_i32_f32_e32 v6, v6
.LBB166_1970:
	s_mov_b64 s[0:1], 0
.LBB166_1971:
	s_andn2_b64 vcc, exec, s[0:1]
	s_cbranch_vccnz .LBB166_1973
; %bb.1972:
	global_load_dword v6, v[4:5], off
	s_waitcnt vmcnt(0)
	v_cvt_i16_f16_e32 v6, v6
.LBB166_1973:
	s_mov_b64 s[0:1], 0
.LBB166_1974:
	s_andn2_b64 vcc, exec, s[0:1]
	s_cbranch_vccnz .LBB166_1985
; %bb.1975:
	s_cmp_lt_i32 s14, 6
	s_cbranch_scc1 .LBB166_1978
; %bb.1976:
	s_cmp_gt_i32 s14, 6
	s_cbranch_scc0 .LBB166_1979
; %bb.1977:
	global_load_dwordx2 v[6:7], v[4:5], off
	s_mov_b64 s[0:1], 0
	s_waitcnt vmcnt(0)
	v_cvt_i32_f64_e32 v6, v[6:7]
	s_branch .LBB166_1980
.LBB166_1978:
	s_mov_b64 s[0:1], -1
                                        ; implicit-def: $vgpr6
	s_branch .LBB166_1983
.LBB166_1979:
	s_mov_b64 s[0:1], -1
                                        ; implicit-def: $vgpr6
.LBB166_1980:
	s_andn2_b64 vcc, exec, s[0:1]
	s_cbranch_vccnz .LBB166_1982
; %bb.1981:
	global_load_dword v6, v[4:5], off
	s_waitcnt vmcnt(0)
	v_cvt_i32_f32_e32 v6, v6
.LBB166_1982:
	s_mov_b64 s[0:1], 0
.LBB166_1983:
	s_andn2_b64 vcc, exec, s[0:1]
	s_cbranch_vccnz .LBB166_1985
; %bb.1984:
	global_load_ushort v6, v[4:5], off
	s_waitcnt vmcnt(0)
	v_cvt_i16_f16_e32 v6, v6
.LBB166_1985:
	s_mov_b64 s[0:1], 0
.LBB166_1986:
	s_andn2_b64 vcc, exec, s[0:1]
	s_cbranch_vccnz .LBB166_2006
; %bb.1987:
	s_cmp_lt_i32 s14, 2
	s_cbranch_scc1 .LBB166_1991
; %bb.1988:
	s_cmp_lt_i32 s14, 3
	s_cbranch_scc1 .LBB166_1992
; %bb.1989:
	s_cmp_gt_i32 s14, 3
	s_cbranch_scc0 .LBB166_1993
; %bb.1990:
	global_load_dwordx2 v[6:7], v[4:5], off
	s_mov_b64 s[0:1], 0
	s_branch .LBB166_1994
.LBB166_1991:
	s_mov_b64 s[0:1], -1
                                        ; implicit-def: $vgpr6
	s_branch .LBB166_2000
.LBB166_1992:
	s_mov_b64 s[0:1], -1
                                        ; implicit-def: $vgpr6
	s_branch .LBB166_1997
.LBB166_1993:
	s_mov_b64 s[0:1], -1
                                        ; implicit-def: $vgpr6
.LBB166_1994:
	s_andn2_b64 vcc, exec, s[0:1]
	s_cbranch_vccnz .LBB166_1996
; %bb.1995:
	global_load_dword v6, v[4:5], off
.LBB166_1996:
	s_mov_b64 s[0:1], 0
.LBB166_1997:
	s_andn2_b64 vcc, exec, s[0:1]
	s_cbranch_vccnz .LBB166_1999
; %bb.1998:
	global_load_ushort v6, v[4:5], off
.LBB166_1999:
	s_mov_b64 s[0:1], 0
.LBB166_2000:
	s_andn2_b64 vcc, exec, s[0:1]
	s_cbranch_vccnz .LBB166_2006
; %bb.2001:
	s_cmp_gt_i32 s14, 0
	s_cbranch_scc0 .LBB166_2003
; %bb.2002:
	global_load_ubyte v6, v[4:5], off
	s_mov_b64 s[0:1], 0
	s_branch .LBB166_2004
.LBB166_2003:
	s_mov_b64 s[0:1], -1
                                        ; implicit-def: $vgpr6
.LBB166_2004:
	s_andn2_b64 vcc, exec, s[0:1]
	s_cbranch_vccnz .LBB166_2006
; %bb.2005:
	global_load_ubyte v6, v[4:5], off
.LBB166_2006:
	s_mov_b64 s[16:17], -1
.LBB166_2007:
	s_andn2_b64 vcc, exec, s[16:17]
	s_cbranch_vccnz .LBB166_2947
; %bb.2008:
	v_add_u32_e32 v11, s13, v8
	v_ashrrev_i32_e32 v4, 31, v11
	v_mov_b32_e32 v5, s11
	s_waitcnt vmcnt(0)
	v_add_co_u32_e32 v7, vcc, s10, v11
	s_cmp_lt_i32 s24, 11
	v_addc_co_u32_e32 v8, vcc, v5, v4, vcc
	s_cbranch_scc1 .LBB166_2015
; %bb.2009:
	s_and_b32 s23, 0xffff, s24
	s_cmp_gt_i32 s23, 25
	s_mov_b64 s[14:15], 0
	s_cbranch_scc0 .LBB166_2016
; %bb.2010:
	s_cmp_gt_i32 s23, 28
	s_cbranch_scc0 .LBB166_2017
; %bb.2011:
	s_cmp_gt_i32 s23, 43
	;; [unrolled: 3-line block ×3, first 2 shown]
	s_cbranch_scc0 .LBB166_2020
; %bb.2013:
	s_cmp_eq_u32 s23, 46
	s_mov_b64 s[20:21], 0
	s_cbranch_scc0 .LBB166_2021
; %bb.2014:
	global_load_dword v4, v[7:8], off
	s_mov_b64 s[0:1], 0
	s_mov_b64 s[16:17], -1
	s_waitcnt vmcnt(0)
	v_lshlrev_b32_e32 v4, 16, v4
	v_cvt_i32_f32_e32 v4, v4
	s_branch .LBB166_2022
.LBB166_2015:
	s_mov_b64 s[0:1], -1
	s_mov_b64 s[16:17], 0
                                        ; implicit-def: $vgpr4
	s_branch .LBB166_2084
.LBB166_2016:
	s_mov_b64 s[20:21], -1
	s_mov_b64 s[16:17], 0
	s_mov_b64 s[0:1], 0
                                        ; implicit-def: $vgpr4
	s_branch .LBB166_2049
.LBB166_2017:
	s_mov_b64 s[20:21], -1
	s_mov_b64 s[16:17], 0
	s_mov_b64 s[0:1], 0
                                        ; implicit-def: $vgpr4
	s_branch .LBB166_2032
.LBB166_2018:
	s_mov_b64 s[20:21], -1
	s_mov_b64 s[16:17], 0
	s_mov_b64 s[0:1], 0
                                        ; implicit-def: $vgpr4
	s_branch .LBB166_2027
.LBB166_2019:
	s_trap 2
	s_or_b64 s[18:19], s[18:19], exec
	s_cbranch_execz .LBB166_1956
	s_branch .LBB166_1957
.LBB166_2020:
	s_mov_b64 s[20:21], -1
	s_mov_b64 s[16:17], 0
	s_mov_b64 s[0:1], 0
                                        ; implicit-def: $vgpr4
	s_branch .LBB166_2022
.LBB166_2021:
	s_mov_b64 s[0:1], -1
                                        ; implicit-def: $vgpr4
	s_mov_b64 s[16:17], 0
.LBB166_2022:
	s_and_b64 vcc, exec, s[20:21]
	s_cbranch_vccz .LBB166_2026
; %bb.2023:
	s_cmp_eq_u32 s23, 44
	s_cbranch_scc0 .LBB166_2025
; %bb.2024:
	global_load_ubyte v4, v[7:8], off
	s_mov_b64 s[0:1], 0
	s_mov_b64 s[16:17], -1
	s_waitcnt vmcnt(0)
	v_lshlrev_b32_e32 v5, 23, v4
	v_cvt_i32_f32_e32 v5, v5
	v_cmp_ne_u32_e32 vcc, 0, v4
	v_cndmask_b32_e32 v4, 0, v5, vcc
	s_branch .LBB166_2026
.LBB166_2025:
	s_mov_b64 s[0:1], -1
                                        ; implicit-def: $vgpr4
.LBB166_2026:
	s_mov_b64 s[20:21], 0
.LBB166_2027:
	s_and_b64 vcc, exec, s[20:21]
	s_cbranch_vccz .LBB166_2031
; %bb.2028:
	s_cmp_eq_u32 s23, 29
	s_cbranch_scc0 .LBB166_2030
; %bb.2029:
	global_load_dwordx2 v[4:5], v[7:8], off
	s_mov_b64 s[0:1], 0
	s_mov_b64 s[16:17], -1
	s_branch .LBB166_2031
.LBB166_2030:
	s_mov_b64 s[0:1], -1
                                        ; implicit-def: $vgpr4
.LBB166_2031:
	s_mov_b64 s[20:21], 0
.LBB166_2032:
	s_and_b64 vcc, exec, s[20:21]
	s_cbranch_vccz .LBB166_2048
; %bb.2033:
	s_cmp_lt_i32 s23, 27
	s_cbranch_scc1 .LBB166_2036
; %bb.2034:
	s_cmp_gt_i32 s23, 27
	s_cbranch_scc0 .LBB166_2037
; %bb.2035:
	global_load_dword v4, v[7:8], off
	s_mov_b64 s[16:17], 0
	s_branch .LBB166_2038
.LBB166_2036:
	s_mov_b64 s[16:17], -1
                                        ; implicit-def: $vgpr4
	s_branch .LBB166_2041
.LBB166_2037:
	s_mov_b64 s[16:17], -1
                                        ; implicit-def: $vgpr4
.LBB166_2038:
	s_andn2_b64 vcc, exec, s[16:17]
	s_cbranch_vccnz .LBB166_2040
; %bb.2039:
	global_load_ushort v4, v[7:8], off
.LBB166_2040:
	s_mov_b64 s[16:17], 0
.LBB166_2041:
	s_andn2_b64 vcc, exec, s[16:17]
	s_cbranch_vccnz .LBB166_2047
; %bb.2042:
	global_load_ubyte v5, v[7:8], off
	s_movk_i32 s16, 0x7f
	s_mov_b64 s[20:21], 0
	s_waitcnt vmcnt(0)
	v_cmp_lt_i16_e32 vcc, s16, v5
	s_and_saveexec_b64 s[16:17], vcc
	s_xor_b64 s[16:17], exec, s[16:17]
	s_cbranch_execz .LBB166_2059
; %bb.2043:
	s_movk_i32 s20, 0x80
	v_cmp_ne_u16_e32 vcc, s20, v5
	s_and_b64 s[20:21], vcc, exec
	s_andn2_saveexec_b64 s[16:17], s[16:17]
	s_cbranch_execnz .LBB166_2060
.LBB166_2044:
	s_or_b64 exec, exec, s[16:17]
	v_mov_b32_e32 v4, 0
	s_and_saveexec_b64 s[16:17], s[20:21]
	s_cbranch_execz .LBB166_2046
.LBB166_2045:
	v_lshlrev_b32_e32 v4, 24, v5
	v_and_b32_e32 v5, 0xffff, v5
	v_and_b32_e32 v9, 7, v5
	v_ffbh_u32_e32 v12, v9
	v_min_u32_e32 v12, 32, v12
	v_subrev_u32_e32 v13, 28, v12
	v_bfe_u32 v10, v5, 3, 4
	v_lshlrev_b32_e32 v5, v13, v5
	v_sub_u32_e32 v12, 29, v12
	v_and_b32_e32 v5, 7, v5
	v_cmp_eq_u32_e32 vcc, 0, v10
	v_cndmask_b32_e32 v10, v10, v12, vcc
	v_cndmask_b32_e32 v5, v9, v5, vcc
	v_mov_b32_e32 v9, 0x3b800000
	v_lshlrev_b32_e32 v5, 20, v5
	v_and_b32_e32 v4, 0x80000000, v4
	v_lshl_add_u32 v9, v10, 23, v9
	v_or3_b32 v4, v4, v9, v5
	v_cvt_i32_f32_e32 v4, v4
.LBB166_2046:
	s_or_b64 exec, exec, s[16:17]
.LBB166_2047:
	s_mov_b64 s[16:17], -1
.LBB166_2048:
	s_mov_b64 s[20:21], 0
.LBB166_2049:
	s_and_b64 vcc, exec, s[20:21]
	s_cbranch_vccz .LBB166_2080
; %bb.2050:
	s_cmp_gt_i32 s23, 22
	s_cbranch_scc0 .LBB166_2058
; %bb.2051:
	s_cmp_lt_i32 s23, 24
	s_cbranch_scc1 .LBB166_2061
; %bb.2052:
	s_cmp_gt_i32 s23, 24
	s_cbranch_scc0 .LBB166_2062
; %bb.2053:
	global_load_ubyte v5, v[7:8], off
	s_movk_i32 s14, 0x7f
	s_mov_b64 s[16:17], 0
	s_waitcnt vmcnt(0)
	v_cmp_lt_i16_e32 vcc, s14, v5
	s_and_saveexec_b64 s[14:15], vcc
	s_xor_b64 s[14:15], exec, s[14:15]
	s_cbranch_execz .LBB166_2074
; %bb.2054:
	s_movk_i32 s16, 0x80
	v_cmp_ne_u16_e32 vcc, s16, v5
	s_and_b64 s[16:17], vcc, exec
	s_andn2_saveexec_b64 s[14:15], s[14:15]
	s_cbranch_execnz .LBB166_2075
.LBB166_2055:
	s_or_b64 exec, exec, s[14:15]
	v_mov_b32_e32 v4, 0
	s_and_saveexec_b64 s[14:15], s[16:17]
	s_cbranch_execz .LBB166_2057
.LBB166_2056:
	v_lshlrev_b32_e32 v4, 24, v5
	v_and_b32_e32 v5, 0xffff, v5
	v_and_b32_e32 v9, 3, v5
	v_ffbh_u32_e32 v12, v9
	v_min_u32_e32 v12, 32, v12
	v_subrev_u32_e32 v13, 29, v12
	v_bfe_u32 v10, v5, 2, 5
	v_lshlrev_b32_e32 v5, v13, v5
	v_sub_u32_e32 v12, 30, v12
	v_and_b32_e32 v5, 3, v5
	v_cmp_eq_u32_e32 vcc, 0, v10
	v_cndmask_b32_e32 v10, v10, v12, vcc
	v_cndmask_b32_e32 v5, v9, v5, vcc
	v_mov_b32_e32 v9, 0x37800000
	v_lshlrev_b32_e32 v5, 21, v5
	v_and_b32_e32 v4, 0x80000000, v4
	v_lshl_add_u32 v9, v10, 23, v9
	v_or3_b32 v4, v4, v9, v5
	v_cvt_i32_f32_e32 v4, v4
.LBB166_2057:
	s_or_b64 exec, exec, s[14:15]
	s_mov_b64 s[14:15], 0
	s_branch .LBB166_2063
.LBB166_2058:
	s_mov_b64 s[14:15], -1
                                        ; implicit-def: $vgpr4
	s_branch .LBB166_2069
.LBB166_2059:
	s_andn2_saveexec_b64 s[16:17], s[16:17]
	s_cbranch_execz .LBB166_2044
.LBB166_2060:
	v_cmp_ne_u16_e32 vcc, 0, v5
	s_andn2_b64 s[20:21], s[20:21], exec
	s_and_b64 s[26:27], vcc, exec
	s_or_b64 s[20:21], s[20:21], s[26:27]
	s_or_b64 exec, exec, s[16:17]
	v_mov_b32_e32 v4, 0
	s_and_saveexec_b64 s[16:17], s[20:21]
	s_cbranch_execnz .LBB166_2045
	s_branch .LBB166_2046
.LBB166_2061:
	s_mov_b64 s[14:15], -1
                                        ; implicit-def: $vgpr4
	s_branch .LBB166_2066
.LBB166_2062:
	s_mov_b64 s[14:15], -1
                                        ; implicit-def: $vgpr4
.LBB166_2063:
	s_and_b64 vcc, exec, s[14:15]
	s_cbranch_vccz .LBB166_2065
; %bb.2064:
	global_load_ubyte v4, v[7:8], off
	s_mov_b32 s14, 0x7f800000
	s_waitcnt vmcnt(0)
	v_lshlrev_b32_e32 v4, 24, v4
	v_and_b32_e32 v5, 0x7f000000, v4
	v_ffbh_u32_e32 v9, v5
	v_min_u32_e32 v9, 32, v9
	v_sub_u32_e64 v9, v9, 4 clamp
	v_lshlrev_b32_e32 v12, v9, v5
	v_lshlrev_b32_e32 v9, 23, v9
	v_lshrrev_b32_e32 v12, 4, v12
	v_add_u32_e32 v10, 0x1000000, v5
	v_sub_u32_e32 v9, v12, v9
	v_ashrrev_i32_e32 v10, 8, v10
	v_add_u32_e32 v9, 0x3c000000, v9
	v_and_or_b32 v9, v10, s14, v9
	v_cmp_ne_u32_e32 vcc, 0, v5
	v_cndmask_b32_e32 v5, 0, v9, vcc
	s_brev_b32 s14, 1
	v_and_or_b32 v4, v4, s14, v5
	v_cvt_i32_f32_e32 v4, v4
.LBB166_2065:
	s_mov_b64 s[14:15], 0
.LBB166_2066:
	s_andn2_b64 vcc, exec, s[14:15]
	s_cbranch_vccnz .LBB166_2068
; %bb.2067:
	global_load_ubyte v4, v[7:8], off
	s_movk_i32 s14, 0x7f00
	s_brev_b32 s15, 16
	s_waitcnt vmcnt(0)
	v_lshlrev_b16_e32 v5, 8, v4
	v_lshlrev_b32_e32 v4, 25, v4
	v_lshrrev_b32_e32 v9, 4, v4
	v_and_or_b32 v10, v5, s14, 0.5
	v_or_b32_e32 v9, 0x70000000, v9
	v_add_f32_e32 v10, -0.5, v10
	v_mul_f32_e32 v9, 0x7800000, v9
	v_cmp_gt_u32_e32 vcc, s15, v4
	v_bfe_i32 v5, v5, 0, 16
	v_cndmask_b32_e32 v4, v9, v10, vcc
	s_brev_b32 s14, 1
	v_and_or_b32 v4, v5, s14, v4
	v_cvt_i32_f32_e32 v4, v4
.LBB166_2068:
	s_mov_b64 s[14:15], 0
	s_mov_b64 s[16:17], -1
.LBB166_2069:
	s_andn2_b64 vcc, exec, s[14:15]
	s_mov_b64 s[14:15], 0
	s_cbranch_vccnz .LBB166_2080
; %bb.2070:
	s_cmp_gt_i32 s23, 14
	s_cbranch_scc0 .LBB166_2073
; %bb.2071:
	s_cmp_eq_u32 s23, 15
	s_cbranch_scc0 .LBB166_2076
; %bb.2072:
	global_load_ushort v4, v[7:8], off
	s_mov_b64 s[0:1], 0
	s_mov_b64 s[16:17], -1
	s_waitcnt vmcnt(0)
	v_lshlrev_b32_e32 v4, 16, v4
	v_cvt_i32_f32_e32 v4, v4
	s_branch .LBB166_2077
.LBB166_2073:
	s_mov_b64 s[20:21], -1
                                        ; implicit-def: $vgpr4
	s_branch .LBB166_2078
.LBB166_2074:
	s_andn2_saveexec_b64 s[14:15], s[14:15]
	s_cbranch_execz .LBB166_2055
.LBB166_2075:
	v_cmp_ne_u16_e32 vcc, 0, v5
	s_andn2_b64 s[16:17], s[16:17], exec
	s_and_b64 s[20:21], vcc, exec
	s_or_b64 s[16:17], s[16:17], s[20:21]
	s_or_b64 exec, exec, s[14:15]
	v_mov_b32_e32 v4, 0
	s_and_saveexec_b64 s[14:15], s[16:17]
	s_cbranch_execnz .LBB166_2056
	s_branch .LBB166_2057
.LBB166_2076:
	s_mov_b64 s[0:1], -1
                                        ; implicit-def: $vgpr4
.LBB166_2077:
	s_mov_b64 s[20:21], 0
.LBB166_2078:
	s_and_b64 vcc, exec, s[20:21]
	s_cbranch_vccz .LBB166_2080
; %bb.2079:
	s_cmp_lg_u32 s23, 11
	s_mov_b64 s[14:15], -1
	s_cselect_b64 s[0:1], -1, 0
.LBB166_2080:
	s_and_b64 vcc, exec, s[0:1]
	s_cbranch_vccnz .LBB166_2145
; %bb.2081:
	s_andn2_b64 vcc, exec, s[14:15]
	s_cbranch_vccnz .LBB166_2083
.LBB166_2082:
	global_load_ubyte v4, v[7:8], off
	s_mov_b64 s[16:17], -1
	s_waitcnt vmcnt(0)
	v_cmp_ne_u16_e32 vcc, 0, v4
	v_cndmask_b32_e64 v4, 0, 1, vcc
.LBB166_2083:
	s_mov_b64 s[0:1], 0
.LBB166_2084:
	s_and_b64 vcc, exec, s[0:1]
	s_cbranch_vccz .LBB166_2133
; %bb.2085:
	s_and_b32 s14, 0xffff, s24
	s_cmp_lt_i32 s14, 5
	s_cbranch_scc1 .LBB166_2090
; %bb.2086:
	s_cmp_lt_i32 s14, 8
	s_cbranch_scc1 .LBB166_2091
; %bb.2087:
	;; [unrolled: 3-line block ×3, first 2 shown]
	s_cmp_gt_i32 s14, 9
	s_cbranch_scc0 .LBB166_2093
; %bb.2089:
	global_load_dwordx2 v[4:5], v[7:8], off
	s_mov_b64 s[0:1], 0
	s_waitcnt vmcnt(0)
	v_cvt_i32_f64_e32 v4, v[4:5]
	s_branch .LBB166_2094
.LBB166_2090:
	s_mov_b64 s[0:1], -1
                                        ; implicit-def: $vgpr4
	s_branch .LBB166_2112
.LBB166_2091:
	s_mov_b64 s[0:1], -1
                                        ; implicit-def: $vgpr4
	s_branch .LBB166_2100
.LBB166_2092:
	s_mov_b64 s[0:1], -1
                                        ; implicit-def: $vgpr4
	s_branch .LBB166_2097
.LBB166_2093:
	s_mov_b64 s[0:1], -1
                                        ; implicit-def: $vgpr4
.LBB166_2094:
	s_andn2_b64 vcc, exec, s[0:1]
	s_cbranch_vccnz .LBB166_2096
; %bb.2095:
	global_load_dword v4, v[7:8], off
	s_waitcnt vmcnt(0)
	v_cvt_i32_f32_e32 v4, v4
.LBB166_2096:
	s_mov_b64 s[0:1], 0
.LBB166_2097:
	s_andn2_b64 vcc, exec, s[0:1]
	s_cbranch_vccnz .LBB166_2099
; %bb.2098:
	global_load_dword v4, v[7:8], off
	s_waitcnt vmcnt(0)
	v_cvt_i16_f16_e32 v4, v4
.LBB166_2099:
	s_mov_b64 s[0:1], 0
.LBB166_2100:
	s_andn2_b64 vcc, exec, s[0:1]
	s_cbranch_vccnz .LBB166_2111
; %bb.2101:
	s_cmp_lt_i32 s14, 6
	s_cbranch_scc1 .LBB166_2104
; %bb.2102:
	s_cmp_gt_i32 s14, 6
	s_cbranch_scc0 .LBB166_2105
; %bb.2103:
	global_load_dwordx2 v[4:5], v[7:8], off
	s_mov_b64 s[0:1], 0
	s_waitcnt vmcnt(0)
	v_cvt_i32_f64_e32 v4, v[4:5]
	s_branch .LBB166_2106
.LBB166_2104:
	s_mov_b64 s[0:1], -1
                                        ; implicit-def: $vgpr4
	s_branch .LBB166_2109
.LBB166_2105:
	s_mov_b64 s[0:1], -1
                                        ; implicit-def: $vgpr4
.LBB166_2106:
	s_andn2_b64 vcc, exec, s[0:1]
	s_cbranch_vccnz .LBB166_2108
; %bb.2107:
	global_load_dword v4, v[7:8], off
	s_waitcnt vmcnt(0)
	v_cvt_i32_f32_e32 v4, v4
.LBB166_2108:
	s_mov_b64 s[0:1], 0
.LBB166_2109:
	s_andn2_b64 vcc, exec, s[0:1]
	s_cbranch_vccnz .LBB166_2111
; %bb.2110:
	global_load_ushort v4, v[7:8], off
	s_waitcnt vmcnt(0)
	v_cvt_i16_f16_e32 v4, v4
.LBB166_2111:
	s_mov_b64 s[0:1], 0
.LBB166_2112:
	s_andn2_b64 vcc, exec, s[0:1]
	s_cbranch_vccnz .LBB166_2132
; %bb.2113:
	s_cmp_lt_i32 s14, 2
	s_cbranch_scc1 .LBB166_2117
; %bb.2114:
	s_cmp_lt_i32 s14, 3
	s_cbranch_scc1 .LBB166_2118
; %bb.2115:
	s_cmp_gt_i32 s14, 3
	s_cbranch_scc0 .LBB166_2119
; %bb.2116:
	global_load_dwordx2 v[4:5], v[7:8], off
	s_mov_b64 s[0:1], 0
	s_branch .LBB166_2120
.LBB166_2117:
	s_mov_b64 s[0:1], -1
                                        ; implicit-def: $vgpr4
	s_branch .LBB166_2126
.LBB166_2118:
	s_mov_b64 s[0:1], -1
                                        ; implicit-def: $vgpr4
	s_branch .LBB166_2123
.LBB166_2119:
	s_mov_b64 s[0:1], -1
                                        ; implicit-def: $vgpr4
.LBB166_2120:
	s_andn2_b64 vcc, exec, s[0:1]
	s_cbranch_vccnz .LBB166_2122
; %bb.2121:
	global_load_dword v4, v[7:8], off
.LBB166_2122:
	s_mov_b64 s[0:1], 0
.LBB166_2123:
	s_andn2_b64 vcc, exec, s[0:1]
	s_cbranch_vccnz .LBB166_2125
; %bb.2124:
	global_load_ushort v4, v[7:8], off
.LBB166_2125:
	s_mov_b64 s[0:1], 0
.LBB166_2126:
	s_andn2_b64 vcc, exec, s[0:1]
	s_cbranch_vccnz .LBB166_2132
; %bb.2127:
	s_cmp_gt_i32 s14, 0
	s_cbranch_scc0 .LBB166_2129
; %bb.2128:
	global_load_ubyte v4, v[7:8], off
	s_mov_b64 s[0:1], 0
	s_branch .LBB166_2130
.LBB166_2129:
	s_mov_b64 s[0:1], -1
                                        ; implicit-def: $vgpr4
.LBB166_2130:
	s_andn2_b64 vcc, exec, s[0:1]
	s_cbranch_vccnz .LBB166_2132
; %bb.2131:
	global_load_ubyte v4, v[7:8], off
.LBB166_2132:
	s_mov_b64 s[16:17], -1
.LBB166_2133:
	s_andn2_b64 vcc, exec, s[16:17]
	s_cbranch_vccnz .LBB166_2947
; %bb.2134:
	v_add_u32_e32 v2, s22, v2
	s_waitcnt vmcnt(0)
	v_ashrrev_i32_e32 v5, 31, v2
	v_mov_b32_e32 v8, s3
	v_add_co_u32_e32 v7, vcc, s2, v2
	s_cmp_lt_i32 s25, 11
	v_addc_co_u32_e32 v8, vcc, v8, v5, vcc
	s_cbranch_scc1 .LBB166_2141
; %bb.2135:
	s_and_b32 s23, 0xffff, s25
	s_cmp_gt_i32 s23, 25
	s_mov_b64 s[14:15], 0
	s_cbranch_scc0 .LBB166_2142
; %bb.2136:
	s_cmp_gt_i32 s23, 28
	s_cbranch_scc0 .LBB166_2143
; %bb.2137:
	s_cmp_gt_i32 s23, 43
	;; [unrolled: 3-line block ×3, first 2 shown]
	s_cbranch_scc0 .LBB166_2146
; %bb.2139:
	s_cmp_eq_u32 s23, 46
	s_mov_b64 s[20:21], 0
	s_cbranch_scc0 .LBB166_2149
; %bb.2140:
	global_load_dword v5, v[7:8], off
	s_mov_b64 s[0:1], 0
	s_mov_b64 s[16:17], -1
	s_waitcnt vmcnt(0)
	v_lshlrev_b32_e32 v5, 16, v5
	v_cvt_i32_f32_e32 v9, v5
	s_branch .LBB166_2150
.LBB166_2141:
	s_mov_b64 s[0:1], -1
	s_mov_b64 s[16:17], 0
                                        ; implicit-def: $vgpr9
	s_branch .LBB166_2212
.LBB166_2142:
	s_mov_b64 s[20:21], -1
	s_mov_b64 s[16:17], 0
	s_mov_b64 s[0:1], 0
                                        ; implicit-def: $vgpr9
	s_branch .LBB166_2177
.LBB166_2143:
	s_mov_b64 s[20:21], -1
	s_mov_b64 s[16:17], 0
	s_mov_b64 s[0:1], 0
                                        ; implicit-def: $vgpr9
	s_branch .LBB166_2160
.LBB166_2144:
	s_mov_b64 s[20:21], -1
	s_mov_b64 s[16:17], 0
	s_mov_b64 s[0:1], 0
                                        ; implicit-def: $vgpr9
	s_branch .LBB166_2155
.LBB166_2145:
	s_trap 2
	s_or_b64 s[18:19], s[18:19], exec
	s_cbranch_execz .LBB166_2082
	s_branch .LBB166_2083
.LBB166_2146:
	s_mov_b64 s[20:21], -1
	s_mov_b64 s[16:17], 0
	s_mov_b64 s[0:1], 0
                                        ; implicit-def: $vgpr9
	s_branch .LBB166_2150
.LBB166_2147:
	s_andn2_saveexec_b64 s[44:45], s[44:45]
	s_cbranch_execz .LBB166_1061
.LBB166_2148:
	s_mov_b32 s49, 0x42800000
	v_add_f32_e64 v3, |v2|, s49
	v_and_b32_e32 v3, 0xff, v3
	v_cmp_ne_u32_e32 vcc, 0, v3
	s_andn2_b64 s[42:43], s[42:43], exec
	s_and_b64 s[50:51], vcc, exec
	s_or_b64 s[42:43], s[42:43], s[50:51]
	s_or_b64 exec, exec, s[44:45]
	v_mov_b32_e32 v5, 0
	s_and_saveexec_b64 s[44:45], s[42:43]
	s_cbranch_execnz .LBB166_1062
	s_branch .LBB166_1063
.LBB166_2149:
	s_mov_b64 s[0:1], -1
                                        ; implicit-def: $vgpr9
	s_mov_b64 s[16:17], 0
.LBB166_2150:
	s_and_b64 vcc, exec, s[20:21]
	s_cbranch_vccz .LBB166_2154
; %bb.2151:
	s_cmp_eq_u32 s23, 44
	s_cbranch_scc0 .LBB166_2153
; %bb.2152:
	global_load_ubyte v5, v[7:8], off
	s_mov_b64 s[0:1], 0
	s_mov_b64 s[16:17], -1
	s_waitcnt vmcnt(0)
	v_lshlrev_b32_e32 v9, 23, v5
	v_cvt_i32_f32_e32 v9, v9
	v_cmp_ne_u32_e32 vcc, 0, v5
	v_cndmask_b32_e32 v9, 0, v9, vcc
	s_branch .LBB166_2154
.LBB166_2153:
	s_mov_b64 s[0:1], -1
                                        ; implicit-def: $vgpr9
.LBB166_2154:
	s_mov_b64 s[20:21], 0
.LBB166_2155:
	s_and_b64 vcc, exec, s[20:21]
	s_cbranch_vccz .LBB166_2159
; %bb.2156:
	s_cmp_eq_u32 s23, 29
	s_cbranch_scc0 .LBB166_2158
; %bb.2157:
	global_load_dwordx2 v[9:10], v[7:8], off
	s_mov_b64 s[0:1], 0
	s_mov_b64 s[16:17], -1
	s_branch .LBB166_2159
.LBB166_2158:
	s_mov_b64 s[0:1], -1
                                        ; implicit-def: $vgpr9
.LBB166_2159:
	s_mov_b64 s[20:21], 0
.LBB166_2160:
	s_and_b64 vcc, exec, s[20:21]
	s_cbranch_vccz .LBB166_2176
; %bb.2161:
	s_cmp_lt_i32 s23, 27
	s_cbranch_scc1 .LBB166_2164
; %bb.2162:
	s_cmp_gt_i32 s23, 27
	s_cbranch_scc0 .LBB166_2165
; %bb.2163:
	global_load_dword v9, v[7:8], off
	s_mov_b64 s[16:17], 0
	s_branch .LBB166_2166
.LBB166_2164:
	s_mov_b64 s[16:17], -1
                                        ; implicit-def: $vgpr9
	s_branch .LBB166_2169
.LBB166_2165:
	s_mov_b64 s[16:17], -1
                                        ; implicit-def: $vgpr9
.LBB166_2166:
	s_andn2_b64 vcc, exec, s[16:17]
	s_cbranch_vccnz .LBB166_2168
; %bb.2167:
	global_load_ushort v9, v[7:8], off
.LBB166_2168:
	s_mov_b64 s[16:17], 0
.LBB166_2169:
	s_andn2_b64 vcc, exec, s[16:17]
	s_cbranch_vccnz .LBB166_2175
; %bb.2170:
	global_load_ubyte v5, v[7:8], off
	s_movk_i32 s16, 0x7f
	s_mov_b64 s[20:21], 0
	s_waitcnt vmcnt(0)
	v_cmp_lt_i16_e32 vcc, s16, v5
	s_and_saveexec_b64 s[16:17], vcc
	s_xor_b64 s[16:17], exec, s[16:17]
	s_cbranch_execz .LBB166_2187
; %bb.2171:
	s_movk_i32 s20, 0x80
	v_cmp_ne_u16_e32 vcc, s20, v5
	s_and_b64 s[20:21], vcc, exec
	s_andn2_saveexec_b64 s[16:17], s[16:17]
	s_cbranch_execnz .LBB166_2188
.LBB166_2172:
	s_or_b64 exec, exec, s[16:17]
	v_mov_b32_e32 v9, 0
	s_and_saveexec_b64 s[16:17], s[20:21]
	s_cbranch_execz .LBB166_2174
.LBB166_2173:
	v_lshlrev_b32_e32 v9, 24, v5
	v_and_b32_e32 v5, 0xffff, v5
	v_and_b32_e32 v10, 7, v5
	v_ffbh_u32_e32 v13, v10
	v_min_u32_e32 v13, 32, v13
	v_subrev_u32_e32 v15, 28, v13
	v_bfe_u32 v12, v5, 3, 4
	v_lshlrev_b32_e32 v5, v15, v5
	v_sub_u32_e32 v13, 29, v13
	v_and_b32_e32 v5, 7, v5
	v_cmp_eq_u32_e32 vcc, 0, v12
	v_cndmask_b32_e32 v12, v12, v13, vcc
	v_cndmask_b32_e32 v5, v10, v5, vcc
	v_mov_b32_e32 v10, 0x3b800000
	v_lshlrev_b32_e32 v5, 20, v5
	v_and_b32_e32 v9, 0x80000000, v9
	v_lshl_add_u32 v10, v12, 23, v10
	v_or3_b32 v5, v9, v10, v5
	v_cvt_i32_f32_e32 v9, v5
.LBB166_2174:
	s_or_b64 exec, exec, s[16:17]
.LBB166_2175:
	s_mov_b64 s[16:17], -1
.LBB166_2176:
	s_mov_b64 s[20:21], 0
.LBB166_2177:
	s_and_b64 vcc, exec, s[20:21]
	s_cbranch_vccz .LBB166_2208
; %bb.2178:
	s_cmp_gt_i32 s23, 22
	s_cbranch_scc0 .LBB166_2186
; %bb.2179:
	s_cmp_lt_i32 s23, 24
	s_cbranch_scc1 .LBB166_2189
; %bb.2180:
	s_cmp_gt_i32 s23, 24
	s_cbranch_scc0 .LBB166_2190
; %bb.2181:
	global_load_ubyte v5, v[7:8], off
	s_movk_i32 s14, 0x7f
	s_mov_b64 s[16:17], 0
	s_waitcnt vmcnt(0)
	v_cmp_lt_i16_e32 vcc, s14, v5
	s_and_saveexec_b64 s[14:15], vcc
	s_xor_b64 s[14:15], exec, s[14:15]
	s_cbranch_execz .LBB166_2202
; %bb.2182:
	s_movk_i32 s16, 0x80
	v_cmp_ne_u16_e32 vcc, s16, v5
	s_and_b64 s[16:17], vcc, exec
	s_andn2_saveexec_b64 s[14:15], s[14:15]
	s_cbranch_execnz .LBB166_2203
.LBB166_2183:
	s_or_b64 exec, exec, s[14:15]
	v_mov_b32_e32 v9, 0
	s_and_saveexec_b64 s[14:15], s[16:17]
	s_cbranch_execz .LBB166_2185
.LBB166_2184:
	v_lshlrev_b32_e32 v9, 24, v5
	v_and_b32_e32 v5, 0xffff, v5
	v_and_b32_e32 v10, 3, v5
	v_ffbh_u32_e32 v13, v10
	v_min_u32_e32 v13, 32, v13
	v_subrev_u32_e32 v15, 29, v13
	v_bfe_u32 v12, v5, 2, 5
	v_lshlrev_b32_e32 v5, v15, v5
	v_sub_u32_e32 v13, 30, v13
	v_and_b32_e32 v5, 3, v5
	v_cmp_eq_u32_e32 vcc, 0, v12
	v_cndmask_b32_e32 v12, v12, v13, vcc
	v_cndmask_b32_e32 v5, v10, v5, vcc
	v_mov_b32_e32 v10, 0x37800000
	v_lshlrev_b32_e32 v5, 21, v5
	v_and_b32_e32 v9, 0x80000000, v9
	v_lshl_add_u32 v10, v12, 23, v10
	v_or3_b32 v5, v9, v10, v5
	v_cvt_i32_f32_e32 v9, v5
.LBB166_2185:
	s_or_b64 exec, exec, s[14:15]
	s_mov_b64 s[14:15], 0
	s_branch .LBB166_2191
.LBB166_2186:
	s_mov_b64 s[14:15], -1
                                        ; implicit-def: $vgpr9
	s_branch .LBB166_2197
.LBB166_2187:
	s_andn2_saveexec_b64 s[16:17], s[16:17]
	s_cbranch_execz .LBB166_2172
.LBB166_2188:
	v_cmp_ne_u16_e32 vcc, 0, v5
	s_andn2_b64 s[20:21], s[20:21], exec
	s_and_b64 s[26:27], vcc, exec
	s_or_b64 s[20:21], s[20:21], s[26:27]
	s_or_b64 exec, exec, s[16:17]
	v_mov_b32_e32 v9, 0
	s_and_saveexec_b64 s[16:17], s[20:21]
	s_cbranch_execnz .LBB166_2173
	s_branch .LBB166_2174
.LBB166_2189:
	s_mov_b64 s[14:15], -1
                                        ; implicit-def: $vgpr9
	s_branch .LBB166_2194
.LBB166_2190:
	s_mov_b64 s[14:15], -1
                                        ; implicit-def: $vgpr9
.LBB166_2191:
	s_and_b64 vcc, exec, s[14:15]
	s_cbranch_vccz .LBB166_2193
; %bb.2192:
	global_load_ubyte v5, v[7:8], off
	s_mov_b32 s14, 0x7f800000
	s_waitcnt vmcnt(0)
	v_lshlrev_b32_e32 v5, 24, v5
	v_and_b32_e32 v9, 0x7f000000, v5
	v_ffbh_u32_e32 v10, v9
	v_min_u32_e32 v10, 32, v10
	v_sub_u32_e64 v10, v10, 4 clamp
	v_lshlrev_b32_e32 v13, v10, v9
	v_lshlrev_b32_e32 v10, 23, v10
	v_lshrrev_b32_e32 v13, 4, v13
	v_add_u32_e32 v12, 0x1000000, v9
	v_sub_u32_e32 v10, v13, v10
	v_ashrrev_i32_e32 v12, 8, v12
	v_add_u32_e32 v10, 0x3c000000, v10
	v_and_or_b32 v10, v12, s14, v10
	v_cmp_ne_u32_e32 vcc, 0, v9
	v_cndmask_b32_e32 v9, 0, v10, vcc
	s_brev_b32 s14, 1
	v_and_or_b32 v5, v5, s14, v9
	v_cvt_i32_f32_e32 v9, v5
.LBB166_2193:
	s_mov_b64 s[14:15], 0
.LBB166_2194:
	s_andn2_b64 vcc, exec, s[14:15]
	s_cbranch_vccnz .LBB166_2196
; %bb.2195:
	global_load_ubyte v5, v[7:8], off
	s_movk_i32 s14, 0x7f00
	s_brev_b32 s15, 16
	s_waitcnt vmcnt(0)
	v_lshlrev_b16_e32 v9, 8, v5
	v_lshlrev_b32_e32 v5, 25, v5
	v_lshrrev_b32_e32 v10, 4, v5
	v_and_or_b32 v12, v9, s14, 0.5
	v_or_b32_e32 v10, 0x70000000, v10
	v_add_f32_e32 v12, -0.5, v12
	v_mul_f32_e32 v10, 0x7800000, v10
	v_cmp_gt_u32_e32 vcc, s15, v5
	v_bfe_i32 v9, v9, 0, 16
	v_cndmask_b32_e32 v5, v10, v12, vcc
	s_brev_b32 s14, 1
	v_and_or_b32 v5, v9, s14, v5
	v_cvt_i32_f32_e32 v9, v5
.LBB166_2196:
	s_mov_b64 s[14:15], 0
	s_mov_b64 s[16:17], -1
.LBB166_2197:
	s_andn2_b64 vcc, exec, s[14:15]
	s_mov_b64 s[14:15], 0
	s_cbranch_vccnz .LBB166_2208
; %bb.2198:
	s_cmp_gt_i32 s23, 14
	s_cbranch_scc0 .LBB166_2201
; %bb.2199:
	s_cmp_eq_u32 s23, 15
	s_cbranch_scc0 .LBB166_2204
; %bb.2200:
	global_load_ushort v5, v[7:8], off
	s_mov_b64 s[0:1], 0
	s_mov_b64 s[16:17], -1
	s_waitcnt vmcnt(0)
	v_lshlrev_b32_e32 v5, 16, v5
	v_cvt_i32_f32_e32 v9, v5
	s_branch .LBB166_2205
.LBB166_2201:
	s_mov_b64 s[20:21], -1
                                        ; implicit-def: $vgpr9
	s_branch .LBB166_2206
.LBB166_2202:
	s_andn2_saveexec_b64 s[14:15], s[14:15]
	s_cbranch_execz .LBB166_2183
.LBB166_2203:
	v_cmp_ne_u16_e32 vcc, 0, v5
	s_andn2_b64 s[16:17], s[16:17], exec
	s_and_b64 s[20:21], vcc, exec
	s_or_b64 s[16:17], s[16:17], s[20:21]
	s_or_b64 exec, exec, s[14:15]
	v_mov_b32_e32 v9, 0
	s_and_saveexec_b64 s[14:15], s[16:17]
	s_cbranch_execnz .LBB166_2184
	s_branch .LBB166_2185
.LBB166_2204:
	s_mov_b64 s[0:1], -1
                                        ; implicit-def: $vgpr9
.LBB166_2205:
	s_mov_b64 s[20:21], 0
.LBB166_2206:
	s_and_b64 vcc, exec, s[20:21]
	s_cbranch_vccz .LBB166_2208
; %bb.2207:
	s_cmp_lg_u32 s23, 11
	s_mov_b64 s[14:15], -1
	s_cselect_b64 s[0:1], -1, 0
.LBB166_2208:
	s_and_b64 vcc, exec, s[0:1]
	s_cbranch_vccnz .LBB166_2273
; %bb.2209:
	s_andn2_b64 vcc, exec, s[14:15]
	s_cbranch_vccnz .LBB166_2211
.LBB166_2210:
	global_load_ubyte v5, v[7:8], off
	s_mov_b64 s[16:17], -1
	s_waitcnt vmcnt(0)
	v_cmp_ne_u16_e32 vcc, 0, v5
	v_cndmask_b32_e64 v9, 0, 1, vcc
.LBB166_2211:
	s_mov_b64 s[0:1], 0
.LBB166_2212:
	s_and_b64 vcc, exec, s[0:1]
	s_cbranch_vccz .LBB166_2261
; %bb.2213:
	s_and_b32 s14, 0xffff, s25
	s_cmp_lt_i32 s14, 5
	s_cbranch_scc1 .LBB166_2218
; %bb.2214:
	s_cmp_lt_i32 s14, 8
	s_cbranch_scc1 .LBB166_2219
; %bb.2215:
	;; [unrolled: 3-line block ×3, first 2 shown]
	s_cmp_gt_i32 s14, 9
	s_cbranch_scc0 .LBB166_2221
; %bb.2217:
	global_load_dwordx2 v[9:10], v[7:8], off
	s_mov_b64 s[0:1], 0
	s_waitcnt vmcnt(0)
	v_cvt_i32_f64_e32 v9, v[9:10]
	s_branch .LBB166_2222
.LBB166_2218:
	s_mov_b64 s[0:1], -1
                                        ; implicit-def: $vgpr9
	s_branch .LBB166_2240
.LBB166_2219:
	s_mov_b64 s[0:1], -1
                                        ; implicit-def: $vgpr9
	s_branch .LBB166_2228
.LBB166_2220:
	s_mov_b64 s[0:1], -1
                                        ; implicit-def: $vgpr9
	s_branch .LBB166_2225
.LBB166_2221:
	s_mov_b64 s[0:1], -1
                                        ; implicit-def: $vgpr9
.LBB166_2222:
	s_andn2_b64 vcc, exec, s[0:1]
	s_cbranch_vccnz .LBB166_2224
; %bb.2223:
	global_load_dword v5, v[7:8], off
	s_waitcnt vmcnt(0)
	v_cvt_i32_f32_e32 v9, v5
.LBB166_2224:
	s_mov_b64 s[0:1], 0
.LBB166_2225:
	s_andn2_b64 vcc, exec, s[0:1]
	s_cbranch_vccnz .LBB166_2227
; %bb.2226:
	global_load_dword v5, v[7:8], off
	s_waitcnt vmcnt(0)
	v_cvt_i16_f16_e32 v9, v5
.LBB166_2227:
	s_mov_b64 s[0:1], 0
.LBB166_2228:
	s_andn2_b64 vcc, exec, s[0:1]
	s_cbranch_vccnz .LBB166_2239
; %bb.2229:
	s_cmp_lt_i32 s14, 6
	s_cbranch_scc1 .LBB166_2232
; %bb.2230:
	s_cmp_gt_i32 s14, 6
	s_cbranch_scc0 .LBB166_2233
; %bb.2231:
	global_load_dwordx2 v[9:10], v[7:8], off
	s_mov_b64 s[0:1], 0
	s_waitcnt vmcnt(0)
	v_cvt_i32_f64_e32 v9, v[9:10]
	s_branch .LBB166_2234
.LBB166_2232:
	s_mov_b64 s[0:1], -1
                                        ; implicit-def: $vgpr9
	s_branch .LBB166_2237
.LBB166_2233:
	s_mov_b64 s[0:1], -1
                                        ; implicit-def: $vgpr9
.LBB166_2234:
	s_andn2_b64 vcc, exec, s[0:1]
	s_cbranch_vccnz .LBB166_2236
; %bb.2235:
	global_load_dword v5, v[7:8], off
	s_waitcnt vmcnt(0)
	v_cvt_i32_f32_e32 v9, v5
.LBB166_2236:
	s_mov_b64 s[0:1], 0
.LBB166_2237:
	s_andn2_b64 vcc, exec, s[0:1]
	s_cbranch_vccnz .LBB166_2239
; %bb.2238:
	global_load_ushort v5, v[7:8], off
	s_waitcnt vmcnt(0)
	v_cvt_i16_f16_e32 v9, v5
.LBB166_2239:
	s_mov_b64 s[0:1], 0
.LBB166_2240:
	s_andn2_b64 vcc, exec, s[0:1]
	s_cbranch_vccnz .LBB166_2260
; %bb.2241:
	s_cmp_lt_i32 s14, 2
	s_cbranch_scc1 .LBB166_2245
; %bb.2242:
	s_cmp_lt_i32 s14, 3
	s_cbranch_scc1 .LBB166_2246
; %bb.2243:
	s_cmp_gt_i32 s14, 3
	s_cbranch_scc0 .LBB166_2247
; %bb.2244:
	global_load_dwordx2 v[9:10], v[7:8], off
	s_mov_b64 s[0:1], 0
	s_branch .LBB166_2248
.LBB166_2245:
	s_mov_b64 s[0:1], -1
                                        ; implicit-def: $vgpr9
	s_branch .LBB166_2254
.LBB166_2246:
	s_mov_b64 s[0:1], -1
                                        ; implicit-def: $vgpr9
	s_branch .LBB166_2251
.LBB166_2247:
	s_mov_b64 s[0:1], -1
                                        ; implicit-def: $vgpr9
.LBB166_2248:
	s_andn2_b64 vcc, exec, s[0:1]
	s_cbranch_vccnz .LBB166_2250
; %bb.2249:
	global_load_dword v9, v[7:8], off
.LBB166_2250:
	s_mov_b64 s[0:1], 0
.LBB166_2251:
	s_andn2_b64 vcc, exec, s[0:1]
	s_cbranch_vccnz .LBB166_2253
; %bb.2252:
	global_load_ushort v9, v[7:8], off
.LBB166_2253:
	s_mov_b64 s[0:1], 0
.LBB166_2254:
	s_andn2_b64 vcc, exec, s[0:1]
	s_cbranch_vccnz .LBB166_2260
; %bb.2255:
	s_cmp_gt_i32 s14, 0
	s_cbranch_scc0 .LBB166_2257
; %bb.2256:
	global_load_ubyte v9, v[7:8], off
	s_mov_b64 s[0:1], 0
	s_branch .LBB166_2258
.LBB166_2257:
	s_mov_b64 s[0:1], -1
                                        ; implicit-def: $vgpr9
.LBB166_2258:
	s_andn2_b64 vcc, exec, s[0:1]
	s_cbranch_vccnz .LBB166_2260
; %bb.2259:
	global_load_ubyte v9, v[7:8], off
.LBB166_2260:
	s_mov_b64 s[16:17], -1
.LBB166_2261:
	s_andn2_b64 vcc, exec, s[16:17]
	s_cbranch_vccnz .LBB166_2947
; %bb.2262:
	v_add_u32_e32 v5, s13, v11
	v_ashrrev_i32_e32 v7, 31, v5
	v_mov_b32_e32 v8, s11
	s_waitcnt vmcnt(0)
	v_add_co_u32_e32 v10, vcc, s10, v5
	s_cmp_lt_i32 s24, 11
	v_addc_co_u32_e32 v11, vcc, v8, v7, vcc
	s_cbranch_scc1 .LBB166_2269
; %bb.2263:
	s_and_b32 s13, 0xffff, s24
	s_cmp_gt_i32 s13, 25
	s_mov_b64 s[10:11], 0
	s_cbranch_scc0 .LBB166_2270
; %bb.2264:
	s_cmp_gt_i32 s13, 28
	s_cbranch_scc0 .LBB166_2271
; %bb.2265:
	s_cmp_gt_i32 s13, 43
	;; [unrolled: 3-line block ×3, first 2 shown]
	s_cbranch_scc0 .LBB166_2274
; %bb.2267:
	s_cmp_eq_u32 s13, 46
	s_mov_b64 s[16:17], 0
	s_cbranch_scc0 .LBB166_2275
; %bb.2268:
	global_load_dword v5, v[10:11], off
	s_mov_b64 s[0:1], 0
	s_mov_b64 s[14:15], -1
	s_waitcnt vmcnt(0)
	v_lshlrev_b32_e32 v5, 16, v5
	v_cvt_i32_f32_e32 v7, v5
	s_branch .LBB166_2276
.LBB166_2269:
	s_mov_b64 s[0:1], -1
	s_mov_b64 s[14:15], 0
                                        ; implicit-def: $vgpr7
	s_branch .LBB166_2338
.LBB166_2270:
	s_mov_b64 s[16:17], -1
	s_mov_b64 s[14:15], 0
	s_mov_b64 s[0:1], 0
                                        ; implicit-def: $vgpr7
	s_branch .LBB166_2303
.LBB166_2271:
	s_mov_b64 s[16:17], -1
	s_mov_b64 s[14:15], 0
	s_mov_b64 s[0:1], 0
                                        ; implicit-def: $vgpr7
	s_branch .LBB166_2286
.LBB166_2272:
	s_mov_b64 s[16:17], -1
	s_mov_b64 s[14:15], 0
	s_mov_b64 s[0:1], 0
                                        ; implicit-def: $vgpr7
	s_branch .LBB166_2281
.LBB166_2273:
	s_trap 2
	s_or_b64 s[18:19], s[18:19], exec
	s_cbranch_execz .LBB166_2210
	s_branch .LBB166_2211
.LBB166_2274:
	s_mov_b64 s[16:17], -1
	s_mov_b64 s[14:15], 0
	s_mov_b64 s[0:1], 0
                                        ; implicit-def: $vgpr7
	s_branch .LBB166_2276
.LBB166_2275:
	s_mov_b64 s[0:1], -1
                                        ; implicit-def: $vgpr7
	s_mov_b64 s[14:15], 0
.LBB166_2276:
	s_and_b64 vcc, exec, s[16:17]
	s_cbranch_vccz .LBB166_2280
; %bb.2277:
	s_cmp_eq_u32 s13, 44
	s_cbranch_scc0 .LBB166_2279
; %bb.2278:
	global_load_ubyte v5, v[10:11], off
	s_mov_b64 s[0:1], 0
	s_mov_b64 s[14:15], -1
	s_waitcnt vmcnt(0)
	v_lshlrev_b32_e32 v7, 23, v5
	v_cvt_i32_f32_e32 v7, v7
	v_cmp_ne_u32_e32 vcc, 0, v5
	v_cndmask_b32_e32 v7, 0, v7, vcc
	s_branch .LBB166_2280
.LBB166_2279:
	s_mov_b64 s[0:1], -1
                                        ; implicit-def: $vgpr7
.LBB166_2280:
	s_mov_b64 s[16:17], 0
.LBB166_2281:
	s_and_b64 vcc, exec, s[16:17]
	s_cbranch_vccz .LBB166_2285
; %bb.2282:
	s_cmp_eq_u32 s13, 29
	s_cbranch_scc0 .LBB166_2284
; %bb.2283:
	global_load_dwordx2 v[7:8], v[10:11], off
	s_mov_b64 s[0:1], 0
	s_mov_b64 s[14:15], -1
	s_branch .LBB166_2285
.LBB166_2284:
	s_mov_b64 s[0:1], -1
                                        ; implicit-def: $vgpr7
.LBB166_2285:
	s_mov_b64 s[16:17], 0
.LBB166_2286:
	s_and_b64 vcc, exec, s[16:17]
	s_cbranch_vccz .LBB166_2302
; %bb.2287:
	s_cmp_lt_i32 s13, 27
	s_cbranch_scc1 .LBB166_2290
; %bb.2288:
	s_cmp_gt_i32 s13, 27
	s_cbranch_scc0 .LBB166_2291
; %bb.2289:
	global_load_dword v7, v[10:11], off
	s_mov_b64 s[14:15], 0
	s_branch .LBB166_2292
.LBB166_2290:
	s_mov_b64 s[14:15], -1
                                        ; implicit-def: $vgpr7
	s_branch .LBB166_2295
.LBB166_2291:
	s_mov_b64 s[14:15], -1
                                        ; implicit-def: $vgpr7
.LBB166_2292:
	s_andn2_b64 vcc, exec, s[14:15]
	s_cbranch_vccnz .LBB166_2294
; %bb.2293:
	global_load_ushort v7, v[10:11], off
.LBB166_2294:
	s_mov_b64 s[14:15], 0
.LBB166_2295:
	s_andn2_b64 vcc, exec, s[14:15]
	s_cbranch_vccnz .LBB166_2301
; %bb.2296:
	global_load_ubyte v5, v[10:11], off
	s_movk_i32 s14, 0x7f
	s_mov_b64 s[16:17], 0
	s_waitcnt vmcnt(0)
	v_cmp_lt_i16_e32 vcc, s14, v5
	s_and_saveexec_b64 s[14:15], vcc
	s_xor_b64 s[14:15], exec, s[14:15]
	s_cbranch_execz .LBB166_2313
; %bb.2297:
	s_movk_i32 s16, 0x80
	v_cmp_ne_u16_e32 vcc, s16, v5
	s_and_b64 s[16:17], vcc, exec
	s_andn2_saveexec_b64 s[14:15], s[14:15]
	s_cbranch_execnz .LBB166_2314
.LBB166_2298:
	s_or_b64 exec, exec, s[14:15]
	v_mov_b32_e32 v7, 0
	s_and_saveexec_b64 s[14:15], s[16:17]
	s_cbranch_execz .LBB166_2300
.LBB166_2299:
	v_lshlrev_b32_e32 v7, 24, v5
	v_and_b32_e32 v5, 0xffff, v5
	v_and_b32_e32 v8, 7, v5
	v_ffbh_u32_e32 v13, v8
	v_min_u32_e32 v13, 32, v13
	v_subrev_u32_e32 v15, 28, v13
	v_bfe_u32 v12, v5, 3, 4
	v_lshlrev_b32_e32 v5, v15, v5
	v_sub_u32_e32 v13, 29, v13
	v_and_b32_e32 v5, 7, v5
	v_cmp_eq_u32_e32 vcc, 0, v12
	v_cndmask_b32_e32 v12, v12, v13, vcc
	v_cndmask_b32_e32 v5, v8, v5, vcc
	v_mov_b32_e32 v8, 0x3b800000
	v_lshlrev_b32_e32 v5, 20, v5
	v_and_b32_e32 v7, 0x80000000, v7
	v_lshl_add_u32 v8, v12, 23, v8
	v_or3_b32 v5, v7, v8, v5
	v_cvt_i32_f32_e32 v7, v5
.LBB166_2300:
	s_or_b64 exec, exec, s[14:15]
.LBB166_2301:
	s_mov_b64 s[14:15], -1
.LBB166_2302:
	s_mov_b64 s[16:17], 0
.LBB166_2303:
	s_and_b64 vcc, exec, s[16:17]
	s_cbranch_vccz .LBB166_2334
; %bb.2304:
	s_cmp_gt_i32 s13, 22
	s_cbranch_scc0 .LBB166_2312
; %bb.2305:
	s_cmp_lt_i32 s13, 24
	s_cbranch_scc1 .LBB166_2315
; %bb.2306:
	s_cmp_gt_i32 s13, 24
	s_cbranch_scc0 .LBB166_2316
; %bb.2307:
	global_load_ubyte v5, v[10:11], off
	s_movk_i32 s10, 0x7f
	s_mov_b64 s[14:15], 0
	s_waitcnt vmcnt(0)
	v_cmp_lt_i16_e32 vcc, s10, v5
	s_and_saveexec_b64 s[10:11], vcc
	s_xor_b64 s[10:11], exec, s[10:11]
	s_cbranch_execz .LBB166_2328
; %bb.2308:
	s_movk_i32 s14, 0x80
	v_cmp_ne_u16_e32 vcc, s14, v5
	s_and_b64 s[14:15], vcc, exec
	s_andn2_saveexec_b64 s[10:11], s[10:11]
	s_cbranch_execnz .LBB166_2329
.LBB166_2309:
	s_or_b64 exec, exec, s[10:11]
	v_mov_b32_e32 v7, 0
	s_and_saveexec_b64 s[10:11], s[14:15]
	s_cbranch_execz .LBB166_2311
.LBB166_2310:
	v_lshlrev_b32_e32 v7, 24, v5
	v_and_b32_e32 v5, 0xffff, v5
	v_and_b32_e32 v8, 3, v5
	v_ffbh_u32_e32 v13, v8
	v_min_u32_e32 v13, 32, v13
	v_subrev_u32_e32 v15, 29, v13
	v_bfe_u32 v12, v5, 2, 5
	v_lshlrev_b32_e32 v5, v15, v5
	v_sub_u32_e32 v13, 30, v13
	v_and_b32_e32 v5, 3, v5
	v_cmp_eq_u32_e32 vcc, 0, v12
	v_cndmask_b32_e32 v12, v12, v13, vcc
	v_cndmask_b32_e32 v5, v8, v5, vcc
	v_mov_b32_e32 v8, 0x37800000
	v_lshlrev_b32_e32 v5, 21, v5
	v_and_b32_e32 v7, 0x80000000, v7
	v_lshl_add_u32 v8, v12, 23, v8
	v_or3_b32 v5, v7, v8, v5
	v_cvt_i32_f32_e32 v7, v5
.LBB166_2311:
	s_or_b64 exec, exec, s[10:11]
	s_mov_b64 s[10:11], 0
	s_branch .LBB166_2317
.LBB166_2312:
	s_mov_b64 s[10:11], -1
                                        ; implicit-def: $vgpr7
	s_branch .LBB166_2323
.LBB166_2313:
	s_andn2_saveexec_b64 s[14:15], s[14:15]
	s_cbranch_execz .LBB166_2298
.LBB166_2314:
	v_cmp_ne_u16_e32 vcc, 0, v5
	s_andn2_b64 s[16:17], s[16:17], exec
	s_and_b64 s[20:21], vcc, exec
	s_or_b64 s[16:17], s[16:17], s[20:21]
	s_or_b64 exec, exec, s[14:15]
	v_mov_b32_e32 v7, 0
	s_and_saveexec_b64 s[14:15], s[16:17]
	s_cbranch_execnz .LBB166_2299
	s_branch .LBB166_2300
.LBB166_2315:
	s_mov_b64 s[10:11], -1
                                        ; implicit-def: $vgpr7
	s_branch .LBB166_2320
.LBB166_2316:
	s_mov_b64 s[10:11], -1
                                        ; implicit-def: $vgpr7
.LBB166_2317:
	s_and_b64 vcc, exec, s[10:11]
	s_cbranch_vccz .LBB166_2319
; %bb.2318:
	global_load_ubyte v5, v[10:11], off
	s_mov_b32 s10, 0x7f800000
	s_waitcnt vmcnt(0)
	v_lshlrev_b32_e32 v5, 24, v5
	v_and_b32_e32 v7, 0x7f000000, v5
	v_ffbh_u32_e32 v8, v7
	v_min_u32_e32 v8, 32, v8
	v_sub_u32_e64 v8, v8, 4 clamp
	v_lshlrev_b32_e32 v13, v8, v7
	v_lshlrev_b32_e32 v8, 23, v8
	v_lshrrev_b32_e32 v13, 4, v13
	v_add_u32_e32 v12, 0x1000000, v7
	v_sub_u32_e32 v8, v13, v8
	v_ashrrev_i32_e32 v12, 8, v12
	v_add_u32_e32 v8, 0x3c000000, v8
	v_and_or_b32 v8, v12, s10, v8
	v_cmp_ne_u32_e32 vcc, 0, v7
	v_cndmask_b32_e32 v7, 0, v8, vcc
	s_brev_b32 s10, 1
	v_and_or_b32 v5, v5, s10, v7
	v_cvt_i32_f32_e32 v7, v5
.LBB166_2319:
	s_mov_b64 s[10:11], 0
.LBB166_2320:
	s_andn2_b64 vcc, exec, s[10:11]
	s_cbranch_vccnz .LBB166_2322
; %bb.2321:
	global_load_ubyte v5, v[10:11], off
	s_movk_i32 s10, 0x7f00
	s_brev_b32 s11, 16
	s_waitcnt vmcnt(0)
	v_lshlrev_b16_e32 v7, 8, v5
	v_lshlrev_b32_e32 v5, 25, v5
	v_lshrrev_b32_e32 v8, 4, v5
	v_and_or_b32 v12, v7, s10, 0.5
	v_or_b32_e32 v8, 0x70000000, v8
	v_add_f32_e32 v12, -0.5, v12
	v_mul_f32_e32 v8, 0x7800000, v8
	v_cmp_gt_u32_e32 vcc, s11, v5
	v_bfe_i32 v7, v7, 0, 16
	v_cndmask_b32_e32 v5, v8, v12, vcc
	s_brev_b32 s10, 1
	v_and_or_b32 v5, v7, s10, v5
	v_cvt_i32_f32_e32 v7, v5
.LBB166_2322:
	s_mov_b64 s[10:11], 0
	s_mov_b64 s[14:15], -1
.LBB166_2323:
	s_andn2_b64 vcc, exec, s[10:11]
	s_mov_b64 s[10:11], 0
	s_cbranch_vccnz .LBB166_2334
; %bb.2324:
	s_cmp_gt_i32 s13, 14
	s_cbranch_scc0 .LBB166_2327
; %bb.2325:
	s_cmp_eq_u32 s13, 15
	s_cbranch_scc0 .LBB166_2330
; %bb.2326:
	global_load_ushort v5, v[10:11], off
	s_mov_b64 s[0:1], 0
	s_mov_b64 s[14:15], -1
	s_waitcnt vmcnt(0)
	v_lshlrev_b32_e32 v5, 16, v5
	v_cvt_i32_f32_e32 v7, v5
	s_branch .LBB166_2331
.LBB166_2327:
	s_mov_b64 s[16:17], -1
                                        ; implicit-def: $vgpr7
	s_branch .LBB166_2332
.LBB166_2328:
	s_andn2_saveexec_b64 s[10:11], s[10:11]
	s_cbranch_execz .LBB166_2309
.LBB166_2329:
	v_cmp_ne_u16_e32 vcc, 0, v5
	s_andn2_b64 s[14:15], s[14:15], exec
	s_and_b64 s[16:17], vcc, exec
	s_or_b64 s[14:15], s[14:15], s[16:17]
	s_or_b64 exec, exec, s[10:11]
	v_mov_b32_e32 v7, 0
	s_and_saveexec_b64 s[10:11], s[14:15]
	s_cbranch_execnz .LBB166_2310
	s_branch .LBB166_2311
.LBB166_2330:
	s_mov_b64 s[0:1], -1
                                        ; implicit-def: $vgpr7
.LBB166_2331:
	s_mov_b64 s[16:17], 0
.LBB166_2332:
	s_and_b64 vcc, exec, s[16:17]
	s_cbranch_vccz .LBB166_2334
; %bb.2333:
	s_cmp_lg_u32 s13, 11
	s_mov_b64 s[10:11], -1
	s_cselect_b64 s[0:1], -1, 0
.LBB166_2334:
	s_and_b64 vcc, exec, s[0:1]
	s_cbranch_vccnz .LBB166_2399
; %bb.2335:
	s_andn2_b64 vcc, exec, s[10:11]
	s_cbranch_vccnz .LBB166_2337
.LBB166_2336:
	global_load_ubyte v5, v[10:11], off
	s_mov_b64 s[14:15], -1
	s_waitcnt vmcnt(0)
	v_cmp_ne_u16_e32 vcc, 0, v5
	v_cndmask_b32_e64 v7, 0, 1, vcc
.LBB166_2337:
	s_mov_b64 s[0:1], 0
.LBB166_2338:
	s_and_b64 vcc, exec, s[0:1]
	s_cbranch_vccz .LBB166_2387
; %bb.2339:
	s_and_b32 s10, 0xffff, s24
	s_cmp_lt_i32 s10, 5
	s_cbranch_scc1 .LBB166_2344
; %bb.2340:
	s_cmp_lt_i32 s10, 8
	s_cbranch_scc1 .LBB166_2345
; %bb.2341:
	;; [unrolled: 3-line block ×3, first 2 shown]
	s_cmp_gt_i32 s10, 9
	s_cbranch_scc0 .LBB166_2347
; %bb.2343:
	global_load_dwordx2 v[7:8], v[10:11], off
	s_mov_b64 s[0:1], 0
	s_waitcnt vmcnt(0)
	v_cvt_i32_f64_e32 v7, v[7:8]
	s_branch .LBB166_2348
.LBB166_2344:
	s_mov_b64 s[0:1], -1
                                        ; implicit-def: $vgpr7
	s_branch .LBB166_2366
.LBB166_2345:
	s_mov_b64 s[0:1], -1
                                        ; implicit-def: $vgpr7
	s_branch .LBB166_2354
.LBB166_2346:
	s_mov_b64 s[0:1], -1
                                        ; implicit-def: $vgpr7
	s_branch .LBB166_2351
.LBB166_2347:
	s_mov_b64 s[0:1], -1
                                        ; implicit-def: $vgpr7
.LBB166_2348:
	s_andn2_b64 vcc, exec, s[0:1]
	s_cbranch_vccnz .LBB166_2350
; %bb.2349:
	global_load_dword v5, v[10:11], off
	s_waitcnt vmcnt(0)
	v_cvt_i32_f32_e32 v7, v5
.LBB166_2350:
	s_mov_b64 s[0:1], 0
.LBB166_2351:
	s_andn2_b64 vcc, exec, s[0:1]
	s_cbranch_vccnz .LBB166_2353
; %bb.2352:
	global_load_dword v5, v[10:11], off
	s_waitcnt vmcnt(0)
	v_cvt_i16_f16_e32 v7, v5
.LBB166_2353:
	s_mov_b64 s[0:1], 0
.LBB166_2354:
	s_andn2_b64 vcc, exec, s[0:1]
	s_cbranch_vccnz .LBB166_2365
; %bb.2355:
	s_cmp_lt_i32 s10, 6
	s_cbranch_scc1 .LBB166_2358
; %bb.2356:
	s_cmp_gt_i32 s10, 6
	s_cbranch_scc0 .LBB166_2359
; %bb.2357:
	global_load_dwordx2 v[7:8], v[10:11], off
	s_mov_b64 s[0:1], 0
	s_waitcnt vmcnt(0)
	v_cvt_i32_f64_e32 v7, v[7:8]
	s_branch .LBB166_2360
.LBB166_2358:
	s_mov_b64 s[0:1], -1
                                        ; implicit-def: $vgpr7
	s_branch .LBB166_2363
.LBB166_2359:
	s_mov_b64 s[0:1], -1
                                        ; implicit-def: $vgpr7
.LBB166_2360:
	s_andn2_b64 vcc, exec, s[0:1]
	s_cbranch_vccnz .LBB166_2362
; %bb.2361:
	global_load_dword v5, v[10:11], off
	s_waitcnt vmcnt(0)
	v_cvt_i32_f32_e32 v7, v5
.LBB166_2362:
	s_mov_b64 s[0:1], 0
.LBB166_2363:
	s_andn2_b64 vcc, exec, s[0:1]
	s_cbranch_vccnz .LBB166_2365
; %bb.2364:
	global_load_ushort v5, v[10:11], off
	s_waitcnt vmcnt(0)
	v_cvt_i16_f16_e32 v7, v5
.LBB166_2365:
	s_mov_b64 s[0:1], 0
.LBB166_2366:
	s_andn2_b64 vcc, exec, s[0:1]
	s_cbranch_vccnz .LBB166_2386
; %bb.2367:
	s_cmp_lt_i32 s10, 2
	s_cbranch_scc1 .LBB166_2371
; %bb.2368:
	s_cmp_lt_i32 s10, 3
	s_cbranch_scc1 .LBB166_2372
; %bb.2369:
	s_cmp_gt_i32 s10, 3
	s_cbranch_scc0 .LBB166_2373
; %bb.2370:
	global_load_dwordx2 v[7:8], v[10:11], off
	s_mov_b64 s[0:1], 0
	s_branch .LBB166_2374
.LBB166_2371:
	s_mov_b64 s[0:1], -1
                                        ; implicit-def: $vgpr7
	s_branch .LBB166_2380
.LBB166_2372:
	s_mov_b64 s[0:1], -1
                                        ; implicit-def: $vgpr7
	s_branch .LBB166_2377
.LBB166_2373:
	s_mov_b64 s[0:1], -1
                                        ; implicit-def: $vgpr7
.LBB166_2374:
	s_andn2_b64 vcc, exec, s[0:1]
	s_cbranch_vccnz .LBB166_2376
; %bb.2375:
	global_load_dword v7, v[10:11], off
.LBB166_2376:
	s_mov_b64 s[0:1], 0
.LBB166_2377:
	s_andn2_b64 vcc, exec, s[0:1]
	s_cbranch_vccnz .LBB166_2379
; %bb.2378:
	global_load_ushort v7, v[10:11], off
.LBB166_2379:
	s_mov_b64 s[0:1], 0
.LBB166_2380:
	s_andn2_b64 vcc, exec, s[0:1]
	s_cbranch_vccnz .LBB166_2386
; %bb.2381:
	s_cmp_gt_i32 s10, 0
	s_cbranch_scc0 .LBB166_2383
; %bb.2382:
	global_load_ubyte v7, v[10:11], off
	s_mov_b64 s[0:1], 0
	s_branch .LBB166_2384
.LBB166_2383:
	s_mov_b64 s[0:1], -1
                                        ; implicit-def: $vgpr7
.LBB166_2384:
	s_andn2_b64 vcc, exec, s[0:1]
	s_cbranch_vccnz .LBB166_2386
; %bb.2385:
	global_load_ubyte v7, v[10:11], off
.LBB166_2386:
	s_mov_b64 s[14:15], -1
.LBB166_2387:
	s_andn2_b64 vcc, exec, s[14:15]
	s_cbranch_vccnz .LBB166_2947
; %bb.2388:
	v_add_u32_e32 v2, s22, v2
	v_ashrrev_i32_e32 v5, 31, v2
	s_waitcnt vmcnt(0)
	v_mov_b32_e32 v8, s3
	v_add_co_u32_e32 v12, vcc, s2, v2
	s_cmp_lt_i32 s25, 11
	v_addc_co_u32_e32 v13, vcc, v8, v5, vcc
	s_cbranch_scc1 .LBB166_2395
; %bb.2389:
	s_and_b32 s13, 0xffff, s25
	s_cmp_gt_i32 s13, 25
	s_mov_b64 s[2:3], 0
	s_cbranch_scc0 .LBB166_2396
; %bb.2390:
	s_cmp_gt_i32 s13, 28
	s_cbranch_scc0 .LBB166_2397
; %bb.2391:
	s_cmp_gt_i32 s13, 43
	;; [unrolled: 3-line block ×3, first 2 shown]
	s_cbranch_scc0 .LBB166_2400
; %bb.2393:
	s_cmp_eq_u32 s13, 46
	s_mov_b64 s[14:15], 0
	s_cbranch_scc0 .LBB166_2401
; %bb.2394:
	global_load_dword v2, v[12:13], off
	s_mov_b64 s[0:1], 0
	s_mov_b64 s[10:11], -1
	s_waitcnt vmcnt(0)
	v_lshlrev_b32_e32 v2, 16, v2
	v_cvt_i32_f32_e32 v10, v2
	s_branch .LBB166_2402
.LBB166_2395:
	s_mov_b64 s[0:1], -1
	s_mov_b64 s[10:11], 0
                                        ; implicit-def: $vgpr10
	s_branch .LBB166_2464
.LBB166_2396:
	s_mov_b64 s[14:15], -1
	s_mov_b64 s[10:11], 0
	s_mov_b64 s[0:1], 0
                                        ; implicit-def: $vgpr10
	s_branch .LBB166_2429
.LBB166_2397:
	s_mov_b64 s[14:15], -1
	s_mov_b64 s[10:11], 0
	s_mov_b64 s[0:1], 0
                                        ; implicit-def: $vgpr10
	s_branch .LBB166_2412
.LBB166_2398:
	s_mov_b64 s[14:15], -1
	s_mov_b64 s[10:11], 0
	s_mov_b64 s[0:1], 0
                                        ; implicit-def: $vgpr10
	s_branch .LBB166_2407
.LBB166_2399:
	s_trap 2
	s_or_b64 s[18:19], s[18:19], exec
	s_cbranch_execz .LBB166_2336
	s_branch .LBB166_2337
.LBB166_2400:
	s_mov_b64 s[14:15], -1
	s_mov_b64 s[10:11], 0
	s_mov_b64 s[0:1], 0
                                        ; implicit-def: $vgpr10
	s_branch .LBB166_2402
.LBB166_2401:
	s_mov_b64 s[0:1], -1
                                        ; implicit-def: $vgpr10
	s_mov_b64 s[10:11], 0
.LBB166_2402:
	s_and_b64 vcc, exec, s[14:15]
	s_cbranch_vccz .LBB166_2406
; %bb.2403:
	s_cmp_eq_u32 s13, 44
	s_cbranch_scc0 .LBB166_2405
; %bb.2404:
	global_load_ubyte v2, v[12:13], off
	s_mov_b64 s[0:1], 0
	s_mov_b64 s[10:11], -1
	s_waitcnt vmcnt(0)
	v_lshlrev_b32_e32 v5, 23, v2
	v_cvt_i32_f32_e32 v5, v5
	v_cmp_ne_u32_e32 vcc, 0, v2
	v_cndmask_b32_e32 v10, 0, v5, vcc
	s_branch .LBB166_2406
.LBB166_2405:
	s_mov_b64 s[0:1], -1
                                        ; implicit-def: $vgpr10
.LBB166_2406:
	s_mov_b64 s[14:15], 0
.LBB166_2407:
	s_and_b64 vcc, exec, s[14:15]
	s_cbranch_vccz .LBB166_2411
; %bb.2408:
	s_cmp_eq_u32 s13, 29
	s_cbranch_scc0 .LBB166_2410
; %bb.2409:
	global_load_dwordx2 v[10:11], v[12:13], off
	s_mov_b64 s[0:1], 0
	s_mov_b64 s[10:11], -1
	s_branch .LBB166_2411
.LBB166_2410:
	s_mov_b64 s[0:1], -1
                                        ; implicit-def: $vgpr10
.LBB166_2411:
	s_mov_b64 s[14:15], 0
.LBB166_2412:
	s_and_b64 vcc, exec, s[14:15]
	s_cbranch_vccz .LBB166_2428
; %bb.2413:
	s_cmp_lt_i32 s13, 27
	s_cbranch_scc1 .LBB166_2416
; %bb.2414:
	s_cmp_gt_i32 s13, 27
	s_cbranch_scc0 .LBB166_2417
; %bb.2415:
	global_load_dword v10, v[12:13], off
	s_mov_b64 s[10:11], 0
	s_branch .LBB166_2418
.LBB166_2416:
	s_mov_b64 s[10:11], -1
                                        ; implicit-def: $vgpr10
	s_branch .LBB166_2421
.LBB166_2417:
	s_mov_b64 s[10:11], -1
                                        ; implicit-def: $vgpr10
.LBB166_2418:
	s_andn2_b64 vcc, exec, s[10:11]
	s_cbranch_vccnz .LBB166_2420
; %bb.2419:
	global_load_ushort v10, v[12:13], off
.LBB166_2420:
	s_mov_b64 s[10:11], 0
.LBB166_2421:
	s_andn2_b64 vcc, exec, s[10:11]
	s_cbranch_vccnz .LBB166_2427
; %bb.2422:
	global_load_ubyte v2, v[12:13], off
	s_movk_i32 s10, 0x7f
	s_mov_b64 s[14:15], 0
	s_waitcnt vmcnt(0)
	v_cmp_lt_i16_e32 vcc, s10, v2
	s_and_saveexec_b64 s[10:11], vcc
	s_xor_b64 s[10:11], exec, s[10:11]
	s_cbranch_execz .LBB166_2439
; %bb.2423:
	s_movk_i32 s14, 0x80
	v_cmp_ne_u16_e32 vcc, s14, v2
	s_and_b64 s[14:15], vcc, exec
	s_andn2_saveexec_b64 s[10:11], s[10:11]
	s_cbranch_execnz .LBB166_2440
.LBB166_2424:
	s_or_b64 exec, exec, s[10:11]
	v_mov_b32_e32 v10, 0
	s_and_saveexec_b64 s[10:11], s[14:15]
	s_cbranch_execz .LBB166_2426
.LBB166_2425:
	v_lshlrev_b32_e32 v5, 24, v2
	v_and_b32_e32 v2, 0xffff, v2
	v_and_b32_e32 v8, 7, v2
	v_ffbh_u32_e32 v11, v8
	v_min_u32_e32 v11, 32, v11
	v_subrev_u32_e32 v15, 28, v11
	v_bfe_u32 v10, v2, 3, 4
	v_lshlrev_b32_e32 v2, v15, v2
	v_sub_u32_e32 v11, 29, v11
	v_and_b32_e32 v2, 7, v2
	v_cmp_eq_u32_e32 vcc, 0, v10
	v_cndmask_b32_e32 v10, v10, v11, vcc
	v_cndmask_b32_e32 v2, v8, v2, vcc
	v_mov_b32_e32 v8, 0x3b800000
	v_lshlrev_b32_e32 v2, 20, v2
	v_and_b32_e32 v5, 0x80000000, v5
	v_lshl_add_u32 v8, v10, 23, v8
	v_or3_b32 v2, v5, v8, v2
	v_cvt_i32_f32_e32 v10, v2
.LBB166_2426:
	s_or_b64 exec, exec, s[10:11]
.LBB166_2427:
	s_mov_b64 s[10:11], -1
.LBB166_2428:
	s_mov_b64 s[14:15], 0
.LBB166_2429:
	s_and_b64 vcc, exec, s[14:15]
	s_cbranch_vccz .LBB166_2460
; %bb.2430:
	s_cmp_gt_i32 s13, 22
	s_cbranch_scc0 .LBB166_2438
; %bb.2431:
	s_cmp_lt_i32 s13, 24
	s_cbranch_scc1 .LBB166_2441
; %bb.2432:
	s_cmp_gt_i32 s13, 24
	s_cbranch_scc0 .LBB166_2442
; %bb.2433:
	global_load_ubyte v2, v[12:13], off
	s_movk_i32 s2, 0x7f
	s_mov_b64 s[10:11], 0
	s_waitcnt vmcnt(0)
	v_cmp_lt_i16_e32 vcc, s2, v2
	s_and_saveexec_b64 s[2:3], vcc
	s_xor_b64 s[2:3], exec, s[2:3]
	s_cbranch_execz .LBB166_2454
; %bb.2434:
	s_movk_i32 s10, 0x80
	v_cmp_ne_u16_e32 vcc, s10, v2
	s_and_b64 s[10:11], vcc, exec
	s_andn2_saveexec_b64 s[2:3], s[2:3]
	s_cbranch_execnz .LBB166_2455
.LBB166_2435:
	s_or_b64 exec, exec, s[2:3]
	v_mov_b32_e32 v10, 0
	s_and_saveexec_b64 s[2:3], s[10:11]
	s_cbranch_execz .LBB166_2437
.LBB166_2436:
	v_lshlrev_b32_e32 v5, 24, v2
	v_and_b32_e32 v2, 0xffff, v2
	v_and_b32_e32 v8, 3, v2
	v_ffbh_u32_e32 v11, v8
	v_min_u32_e32 v11, 32, v11
	v_subrev_u32_e32 v15, 29, v11
	v_bfe_u32 v10, v2, 2, 5
	v_lshlrev_b32_e32 v2, v15, v2
	v_sub_u32_e32 v11, 30, v11
	v_and_b32_e32 v2, 3, v2
	v_cmp_eq_u32_e32 vcc, 0, v10
	v_cndmask_b32_e32 v10, v10, v11, vcc
	v_cndmask_b32_e32 v2, v8, v2, vcc
	v_mov_b32_e32 v8, 0x37800000
	v_lshlrev_b32_e32 v2, 21, v2
	v_and_b32_e32 v5, 0x80000000, v5
	v_lshl_add_u32 v8, v10, 23, v8
	v_or3_b32 v2, v5, v8, v2
	v_cvt_i32_f32_e32 v10, v2
.LBB166_2437:
	s_or_b64 exec, exec, s[2:3]
	s_mov_b64 s[2:3], 0
	s_branch .LBB166_2443
.LBB166_2438:
	s_mov_b64 s[2:3], -1
                                        ; implicit-def: $vgpr10
	s_branch .LBB166_2449
.LBB166_2439:
	s_andn2_saveexec_b64 s[10:11], s[10:11]
	s_cbranch_execz .LBB166_2424
.LBB166_2440:
	v_cmp_ne_u16_e32 vcc, 0, v2
	s_andn2_b64 s[14:15], s[14:15], exec
	s_and_b64 s[16:17], vcc, exec
	s_or_b64 s[14:15], s[14:15], s[16:17]
	s_or_b64 exec, exec, s[10:11]
	v_mov_b32_e32 v10, 0
	s_and_saveexec_b64 s[10:11], s[14:15]
	s_cbranch_execnz .LBB166_2425
	s_branch .LBB166_2426
.LBB166_2441:
	s_mov_b64 s[2:3], -1
                                        ; implicit-def: $vgpr10
	s_branch .LBB166_2446
.LBB166_2442:
	s_mov_b64 s[2:3], -1
                                        ; implicit-def: $vgpr10
.LBB166_2443:
	s_and_b64 vcc, exec, s[2:3]
	s_cbranch_vccz .LBB166_2445
; %bb.2444:
	global_load_ubyte v2, v[12:13], off
	s_mov_b32 s2, 0x7f800000
	s_waitcnt vmcnt(0)
	v_lshlrev_b32_e32 v2, 24, v2
	v_and_b32_e32 v5, 0x7f000000, v2
	v_ffbh_u32_e32 v8, v5
	v_min_u32_e32 v8, 32, v8
	v_sub_u32_e64 v8, v8, 4 clamp
	v_lshlrev_b32_e32 v11, v8, v5
	v_lshlrev_b32_e32 v8, 23, v8
	v_lshrrev_b32_e32 v11, 4, v11
	v_add_u32_e32 v10, 0x1000000, v5
	v_sub_u32_e32 v8, v11, v8
	v_ashrrev_i32_e32 v10, 8, v10
	v_add_u32_e32 v8, 0x3c000000, v8
	v_and_or_b32 v8, v10, s2, v8
	v_cmp_ne_u32_e32 vcc, 0, v5
	v_cndmask_b32_e32 v5, 0, v8, vcc
	s_brev_b32 s2, 1
	v_and_or_b32 v2, v2, s2, v5
	v_cvt_i32_f32_e32 v10, v2
.LBB166_2445:
	s_mov_b64 s[2:3], 0
.LBB166_2446:
	s_andn2_b64 vcc, exec, s[2:3]
	s_cbranch_vccnz .LBB166_2448
; %bb.2447:
	global_load_ubyte v2, v[12:13], off
	s_movk_i32 s2, 0x7f00
	s_brev_b32 s3, 16
	s_waitcnt vmcnt(0)
	v_lshlrev_b16_e32 v5, 8, v2
	v_lshlrev_b32_e32 v2, 25, v2
	v_lshrrev_b32_e32 v8, 4, v2
	v_and_or_b32 v10, v5, s2, 0.5
	v_or_b32_e32 v8, 0x70000000, v8
	v_add_f32_e32 v10, -0.5, v10
	v_mul_f32_e32 v8, 0x7800000, v8
	v_cmp_gt_u32_e32 vcc, s3, v2
	v_bfe_i32 v5, v5, 0, 16
	v_cndmask_b32_e32 v2, v8, v10, vcc
	s_brev_b32 s2, 1
	v_and_or_b32 v2, v5, s2, v2
	v_cvt_i32_f32_e32 v10, v2
.LBB166_2448:
	s_mov_b64 s[2:3], 0
	s_mov_b64 s[10:11], -1
.LBB166_2449:
	s_andn2_b64 vcc, exec, s[2:3]
	s_mov_b64 s[2:3], 0
	s_cbranch_vccnz .LBB166_2460
; %bb.2450:
	s_cmp_gt_i32 s13, 14
	s_cbranch_scc0 .LBB166_2453
; %bb.2451:
	s_cmp_eq_u32 s13, 15
	s_cbranch_scc0 .LBB166_2456
; %bb.2452:
	global_load_ushort v2, v[12:13], off
	s_mov_b64 s[0:1], 0
	s_mov_b64 s[10:11], -1
	s_waitcnt vmcnt(0)
	v_lshlrev_b32_e32 v2, 16, v2
	v_cvt_i32_f32_e32 v10, v2
	s_branch .LBB166_2457
.LBB166_2453:
	s_mov_b64 s[14:15], -1
                                        ; implicit-def: $vgpr10
	s_branch .LBB166_2458
.LBB166_2454:
	s_andn2_saveexec_b64 s[2:3], s[2:3]
	s_cbranch_execz .LBB166_2435
.LBB166_2455:
	v_cmp_ne_u16_e32 vcc, 0, v2
	s_andn2_b64 s[10:11], s[10:11], exec
	s_and_b64 s[14:15], vcc, exec
	s_or_b64 s[10:11], s[10:11], s[14:15]
	s_or_b64 exec, exec, s[2:3]
	v_mov_b32_e32 v10, 0
	s_and_saveexec_b64 s[2:3], s[10:11]
	s_cbranch_execnz .LBB166_2436
	s_branch .LBB166_2437
.LBB166_2456:
	s_mov_b64 s[0:1], -1
                                        ; implicit-def: $vgpr10
.LBB166_2457:
	s_mov_b64 s[14:15], 0
.LBB166_2458:
	s_and_b64 vcc, exec, s[14:15]
	s_cbranch_vccz .LBB166_2460
; %bb.2459:
	s_cmp_lg_u32 s13, 11
	s_mov_b64 s[2:3], -1
	s_cselect_b64 s[0:1], -1, 0
.LBB166_2460:
	s_and_b64 vcc, exec, s[0:1]
	s_cbranch_vccnz .LBB166_2993
; %bb.2461:
	s_andn2_b64 vcc, exec, s[2:3]
	s_cbranch_vccnz .LBB166_2463
.LBB166_2462:
	global_load_ubyte v2, v[12:13], off
	s_mov_b64 s[10:11], -1
	s_waitcnt vmcnt(0)
	v_cmp_ne_u16_e32 vcc, 0, v2
	v_cndmask_b32_e64 v10, 0, 1, vcc
.LBB166_2463:
	s_mov_b64 s[0:1], 0
.LBB166_2464:
	s_and_b64 vcc, exec, s[0:1]
	s_cbranch_vccz .LBB166_2513
; %bb.2465:
	s_and_b32 s2, 0xffff, s25
	s_cmp_lt_i32 s2, 5
	s_cbranch_scc1 .LBB166_2470
; %bb.2466:
	s_cmp_lt_i32 s2, 8
	s_cbranch_scc1 .LBB166_2471
; %bb.2467:
	;; [unrolled: 3-line block ×3, first 2 shown]
	s_cmp_gt_i32 s2, 9
	s_cbranch_scc0 .LBB166_2473
; %bb.2469:
	global_load_dwordx2 v[10:11], v[12:13], off
	s_mov_b64 s[0:1], 0
	s_waitcnt vmcnt(0)
	v_cvt_i32_f64_e32 v10, v[10:11]
	s_branch .LBB166_2474
.LBB166_2470:
	s_mov_b64 s[0:1], -1
                                        ; implicit-def: $vgpr10
	s_branch .LBB166_2492
.LBB166_2471:
	s_mov_b64 s[0:1], -1
                                        ; implicit-def: $vgpr10
	s_branch .LBB166_2480
.LBB166_2472:
	s_mov_b64 s[0:1], -1
                                        ; implicit-def: $vgpr10
	s_branch .LBB166_2477
.LBB166_2473:
	s_mov_b64 s[0:1], -1
                                        ; implicit-def: $vgpr10
.LBB166_2474:
	s_andn2_b64 vcc, exec, s[0:1]
	s_cbranch_vccnz .LBB166_2476
; %bb.2475:
	global_load_dword v2, v[12:13], off
	s_waitcnt vmcnt(0)
	v_cvt_i32_f32_e32 v10, v2
.LBB166_2476:
	s_mov_b64 s[0:1], 0
.LBB166_2477:
	s_andn2_b64 vcc, exec, s[0:1]
	s_cbranch_vccnz .LBB166_2479
; %bb.2478:
	global_load_dword v2, v[12:13], off
	s_waitcnt vmcnt(0)
	v_cvt_i16_f16_e32 v10, v2
.LBB166_2479:
	s_mov_b64 s[0:1], 0
.LBB166_2480:
	s_andn2_b64 vcc, exec, s[0:1]
	s_cbranch_vccnz .LBB166_2491
; %bb.2481:
	s_cmp_lt_i32 s2, 6
	s_cbranch_scc1 .LBB166_2484
; %bb.2482:
	s_cmp_gt_i32 s2, 6
	s_cbranch_scc0 .LBB166_2485
; %bb.2483:
	global_load_dwordx2 v[10:11], v[12:13], off
	s_mov_b64 s[0:1], 0
	s_waitcnt vmcnt(0)
	v_cvt_i32_f64_e32 v10, v[10:11]
	s_branch .LBB166_2486
.LBB166_2484:
	s_mov_b64 s[0:1], -1
                                        ; implicit-def: $vgpr10
	s_branch .LBB166_2489
.LBB166_2485:
	s_mov_b64 s[0:1], -1
                                        ; implicit-def: $vgpr10
.LBB166_2486:
	s_andn2_b64 vcc, exec, s[0:1]
	s_cbranch_vccnz .LBB166_2488
; %bb.2487:
	global_load_dword v2, v[12:13], off
	s_waitcnt vmcnt(0)
	v_cvt_i32_f32_e32 v10, v2
.LBB166_2488:
	s_mov_b64 s[0:1], 0
.LBB166_2489:
	s_andn2_b64 vcc, exec, s[0:1]
	s_cbranch_vccnz .LBB166_2491
; %bb.2490:
	global_load_ushort v2, v[12:13], off
	s_waitcnt vmcnt(0)
	v_cvt_i16_f16_e32 v10, v2
.LBB166_2491:
	s_mov_b64 s[0:1], 0
.LBB166_2492:
	s_andn2_b64 vcc, exec, s[0:1]
	s_cbranch_vccnz .LBB166_2512
; %bb.2493:
	s_cmp_lt_i32 s2, 2
	s_cbranch_scc1 .LBB166_2497
; %bb.2494:
	s_cmp_lt_i32 s2, 3
	s_cbranch_scc1 .LBB166_2498
; %bb.2495:
	s_cmp_gt_i32 s2, 3
	s_cbranch_scc0 .LBB166_2499
; %bb.2496:
	global_load_dwordx2 v[10:11], v[12:13], off
	s_mov_b64 s[0:1], 0
	s_branch .LBB166_2500
.LBB166_2497:
	s_mov_b64 s[0:1], -1
                                        ; implicit-def: $vgpr10
	s_branch .LBB166_2506
.LBB166_2498:
	s_mov_b64 s[0:1], -1
                                        ; implicit-def: $vgpr10
	s_branch .LBB166_2503
.LBB166_2499:
	s_mov_b64 s[0:1], -1
                                        ; implicit-def: $vgpr10
.LBB166_2500:
	s_andn2_b64 vcc, exec, s[0:1]
	s_cbranch_vccnz .LBB166_2502
; %bb.2501:
	global_load_dword v10, v[12:13], off
.LBB166_2502:
	s_mov_b64 s[0:1], 0
.LBB166_2503:
	s_andn2_b64 vcc, exec, s[0:1]
	s_cbranch_vccnz .LBB166_2505
; %bb.2504:
	global_load_ushort v10, v[12:13], off
.LBB166_2505:
	s_mov_b64 s[0:1], 0
.LBB166_2506:
	s_andn2_b64 vcc, exec, s[0:1]
	s_cbranch_vccnz .LBB166_2512
; %bb.2507:
	s_cmp_gt_i32 s2, 0
	s_cbranch_scc0 .LBB166_2509
; %bb.2508:
	global_load_ubyte v10, v[12:13], off
	s_mov_b64 s[0:1], 0
	s_branch .LBB166_2510
.LBB166_2509:
	s_mov_b64 s[0:1], -1
                                        ; implicit-def: $vgpr10
.LBB166_2510:
	s_andn2_b64 vcc, exec, s[0:1]
	s_cbranch_vccnz .LBB166_2512
; %bb.2511:
	global_load_ubyte v10, v[12:13], off
.LBB166_2512:
	s_mov_b64 s[10:11], -1
.LBB166_2513:
	s_andn2_b64 vcc, exec, s[10:11]
	s_cbranch_vccnz .LBB166_2947
; %bb.2514:
	v_mov_b32_e32 v5, 7
	v_ashrrev_i16_sdwa v8, v5, sext(v0) dst_sel:DWORD dst_unused:UNUSED_PAD src0_sel:DWORD src1_sel:BYTE_0
	v_mul_lo_u32 v5, s12, v14
	v_mov_b32_e32 v2, 6
	v_ashrrev_i32_sdwa v0, v3, sext(v0) dst_sel:DWORD dst_unused:UNUSED_PAD src0_sel:DWORD src1_sel:BYTE_0
	v_cmp_gt_u16_sdwa vcc, v3, v2 src0_sel:BYTE_0 src1_sel:DWORD
	v_cndmask_b32_e32 v0, v0, v8, vcc
	v_ashrrev_i32_e32 v3, 31, v5
	v_mov_b32_e32 v8, s9
	s_and_b32 s20, s33, 0xff
	v_add_co_u32_e32 v2, vcc, s8, v5
	s_cmp_lt_i32 s20, 11
	v_addc_co_u32_e32 v3, vcc, v8, v3, vcc
	s_cbranch_scc1 .LBB166_2592
; %bb.2515:
	s_and_b32 s13, 0xffff, s20
	s_mov_b64 s[14:15], -1
	s_mov_b64 s[2:3], 0
	s_cmp_gt_i32 s13, 25
	s_mov_b64 s[10:11], 0
	s_mov_b64 s[0:1], 0
	s_cbranch_scc0 .LBB166_2548
; %bb.2516:
	s_cmp_gt_i32 s13, 28
	s_cbranch_scc0 .LBB166_2531
; %bb.2517:
	s_cmp_gt_i32 s13, 43
	;; [unrolled: 3-line block ×3, first 2 shown]
	s_cbranch_scc0 .LBB166_2521
; %bb.2519:
	s_mov_b64 s[0:1], -1
	s_mov_b64 s[14:15], 0
	s_cmp_eq_u32 s13, 46
	s_cbranch_scc0 .LBB166_2521
; %bb.2520:
	v_cvt_f32_i32_sdwa v8, sext(v0) dst_sel:DWORD dst_unused:UNUSED_PAD src0_sel:WORD_0
	s_movk_i32 s10, 0x7fff
	s_mov_b64 s[0:1], 0
	s_waitcnt vmcnt(0)
	v_bfe_u32 v11, v8, 16, 1
	v_add3_u32 v8, v8, v11, s10
	v_lshrrev_b32_e32 v8, 16, v8
	global_store_dword v[2:3], v8, off
	s_mov_b64 s[10:11], -1
.LBB166_2521:
	s_and_b64 vcc, exec, s[14:15]
	s_cbranch_vccz .LBB166_2526
; %bb.2522:
	s_cmp_eq_u32 s13, 44
	s_mov_b64 s[0:1], -1
	s_cbranch_scc0 .LBB166_2526
; %bb.2523:
	v_cvt_f32_i32_sdwa v8, sext(v0) dst_sel:DWORD dst_unused:UNUSED_PAD src0_sel:WORD_0
	s_movk_i32 s0, 0xff
	v_mov_b32_e32 v12, 0xff
	s_waitcnt vmcnt(0)
	v_bfe_u32 v11, v8, 23, 8
	v_cmp_ne_u32_e32 vcc, s0, v11
	s_and_saveexec_b64 s[10:11], vcc
; %bb.2524:
	s_mov_b32 s0, 0x3fffff
	v_lshrrev_b32_e32 v12, 23, v8
	v_and_b32_e32 v13, 0x400000, v8
	v_and_or_b32 v8, v8, s0, v11
	v_cmp_ne_u32_e32 vcc, 0, v13
	v_cmp_ne_u32_e64 s[0:1], 0, v8
	s_and_b64 s[0:1], vcc, s[0:1]
	v_cndmask_b32_e64 v8, 0, 1, s[0:1]
	v_add_u32_e32 v12, v12, v8
; %bb.2525:
	s_or_b64 exec, exec, s[10:11]
	s_mov_b64 s[0:1], 0
	s_mov_b64 s[10:11], -1
	global_store_byte v[2:3], v12, off
.LBB166_2526:
	s_mov_b64 s[14:15], 0
.LBB166_2527:
	s_and_b64 vcc, exec, s[14:15]
	s_cbranch_vccz .LBB166_2530
; %bb.2528:
	s_cmp_eq_u32 s13, 29
	s_mov_b64 s[0:1], -1
	s_cbranch_scc0 .LBB166_2530
; %bb.2529:
	s_waitcnt vmcnt(0)
	v_bfe_i32 v11, v0, 0, 16
	v_ashrrev_i32_e32 v12, 31, v11
	global_store_dwordx2 v[2:3], v[11:12], off
	s_mov_b64 s[0:1], 0
	s_mov_b64 s[10:11], -1
.LBB166_2530:
	s_mov_b64 s[14:15], 0
.LBB166_2531:
	s_and_b64 vcc, exec, s[14:15]
	s_cbranch_vccz .LBB166_2547
; %bb.2532:
	s_cmp_lt_i32 s13, 27
	s_mov_b64 s[10:11], -1
	s_cbranch_scc1 .LBB166_2538
; %bb.2533:
	s_cmp_gt_i32 s13, 27
	s_cbranch_scc0 .LBB166_2535
; %bb.2534:
	v_bfe_i32 v8, v0, 0, 16
	s_mov_b64 s[10:11], 0
	global_store_dword v[2:3], v8, off
.LBB166_2535:
	s_andn2_b64 vcc, exec, s[10:11]
	s_cbranch_vccnz .LBB166_2537
; %bb.2536:
	global_store_short v[2:3], v0, off
.LBB166_2537:
	s_mov_b64 s[10:11], 0
.LBB166_2538:
	s_andn2_b64 vcc, exec, s[10:11]
	s_cbranch_vccnz .LBB166_2546
; %bb.2539:
	v_cvt_f32_i32_sdwa v8, sext(v0) dst_sel:DWORD dst_unused:UNUSED_PAD src0_sel:WORD_0
	s_mov_b32 s10, 0x43800000
	v_mov_b32_e32 v12, 0x80
	s_waitcnt vmcnt(0)
	v_and_b32_e32 v11, 0x7fffffff, v8
	v_cmp_gt_u32_e32 vcc, s10, v11
	s_and_saveexec_b64 s[10:11], vcc
	s_cbranch_execz .LBB166_2545
; %bb.2540:
	s_mov_b32 s14, 0x3bffffff
	v_cmp_lt_u32_e32 vcc, s14, v11
	s_mov_b64 s[14:15], 0
                                        ; implicit-def: $vgpr11
	s_and_saveexec_b64 s[16:17], vcc
	s_xor_b64 s[16:17], exec, s[16:17]
	s_cbranch_execz .LBB166_2994
; %bb.2541:
	v_bfe_u32 v11, v8, 20, 1
	s_mov_b32 s21, 0x487ffff
	v_add3_u32 v11, v8, v11, s21
	s_mov_b64 s[14:15], exec
	v_lshrrev_b32_e32 v11, 20, v11
	s_andn2_saveexec_b64 s[16:17], s[16:17]
	s_cbranch_execnz .LBB166_2995
.LBB166_2542:
	s_or_b64 exec, exec, s[16:17]
	v_mov_b32_e32 v12, 0
	s_and_saveexec_b64 s[16:17], s[14:15]
.LBB166_2543:
	v_lshrrev_b32_e32 v8, 24, v8
	s_movk_i32 s14, 0x80
	v_and_or_b32 v12, v8, s14, v11
.LBB166_2544:
	s_or_b64 exec, exec, s[16:17]
.LBB166_2545:
	s_or_b64 exec, exec, s[10:11]
	global_store_byte v[2:3], v12, off
.LBB166_2546:
	s_mov_b64 s[10:11], -1
.LBB166_2547:
	s_mov_b64 s[14:15], 0
.LBB166_2548:
	s_and_b64 vcc, exec, s[14:15]
	s_cbranch_vccz .LBB166_2588
; %bb.2549:
	s_cmp_gt_i32 s13, 22
	s_mov_b64 s[2:3], -1
	s_cbranch_scc0 .LBB166_2581
; %bb.2550:
	s_cmp_lt_i32 s13, 24
	s_cbranch_scc1 .LBB166_2570
; %bb.2551:
	s_cmp_gt_i32 s13, 24
	s_cbranch_scc0 .LBB166_2559
; %bb.2552:
	v_cvt_f32_i32_sdwa v8, sext(v0) dst_sel:DWORD dst_unused:UNUSED_PAD src0_sel:WORD_0
	s_mov_b32 s2, 0x47800000
	v_mov_b32_e32 v12, 0x80
	s_waitcnt vmcnt(0)
	v_and_b32_e32 v11, 0x7fffffff, v8
	v_cmp_gt_u32_e32 vcc, s2, v11
	s_and_saveexec_b64 s[2:3], vcc
	s_cbranch_execz .LBB166_2558
; %bb.2553:
	s_mov_b32 s10, 0x37ffffff
	v_cmp_lt_u32_e32 vcc, s10, v11
	s_mov_b64 s[10:11], 0
                                        ; implicit-def: $vgpr11
	s_and_saveexec_b64 s[14:15], vcc
	s_xor_b64 s[14:15], exec, s[14:15]
	s_cbranch_execz .LBB166_2997
; %bb.2554:
	v_bfe_u32 v11, v8, 21, 1
	s_mov_b32 s16, 0x88fffff
	v_add3_u32 v11, v8, v11, s16
	s_mov_b64 s[10:11], exec
	v_lshrrev_b32_e32 v11, 21, v11
	s_andn2_saveexec_b64 s[14:15], s[14:15]
	s_cbranch_execnz .LBB166_2998
.LBB166_2555:
	s_or_b64 exec, exec, s[14:15]
	v_mov_b32_e32 v12, 0
	s_and_saveexec_b64 s[14:15], s[10:11]
.LBB166_2556:
	v_lshrrev_b32_e32 v8, 24, v8
	s_movk_i32 s10, 0x80
	v_and_or_b32 v12, v8, s10, v11
.LBB166_2557:
	s_or_b64 exec, exec, s[14:15]
.LBB166_2558:
	s_or_b64 exec, exec, s[2:3]
	s_mov_b64 s[2:3], 0
	global_store_byte v[2:3], v12, off
.LBB166_2559:
	s_and_b64 vcc, exec, s[2:3]
	s_cbranch_vccz .LBB166_2569
; %bb.2560:
	v_cvt_f32_i32_sdwa v8, sext(v0) dst_sel:DWORD dst_unused:UNUSED_PAD src0_sel:WORD_0
	s_mov_b32 s2, 0x43f00000
                                        ; implicit-def: $vgpr11
	v_and_b32_e32 v12, 0x7fffffff, v8
	v_cmp_gt_u32_e32 vcc, s2, v12
	s_and_saveexec_b64 s[2:3], vcc
	s_xor_b64 s[2:3], exec, s[2:3]
	s_cbranch_execz .LBB166_2566
; %bb.2561:
	s_mov_b32 s10, 0x3c7fffff
	v_cmp_lt_u32_e32 vcc, s10, v12
                                        ; implicit-def: $vgpr11
	s_and_saveexec_b64 s[10:11], vcc
	s_xor_b64 s[10:11], exec, s[10:11]
	s_cbranch_execz .LBB166_2563
; %bb.2562:
	s_waitcnt vmcnt(0)
	v_bfe_u32 v11, v8, 20, 1
	s_mov_b32 s14, 0x407ffff
	v_add3_u32 v11, v8, v11, s14
	v_lshrrev_b32_e32 v12, 20, v11
	v_and_b32_e32 v11, 0xff00000, v11
	s_mov_b32 s14, 0x7f00000
	v_mov_b32_e32 v13, 0x7e
	v_cmp_ne_u32_e32 vcc, s14, v11
	v_cndmask_b32_e32 v11, v13, v12, vcc
.LBB166_2563:
	s_andn2_saveexec_b64 s[10:11], s[10:11]
	s_cbranch_execz .LBB166_2565
; %bb.2564:
	s_mov_b32 s14, 0x46800000
	s_waitcnt vmcnt(0)
	v_add_f32_e64 v11, |v8|, s14
.LBB166_2565:
	s_or_b64 exec, exec, s[10:11]
                                        ; implicit-def: $vgpr12
.LBB166_2566:
	s_andn2_saveexec_b64 s[2:3], s[2:3]
	s_cbranch_execz .LBB166_2568
; %bb.2567:
	s_mov_b32 s10, 0x7f800000
	s_waitcnt vmcnt(0)
	v_mov_b32_e32 v11, 0x7e
	v_mov_b32_e32 v13, 0x7f
	v_cmp_lt_u32_e32 vcc, s10, v12
	v_cndmask_b32_e32 v11, v11, v13, vcc
.LBB166_2568:
	s_or_b64 exec, exec, s[2:3]
	v_lshrrev_b32_e32 v8, 24, v8
	s_movk_i32 s2, 0x80
	s_waitcnt vmcnt(0)
	v_and_or_b32 v8, v8, s2, v11
	global_store_byte v[2:3], v8, off
.LBB166_2569:
	s_mov_b64 s[2:3], 0
.LBB166_2570:
	s_andn2_b64 vcc, exec, s[2:3]
	s_cbranch_vccnz .LBB166_2580
; %bb.2571:
	v_cvt_f32_i32_sdwa v8, sext(v0) dst_sel:DWORD dst_unused:UNUSED_PAD src0_sel:WORD_0
	s_mov_b32 s2, 0x47800000
                                        ; implicit-def: $vgpr11
	v_and_b32_e32 v12, 0x7fffffff, v8
	v_cmp_gt_u32_e32 vcc, s2, v12
	s_and_saveexec_b64 s[2:3], vcc
	s_xor_b64 s[2:3], exec, s[2:3]
	s_cbranch_execz .LBB166_2577
; %bb.2572:
	s_mov_b32 s10, 0x387fffff
	v_cmp_lt_u32_e32 vcc, s10, v12
                                        ; implicit-def: $vgpr11
	s_and_saveexec_b64 s[10:11], vcc
	s_xor_b64 s[10:11], exec, s[10:11]
	s_cbranch_execz .LBB166_2574
; %bb.2573:
	s_waitcnt vmcnt(0)
	v_bfe_u32 v11, v8, 21, 1
	s_mov_b32 s14, 0x80fffff
	v_add3_u32 v11, v8, v11, s14
	v_lshrrev_b32_e32 v11, 21, v11
.LBB166_2574:
	s_andn2_saveexec_b64 s[10:11], s[10:11]
	s_cbranch_execz .LBB166_2576
; %bb.2575:
	s_mov_b32 s14, 0x43000000
	s_waitcnt vmcnt(0)
	v_add_f32_e64 v11, |v8|, s14
.LBB166_2576:
	s_or_b64 exec, exec, s[10:11]
                                        ; implicit-def: $vgpr12
.LBB166_2577:
	s_andn2_saveexec_b64 s[2:3], s[2:3]
	s_cbranch_execz .LBB166_2579
; %bb.2578:
	s_mov_b32 s10, 0x7f800000
	s_waitcnt vmcnt(0)
	v_mov_b32_e32 v11, 0x7c
	v_mov_b32_e32 v13, 0x7f
	v_cmp_lt_u32_e32 vcc, s10, v12
	v_cndmask_b32_e32 v11, v11, v13, vcc
.LBB166_2579:
	s_or_b64 exec, exec, s[2:3]
	v_lshrrev_b32_e32 v8, 24, v8
	s_movk_i32 s2, 0x80
	s_waitcnt vmcnt(0)
	v_and_or_b32 v8, v8, s2, v11
	global_store_byte v[2:3], v8, off
.LBB166_2580:
	s_mov_b64 s[2:3], 0
	s_mov_b64 s[10:11], -1
.LBB166_2581:
	s_andn2_b64 vcc, exec, s[2:3]
	s_mov_b64 s[2:3], 0
	s_cbranch_vccnz .LBB166_2588
; %bb.2582:
	s_cmp_gt_i32 s13, 14
	s_mov_b64 s[14:15], -1
	s_cbranch_scc0 .LBB166_2586
; %bb.2583:
	s_cmp_eq_u32 s13, 15
	s_mov_b64 s[0:1], -1
	s_cbranch_scc0 .LBB166_2585
; %bb.2584:
	v_cvt_f32_i32_sdwa v8, sext(v0) dst_sel:DWORD dst_unused:UNUSED_PAD src0_sel:WORD_0
	s_movk_i32 s2, 0x7fff
	s_mov_b64 s[0:1], 0
	s_mov_b64 s[10:11], -1
	s_waitcnt vmcnt(0)
	v_bfe_u32 v11, v8, 16, 1
	v_add3_u32 v8, v8, v11, s2
	global_store_short_d16_hi v[2:3], v8, off
.LBB166_2585:
	s_mov_b64 s[14:15], 0
.LBB166_2586:
	s_mov_b64 s[2:3], 0
	s_and_b64 vcc, exec, s[14:15]
	s_cbranch_vccz .LBB166_2588
; %bb.2587:
	s_cmp_lg_u32 s13, 11
	s_mov_b64 s[2:3], -1
	s_cselect_b64 s[0:1], -1, 0
.LBB166_2588:
	s_and_b64 vcc, exec, s[0:1]
	s_cbranch_vccnz .LBB166_2996
; %bb.2589:
	s_andn2_b64 vcc, exec, s[2:3]
	s_cbranch_vccnz .LBB166_2591
.LBB166_2590:
	v_cmp_ne_u16_e32 vcc, 0, v0
	v_cndmask_b32_e64 v8, 0, 1, vcc
	s_mov_b64 s[10:11], -1
	global_store_byte v[2:3], v8, off
.LBB166_2591:
	s_mov_b64 s[0:1], 0
	s_branch .LBB166_2593
.LBB166_2592:
	s_mov_b64 s[0:1], -1
	s_mov_b64 s[10:11], 0
.LBB166_2593:
	s_and_b64 vcc, exec, s[0:1]
	s_cbranch_vccz .LBB166_2632
; %bb.2594:
	s_and_b32 s2, 0xffff, s20
	s_cmp_lt_i32 s2, 5
	s_mov_b64 s[0:1], -1
	s_cbranch_scc1 .LBB166_2615
; %bb.2595:
	s_cmp_lt_i32 s2, 8
	s_cbranch_scc1 .LBB166_2605
; %bb.2596:
	s_cmp_lt_i32 s2, 9
	s_cbranch_scc1 .LBB166_2602
; %bb.2597:
	s_cmp_gt_i32 s2, 9
	s_cbranch_scc0 .LBB166_2599
; %bb.2598:
	v_bfe_i32 v8, v0, 0, 16
	s_waitcnt vmcnt(0)
	v_cvt_f64_i32_e32 v[11:12], v8
	v_mov_b32_e32 v13, 0
	v_mov_b32_e32 v14, v13
	s_mov_b64 s[0:1], 0
	global_store_dwordx4 v[2:3], v[11:14], off
.LBB166_2599:
	s_andn2_b64 vcc, exec, s[0:1]
	s_cbranch_vccnz .LBB166_2601
; %bb.2600:
	s_waitcnt vmcnt(0)
	v_cvt_f32_i32_sdwa v11, sext(v0) dst_sel:DWORD dst_unused:UNUSED_PAD src0_sel:WORD_0
	v_mov_b32_e32 v12, 0
	global_store_dwordx2 v[2:3], v[11:12], off
.LBB166_2601:
	s_mov_b64 s[0:1], 0
.LBB166_2602:
	s_andn2_b64 vcc, exec, s[0:1]
	s_cbranch_vccnz .LBB166_2604
; %bb.2603:
	v_cvt_f16_i16_e32 v8, v0
	global_store_dword v[2:3], v8, off
.LBB166_2604:
	s_mov_b64 s[0:1], 0
.LBB166_2605:
	s_andn2_b64 vcc, exec, s[0:1]
	s_cbranch_vccnz .LBB166_2614
; %bb.2606:
	s_cmp_lt_i32 s2, 6
	s_mov_b64 s[0:1], -1
	s_cbranch_scc1 .LBB166_2612
; %bb.2607:
	s_cmp_gt_i32 s2, 6
	s_cbranch_scc0 .LBB166_2609
; %bb.2608:
	v_bfe_i32 v8, v0, 0, 16
	s_waitcnt vmcnt(0)
	v_cvt_f64_i32_e32 v[11:12], v8
	s_mov_b64 s[0:1], 0
	global_store_dwordx2 v[2:3], v[11:12], off
.LBB166_2609:
	s_andn2_b64 vcc, exec, s[0:1]
	s_cbranch_vccnz .LBB166_2611
; %bb.2610:
	v_cvt_f32_i32_sdwa v8, sext(v0) dst_sel:DWORD dst_unused:UNUSED_PAD src0_sel:WORD_0
	global_store_dword v[2:3], v8, off
.LBB166_2611:
	s_mov_b64 s[0:1], 0
.LBB166_2612:
	s_andn2_b64 vcc, exec, s[0:1]
	s_cbranch_vccnz .LBB166_2614
; %bb.2613:
	v_cvt_f16_i16_e32 v8, v0
	global_store_short v[2:3], v8, off
.LBB166_2614:
	s_mov_b64 s[0:1], 0
.LBB166_2615:
	s_andn2_b64 vcc, exec, s[0:1]
	s_cbranch_vccnz .LBB166_2631
; %bb.2616:
	s_cmp_lt_i32 s2, 2
	s_mov_b64 s[0:1], -1
	s_cbranch_scc1 .LBB166_2626
; %bb.2617:
	s_cmp_lt_i32 s2, 3
	s_cbranch_scc1 .LBB166_2623
; %bb.2618:
	s_cmp_gt_i32 s2, 3
	s_waitcnt vmcnt(0)
	v_bfe_i32 v11, v0, 0, 16
	s_cbranch_scc0 .LBB166_2620
; %bb.2619:
	v_ashrrev_i32_e32 v12, 31, v11
	global_store_dwordx2 v[2:3], v[11:12], off
	s_mov_b64 s[0:1], 0
.LBB166_2620:
	s_andn2_b64 vcc, exec, s[0:1]
	s_cbranch_vccnz .LBB166_2622
; %bb.2621:
	global_store_dword v[2:3], v11, off
.LBB166_2622:
	s_mov_b64 s[0:1], 0
.LBB166_2623:
	s_andn2_b64 vcc, exec, s[0:1]
	s_cbranch_vccnz .LBB166_2625
; %bb.2624:
	global_store_short v[2:3], v0, off
.LBB166_2625:
	s_mov_b64 s[0:1], 0
.LBB166_2626:
	s_andn2_b64 vcc, exec, s[0:1]
	s_cbranch_vccnz .LBB166_2631
; %bb.2627:
	s_cmp_gt_i32 s2, 0
	s_mov_b64 s[0:1], -1
	s_cbranch_scc0 .LBB166_2629
; %bb.2628:
	global_store_byte v[2:3], v0, off
	s_mov_b64 s[0:1], 0
.LBB166_2629:
	s_andn2_b64 vcc, exec, s[0:1]
	s_cbranch_vccnz .LBB166_2631
; %bb.2630:
	global_store_byte v[2:3], v0, off
.LBB166_2631:
	s_mov_b64 s[10:11], -1
.LBB166_2632:
	s_andn2_b64 vcc, exec, s[10:11]
	s_cbranch_vccnz .LBB166_2947
; %bb.2633:
	v_mov_b32_e32 v0, 6
	v_mov_b32_e32 v2, 7
	s_lshl_b32 s16, s12, 7
	v_ashrrev_i16_sdwa v2, v2, sext(v1) dst_sel:DWORD dst_unused:UNUSED_PAD src0_sel:DWORD src1_sel:BYTE_0
	v_ashrrev_i32_sdwa v1, v6, sext(v1) dst_sel:DWORD dst_unused:UNUSED_PAD src0_sel:DWORD src1_sel:BYTE_0
	v_cmp_gt_u16_sdwa vcc, v6, v0 src0_sel:BYTE_0 src1_sel:DWORD
	v_add_u32_e32 v5, s16, v5
	v_cndmask_b32_e32 v6, v1, v2, vcc
	v_ashrrev_i32_e32 v1, 31, v5
	v_mov_b32_e32 v2, s9
	v_add_co_u32_e32 v0, vcc, s8, v5
	s_cmp_lt_i32 s20, 11
	v_addc_co_u32_e32 v1, vcc, v2, v1, vcc
	s_cbranch_scc1 .LBB166_2711
; %bb.2634:
	s_and_b32 s17, 0xffff, s20
	s_mov_b64 s[12:13], -1
	s_mov_b64 s[2:3], 0
	s_cmp_gt_i32 s17, 25
	s_mov_b64 s[10:11], 0
	s_mov_b64 s[0:1], 0
	s_cbranch_scc0 .LBB166_2667
; %bb.2635:
	s_cmp_gt_i32 s17, 28
	s_cbranch_scc0 .LBB166_2650
; %bb.2636:
	s_cmp_gt_i32 s17, 43
	;; [unrolled: 3-line block ×3, first 2 shown]
	s_cbranch_scc0 .LBB166_2640
; %bb.2638:
	s_mov_b64 s[0:1], -1
	s_mov_b64 s[12:13], 0
	s_cmp_eq_u32 s17, 46
	s_cbranch_scc0 .LBB166_2640
; %bb.2639:
	v_cvt_f32_i32_sdwa v2, sext(v6) dst_sel:DWORD dst_unused:UNUSED_PAD src0_sel:WORD_0
	s_movk_i32 s10, 0x7fff
	s_mov_b64 s[0:1], 0
	v_bfe_u32 v3, v2, 16, 1
	v_add3_u32 v2, v2, v3, s10
	v_lshrrev_b32_e32 v2, 16, v2
	global_store_dword v[0:1], v2, off
	s_mov_b64 s[10:11], -1
.LBB166_2640:
	s_and_b64 vcc, exec, s[12:13]
	s_cbranch_vccz .LBB166_2645
; %bb.2641:
	s_cmp_eq_u32 s17, 44
	s_mov_b64 s[0:1], -1
	s_cbranch_scc0 .LBB166_2645
; %bb.2642:
	v_cvt_f32_i32_sdwa v2, sext(v6) dst_sel:DWORD dst_unused:UNUSED_PAD src0_sel:WORD_0
	s_movk_i32 s0, 0xff
	v_mov_b32_e32 v8, 0xff
	v_bfe_u32 v3, v2, 23, 8
	v_cmp_ne_u32_e32 vcc, s0, v3
	s_and_saveexec_b64 s[10:11], vcc
	s_cbranch_execz .LBB166_2644
; %bb.2643:
	s_mov_b32 s0, 0x3fffff
	v_lshrrev_b32_e32 v8, 23, v2
	s_waitcnt vmcnt(0)
	v_and_b32_e32 v11, 0x400000, v2
	v_and_or_b32 v2, v2, s0, v3
	v_cmp_ne_u32_e32 vcc, 0, v11
	v_cmp_ne_u32_e64 s[0:1], 0, v2
	s_and_b64 s[0:1], vcc, s[0:1]
	v_cndmask_b32_e64 v2, 0, 1, s[0:1]
	v_add_u32_e32 v8, v8, v2
.LBB166_2644:
	s_or_b64 exec, exec, s[10:11]
	s_mov_b64 s[0:1], 0
	s_mov_b64 s[10:11], -1
	global_store_byte v[0:1], v8, off
.LBB166_2645:
	s_mov_b64 s[12:13], 0
.LBB166_2646:
	s_and_b64 vcc, exec, s[12:13]
	s_cbranch_vccz .LBB166_2649
; %bb.2647:
	s_cmp_eq_u32 s17, 29
	s_mov_b64 s[0:1], -1
	s_cbranch_scc0 .LBB166_2649
; %bb.2648:
	v_bfe_i32 v2, v6, 0, 16
	v_ashrrev_i32_e32 v3, 31, v2
	global_store_dwordx2 v[0:1], v[2:3], off
	s_mov_b64 s[0:1], 0
	s_mov_b64 s[10:11], -1
.LBB166_2649:
	s_mov_b64 s[12:13], 0
.LBB166_2650:
	s_and_b64 vcc, exec, s[12:13]
	s_cbranch_vccz .LBB166_2666
; %bb.2651:
	s_cmp_lt_i32 s17, 27
	s_mov_b64 s[10:11], -1
	s_cbranch_scc1 .LBB166_2657
; %bb.2652:
	s_cmp_gt_i32 s17, 27
	s_cbranch_scc0 .LBB166_2654
; %bb.2653:
	v_bfe_i32 v2, v6, 0, 16
	s_mov_b64 s[10:11], 0
	global_store_dword v[0:1], v2, off
.LBB166_2654:
	s_andn2_b64 vcc, exec, s[10:11]
	s_cbranch_vccnz .LBB166_2656
; %bb.2655:
	global_store_short v[0:1], v6, off
.LBB166_2656:
	s_mov_b64 s[10:11], 0
.LBB166_2657:
	s_andn2_b64 vcc, exec, s[10:11]
	s_cbranch_vccnz .LBB166_2665
; %bb.2658:
	v_cvt_f32_i32_sdwa v2, sext(v6) dst_sel:DWORD dst_unused:UNUSED_PAD src0_sel:WORD_0
	s_mov_b32 s10, 0x43800000
	v_mov_b32_e32 v8, 0x80
	v_and_b32_e32 v3, 0x7fffffff, v2
	v_cmp_gt_u32_e32 vcc, s10, v3
	s_and_saveexec_b64 s[10:11], vcc
	s_cbranch_execz .LBB166_2664
; %bb.2659:
	s_mov_b32 s12, 0x3bffffff
	v_cmp_lt_u32_e32 vcc, s12, v3
	s_mov_b64 s[12:13], 0
                                        ; implicit-def: $vgpr3
	s_and_saveexec_b64 s[14:15], vcc
	s_xor_b64 s[14:15], exec, s[14:15]
	s_cbranch_execz .LBB166_2999
; %bb.2660:
	v_bfe_u32 v3, v2, 20, 1
	s_mov_b32 s21, 0x487ffff
	v_add3_u32 v3, v2, v3, s21
	s_mov_b64 s[12:13], exec
	v_lshrrev_b32_e32 v3, 20, v3
	s_andn2_saveexec_b64 s[14:15], s[14:15]
	s_cbranch_execnz .LBB166_3000
.LBB166_2661:
	s_or_b64 exec, exec, s[14:15]
	v_mov_b32_e32 v8, 0
	s_and_saveexec_b64 s[14:15], s[12:13]
.LBB166_2662:
	v_lshrrev_b32_e32 v2, 24, v2
	s_movk_i32 s12, 0x80
	v_and_or_b32 v8, v2, s12, v3
.LBB166_2663:
	s_or_b64 exec, exec, s[14:15]
.LBB166_2664:
	s_or_b64 exec, exec, s[10:11]
	global_store_byte v[0:1], v8, off
.LBB166_2665:
	s_mov_b64 s[10:11], -1
.LBB166_2666:
	s_mov_b64 s[12:13], 0
.LBB166_2667:
	s_and_b64 vcc, exec, s[12:13]
	s_cbranch_vccz .LBB166_2707
; %bb.2668:
	s_cmp_gt_i32 s17, 22
	s_mov_b64 s[2:3], -1
	s_cbranch_scc0 .LBB166_2700
; %bb.2669:
	s_cmp_lt_i32 s17, 24
	s_cbranch_scc1 .LBB166_2689
; %bb.2670:
	s_cmp_gt_i32 s17, 24
	s_cbranch_scc0 .LBB166_2678
; %bb.2671:
	v_cvt_f32_i32_sdwa v2, sext(v6) dst_sel:DWORD dst_unused:UNUSED_PAD src0_sel:WORD_0
	s_mov_b32 s2, 0x47800000
	v_mov_b32_e32 v8, 0x80
	v_and_b32_e32 v3, 0x7fffffff, v2
	v_cmp_gt_u32_e32 vcc, s2, v3
	s_and_saveexec_b64 s[2:3], vcc
	s_cbranch_execz .LBB166_2677
; %bb.2672:
	s_mov_b32 s10, 0x37ffffff
	v_cmp_lt_u32_e32 vcc, s10, v3
	s_mov_b64 s[10:11], 0
                                        ; implicit-def: $vgpr3
	s_and_saveexec_b64 s[12:13], vcc
	s_xor_b64 s[12:13], exec, s[12:13]
	s_cbranch_execz .LBB166_3002
; %bb.2673:
	v_bfe_u32 v3, v2, 21, 1
	s_mov_b32 s14, 0x88fffff
	v_add3_u32 v3, v2, v3, s14
	s_mov_b64 s[10:11], exec
	v_lshrrev_b32_e32 v3, 21, v3
	s_andn2_saveexec_b64 s[12:13], s[12:13]
	s_cbranch_execnz .LBB166_3003
.LBB166_2674:
	s_or_b64 exec, exec, s[12:13]
	v_mov_b32_e32 v8, 0
	s_and_saveexec_b64 s[12:13], s[10:11]
.LBB166_2675:
	v_lshrrev_b32_e32 v2, 24, v2
	s_movk_i32 s10, 0x80
	v_and_or_b32 v8, v2, s10, v3
.LBB166_2676:
	s_or_b64 exec, exec, s[12:13]
.LBB166_2677:
	s_or_b64 exec, exec, s[2:3]
	s_mov_b64 s[2:3], 0
	global_store_byte v[0:1], v8, off
.LBB166_2678:
	s_and_b64 vcc, exec, s[2:3]
	s_cbranch_vccz .LBB166_2688
; %bb.2679:
	v_cvt_f32_i32_sdwa v2, sext(v6) dst_sel:DWORD dst_unused:UNUSED_PAD src0_sel:WORD_0
	s_mov_b32 s2, 0x43f00000
                                        ; implicit-def: $vgpr3
	v_and_b32_e32 v8, 0x7fffffff, v2
	v_cmp_gt_u32_e32 vcc, s2, v8
	s_and_saveexec_b64 s[2:3], vcc
	s_xor_b64 s[2:3], exec, s[2:3]
	s_cbranch_execz .LBB166_2685
; %bb.2680:
	s_mov_b32 s10, 0x3c7fffff
	v_cmp_lt_u32_e32 vcc, s10, v8
                                        ; implicit-def: $vgpr3
	s_and_saveexec_b64 s[10:11], vcc
	s_xor_b64 s[10:11], exec, s[10:11]
	s_cbranch_execz .LBB166_2682
; %bb.2681:
	v_bfe_u32 v3, v2, 20, 1
	s_mov_b32 s12, 0x407ffff
	v_add3_u32 v3, v2, v3, s12
	v_lshrrev_b32_e32 v8, 20, v3
	v_and_b32_e32 v3, 0xff00000, v3
	s_mov_b32 s12, 0x7f00000
	s_waitcnt vmcnt(0)
	v_mov_b32_e32 v11, 0x7e
	v_cmp_ne_u32_e32 vcc, s12, v3
	v_cndmask_b32_e32 v3, v11, v8, vcc
.LBB166_2682:
	s_andn2_saveexec_b64 s[10:11], s[10:11]
; %bb.2683:
	s_mov_b32 s12, 0x46800000
	v_add_f32_e64 v3, |v2|, s12
; %bb.2684:
	s_or_b64 exec, exec, s[10:11]
                                        ; implicit-def: $vgpr8
.LBB166_2685:
	s_andn2_saveexec_b64 s[2:3], s[2:3]
	s_cbranch_execz .LBB166_2687
; %bb.2686:
	s_mov_b32 s10, 0x7f800000
	v_mov_b32_e32 v3, 0x7e
	s_waitcnt vmcnt(0)
	v_mov_b32_e32 v11, 0x7f
	v_cmp_lt_u32_e32 vcc, s10, v8
	v_cndmask_b32_e32 v3, v3, v11, vcc
.LBB166_2687:
	s_or_b64 exec, exec, s[2:3]
	v_lshrrev_b32_e32 v2, 24, v2
	s_movk_i32 s2, 0x80
	v_and_or_b32 v2, v2, s2, v3
	global_store_byte v[0:1], v2, off
.LBB166_2688:
	s_mov_b64 s[2:3], 0
.LBB166_2689:
	s_andn2_b64 vcc, exec, s[2:3]
	s_cbranch_vccnz .LBB166_2699
; %bb.2690:
	v_cvt_f32_i32_sdwa v2, sext(v6) dst_sel:DWORD dst_unused:UNUSED_PAD src0_sel:WORD_0
	s_mov_b32 s2, 0x47800000
                                        ; implicit-def: $vgpr3
	v_and_b32_e32 v8, 0x7fffffff, v2
	v_cmp_gt_u32_e32 vcc, s2, v8
	s_and_saveexec_b64 s[2:3], vcc
	s_xor_b64 s[2:3], exec, s[2:3]
	s_cbranch_execz .LBB166_2696
; %bb.2691:
	s_mov_b32 s10, 0x387fffff
	v_cmp_lt_u32_e32 vcc, s10, v8
                                        ; implicit-def: $vgpr3
	s_and_saveexec_b64 s[10:11], vcc
	s_xor_b64 s[10:11], exec, s[10:11]
; %bb.2692:
	v_bfe_u32 v3, v2, 21, 1
	s_mov_b32 s12, 0x80fffff
	v_add3_u32 v3, v2, v3, s12
	v_lshrrev_b32_e32 v3, 21, v3
; %bb.2693:
	s_andn2_saveexec_b64 s[10:11], s[10:11]
; %bb.2694:
	s_mov_b32 s12, 0x43000000
	v_add_f32_e64 v3, |v2|, s12
; %bb.2695:
	s_or_b64 exec, exec, s[10:11]
                                        ; implicit-def: $vgpr8
.LBB166_2696:
	s_andn2_saveexec_b64 s[2:3], s[2:3]
	s_cbranch_execz .LBB166_2698
; %bb.2697:
	s_mov_b32 s10, 0x7f800000
	v_mov_b32_e32 v3, 0x7c
	s_waitcnt vmcnt(0)
	v_mov_b32_e32 v11, 0x7f
	v_cmp_lt_u32_e32 vcc, s10, v8
	v_cndmask_b32_e32 v3, v3, v11, vcc
.LBB166_2698:
	s_or_b64 exec, exec, s[2:3]
	v_lshrrev_b32_e32 v2, 24, v2
	s_movk_i32 s2, 0x80
	v_and_or_b32 v2, v2, s2, v3
	global_store_byte v[0:1], v2, off
.LBB166_2699:
	s_mov_b64 s[2:3], 0
	s_mov_b64 s[10:11], -1
.LBB166_2700:
	s_andn2_b64 vcc, exec, s[2:3]
	s_mov_b64 s[2:3], 0
	s_cbranch_vccnz .LBB166_2707
; %bb.2701:
	s_cmp_gt_i32 s17, 14
	s_mov_b64 s[12:13], -1
	s_cbranch_scc0 .LBB166_2705
; %bb.2702:
	s_cmp_eq_u32 s17, 15
	s_mov_b64 s[0:1], -1
	s_cbranch_scc0 .LBB166_2704
; %bb.2703:
	v_cvt_f32_i32_sdwa v2, sext(v6) dst_sel:DWORD dst_unused:UNUSED_PAD src0_sel:WORD_0
	s_movk_i32 s2, 0x7fff
	s_mov_b64 s[0:1], 0
	s_mov_b64 s[10:11], -1
	v_bfe_u32 v3, v2, 16, 1
	v_add3_u32 v2, v2, v3, s2
	global_store_short_d16_hi v[0:1], v2, off
.LBB166_2704:
	s_mov_b64 s[12:13], 0
.LBB166_2705:
	s_mov_b64 s[2:3], 0
	s_and_b64 vcc, exec, s[12:13]
	s_cbranch_vccz .LBB166_2707
; %bb.2706:
	s_cmp_lg_u32 s17, 11
	s_mov_b64 s[2:3], -1
	s_cselect_b64 s[0:1], -1, 0
.LBB166_2707:
	s_and_b64 vcc, exec, s[0:1]
	s_cbranch_vccnz .LBB166_3001
; %bb.2708:
	s_andn2_b64 vcc, exec, s[2:3]
	s_cbranch_vccnz .LBB166_2710
.LBB166_2709:
	v_cmp_ne_u16_e32 vcc, 0, v6
	v_cndmask_b32_e64 v2, 0, 1, vcc
	s_mov_b64 s[10:11], -1
	global_store_byte v[0:1], v2, off
.LBB166_2710:
	s_mov_b64 s[0:1], 0
	s_branch .LBB166_2712
.LBB166_2711:
	s_mov_b64 s[0:1], -1
	s_mov_b64 s[10:11], 0
.LBB166_2712:
	s_and_b64 vcc, exec, s[0:1]
	s_cbranch_vccz .LBB166_2751
; %bb.2713:
	s_and_b32 s2, 0xffff, s20
	s_cmp_lt_i32 s2, 5
	s_mov_b64 s[0:1], -1
	s_cbranch_scc1 .LBB166_2734
; %bb.2714:
	s_cmp_lt_i32 s2, 8
	s_cbranch_scc1 .LBB166_2724
; %bb.2715:
	s_cmp_lt_i32 s2, 9
	s_cbranch_scc1 .LBB166_2721
; %bb.2716:
	s_cmp_gt_i32 s2, 9
	s_cbranch_scc0 .LBB166_2718
; %bb.2717:
	v_bfe_i32 v2, v6, 0, 16
	s_waitcnt vmcnt(0)
	v_cvt_f64_i32_e32 v[11:12], v2
	v_mov_b32_e32 v13, 0
	v_mov_b32_e32 v14, v13
	s_mov_b64 s[0:1], 0
	global_store_dwordx4 v[0:1], v[11:14], off
.LBB166_2718:
	s_andn2_b64 vcc, exec, s[0:1]
	s_cbranch_vccnz .LBB166_2720
; %bb.2719:
	v_cvt_f32_i32_sdwa v2, sext(v6) dst_sel:DWORD dst_unused:UNUSED_PAD src0_sel:WORD_0
	v_mov_b32_e32 v3, 0
	global_store_dwordx2 v[0:1], v[2:3], off
.LBB166_2720:
	s_mov_b64 s[0:1], 0
.LBB166_2721:
	s_andn2_b64 vcc, exec, s[0:1]
	s_cbranch_vccnz .LBB166_2723
; %bb.2722:
	v_cvt_f16_i16_e32 v2, v6
	global_store_dword v[0:1], v2, off
.LBB166_2723:
	s_mov_b64 s[0:1], 0
.LBB166_2724:
	s_andn2_b64 vcc, exec, s[0:1]
	s_cbranch_vccnz .LBB166_2733
; %bb.2725:
	s_cmp_lt_i32 s2, 6
	s_mov_b64 s[0:1], -1
	s_cbranch_scc1 .LBB166_2731
; %bb.2726:
	s_cmp_gt_i32 s2, 6
	s_cbranch_scc0 .LBB166_2728
; %bb.2727:
	v_bfe_i32 v2, v6, 0, 16
	v_cvt_f64_i32_e32 v[2:3], v2
	s_mov_b64 s[0:1], 0
	global_store_dwordx2 v[0:1], v[2:3], off
.LBB166_2728:
	s_andn2_b64 vcc, exec, s[0:1]
	s_cbranch_vccnz .LBB166_2730
; %bb.2729:
	v_cvt_f32_i32_sdwa v2, sext(v6) dst_sel:DWORD dst_unused:UNUSED_PAD src0_sel:WORD_0
	global_store_dword v[0:1], v2, off
.LBB166_2730:
	s_mov_b64 s[0:1], 0
.LBB166_2731:
	s_andn2_b64 vcc, exec, s[0:1]
	s_cbranch_vccnz .LBB166_2733
; %bb.2732:
	v_cvt_f16_i16_e32 v2, v6
	global_store_short v[0:1], v2, off
.LBB166_2733:
	s_mov_b64 s[0:1], 0
.LBB166_2734:
	s_andn2_b64 vcc, exec, s[0:1]
	s_cbranch_vccnz .LBB166_2750
; %bb.2735:
	s_cmp_lt_i32 s2, 2
	s_mov_b64 s[0:1], -1
	s_cbranch_scc1 .LBB166_2745
; %bb.2736:
	s_cmp_lt_i32 s2, 3
	s_cbranch_scc1 .LBB166_2742
; %bb.2737:
	s_cmp_gt_i32 s2, 3
	v_bfe_i32 v2, v6, 0, 16
	s_cbranch_scc0 .LBB166_2739
; %bb.2738:
	v_ashrrev_i32_e32 v3, 31, v2
	global_store_dwordx2 v[0:1], v[2:3], off
	s_mov_b64 s[0:1], 0
.LBB166_2739:
	s_andn2_b64 vcc, exec, s[0:1]
	s_cbranch_vccnz .LBB166_2741
; %bb.2740:
	global_store_dword v[0:1], v2, off
.LBB166_2741:
	s_mov_b64 s[0:1], 0
.LBB166_2742:
	s_andn2_b64 vcc, exec, s[0:1]
	s_cbranch_vccnz .LBB166_2744
; %bb.2743:
	global_store_short v[0:1], v6, off
.LBB166_2744:
	s_mov_b64 s[0:1], 0
.LBB166_2745:
	s_andn2_b64 vcc, exec, s[0:1]
	s_cbranch_vccnz .LBB166_2750
; %bb.2746:
	s_cmp_gt_i32 s2, 0
	s_mov_b64 s[0:1], -1
	s_cbranch_scc0 .LBB166_2748
; %bb.2747:
	global_store_byte v[0:1], v6, off
	s_mov_b64 s[0:1], 0
.LBB166_2748:
	s_andn2_b64 vcc, exec, s[0:1]
	s_cbranch_vccnz .LBB166_2750
; %bb.2749:
	global_store_byte v[0:1], v6, off
.LBB166_2750:
	s_mov_b64 s[10:11], -1
.LBB166_2751:
	s_andn2_b64 vcc, exec, s[10:11]
	s_cbranch_vccnz .LBB166_2947
; %bb.2752:
	v_mov_b32_e32 v0, 6
	v_mov_b32_e32 v1, 7
	v_ashrrev_i16_sdwa v1, v1, sext(v4) dst_sel:DWORD dst_unused:UNUSED_PAD src0_sel:DWORD src1_sel:BYTE_0
	v_ashrrev_i32_sdwa v2, v9, sext(v4) dst_sel:DWORD dst_unused:UNUSED_PAD src0_sel:DWORD src1_sel:BYTE_0
	v_cmp_gt_u16_sdwa vcc, v9, v0 src0_sel:BYTE_0 src1_sel:DWORD
	v_add_u32_e32 v4, s16, v5
	v_cndmask_b32_e32 v6, v2, v1, vcc
	v_ashrrev_i32_e32 v1, 31, v4
	v_mov_b32_e32 v2, s9
	v_add_co_u32_e32 v0, vcc, s8, v4
	s_cmp_lt_i32 s20, 11
	v_addc_co_u32_e32 v1, vcc, v2, v1, vcc
	s_cbranch_scc1 .LBB166_2830
; %bb.2753:
	s_and_b32 s17, 0xffff, s20
	s_mov_b64 s[12:13], -1
	s_mov_b64 s[2:3], 0
	s_cmp_gt_i32 s17, 25
	s_mov_b64 s[10:11], 0
	s_mov_b64 s[0:1], 0
	s_cbranch_scc0 .LBB166_2786
; %bb.2754:
	s_cmp_gt_i32 s17, 28
	s_cbranch_scc0 .LBB166_2769
; %bb.2755:
	s_cmp_gt_i32 s17, 43
	s_cbranch_scc0 .LBB166_2765
; %bb.2756:
	s_cmp_gt_i32 s17, 45
	s_cbranch_scc0 .LBB166_2759
; %bb.2757:
	s_mov_b64 s[0:1], -1
	s_mov_b64 s[12:13], 0
	s_cmp_eq_u32 s17, 46
	s_cbranch_scc0 .LBB166_2759
; %bb.2758:
	v_cvt_f32_i32_sdwa v2, sext(v6) dst_sel:DWORD dst_unused:UNUSED_PAD src0_sel:WORD_0
	s_movk_i32 s10, 0x7fff
	s_mov_b64 s[0:1], 0
	v_bfe_u32 v3, v2, 16, 1
	v_add3_u32 v2, v2, v3, s10
	v_lshrrev_b32_e32 v2, 16, v2
	global_store_dword v[0:1], v2, off
	s_mov_b64 s[10:11], -1
.LBB166_2759:
	s_and_b64 vcc, exec, s[12:13]
	s_cbranch_vccz .LBB166_2764
; %bb.2760:
	s_cmp_eq_u32 s17, 44
	s_mov_b64 s[0:1], -1
	s_cbranch_scc0 .LBB166_2764
; %bb.2761:
	v_cvt_f32_i32_sdwa v2, sext(v6) dst_sel:DWORD dst_unused:UNUSED_PAD src0_sel:WORD_0
	s_movk_i32 s0, 0xff
	v_mov_b32_e32 v5, 0xff
	v_bfe_u32 v3, v2, 23, 8
	v_cmp_ne_u32_e32 vcc, s0, v3
	s_and_saveexec_b64 s[10:11], vcc
; %bb.2762:
	s_mov_b32 s0, 0x3fffff
	v_lshrrev_b32_e32 v5, 23, v2
	v_and_b32_e32 v8, 0x400000, v2
	v_and_or_b32 v2, v2, s0, v3
	v_cmp_ne_u32_e32 vcc, 0, v8
	v_cmp_ne_u32_e64 s[0:1], 0, v2
	s_and_b64 s[0:1], vcc, s[0:1]
	v_cndmask_b32_e64 v2, 0, 1, s[0:1]
	v_add_u32_e32 v5, v5, v2
; %bb.2763:
	s_or_b64 exec, exec, s[10:11]
	s_mov_b64 s[0:1], 0
	s_mov_b64 s[10:11], -1
	global_store_byte v[0:1], v5, off
.LBB166_2764:
	s_mov_b64 s[12:13], 0
.LBB166_2765:
	s_and_b64 vcc, exec, s[12:13]
	s_cbranch_vccz .LBB166_2768
; %bb.2766:
	s_cmp_eq_u32 s17, 29
	s_mov_b64 s[0:1], -1
	s_cbranch_scc0 .LBB166_2768
; %bb.2767:
	v_bfe_i32 v2, v6, 0, 16
	v_ashrrev_i32_e32 v3, 31, v2
	global_store_dwordx2 v[0:1], v[2:3], off
	s_mov_b64 s[0:1], 0
	s_mov_b64 s[10:11], -1
.LBB166_2768:
	s_mov_b64 s[12:13], 0
.LBB166_2769:
	s_and_b64 vcc, exec, s[12:13]
	s_cbranch_vccz .LBB166_2785
; %bb.2770:
	s_cmp_lt_i32 s17, 27
	s_mov_b64 s[10:11], -1
	s_cbranch_scc1 .LBB166_2776
; %bb.2771:
	s_cmp_gt_i32 s17, 27
	s_cbranch_scc0 .LBB166_2773
; %bb.2772:
	v_bfe_i32 v2, v6, 0, 16
	s_mov_b64 s[10:11], 0
	global_store_dword v[0:1], v2, off
.LBB166_2773:
	s_andn2_b64 vcc, exec, s[10:11]
	s_cbranch_vccnz .LBB166_2775
; %bb.2774:
	global_store_short v[0:1], v6, off
.LBB166_2775:
	s_mov_b64 s[10:11], 0
.LBB166_2776:
	s_andn2_b64 vcc, exec, s[10:11]
	s_cbranch_vccnz .LBB166_2784
; %bb.2777:
	v_cvt_f32_i32_sdwa v2, sext(v6) dst_sel:DWORD dst_unused:UNUSED_PAD src0_sel:WORD_0
	s_mov_b32 s10, 0x43800000
	v_mov_b32_e32 v5, 0x80
	v_and_b32_e32 v3, 0x7fffffff, v2
	v_cmp_gt_u32_e32 vcc, s10, v3
	s_and_saveexec_b64 s[10:11], vcc
	s_cbranch_execz .LBB166_2783
; %bb.2778:
	s_mov_b32 s12, 0x3bffffff
	v_cmp_lt_u32_e32 vcc, s12, v3
	s_mov_b64 s[12:13], 0
                                        ; implicit-def: $vgpr3
	s_and_saveexec_b64 s[14:15], vcc
	s_xor_b64 s[14:15], exec, s[14:15]
	s_cbranch_execz .LBB166_3004
; %bb.2779:
	v_bfe_u32 v3, v2, 20, 1
	s_mov_b32 s21, 0x487ffff
	v_add3_u32 v3, v2, v3, s21
	s_mov_b64 s[12:13], exec
	v_lshrrev_b32_e32 v3, 20, v3
	s_andn2_saveexec_b64 s[14:15], s[14:15]
	s_cbranch_execnz .LBB166_3005
.LBB166_2780:
	s_or_b64 exec, exec, s[14:15]
	v_mov_b32_e32 v5, 0
	s_and_saveexec_b64 s[14:15], s[12:13]
.LBB166_2781:
	v_lshrrev_b32_e32 v2, 24, v2
	s_movk_i32 s12, 0x80
	v_and_or_b32 v5, v2, s12, v3
.LBB166_2782:
	s_or_b64 exec, exec, s[14:15]
.LBB166_2783:
	s_or_b64 exec, exec, s[10:11]
	global_store_byte v[0:1], v5, off
.LBB166_2784:
	s_mov_b64 s[10:11], -1
.LBB166_2785:
	s_mov_b64 s[12:13], 0
.LBB166_2786:
	s_and_b64 vcc, exec, s[12:13]
	s_cbranch_vccz .LBB166_2826
; %bb.2787:
	s_cmp_gt_i32 s17, 22
	s_mov_b64 s[2:3], -1
	s_cbranch_scc0 .LBB166_2819
; %bb.2788:
	s_cmp_lt_i32 s17, 24
	s_cbranch_scc1 .LBB166_2808
; %bb.2789:
	s_cmp_gt_i32 s17, 24
	s_cbranch_scc0 .LBB166_2797
; %bb.2790:
	v_cvt_f32_i32_sdwa v2, sext(v6) dst_sel:DWORD dst_unused:UNUSED_PAD src0_sel:WORD_0
	s_mov_b32 s2, 0x47800000
	v_mov_b32_e32 v5, 0x80
	v_and_b32_e32 v3, 0x7fffffff, v2
	v_cmp_gt_u32_e32 vcc, s2, v3
	s_and_saveexec_b64 s[2:3], vcc
	s_cbranch_execz .LBB166_2796
; %bb.2791:
	s_mov_b32 s10, 0x37ffffff
	v_cmp_lt_u32_e32 vcc, s10, v3
	s_mov_b64 s[10:11], 0
                                        ; implicit-def: $vgpr3
	s_and_saveexec_b64 s[12:13], vcc
	s_xor_b64 s[12:13], exec, s[12:13]
	s_cbranch_execz .LBB166_3007
; %bb.2792:
	v_bfe_u32 v3, v2, 21, 1
	s_mov_b32 s14, 0x88fffff
	v_add3_u32 v3, v2, v3, s14
	s_mov_b64 s[10:11], exec
	v_lshrrev_b32_e32 v3, 21, v3
	s_andn2_saveexec_b64 s[12:13], s[12:13]
	s_cbranch_execnz .LBB166_3008
.LBB166_2793:
	s_or_b64 exec, exec, s[12:13]
	v_mov_b32_e32 v5, 0
	s_and_saveexec_b64 s[12:13], s[10:11]
.LBB166_2794:
	v_lshrrev_b32_e32 v2, 24, v2
	s_movk_i32 s10, 0x80
	v_and_or_b32 v5, v2, s10, v3
.LBB166_2795:
	s_or_b64 exec, exec, s[12:13]
.LBB166_2796:
	s_or_b64 exec, exec, s[2:3]
	s_mov_b64 s[2:3], 0
	global_store_byte v[0:1], v5, off
.LBB166_2797:
	s_and_b64 vcc, exec, s[2:3]
	s_cbranch_vccz .LBB166_2807
; %bb.2798:
	v_cvt_f32_i32_sdwa v2, sext(v6) dst_sel:DWORD dst_unused:UNUSED_PAD src0_sel:WORD_0
	s_mov_b32 s2, 0x43f00000
                                        ; implicit-def: $vgpr3
	v_and_b32_e32 v5, 0x7fffffff, v2
	v_cmp_gt_u32_e32 vcc, s2, v5
	s_and_saveexec_b64 s[2:3], vcc
	s_xor_b64 s[2:3], exec, s[2:3]
	s_cbranch_execz .LBB166_2804
; %bb.2799:
	s_mov_b32 s10, 0x3c7fffff
	v_cmp_lt_u32_e32 vcc, s10, v5
                                        ; implicit-def: $vgpr3
	s_and_saveexec_b64 s[10:11], vcc
	s_xor_b64 s[10:11], exec, s[10:11]
; %bb.2800:
	v_bfe_u32 v3, v2, 20, 1
	s_mov_b32 s12, 0x407ffff
	v_add3_u32 v3, v2, v3, s12
	v_lshrrev_b32_e32 v5, 20, v3
	v_and_b32_e32 v3, 0xff00000, v3
	s_mov_b32 s12, 0x7f00000
	v_mov_b32_e32 v8, 0x7e
	v_cmp_ne_u32_e32 vcc, s12, v3
	v_cndmask_b32_e32 v3, v8, v5, vcc
; %bb.2801:
	s_andn2_saveexec_b64 s[10:11], s[10:11]
; %bb.2802:
	s_mov_b32 s12, 0x46800000
	v_add_f32_e64 v3, |v2|, s12
; %bb.2803:
	s_or_b64 exec, exec, s[10:11]
                                        ; implicit-def: $vgpr5
.LBB166_2804:
	s_andn2_saveexec_b64 s[2:3], s[2:3]
; %bb.2805:
	s_mov_b32 s10, 0x7f800000
	v_mov_b32_e32 v3, 0x7e
	v_mov_b32_e32 v8, 0x7f
	v_cmp_lt_u32_e32 vcc, s10, v5
	v_cndmask_b32_e32 v3, v3, v8, vcc
; %bb.2806:
	s_or_b64 exec, exec, s[2:3]
	v_lshrrev_b32_e32 v2, 24, v2
	s_movk_i32 s2, 0x80
	v_and_or_b32 v2, v2, s2, v3
	global_store_byte v[0:1], v2, off
.LBB166_2807:
	s_mov_b64 s[2:3], 0
.LBB166_2808:
	s_andn2_b64 vcc, exec, s[2:3]
	s_cbranch_vccnz .LBB166_2818
; %bb.2809:
	v_cvt_f32_i32_sdwa v2, sext(v6) dst_sel:DWORD dst_unused:UNUSED_PAD src0_sel:WORD_0
	s_mov_b32 s2, 0x47800000
                                        ; implicit-def: $vgpr3
	v_and_b32_e32 v5, 0x7fffffff, v2
	v_cmp_gt_u32_e32 vcc, s2, v5
	s_and_saveexec_b64 s[2:3], vcc
	s_xor_b64 s[2:3], exec, s[2:3]
	s_cbranch_execz .LBB166_2815
; %bb.2810:
	s_mov_b32 s10, 0x387fffff
	v_cmp_lt_u32_e32 vcc, s10, v5
                                        ; implicit-def: $vgpr3
	s_and_saveexec_b64 s[10:11], vcc
	s_xor_b64 s[10:11], exec, s[10:11]
; %bb.2811:
	v_bfe_u32 v3, v2, 21, 1
	s_mov_b32 s12, 0x80fffff
	v_add3_u32 v3, v2, v3, s12
	v_lshrrev_b32_e32 v3, 21, v3
; %bb.2812:
	s_andn2_saveexec_b64 s[10:11], s[10:11]
; %bb.2813:
	s_mov_b32 s12, 0x43000000
	v_add_f32_e64 v3, |v2|, s12
; %bb.2814:
	s_or_b64 exec, exec, s[10:11]
                                        ; implicit-def: $vgpr5
.LBB166_2815:
	s_andn2_saveexec_b64 s[2:3], s[2:3]
; %bb.2816:
	s_mov_b32 s10, 0x7f800000
	v_mov_b32_e32 v3, 0x7c
	v_mov_b32_e32 v8, 0x7f
	v_cmp_lt_u32_e32 vcc, s10, v5
	v_cndmask_b32_e32 v3, v3, v8, vcc
; %bb.2817:
	s_or_b64 exec, exec, s[2:3]
	v_lshrrev_b32_e32 v2, 24, v2
	s_movk_i32 s2, 0x80
	v_and_or_b32 v2, v2, s2, v3
	global_store_byte v[0:1], v2, off
.LBB166_2818:
	s_mov_b64 s[2:3], 0
	s_mov_b64 s[10:11], -1
.LBB166_2819:
	s_andn2_b64 vcc, exec, s[2:3]
	s_mov_b64 s[2:3], 0
	s_cbranch_vccnz .LBB166_2826
; %bb.2820:
	s_cmp_gt_i32 s17, 14
	s_mov_b64 s[12:13], -1
	s_cbranch_scc0 .LBB166_2824
; %bb.2821:
	s_cmp_eq_u32 s17, 15
	s_mov_b64 s[0:1], -1
	s_cbranch_scc0 .LBB166_2823
; %bb.2822:
	v_cvt_f32_i32_sdwa v2, sext(v6) dst_sel:DWORD dst_unused:UNUSED_PAD src0_sel:WORD_0
	s_movk_i32 s2, 0x7fff
	s_mov_b64 s[0:1], 0
	s_mov_b64 s[10:11], -1
	v_bfe_u32 v3, v2, 16, 1
	v_add3_u32 v2, v2, v3, s2
	global_store_short_d16_hi v[0:1], v2, off
.LBB166_2823:
	s_mov_b64 s[12:13], 0
.LBB166_2824:
	s_mov_b64 s[2:3], 0
	s_and_b64 vcc, exec, s[12:13]
	s_cbranch_vccz .LBB166_2826
; %bb.2825:
	s_cmp_lg_u32 s17, 11
	s_mov_b64 s[2:3], -1
	s_cselect_b64 s[0:1], -1, 0
.LBB166_2826:
	s_and_b64 vcc, exec, s[0:1]
	s_cbranch_vccnz .LBB166_3006
; %bb.2827:
	s_andn2_b64 vcc, exec, s[2:3]
	s_cbranch_vccnz .LBB166_2829
.LBB166_2828:
	v_cmp_ne_u16_e32 vcc, 0, v6
	v_cndmask_b32_e64 v2, 0, 1, vcc
	s_mov_b64 s[10:11], -1
	global_store_byte v[0:1], v2, off
.LBB166_2829:
	s_mov_b64 s[0:1], 0
	s_branch .LBB166_2831
.LBB166_2830:
	s_mov_b64 s[0:1], -1
	s_mov_b64 s[10:11], 0
.LBB166_2831:
	s_and_b64 vcc, exec, s[0:1]
	s_cbranch_vccz .LBB166_2870
; %bb.2832:
	s_and_b32 s2, 0xffff, s20
	s_cmp_lt_i32 s2, 5
	s_mov_b64 s[0:1], -1
	s_cbranch_scc1 .LBB166_2853
; %bb.2833:
	s_cmp_lt_i32 s2, 8
	s_cbranch_scc1 .LBB166_2843
; %bb.2834:
	s_cmp_lt_i32 s2, 9
	s_cbranch_scc1 .LBB166_2840
; %bb.2835:
	s_cmp_gt_i32 s2, 9
	s_cbranch_scc0 .LBB166_2837
; %bb.2836:
	v_bfe_i32 v2, v6, 0, 16
	s_waitcnt vmcnt(0)
	v_cvt_f64_i32_e32 v[11:12], v2
	v_mov_b32_e32 v13, 0
	v_mov_b32_e32 v14, v13
	s_mov_b64 s[0:1], 0
	global_store_dwordx4 v[0:1], v[11:14], off
.LBB166_2837:
	s_andn2_b64 vcc, exec, s[0:1]
	s_cbranch_vccnz .LBB166_2839
; %bb.2838:
	v_cvt_f32_i32_sdwa v2, sext(v6) dst_sel:DWORD dst_unused:UNUSED_PAD src0_sel:WORD_0
	v_mov_b32_e32 v3, 0
	global_store_dwordx2 v[0:1], v[2:3], off
.LBB166_2839:
	s_mov_b64 s[0:1], 0
.LBB166_2840:
	s_andn2_b64 vcc, exec, s[0:1]
	s_cbranch_vccnz .LBB166_2842
; %bb.2841:
	v_cvt_f16_i16_e32 v2, v6
	global_store_dword v[0:1], v2, off
.LBB166_2842:
	s_mov_b64 s[0:1], 0
.LBB166_2843:
	s_andn2_b64 vcc, exec, s[0:1]
	s_cbranch_vccnz .LBB166_2852
; %bb.2844:
	s_cmp_lt_i32 s2, 6
	s_mov_b64 s[0:1], -1
	s_cbranch_scc1 .LBB166_2850
; %bb.2845:
	s_cmp_gt_i32 s2, 6
	s_cbranch_scc0 .LBB166_2847
; %bb.2846:
	v_bfe_i32 v2, v6, 0, 16
	v_cvt_f64_i32_e32 v[2:3], v2
	s_mov_b64 s[0:1], 0
	global_store_dwordx2 v[0:1], v[2:3], off
.LBB166_2847:
	s_andn2_b64 vcc, exec, s[0:1]
	s_cbranch_vccnz .LBB166_2849
; %bb.2848:
	v_cvt_f32_i32_sdwa v2, sext(v6) dst_sel:DWORD dst_unused:UNUSED_PAD src0_sel:WORD_0
	global_store_dword v[0:1], v2, off
.LBB166_2849:
	s_mov_b64 s[0:1], 0
.LBB166_2850:
	s_andn2_b64 vcc, exec, s[0:1]
	s_cbranch_vccnz .LBB166_2852
; %bb.2851:
	v_cvt_f16_i16_e32 v2, v6
	global_store_short v[0:1], v2, off
.LBB166_2852:
	s_mov_b64 s[0:1], 0
.LBB166_2853:
	s_andn2_b64 vcc, exec, s[0:1]
	s_cbranch_vccnz .LBB166_2869
; %bb.2854:
	s_cmp_lt_i32 s2, 2
	s_mov_b64 s[0:1], -1
	s_cbranch_scc1 .LBB166_2864
; %bb.2855:
	s_cmp_lt_i32 s2, 3
	s_cbranch_scc1 .LBB166_2861
; %bb.2856:
	s_cmp_gt_i32 s2, 3
	v_bfe_i32 v2, v6, 0, 16
	s_cbranch_scc0 .LBB166_2858
; %bb.2857:
	v_ashrrev_i32_e32 v3, 31, v2
	global_store_dwordx2 v[0:1], v[2:3], off
	s_mov_b64 s[0:1], 0
.LBB166_2858:
	s_andn2_b64 vcc, exec, s[0:1]
	s_cbranch_vccnz .LBB166_2860
; %bb.2859:
	global_store_dword v[0:1], v2, off
.LBB166_2860:
	s_mov_b64 s[0:1], 0
.LBB166_2861:
	s_andn2_b64 vcc, exec, s[0:1]
	s_cbranch_vccnz .LBB166_2863
; %bb.2862:
	global_store_short v[0:1], v6, off
.LBB166_2863:
	s_mov_b64 s[0:1], 0
.LBB166_2864:
	s_andn2_b64 vcc, exec, s[0:1]
	s_cbranch_vccnz .LBB166_2869
; %bb.2865:
	s_cmp_gt_i32 s2, 0
	s_mov_b64 s[0:1], -1
	s_cbranch_scc0 .LBB166_2867
; %bb.2866:
	global_store_byte v[0:1], v6, off
	s_mov_b64 s[0:1], 0
.LBB166_2867:
	s_andn2_b64 vcc, exec, s[0:1]
	s_cbranch_vccnz .LBB166_2869
; %bb.2868:
	global_store_byte v[0:1], v6, off
.LBB166_2869:
	s_mov_b64 s[10:11], -1
.LBB166_2870:
	s_andn2_b64 vcc, exec, s[10:11]
	s_cbranch_vccnz .LBB166_2947
; %bb.2871:
	v_mov_b32_e32 v0, 6
	v_mov_b32_e32 v1, 7
	v_ashrrev_i16_sdwa v1, v1, sext(v7) dst_sel:DWORD dst_unused:UNUSED_PAD src0_sel:DWORD src1_sel:BYTE_0
	s_waitcnt vmcnt(0)
	v_ashrrev_i32_sdwa v2, v10, sext(v7) dst_sel:DWORD dst_unused:UNUSED_PAD src0_sel:DWORD src1_sel:BYTE_0
	v_cmp_gt_u16_sdwa vcc, v10, v0 src0_sel:BYTE_0 src1_sel:DWORD
	v_add_u32_e32 v0, s16, v4
	v_cndmask_b32_e32 v2, v2, v1, vcc
	v_ashrrev_i32_e32 v1, 31, v0
	v_mov_b32_e32 v3, s9
	v_add_co_u32_e32 v0, vcc, s8, v0
	s_cmp_lt_i32 s20, 11
	v_addc_co_u32_e32 v1, vcc, v3, v1, vcc
	s_cbranch_scc1 .LBB166_2992
; %bb.2872:
	s_and_b32 s14, 0xffff, s20
	s_mov_b64 s[8:9], -1
	s_mov_b64 s[2:3], 0
	s_cmp_gt_i32 s14, 25
	s_mov_b64 s[0:1], 0
	s_cbranch_scc0 .LBB166_2905
; %bb.2873:
	s_cmp_gt_i32 s14, 28
	s_cbranch_scc0 .LBB166_2889
; %bb.2874:
	s_cmp_gt_i32 s14, 43
	;; [unrolled: 3-line block ×3, first 2 shown]
	s_cbranch_scc0 .LBB166_2879
; %bb.2876:
	s_cmp_eq_u32 s14, 46
	s_mov_b64 s[0:1], -1
	s_cbranch_scc0 .LBB166_2878
; %bb.2877:
	v_cvt_f32_i32_sdwa v3, sext(v2) dst_sel:DWORD dst_unused:UNUSED_PAD src0_sel:WORD_0
	s_movk_i32 s0, 0x7fff
	v_bfe_u32 v4, v3, 16, 1
	v_add3_u32 v3, v3, v4, s0
	v_lshrrev_b32_e32 v3, 16, v3
	global_store_dword v[0:1], v3, off
	s_mov_b64 s[0:1], 0
.LBB166_2878:
	s_mov_b64 s[8:9], 0
.LBB166_2879:
	s_and_b64 vcc, exec, s[8:9]
	s_cbranch_vccz .LBB166_2884
; %bb.2880:
	s_cmp_eq_u32 s14, 44
	s_mov_b64 s[0:1], -1
	s_cbranch_scc0 .LBB166_2884
; %bb.2881:
	v_cvt_f32_i32_sdwa v3, sext(v2) dst_sel:DWORD dst_unused:UNUSED_PAD src0_sel:WORD_0
	s_movk_i32 s0, 0xff
	v_mov_b32_e32 v5, 0xff
	v_bfe_u32 v4, v3, 23, 8
	v_cmp_ne_u32_e32 vcc, s0, v4
	s_and_saveexec_b64 s[8:9], vcc
; %bb.2882:
	s_mov_b32 s0, 0x3fffff
	v_lshrrev_b32_e32 v5, 23, v3
	v_and_b32_e32 v6, 0x400000, v3
	v_and_or_b32 v3, v3, s0, v4
	v_cmp_ne_u32_e32 vcc, 0, v6
	v_cmp_ne_u32_e64 s[0:1], 0, v3
	s_and_b64 s[0:1], vcc, s[0:1]
	v_cndmask_b32_e64 v3, 0, 1, s[0:1]
	v_add_u32_e32 v5, v5, v3
; %bb.2883:
	s_or_b64 exec, exec, s[8:9]
	s_mov_b64 s[0:1], 0
	global_store_byte v[0:1], v5, off
.LBB166_2884:
	s_mov_b64 s[8:9], 0
.LBB166_2885:
	s_and_b64 vcc, exec, s[8:9]
	s_cbranch_vccz .LBB166_2888
; %bb.2886:
	s_cmp_eq_u32 s14, 29
	s_mov_b64 s[0:1], -1
	s_cbranch_scc0 .LBB166_2888
; %bb.2887:
	v_bfe_i32 v3, v2, 0, 16
	v_ashrrev_i32_e32 v4, 31, v3
	global_store_dwordx2 v[0:1], v[3:4], off
	s_mov_b64 s[0:1], 0
.LBB166_2888:
	s_mov_b64 s[8:9], 0
.LBB166_2889:
	s_and_b64 vcc, exec, s[8:9]
	s_cbranch_vccz .LBB166_2904
; %bb.2890:
	s_cmp_lt_i32 s14, 27
	s_mov_b64 s[8:9], -1
	s_cbranch_scc1 .LBB166_2896
; %bb.2891:
	s_cmp_gt_i32 s14, 27
	s_cbranch_scc0 .LBB166_2893
; %bb.2892:
	v_bfe_i32 v3, v2, 0, 16
	global_store_dword v[0:1], v3, off
	s_mov_b64 s[8:9], 0
.LBB166_2893:
	s_andn2_b64 vcc, exec, s[8:9]
	s_cbranch_vccnz .LBB166_2895
; %bb.2894:
	global_store_short v[0:1], v2, off
.LBB166_2895:
	s_mov_b64 s[8:9], 0
.LBB166_2896:
	s_andn2_b64 vcc, exec, s[8:9]
	s_cbranch_vccnz .LBB166_2904
; %bb.2897:
	v_cvt_f32_i32_sdwa v3, sext(v2) dst_sel:DWORD dst_unused:UNUSED_PAD src0_sel:WORD_0
	s_mov_b32 s8, 0x43800000
	v_mov_b32_e32 v5, 0x80
	v_and_b32_e32 v4, 0x7fffffff, v3
	v_cmp_gt_u32_e32 vcc, s8, v4
	s_and_saveexec_b64 s[8:9], vcc
	s_cbranch_execz .LBB166_2903
; %bb.2898:
	s_mov_b32 s10, 0x3bffffff
	v_cmp_lt_u32_e32 vcc, s10, v4
	s_mov_b64 s[10:11], 0
                                        ; implicit-def: $vgpr4
	s_and_saveexec_b64 s[12:13], vcc
	s_xor_b64 s[12:13], exec, s[12:13]
	s_cbranch_execz .LBB166_3009
; %bb.2899:
	v_bfe_u32 v4, v3, 20, 1
	s_mov_b32 s15, 0x487ffff
	v_add3_u32 v4, v3, v4, s15
	s_mov_b64 s[10:11], exec
	v_lshrrev_b32_e32 v4, 20, v4
	s_andn2_saveexec_b64 s[12:13], s[12:13]
	s_cbranch_execnz .LBB166_3010
.LBB166_2900:
	s_or_b64 exec, exec, s[12:13]
	v_mov_b32_e32 v5, 0
	s_and_saveexec_b64 s[12:13], s[10:11]
.LBB166_2901:
	v_lshrrev_b32_e32 v3, 24, v3
	s_movk_i32 s10, 0x80
	v_and_or_b32 v5, v3, s10, v4
.LBB166_2902:
	s_or_b64 exec, exec, s[12:13]
.LBB166_2903:
	s_or_b64 exec, exec, s[8:9]
	global_store_byte v[0:1], v5, off
.LBB166_2904:
	s_mov_b64 s[8:9], 0
.LBB166_2905:
	s_and_b64 vcc, exec, s[8:9]
	s_cbranch_vccz .LBB166_2945
; %bb.2906:
	s_cmp_gt_i32 s14, 22
	s_mov_b64 s[2:3], -1
	s_cbranch_scc0 .LBB166_2938
; %bb.2907:
	s_cmp_lt_i32 s14, 24
	s_cbranch_scc1 .LBB166_2927
; %bb.2908:
	s_cmp_gt_i32 s14, 24
	s_cbranch_scc0 .LBB166_2916
; %bb.2909:
	v_cvt_f32_i32_sdwa v3, sext(v2) dst_sel:DWORD dst_unused:UNUSED_PAD src0_sel:WORD_0
	s_mov_b32 s2, 0x47800000
	v_mov_b32_e32 v5, 0x80
	v_and_b32_e32 v4, 0x7fffffff, v3
	v_cmp_gt_u32_e32 vcc, s2, v4
	s_and_saveexec_b64 s[2:3], vcc
	s_cbranch_execz .LBB166_2915
; %bb.2910:
	s_mov_b32 s8, 0x37ffffff
	v_cmp_lt_u32_e32 vcc, s8, v4
	s_mov_b64 s[8:9], 0
                                        ; implicit-def: $vgpr4
	s_and_saveexec_b64 s[10:11], vcc
	s_xor_b64 s[10:11], exec, s[10:11]
	s_cbranch_execz .LBB166_3012
; %bb.2911:
	v_bfe_u32 v4, v3, 21, 1
	s_mov_b32 s12, 0x88fffff
	v_add3_u32 v4, v3, v4, s12
	s_mov_b64 s[8:9], exec
	v_lshrrev_b32_e32 v4, 21, v4
	s_andn2_saveexec_b64 s[10:11], s[10:11]
	s_cbranch_execnz .LBB166_3013
.LBB166_2912:
	s_or_b64 exec, exec, s[10:11]
	v_mov_b32_e32 v5, 0
	s_and_saveexec_b64 s[10:11], s[8:9]
.LBB166_2913:
	v_lshrrev_b32_e32 v3, 24, v3
	s_movk_i32 s8, 0x80
	v_and_or_b32 v5, v3, s8, v4
.LBB166_2914:
	s_or_b64 exec, exec, s[10:11]
.LBB166_2915:
	s_or_b64 exec, exec, s[2:3]
	s_mov_b64 s[2:3], 0
	global_store_byte v[0:1], v5, off
.LBB166_2916:
	s_and_b64 vcc, exec, s[2:3]
	s_cbranch_vccz .LBB166_2926
; %bb.2917:
	v_cvt_f32_i32_sdwa v3, sext(v2) dst_sel:DWORD dst_unused:UNUSED_PAD src0_sel:WORD_0
	s_mov_b32 s2, 0x43f00000
                                        ; implicit-def: $vgpr4
	v_and_b32_e32 v5, 0x7fffffff, v3
	v_cmp_gt_u32_e32 vcc, s2, v5
	s_and_saveexec_b64 s[2:3], vcc
	s_xor_b64 s[2:3], exec, s[2:3]
	s_cbranch_execz .LBB166_2923
; %bb.2918:
	s_mov_b32 s8, 0x3c7fffff
	v_cmp_lt_u32_e32 vcc, s8, v5
                                        ; implicit-def: $vgpr4
	s_and_saveexec_b64 s[8:9], vcc
	s_xor_b64 s[8:9], exec, s[8:9]
; %bb.2919:
	v_bfe_u32 v4, v3, 20, 1
	s_mov_b32 s10, 0x407ffff
	v_add3_u32 v4, v3, v4, s10
	v_lshrrev_b32_e32 v5, 20, v4
	v_and_b32_e32 v4, 0xff00000, v4
	s_mov_b32 s10, 0x7f00000
	v_mov_b32_e32 v6, 0x7e
	v_cmp_ne_u32_e32 vcc, s10, v4
	v_cndmask_b32_e32 v4, v6, v5, vcc
; %bb.2920:
	s_andn2_saveexec_b64 s[8:9], s[8:9]
; %bb.2921:
	s_mov_b32 s10, 0x46800000
	v_add_f32_e64 v4, |v3|, s10
; %bb.2922:
	s_or_b64 exec, exec, s[8:9]
                                        ; implicit-def: $vgpr5
.LBB166_2923:
	s_andn2_saveexec_b64 s[2:3], s[2:3]
; %bb.2924:
	s_mov_b32 s8, 0x7f800000
	v_mov_b32_e32 v4, 0x7e
	v_mov_b32_e32 v6, 0x7f
	v_cmp_lt_u32_e32 vcc, s8, v5
	v_cndmask_b32_e32 v4, v4, v6, vcc
; %bb.2925:
	s_or_b64 exec, exec, s[2:3]
	v_lshrrev_b32_e32 v3, 24, v3
	s_movk_i32 s2, 0x80
	v_and_or_b32 v3, v3, s2, v4
	global_store_byte v[0:1], v3, off
.LBB166_2926:
	s_mov_b64 s[2:3], 0
.LBB166_2927:
	s_andn2_b64 vcc, exec, s[2:3]
	s_cbranch_vccnz .LBB166_2937
; %bb.2928:
	v_cvt_f32_i32_sdwa v3, sext(v2) dst_sel:DWORD dst_unused:UNUSED_PAD src0_sel:WORD_0
	s_mov_b32 s2, 0x47800000
                                        ; implicit-def: $vgpr4
	v_and_b32_e32 v5, 0x7fffffff, v3
	v_cmp_gt_u32_e32 vcc, s2, v5
	s_and_saveexec_b64 s[2:3], vcc
	s_xor_b64 s[2:3], exec, s[2:3]
	s_cbranch_execz .LBB166_2934
; %bb.2929:
	s_mov_b32 s8, 0x387fffff
	v_cmp_lt_u32_e32 vcc, s8, v5
                                        ; implicit-def: $vgpr4
	s_and_saveexec_b64 s[8:9], vcc
	s_xor_b64 s[8:9], exec, s[8:9]
; %bb.2930:
	v_bfe_u32 v4, v3, 21, 1
	s_mov_b32 s10, 0x80fffff
	v_add3_u32 v4, v3, v4, s10
	v_lshrrev_b32_e32 v4, 21, v4
; %bb.2931:
	s_andn2_saveexec_b64 s[8:9], s[8:9]
; %bb.2932:
	s_mov_b32 s10, 0x43000000
	v_add_f32_e64 v4, |v3|, s10
; %bb.2933:
	s_or_b64 exec, exec, s[8:9]
                                        ; implicit-def: $vgpr5
.LBB166_2934:
	s_andn2_saveexec_b64 s[2:3], s[2:3]
; %bb.2935:
	s_mov_b32 s8, 0x7f800000
	v_mov_b32_e32 v4, 0x7c
	v_mov_b32_e32 v6, 0x7f
	v_cmp_lt_u32_e32 vcc, s8, v5
	v_cndmask_b32_e32 v4, v4, v6, vcc
; %bb.2936:
	s_or_b64 exec, exec, s[2:3]
	v_lshrrev_b32_e32 v3, 24, v3
	s_movk_i32 s2, 0x80
	v_and_or_b32 v3, v3, s2, v4
	global_store_byte v[0:1], v3, off
.LBB166_2937:
	s_mov_b64 s[2:3], 0
.LBB166_2938:
	s_andn2_b64 vcc, exec, s[2:3]
	s_mov_b64 s[2:3], 0
	s_cbranch_vccnz .LBB166_2945
; %bb.2939:
	s_cmp_gt_i32 s14, 14
	s_mov_b64 s[8:9], -1
	s_cbranch_scc0 .LBB166_2943
; %bb.2940:
	s_cmp_eq_u32 s14, 15
	s_mov_b64 s[0:1], -1
	s_cbranch_scc0 .LBB166_2942
; %bb.2941:
	v_cvt_f32_i32_sdwa v3, sext(v2) dst_sel:DWORD dst_unused:UNUSED_PAD src0_sel:WORD_0
	s_movk_i32 s0, 0x7fff
	v_bfe_u32 v4, v3, 16, 1
	v_add3_u32 v3, v3, v4, s0
	global_store_short_d16_hi v[0:1], v3, off
	s_mov_b64 s[0:1], 0
.LBB166_2942:
	s_mov_b64 s[8:9], 0
.LBB166_2943:
	s_and_b64 vcc, exec, s[8:9]
	s_cbranch_vccz .LBB166_2945
; %bb.2944:
	s_cmp_lg_u32 s14, 11
	s_mov_b64 s[2:3], -1
	s_cselect_b64 s[0:1], -1, 0
.LBB166_2945:
	s_and_b64 vcc, exec, s[0:1]
	s_cbranch_vccnz .LBB166_3011
.LBB166_2946:
	s_mov_b64 s[0:1], 0
	s_branch .LBB166_2948
.LBB166_2947:
	s_mov_b64 s[0:1], 0
	s_mov_b64 s[2:3], 0
                                        ; implicit-def: $sgpr20
                                        ; implicit-def: $vgpr0_vgpr1
                                        ; implicit-def: $vgpr2
.LBB166_2948:
	s_and_b64 s[16:17], s[2:3], exec
	s_andn2_b64 s[2:3], s[6:7], exec
	s_and_b64 s[6:7], s[18:19], exec
	s_and_b64 s[0:1], s[0:1], exec
	s_or_b64 s[6:7], s[2:3], s[6:7]
.LBB166_2949:
	s_or_b64 exec, exec, s[4:5]
	s_and_saveexec_b64 s[2:3], s[6:7]
	s_cbranch_execz .LBB166_2952
; %bb.2950:
	; divergent unreachable
	s_or_b64 exec, exec, s[2:3]
	s_and_saveexec_b64 s[2:3], s[16:17]
	s_xor_b64 s[2:3], exec, s[2:3]
	s_cbranch_execnz .LBB166_2953
.LBB166_2951:
	s_or_b64 exec, exec, s[2:3]
	s_and_saveexec_b64 s[2:3], s[0:1]
	s_cbranch_execnz .LBB166_2954
	s_branch .LBB166_2991
.LBB166_2952:
	s_or_b64 exec, exec, s[2:3]
	s_and_saveexec_b64 s[2:3], s[16:17]
	s_xor_b64 s[2:3], exec, s[2:3]
	s_cbranch_execz .LBB166_2951
.LBB166_2953:
	s_waitcnt vmcnt(0)
	v_mov_b32_e32 v3, 0
	v_cmp_ne_u16_sdwa s[4:5], v2, v3 src0_sel:BYTE_0 src1_sel:DWORD
	v_cndmask_b32_e64 v3, 0, 1, s[4:5]
	global_store_byte v[0:1], v3, off
	s_or_b64 exec, exec, s[2:3]
	s_and_saveexec_b64 s[2:3], s[0:1]
	s_cbranch_execz .LBB166_2991
.LBB166_2954:
	s_sext_i32_i16 s2, s20
	s_cmp_lt_i32 s2, 5
	s_mov_b64 s[0:1], -1
	s_cbranch_scc1 .LBB166_2975
; %bb.2955:
	s_cmp_lt_i32 s2, 8
	s_cbranch_scc1 .LBB166_2965
; %bb.2956:
	s_cmp_lt_i32 s2, 9
	s_cbranch_scc1 .LBB166_2962
; %bb.2957:
	s_cmp_gt_i32 s2, 9
	s_cbranch_scc0 .LBB166_2959
; %bb.2958:
	s_waitcnt vmcnt(0)
	v_bfe_i32 v3, v2, 0, 8
	v_bfe_i32 v3, v3, 0, 16
	v_cvt_f64_i32_e32 v[3:4], v3
	v_mov_b32_e32 v5, 0
	v_mov_b32_e32 v6, v5
	s_mov_b64 s[0:1], 0
	global_store_dwordx4 v[0:1], v[3:6], off
.LBB166_2959:
	s_andn2_b64 vcc, exec, s[0:1]
	s_cbranch_vccnz .LBB166_2961
; %bb.2960:
	s_waitcnt vmcnt(0)
	v_bfe_i32 v3, v2, 0, 8
	v_cvt_f32_i32_sdwa v3, sext(v3) dst_sel:DWORD dst_unused:UNUSED_PAD src0_sel:WORD_0
	v_mov_b32_e32 v4, 0
	global_store_dwordx2 v[0:1], v[3:4], off
.LBB166_2961:
	s_mov_b64 s[0:1], 0
.LBB166_2962:
	s_andn2_b64 vcc, exec, s[0:1]
	s_cbranch_vccnz .LBB166_2964
; %bb.2963:
	s_waitcnt vmcnt(0)
	v_cvt_f16_i16_sdwa v3, sext(v2) dst_sel:DWORD dst_unused:UNUSED_PAD src0_sel:BYTE_0
	global_store_dword v[0:1], v3, off
.LBB166_2964:
	s_mov_b64 s[0:1], 0
.LBB166_2965:
	s_andn2_b64 vcc, exec, s[0:1]
	s_cbranch_vccnz .LBB166_2974
; %bb.2966:
	s_sext_i32_i16 s2, s20
	s_cmp_lt_i32 s2, 6
	s_mov_b64 s[0:1], -1
	s_cbranch_scc1 .LBB166_2972
; %bb.2967:
	s_cmp_gt_i32 s2, 6
	s_cbranch_scc0 .LBB166_2969
; %bb.2968:
	s_waitcnt vmcnt(0)
	v_bfe_i32 v3, v2, 0, 8
	v_bfe_i32 v3, v3, 0, 16
	v_cvt_f64_i32_e32 v[3:4], v3
	s_mov_b64 s[0:1], 0
	global_store_dwordx2 v[0:1], v[3:4], off
.LBB166_2969:
	s_andn2_b64 vcc, exec, s[0:1]
	s_cbranch_vccnz .LBB166_2971
; %bb.2970:
	s_waitcnt vmcnt(0)
	v_bfe_i32 v3, v2, 0, 8
	v_cvt_f32_i32_sdwa v3, sext(v3) dst_sel:DWORD dst_unused:UNUSED_PAD src0_sel:WORD_0
	global_store_dword v[0:1], v3, off
.LBB166_2971:
	s_mov_b64 s[0:1], 0
.LBB166_2972:
	s_andn2_b64 vcc, exec, s[0:1]
	s_cbranch_vccnz .LBB166_2974
; %bb.2973:
	s_waitcnt vmcnt(0)
	v_cvt_f16_i16_sdwa v3, sext(v2) dst_sel:DWORD dst_unused:UNUSED_PAD src0_sel:BYTE_0
	global_store_short v[0:1], v3, off
.LBB166_2974:
	s_mov_b64 s[0:1], 0
.LBB166_2975:
	s_andn2_b64 vcc, exec, s[0:1]
	s_cbranch_vccnz .LBB166_2991
; %bb.2976:
	s_sext_i32_i16 s2, s20
	s_cmp_lt_i32 s2, 2
	s_mov_b64 s[0:1], -1
	s_cbranch_scc1 .LBB166_2986
; %bb.2977:
	s_cmp_lt_i32 s2, 3
	s_cbranch_scc1 .LBB166_2983
; %bb.2978:
	s_cmp_gt_i32 s2, 3
	s_cbranch_scc0 .LBB166_2980
; %bb.2979:
	s_waitcnt vmcnt(0)
	v_bfe_i32 v3, v2, 0, 8
	v_ashrrev_i32_e32 v4, 31, v3
	global_store_dwordx2 v[0:1], v[3:4], off
	s_mov_b64 s[0:1], 0
.LBB166_2980:
	s_andn2_b64 vcc, exec, s[0:1]
	s_cbranch_vccnz .LBB166_2982
; %bb.2981:
	s_waitcnt vmcnt(0)
	v_bfe_i32 v3, v2, 0, 8
	global_store_dword v[0:1], v3, off
.LBB166_2982:
	s_mov_b64 s[0:1], 0
.LBB166_2983:
	s_andn2_b64 vcc, exec, s[0:1]
	s_cbranch_vccnz .LBB166_2985
; %bb.2984:
	s_waitcnt vmcnt(0)
	v_bfe_i32 v3, v2, 0, 8
	global_store_short v[0:1], v3, off
.LBB166_2985:
	s_mov_b64 s[0:1], 0
.LBB166_2986:
	s_andn2_b64 vcc, exec, s[0:1]
	s_cbranch_vccnz .LBB166_2991
; %bb.2987:
	s_sext_i32_i16 s0, s20
	s_cmp_gt_i32 s0, 0
	s_mov_b64 s[0:1], -1
	s_cbranch_scc0 .LBB166_2989
; %bb.2988:
	s_waitcnt vmcnt(0)
	global_store_byte v[0:1], v2, off
	s_mov_b64 s[0:1], 0
.LBB166_2989:
	s_andn2_b64 vcc, exec, s[0:1]
	s_cbranch_vccnz .LBB166_2991
; %bb.2990:
	s_waitcnt vmcnt(0)
	global_store_byte v[0:1], v2, off
	s_endpgm
.LBB166_2991:
	s_endpgm
.LBB166_2992:
	s_mov_b64 s[2:3], 0
	s_mov_b64 s[0:1], -1
	s_branch .LBB166_2948
.LBB166_2993:
	s_trap 2
	s_or_b64 s[18:19], s[18:19], exec
	s_cbranch_execz .LBB166_2462
	s_branch .LBB166_2463
.LBB166_2994:
	s_andn2_saveexec_b64 s[16:17], s[16:17]
	s_cbranch_execz .LBB166_2542
.LBB166_2995:
	s_mov_b32 s21, 0x46000000
	v_add_f32_e64 v11, |v8|, s21
	v_and_b32_e32 v11, 0xff, v11
	v_cmp_ne_u32_e32 vcc, 0, v11
	s_andn2_b64 s[14:15], s[14:15], exec
	s_and_b64 s[22:23], vcc, exec
	s_or_b64 s[14:15], s[14:15], s[22:23]
	s_or_b64 exec, exec, s[16:17]
	v_mov_b32_e32 v12, 0
	s_and_saveexec_b64 s[16:17], s[14:15]
	s_cbranch_execnz .LBB166_2543
	s_branch .LBB166_2544
.LBB166_2996:
	s_trap 2
	s_or_b64 s[18:19], s[18:19], exec
	s_cbranch_execz .LBB166_2590
	s_branch .LBB166_2591
.LBB166_2997:
	s_andn2_saveexec_b64 s[14:15], s[14:15]
	s_cbranch_execz .LBB166_2555
.LBB166_2998:
	s_mov_b32 s16, 0x42800000
	v_add_f32_e64 v11, |v8|, s16
	v_and_b32_e32 v11, 0xff, v11
	v_cmp_ne_u32_e32 vcc, 0, v11
	s_andn2_b64 s[10:11], s[10:11], exec
	s_and_b64 s[16:17], vcc, exec
	s_or_b64 s[10:11], s[10:11], s[16:17]
	s_or_b64 exec, exec, s[14:15]
	v_mov_b32_e32 v12, 0
	s_and_saveexec_b64 s[14:15], s[10:11]
	s_cbranch_execnz .LBB166_2556
	s_branch .LBB166_2557
.LBB166_2999:
	s_andn2_saveexec_b64 s[14:15], s[14:15]
	s_cbranch_execz .LBB166_2661
.LBB166_3000:
	s_mov_b32 s21, 0x46000000
	v_add_f32_e64 v3, |v2|, s21
	v_and_b32_e32 v3, 0xff, v3
	v_cmp_ne_u32_e32 vcc, 0, v3
	s_andn2_b64 s[12:13], s[12:13], exec
	s_and_b64 s[22:23], vcc, exec
	s_or_b64 s[12:13], s[12:13], s[22:23]
	s_or_b64 exec, exec, s[14:15]
	v_mov_b32_e32 v8, 0
	s_and_saveexec_b64 s[14:15], s[12:13]
	s_cbranch_execnz .LBB166_2662
	s_branch .LBB166_2663
.LBB166_3001:
	s_trap 2
	s_or_b64 s[18:19], s[18:19], exec
	s_cbranch_execz .LBB166_2709
	s_branch .LBB166_2710
.LBB166_3002:
	s_andn2_saveexec_b64 s[12:13], s[12:13]
	s_cbranch_execz .LBB166_2674
.LBB166_3003:
	s_mov_b32 s14, 0x42800000
	v_add_f32_e64 v3, |v2|, s14
	v_and_b32_e32 v3, 0xff, v3
	v_cmp_ne_u32_e32 vcc, 0, v3
	s_andn2_b64 s[10:11], s[10:11], exec
	s_and_b64 s[14:15], vcc, exec
	s_or_b64 s[10:11], s[10:11], s[14:15]
	s_or_b64 exec, exec, s[12:13]
	v_mov_b32_e32 v8, 0
	s_and_saveexec_b64 s[12:13], s[10:11]
	s_cbranch_execnz .LBB166_2675
	s_branch .LBB166_2676
.LBB166_3004:
	s_andn2_saveexec_b64 s[14:15], s[14:15]
	s_cbranch_execz .LBB166_2780
.LBB166_3005:
	s_mov_b32 s21, 0x46000000
	v_add_f32_e64 v3, |v2|, s21
	v_and_b32_e32 v3, 0xff, v3
	v_cmp_ne_u32_e32 vcc, 0, v3
	s_andn2_b64 s[12:13], s[12:13], exec
	s_and_b64 s[22:23], vcc, exec
	s_or_b64 s[12:13], s[12:13], s[22:23]
	s_or_b64 exec, exec, s[14:15]
	v_mov_b32_e32 v5, 0
	s_and_saveexec_b64 s[14:15], s[12:13]
	s_cbranch_execnz .LBB166_2781
	s_branch .LBB166_2782
.LBB166_3006:
	s_trap 2
	s_or_b64 s[18:19], s[18:19], exec
	s_cbranch_execz .LBB166_2828
	s_branch .LBB166_2829
.LBB166_3007:
	s_andn2_saveexec_b64 s[12:13], s[12:13]
	s_cbranch_execz .LBB166_2793
.LBB166_3008:
	s_mov_b32 s14, 0x42800000
	v_add_f32_e64 v3, |v2|, s14
	v_and_b32_e32 v3, 0xff, v3
	v_cmp_ne_u32_e32 vcc, 0, v3
	s_andn2_b64 s[10:11], s[10:11], exec
	s_and_b64 s[14:15], vcc, exec
	s_or_b64 s[10:11], s[10:11], s[14:15]
	s_or_b64 exec, exec, s[12:13]
	v_mov_b32_e32 v5, 0
	s_and_saveexec_b64 s[12:13], s[10:11]
	s_cbranch_execnz .LBB166_2794
	s_branch .LBB166_2795
.LBB166_3009:
	s_andn2_saveexec_b64 s[12:13], s[12:13]
	s_cbranch_execz .LBB166_2900
.LBB166_3010:
	s_mov_b32 s15, 0x46000000
	v_add_f32_e64 v4, |v3|, s15
	v_and_b32_e32 v4, 0xff, v4
	v_cmp_ne_u32_e32 vcc, 0, v4
	s_andn2_b64 s[10:11], s[10:11], exec
	s_and_b64 s[16:17], vcc, exec
	s_or_b64 s[10:11], s[10:11], s[16:17]
	s_or_b64 exec, exec, s[12:13]
	v_mov_b32_e32 v5, 0
	s_and_saveexec_b64 s[12:13], s[10:11]
	s_cbranch_execnz .LBB166_2901
	s_branch .LBB166_2902
.LBB166_3011:
	s_mov_b64 s[2:3], 0
	s_or_b64 s[18:19], s[18:19], exec
	s_trap 2
	s_branch .LBB166_2946
.LBB166_3012:
	s_andn2_saveexec_b64 s[10:11], s[10:11]
	s_cbranch_execz .LBB166_2912
.LBB166_3013:
	s_mov_b32 s12, 0x42800000
	v_add_f32_e64 v4, |v3|, s12
	v_and_b32_e32 v4, 0xff, v4
	v_cmp_ne_u32_e32 vcc, 0, v4
	s_andn2_b64 s[8:9], s[8:9], exec
	s_and_b64 s[12:13], vcc, exec
	s_or_b64 s[8:9], s[8:9], s[12:13]
	s_or_b64 exec, exec, s[10:11]
	v_mov_b32_e32 v5, 0
	s_and_saveexec_b64 s[10:11], s[8:9]
	s_cbranch_execnz .LBB166_2913
	s_branch .LBB166_2914
	.section	.rodata,"a",@progbits
	.p2align	6, 0x0
	.amdhsa_kernel _ZN2at6native32elementwise_kernel_manual_unrollILi128ELi4EZNS0_15gpu_kernel_implINS0_13BinaryFunctorIaaaZZZNS0_18rshift_kernel_cudaERNS_18TensorIteratorBaseEENKUlvE_clEvENKUlvE0_clEvEUlaaE_EEEEvS5_RKT_EUlibE_EEviT1_
		.amdhsa_group_segment_fixed_size 0
		.amdhsa_private_segment_fixed_size 0
		.amdhsa_kernarg_size 48
		.amdhsa_user_sgpr_count 6
		.amdhsa_user_sgpr_private_segment_buffer 1
		.amdhsa_user_sgpr_dispatch_ptr 0
		.amdhsa_user_sgpr_queue_ptr 0
		.amdhsa_user_sgpr_kernarg_segment_ptr 1
		.amdhsa_user_sgpr_dispatch_id 0
		.amdhsa_user_sgpr_flat_scratch_init 0
		.amdhsa_user_sgpr_private_segment_size 0
		.amdhsa_uses_dynamic_stack 0
		.amdhsa_system_sgpr_private_segment_wavefront_offset 0
		.amdhsa_system_sgpr_workgroup_id_x 1
		.amdhsa_system_sgpr_workgroup_id_y 0
		.amdhsa_system_sgpr_workgroup_id_z 0
		.amdhsa_system_sgpr_workgroup_info 0
		.amdhsa_system_vgpr_workitem_id 0
		.amdhsa_next_free_vgpr 16
		.amdhsa_next_free_sgpr 56
		.amdhsa_reserve_vcc 1
		.amdhsa_reserve_flat_scratch 0
		.amdhsa_float_round_mode_32 0
		.amdhsa_float_round_mode_16_64 0
		.amdhsa_float_denorm_mode_32 3
		.amdhsa_float_denorm_mode_16_64 3
		.amdhsa_dx10_clamp 1
		.amdhsa_ieee_mode 1
		.amdhsa_fp16_overflow 0
		.amdhsa_exception_fp_ieee_invalid_op 0
		.amdhsa_exception_fp_denorm_src 0
		.amdhsa_exception_fp_ieee_div_zero 0
		.amdhsa_exception_fp_ieee_overflow 0
		.amdhsa_exception_fp_ieee_underflow 0
		.amdhsa_exception_fp_ieee_inexact 0
		.amdhsa_exception_int_div_zero 0
	.end_amdhsa_kernel
	.section	.text._ZN2at6native32elementwise_kernel_manual_unrollILi128ELi4EZNS0_15gpu_kernel_implINS0_13BinaryFunctorIaaaZZZNS0_18rshift_kernel_cudaERNS_18TensorIteratorBaseEENKUlvE_clEvENKUlvE0_clEvEUlaaE_EEEEvS5_RKT_EUlibE_EEviT1_,"axG",@progbits,_ZN2at6native32elementwise_kernel_manual_unrollILi128ELi4EZNS0_15gpu_kernel_implINS0_13BinaryFunctorIaaaZZZNS0_18rshift_kernel_cudaERNS_18TensorIteratorBaseEENKUlvE_clEvENKUlvE0_clEvEUlaaE_EEEEvS5_RKT_EUlibE_EEviT1_,comdat
.Lfunc_end166:
	.size	_ZN2at6native32elementwise_kernel_manual_unrollILi128ELi4EZNS0_15gpu_kernel_implINS0_13BinaryFunctorIaaaZZZNS0_18rshift_kernel_cudaERNS_18TensorIteratorBaseEENKUlvE_clEvENKUlvE0_clEvEUlaaE_EEEEvS5_RKT_EUlibE_EEviT1_, .Lfunc_end166-_ZN2at6native32elementwise_kernel_manual_unrollILi128ELi4EZNS0_15gpu_kernel_implINS0_13BinaryFunctorIaaaZZZNS0_18rshift_kernel_cudaERNS_18TensorIteratorBaseEENKUlvE_clEvENKUlvE0_clEvEUlaaE_EEEEvS5_RKT_EUlibE_EEviT1_
                                        ; -- End function
	.set _ZN2at6native32elementwise_kernel_manual_unrollILi128ELi4EZNS0_15gpu_kernel_implINS0_13BinaryFunctorIaaaZZZNS0_18rshift_kernel_cudaERNS_18TensorIteratorBaseEENKUlvE_clEvENKUlvE0_clEvEUlaaE_EEEEvS5_RKT_EUlibE_EEviT1_.num_vgpr, 16
	.set _ZN2at6native32elementwise_kernel_manual_unrollILi128ELi4EZNS0_15gpu_kernel_implINS0_13BinaryFunctorIaaaZZZNS0_18rshift_kernel_cudaERNS_18TensorIteratorBaseEENKUlvE_clEvENKUlvE0_clEvEUlaaE_EEEEvS5_RKT_EUlibE_EEviT1_.num_agpr, 0
	.set _ZN2at6native32elementwise_kernel_manual_unrollILi128ELi4EZNS0_15gpu_kernel_implINS0_13BinaryFunctorIaaaZZZNS0_18rshift_kernel_cudaERNS_18TensorIteratorBaseEENKUlvE_clEvENKUlvE0_clEvEUlaaE_EEEEvS5_RKT_EUlibE_EEviT1_.numbered_sgpr, 56
	.set _ZN2at6native32elementwise_kernel_manual_unrollILi128ELi4EZNS0_15gpu_kernel_implINS0_13BinaryFunctorIaaaZZZNS0_18rshift_kernel_cudaERNS_18TensorIteratorBaseEENKUlvE_clEvENKUlvE0_clEvEUlaaE_EEEEvS5_RKT_EUlibE_EEviT1_.num_named_barrier, 0
	.set _ZN2at6native32elementwise_kernel_manual_unrollILi128ELi4EZNS0_15gpu_kernel_implINS0_13BinaryFunctorIaaaZZZNS0_18rshift_kernel_cudaERNS_18TensorIteratorBaseEENKUlvE_clEvENKUlvE0_clEvEUlaaE_EEEEvS5_RKT_EUlibE_EEviT1_.private_seg_size, 0
	.set _ZN2at6native32elementwise_kernel_manual_unrollILi128ELi4EZNS0_15gpu_kernel_implINS0_13BinaryFunctorIaaaZZZNS0_18rshift_kernel_cudaERNS_18TensorIteratorBaseEENKUlvE_clEvENKUlvE0_clEvEUlaaE_EEEEvS5_RKT_EUlibE_EEviT1_.uses_vcc, 1
	.set _ZN2at6native32elementwise_kernel_manual_unrollILi128ELi4EZNS0_15gpu_kernel_implINS0_13BinaryFunctorIaaaZZZNS0_18rshift_kernel_cudaERNS_18TensorIteratorBaseEENKUlvE_clEvENKUlvE0_clEvEUlaaE_EEEEvS5_RKT_EUlibE_EEviT1_.uses_flat_scratch, 0
	.set _ZN2at6native32elementwise_kernel_manual_unrollILi128ELi4EZNS0_15gpu_kernel_implINS0_13BinaryFunctorIaaaZZZNS0_18rshift_kernel_cudaERNS_18TensorIteratorBaseEENKUlvE_clEvENKUlvE0_clEvEUlaaE_EEEEvS5_RKT_EUlibE_EEviT1_.has_dyn_sized_stack, 0
	.set _ZN2at6native32elementwise_kernel_manual_unrollILi128ELi4EZNS0_15gpu_kernel_implINS0_13BinaryFunctorIaaaZZZNS0_18rshift_kernel_cudaERNS_18TensorIteratorBaseEENKUlvE_clEvENKUlvE0_clEvEUlaaE_EEEEvS5_RKT_EUlibE_EEviT1_.has_recursion, 0
	.set _ZN2at6native32elementwise_kernel_manual_unrollILi128ELi4EZNS0_15gpu_kernel_implINS0_13BinaryFunctorIaaaZZZNS0_18rshift_kernel_cudaERNS_18TensorIteratorBaseEENKUlvE_clEvENKUlvE0_clEvEUlaaE_EEEEvS5_RKT_EUlibE_EEviT1_.has_indirect_call, 0
	.section	.AMDGPU.csdata,"",@progbits
; Kernel info:
; codeLenInByte = 44616
; TotalNumSgprs: 60
; NumVgprs: 16
; ScratchSize: 0
; MemoryBound: 1
; FloatMode: 240
; IeeeMode: 1
; LDSByteSize: 0 bytes/workgroup (compile time only)
; SGPRBlocks: 7
; VGPRBlocks: 3
; NumSGPRsForWavesPerEU: 60
; NumVGPRsForWavesPerEU: 16
; Occupancy: 10
; WaveLimiterHint : 0
; COMPUTE_PGM_RSRC2:SCRATCH_EN: 0
; COMPUTE_PGM_RSRC2:USER_SGPR: 6
; COMPUTE_PGM_RSRC2:TRAP_HANDLER: 0
; COMPUTE_PGM_RSRC2:TGID_X_EN: 1
; COMPUTE_PGM_RSRC2:TGID_Y_EN: 0
; COMPUTE_PGM_RSRC2:TGID_Z_EN: 0
; COMPUTE_PGM_RSRC2:TIDIG_COMP_CNT: 0
	.section	.text._ZN2at6native32elementwise_kernel_manual_unrollILi128ELi4EZNS0_15gpu_kernel_implINS0_13BinaryFunctorIaaaZZZNS0_18rshift_kernel_cudaERNS_18TensorIteratorBaseEENKUlvE_clEvENKUlvE0_clEvEUlaaE_EEEEvS5_RKT_EUlibE0_EEviT1_,"axG",@progbits,_ZN2at6native32elementwise_kernel_manual_unrollILi128ELi4EZNS0_15gpu_kernel_implINS0_13BinaryFunctorIaaaZZZNS0_18rshift_kernel_cudaERNS_18TensorIteratorBaseEENKUlvE_clEvENKUlvE0_clEvEUlaaE_EEEEvS5_RKT_EUlibE0_EEviT1_,comdat
	.globl	_ZN2at6native32elementwise_kernel_manual_unrollILi128ELi4EZNS0_15gpu_kernel_implINS0_13BinaryFunctorIaaaZZZNS0_18rshift_kernel_cudaERNS_18TensorIteratorBaseEENKUlvE_clEvENKUlvE0_clEvEUlaaE_EEEEvS5_RKT_EUlibE0_EEviT1_ ; -- Begin function _ZN2at6native32elementwise_kernel_manual_unrollILi128ELi4EZNS0_15gpu_kernel_implINS0_13BinaryFunctorIaaaZZZNS0_18rshift_kernel_cudaERNS_18TensorIteratorBaseEENKUlvE_clEvENKUlvE0_clEvEUlaaE_EEEEvS5_RKT_EUlibE0_EEviT1_
	.p2align	8
	.type	_ZN2at6native32elementwise_kernel_manual_unrollILi128ELi4EZNS0_15gpu_kernel_implINS0_13BinaryFunctorIaaaZZZNS0_18rshift_kernel_cudaERNS_18TensorIteratorBaseEENKUlvE_clEvENKUlvE0_clEvEUlaaE_EEEEvS5_RKT_EUlibE0_EEviT1_,@function
_ZN2at6native32elementwise_kernel_manual_unrollILi128ELi4EZNS0_15gpu_kernel_implINS0_13BinaryFunctorIaaaZZZNS0_18rshift_kernel_cudaERNS_18TensorIteratorBaseEENKUlvE_clEvENKUlvE0_clEvEUlaaE_EEEEvS5_RKT_EUlibE0_EEviT1_: ; @_ZN2at6native32elementwise_kernel_manual_unrollILi128ELi4EZNS0_15gpu_kernel_implINS0_13BinaryFunctorIaaaZZZNS0_18rshift_kernel_cudaERNS_18TensorIteratorBaseEENKUlvE_clEvENKUlvE0_clEvEUlaaE_EEEEvS5_RKT_EUlibE0_EEviT1_
; %bb.0:
	s_load_dword s66, s[4:5], 0x0
	s_load_dword s33, s[4:5], 0x8
	s_add_u32 s2, s4, 8
	s_addc_u32 s3, s5, 0
	v_lshl_or_b32 v10, s6, 9, v0
	v_or_b32_e32 v21, 0x180, v10
	s_waitcnt lgkmcnt(0)
	s_add_i32 s68, s33, -1
	s_cmp_gt_u32 s68, 1
	v_cmp_le_i32_e32 vcc, s66, v21
	s_cselect_b64 s[20:21], -1, 0
	s_mov_b64 s[6:7], 0
	s_mov_b64 s[12:13], 0
	s_and_saveexec_b64 s[0:1], vcc
	s_xor_b64 s[22:23], exec, s[0:1]
	s_cbranch_execz .LBB167_1557
; %bb.1:
	v_mov_b32_e32 v0, 0
	global_load_ushort v1, v0, s[2:3] offset:417
	global_load_sbyte v2, v0, s[2:3] offset:419
	s_load_dwordx4 s[16:19], s[2:3], 0x4
	s_load_dwordx2 s[28:29], s[2:3], 0x14
	s_load_dwordx4 s[12:15], s[2:3], 0xc4
	s_load_dwordx2 s[26:27], s[2:3], 0xd4
	s_load_dwordx2 s[24:25], s[2:3], 0x198
	s_load_dwordx4 s[8:11], s[2:3], 0x188
	s_cmp_lg_u32 s33, 0
	s_cselect_b64 s[34:35], -1, 0
	s_min_u32 s72, s68, 15
	s_cmp_gt_u32 s33, 1
	v_cmp_gt_i32_e32 vcc, s66, v10
	s_mov_b64 s[0:1], -1
	s_mov_b64 s[46:47], 0
	s_mov_b64 s[40:41], 0
	;; [unrolled: 1-line block ×3, first 2 shown]
	s_cselect_b64 s[30:31], -1, 0
	s_mov_b64 s[36:37], 0
	s_waitcnt vmcnt(1)
	v_readfirstlane_b32 s69, v1
	s_waitcnt vmcnt(0)
	v_readfirstlane_b32 s70, v2
	s_lshr_b32 s71, s69, 8
	s_and_saveexec_b64 s[42:43], vcc
	s_cbranch_execz .LBB167_386
; %bb.2:
	s_andn2_b64 vcc, exec, s[20:21]
	s_cbranch_vccnz .LBB167_8
; %bb.3:
	s_andn2_b64 vcc, exec, s[34:35]
	s_cbranch_vccnz .LBB167_9
; %bb.4:
	s_add_i32 s0, s72, 1
	s_and_b32 s36, s0, 30
	s_add_u32 s0, s2, 0xffffffe8
	s_addc_u32 s1, s3, -1
	v_mov_b32_e32 v3, 0
	v_mov_b32_e32 v5, 0
	;; [unrolled: 1-line block ×4, first 2 shown]
.LBB167_5:                              ; =>This Inner Loop Header: Depth=1
	s_load_dwordx4 s[48:51], s[0:1], 0x1c
	s_load_dwordx2 s[38:39], s[0:1], 0x2c
	s_load_dwordx2 s[40:41], s[0:1], 0xec
	s_load_dwordx4 s[52:55], s[0:1], 0xdc
	s_add_u32 s0, s0, 24
	s_waitcnt lgkmcnt(0)
	v_mul_hi_u32 v2, s49, v1
	s_addc_u32 s1, s1, 0
	s_add_i32 s36, s36, -2
	s_cmp_lg_u32 s36, 0
	v_add_u32_e32 v2, v1, v2
	v_lshrrev_b32_e32 v2, s50, v2
	v_mul_lo_u32 v4, v2, s48
	v_mul_hi_u32 v6, s38, v2
	v_sub_u32_e32 v4, v1, v4
	v_add_u32_e32 v1, v2, v6
	v_lshrrev_b32_e32 v1, s39, v1
	v_mul_lo_u32 v8, v1, s51
	v_mul_lo_u32 v6, v4, s52
	;; [unrolled: 1-line block ×4, first 2 shown]
	v_sub_u32_e32 v2, v2, v8
	v_mul_lo_u32 v8, v2, s55
	v_mul_lo_u32 v9, v2, s40
	;; [unrolled: 1-line block ×3, first 2 shown]
	v_add3_u32 v0, v6, v0, v8
	v_add3_u32 v5, v7, v5, v9
	v_add3_u32 v3, v4, v3, v2
	s_cbranch_scc1 .LBB167_5
; %bb.6:
	s_bitcmp1_b32 s72, 0
	s_cselect_b64 s[36:37], -1, 0
	s_and_b64 vcc, exec, s[36:37]
	s_cbranch_vccnz .LBB167_10
; %bb.7:
	s_load_dwordx2 s[36:37], s[0:1], 0x1c
	s_load_dword s40, s[0:1], 0x24
	s_load_dwordx2 s[38:39], s[0:1], 0xdc
	s_waitcnt lgkmcnt(0)
	v_mul_hi_u32 v2, s37, v1
	v_add_u32_e32 v2, v1, v2
	v_lshrrev_b32_e32 v2, s40, v2
	v_mul_lo_u32 v2, v2, s36
	s_load_dword s36, s[0:1], 0xe4
	v_sub_u32_e32 v2, v1, v2
	v_mad_u64_u32 v[0:1], s[0:1], v2, s38, v[0:1]
	v_mad_u64_u32 v[5:6], s[0:1], v2, s39, v[5:6]
	s_waitcnt lgkmcnt(0)
	v_mad_u64_u32 v[3:4], s[0:1], v2, s36, v[3:4]
	s_cbranch_execz .LBB167_11
	s_branch .LBB167_13
.LBB167_8:
                                        ; implicit-def: $vgpr0
                                        ; implicit-def: $vgpr5
                                        ; implicit-def: $vgpr3
	s_andn2_b64 vcc, exec, s[0:1]
	s_cbranch_vccz .LBB167_11
	s_branch .LBB167_13
.LBB167_9:
	v_mov_b32_e32 v0, 0
	v_mov_b32_e32 v5, 0
	v_mov_b32_e32 v3, 0
.LBB167_10:
	s_cbranch_execnz .LBB167_13
.LBB167_11:
	s_waitcnt lgkmcnt(0)
	v_mul_hi_u32 v0, s17, v10
	s_andn2_b64 vcc, exec, s[30:31]
	v_add_u32_e32 v0, v10, v0
	v_lshrrev_b32_e32 v1, s18, v0
	v_mul_lo_u32 v0, v1, s16
	v_sub_u32_e32 v2, v10, v0
	v_mul_lo_u32 v0, v2, s12
	v_mul_lo_u32 v5, v2, s13
	;; [unrolled: 1-line block ×3, first 2 shown]
	s_cbranch_vccnz .LBB167_13
; %bb.12:
	v_mul_hi_u32 v2, s28, v1
	v_add_u32_e32 v2, v1, v2
	v_lshrrev_b32_e32 v2, s29, v2
	v_mul_lo_u32 v2, v2, s19
	v_sub_u32_e32 v2, v1, v2
	v_mad_u64_u32 v[0:1], s[0:1], v2, s15, v[0:1]
	v_mad_u64_u32 v[5:6], s[0:1], v2, s26, v[5:6]
	;; [unrolled: 1-line block ×3, first 2 shown]
.LBB167_13:
	s_waitcnt lgkmcnt(0)
	v_mov_b32_e32 v1, s11
	s_and_b32 s38, s71, 0xff
	v_add_co_u32_e32 v4, vcc, s10, v5
	s_cmp_lt_i32 s38, 11
	v_addc_co_u32_e32 v5, vcc, 0, v1, vcc
	s_cbranch_scc1 .LBB167_20
; %bb.14:
	s_and_b32 s39, 0xffff, s38
	s_cmp_gt_i32 s39, 25
	s_cbranch_scc0 .LBB167_29
; %bb.15:
	s_cmp_gt_i32 s39, 28
	s_cbranch_scc0 .LBB167_39
; %bb.16:
	;; [unrolled: 3-line block ×4, first 2 shown]
	s_cmp_eq_u32 s39, 46
	s_mov_b64 s[36:37], 0
	s_cbranch_scc0 .LBB167_48
; %bb.19:
	global_load_dword v1, v[4:5], off
	s_mov_b64 s[0:1], -1
	s_mov_b64 s[40:41], 0
	s_waitcnt vmcnt(0)
	v_lshlrev_b32_e32 v1, 16, v1
	v_cvt_i32_f32_e32 v1, v1
	s_branch .LBB167_50
.LBB167_20:
	s_mov_b64 s[40:41], 0
                                        ; implicit-def: $vgpr1
	s_mov_b64 s[0:1], 0
	s_cbranch_execnz .LBB167_112
.LBB167_21:
	s_andn2_b64 vcc, exec, s[0:1]
	s_cbranch_vccnz .LBB167_159
.LBB167_22:
	v_mov_b32_e32 v4, s25
	s_and_b32 s44, s70, 0xff
	s_waitcnt vmcnt(0)
	v_add_co_u32_e32 v2, vcc, s24, v3
	s_cmp_lt_i32 s44, 11
	v_addc_co_u32_e32 v3, vcc, 0, v4, vcc
	s_cbranch_scc1 .LBB167_30
; %bb.23:
	s_and_b32 s45, 0xffff, s44
	s_cmp_gt_i32 s45, 25
	s_cbranch_scc0 .LBB167_40
; %bb.24:
	s_cmp_gt_i32 s45, 28
	s_cbranch_scc0 .LBB167_43
; %bb.25:
	;; [unrolled: 3-line block ×4, first 2 shown]
	s_cmp_eq_u32 s45, 46
	s_mov_b64 s[36:37], 0
	s_cbranch_scc0 .LBB167_160
; %bb.28:
	global_load_dword v4, v[2:3], off
	s_mov_b64 s[0:1], -1
	s_mov_b64 s[38:39], 0
	s_waitcnt vmcnt(0)
	v_lshlrev_b32_e32 v4, 16, v4
	v_cvt_i32_f32_e32 v4, v4
	s_branch .LBB167_162
.LBB167_29:
	s_mov_b64 s[40:41], 0
	s_mov_b64 s[0:1], 0
                                        ; implicit-def: $vgpr1
	s_cbranch_execnz .LBB167_79
	s_branch .LBB167_111
.LBB167_30:
	s_mov_b64 s[38:39], 0
                                        ; implicit-def: $vgpr4
	s_mov_b64 s[0:1], 0
	s_cbranch_execnz .LBB167_335
.LBB167_31:
	s_andn2_b64 vcc, exec, s[0:1]
	s_cbranch_vccnz .LBB167_383
.LBB167_32:
	v_mov_b32_e32 v2, 6
	v_mov_b32_e32 v3, 7
	v_ashrrev_i16_sdwa v3, v3, sext(v1) dst_sel:DWORD dst_unused:UNUSED_PAD src0_sel:DWORD src1_sel:BYTE_0
	s_waitcnt vmcnt(0)
	v_ashrrev_i32_sdwa v1, v4, sext(v1) dst_sel:DWORD dst_unused:UNUSED_PAD src0_sel:DWORD src1_sel:BYTE_0
	v_cmp_gt_u16_sdwa vcc, v4, v2 src0_sel:BYTE_0 src1_sel:DWORD
	v_cndmask_b32_e32 v4, v1, v3, vcc
	v_mov_b32_e32 v1, s9
	s_and_b32 s50, s69, 0xff
	v_add_co_u32_e32 v0, vcc, s8, v0
	s_cmp_lt_i32 s50, 11
	v_addc_co_u32_e32 v1, vcc, 0, v1, vcc
	s_cbranch_scc1 .LBB167_41
; %bb.33:
	s_and_b32 s51, 0xffff, s50
	s_cmp_gt_i32 s51, 25
	s_cbranch_scc0 .LBB167_44
; %bb.34:
	s_cmp_gt_i32 s51, 28
	s_cbranch_scc0 .LBB167_47
; %bb.35:
	s_cmp_gt_i32 s51, 43
	s_cbranch_scc0 .LBB167_54
; %bb.36:
	s_cmp_gt_i32 s51, 45
	s_cbranch_scc0 .LBB167_165
; %bb.37:
	s_mov_b64 s[44:45], 0
	s_mov_b64 s[0:1], -1
	s_cmp_eq_u32 s51, 46
	s_mov_b64 s[36:37], 0
	s_cbranch_scc0 .LBB167_166
; %bb.38:
	v_cvt_f32_i32_sdwa v2, sext(v4) dst_sel:DWORD dst_unused:UNUSED_PAD src0_sel:WORD_0
	s_movk_i32 s0, 0x7fff
	s_mov_b64 s[36:37], -1
	v_bfe_u32 v3, v2, 16, 1
	v_add3_u32 v2, v2, v3, s0
	v_lshrrev_b32_e32 v2, 16, v2
	global_store_dword v[0:1], v2, off
	s_mov_b64 s[0:1], 0
	s_branch .LBB167_166
.LBB167_39:
	s_mov_b64 s[36:37], -1
	s_mov_b64 s[40:41], 0
	s_mov_b64 s[0:1], 0
                                        ; implicit-def: $vgpr1
	s_branch .LBB167_62
.LBB167_40:
	s_mov_b64 s[36:37], -1
	s_mov_b64 s[38:39], 0
	s_mov_b64 s[0:1], 0
                                        ; implicit-def: $vgpr4
	s_branch .LBB167_301
.LBB167_41:
	s_mov_b64 s[44:45], -1
	s_mov_b64 s[0:1], 0
	s_mov_b64 s[36:37], 0
	s_branch .LBB167_235
.LBB167_42:
	s_mov_b64 s[36:37], -1
	s_mov_b64 s[40:41], 0
	s_mov_b64 s[0:1], 0
                                        ; implicit-def: $vgpr1
	s_branch .LBB167_57
.LBB167_43:
	s_mov_b64 s[36:37], -1
	s_mov_b64 s[38:39], 0
	s_mov_b64 s[0:1], 0
                                        ; implicit-def: $vgpr4
	s_branch .LBB167_284
.LBB167_44:
	s_mov_b64 s[44:45], -1
	s_mov_b64 s[0:1], 0
	s_mov_b64 s[36:37], 0
	s_branch .LBB167_193
.LBB167_45:
	s_mov_b64 s[36:37], -1
	s_mov_b64 s[40:41], 0
	s_branch .LBB167_49
.LBB167_46:
	s_mov_b64 s[36:37], -1
	s_mov_b64 s[38:39], 0
	s_mov_b64 s[0:1], 0
                                        ; implicit-def: $vgpr4
	s_branch .LBB167_279
.LBB167_47:
	s_mov_b64 s[44:45], -1
	s_mov_b64 s[0:1], 0
	s_mov_b64 s[36:37], 0
	s_branch .LBB167_176
.LBB167_48:
	s_mov_b64 s[40:41], -1
.LBB167_49:
	s_mov_b64 s[0:1], 0
                                        ; implicit-def: $vgpr1
.LBB167_50:
	s_and_b64 vcc, exec, s[36:37]
	s_cbranch_vccz .LBB167_56
; %bb.51:
	s_cmp_eq_u32 s39, 44
	s_cbranch_scc0 .LBB167_55
; %bb.52:
	global_load_ubyte v1, v[4:5], off
	s_mov_b64 s[0:1], -1
	s_mov_b64 s[40:41], 0
	s_waitcnt vmcnt(0)
	v_lshlrev_b32_e32 v2, 23, v1
	v_cvt_i32_f32_e32 v2, v2
	v_cmp_ne_u32_e32 vcc, 0, v1
	v_cndmask_b32_e32 v1, 0, v2, vcc
	s_branch .LBB167_56
.LBB167_53:
	s_mov_b64 s[36:37], -1
	s_mov_b64 s[38:39], 0
	s_branch .LBB167_161
.LBB167_54:
	s_mov_b64 s[44:45], -1
	s_mov_b64 s[0:1], 0
	s_mov_b64 s[36:37], 0
	s_branch .LBB167_172
.LBB167_55:
	s_mov_b64 s[40:41], -1
                                        ; implicit-def: $vgpr1
.LBB167_56:
	s_mov_b64 s[36:37], 0
.LBB167_57:
	s_and_b64 vcc, exec, s[36:37]
	s_cbranch_vccz .LBB167_61
; %bb.58:
	s_cmp_eq_u32 s39, 29
	s_cbranch_scc0 .LBB167_60
; %bb.59:
	global_load_dwordx2 v[1:2], v[4:5], off
	s_mov_b64 s[0:1], -1
	s_mov_b64 s[40:41], 0
	s_branch .LBB167_61
.LBB167_60:
	s_mov_b64 s[40:41], -1
                                        ; implicit-def: $vgpr1
.LBB167_61:
	s_mov_b64 s[36:37], 0
.LBB167_62:
	s_and_b64 vcc, exec, s[36:37]
	s_cbranch_vccz .LBB167_78
; %bb.63:
	s_cmp_lt_i32 s39, 27
	s_cbranch_scc1 .LBB167_66
; %bb.64:
	s_cmp_gt_i32 s39, 27
	s_cbranch_scc0 .LBB167_67
; %bb.65:
	global_load_dword v1, v[4:5], off
	s_mov_b64 s[0:1], 0
	s_branch .LBB167_68
.LBB167_66:
	s_mov_b64 s[0:1], -1
                                        ; implicit-def: $vgpr1
	s_branch .LBB167_71
.LBB167_67:
	s_mov_b64 s[0:1], -1
                                        ; implicit-def: $vgpr1
.LBB167_68:
	s_andn2_b64 vcc, exec, s[0:1]
	s_cbranch_vccnz .LBB167_70
; %bb.69:
	global_load_ushort v1, v[4:5], off
.LBB167_70:
	s_mov_b64 s[0:1], 0
.LBB167_71:
	s_andn2_b64 vcc, exec, s[0:1]
	s_cbranch_vccnz .LBB167_77
; %bb.72:
	global_load_ubyte v2, v[4:5], off
	s_movk_i32 s0, 0x7f
	s_mov_b64 s[36:37], 0
	s_waitcnt vmcnt(0)
	v_cmp_lt_i16_e32 vcc, s0, v2
	s_and_saveexec_b64 s[0:1], vcc
	s_xor_b64 s[0:1], exec, s[0:1]
	s_cbranch_execz .LBB167_88
; %bb.73:
	s_movk_i32 s36, 0x80
	v_cmp_ne_u16_e32 vcc, s36, v2
	s_and_b64 s[36:37], vcc, exec
	s_andn2_saveexec_b64 s[0:1], s[0:1]
	s_cbranch_execnz .LBB167_89
.LBB167_74:
	s_or_b64 exec, exec, s[0:1]
	v_mov_b32_e32 v1, 0
	s_and_saveexec_b64 s[0:1], s[36:37]
	s_cbranch_execz .LBB167_76
.LBB167_75:
	v_lshlrev_b32_e32 v1, 24, v2
	v_and_b32_e32 v2, 0xffff, v2
	v_and_b32_e32 v6, 7, v2
	v_ffbh_u32_e32 v8, v6
	v_min_u32_e32 v8, 32, v8
	v_subrev_u32_e32 v9, 28, v8
	v_bfe_u32 v7, v2, 3, 4
	v_lshlrev_b32_e32 v2, v9, v2
	v_sub_u32_e32 v8, 29, v8
	v_and_b32_e32 v2, 7, v2
	v_cmp_eq_u32_e32 vcc, 0, v7
	v_cndmask_b32_e32 v7, v7, v8, vcc
	v_cndmask_b32_e32 v2, v6, v2, vcc
	v_mov_b32_e32 v6, 0x3b800000
	v_lshlrev_b32_e32 v2, 20, v2
	v_and_b32_e32 v1, 0x80000000, v1
	v_lshl_add_u32 v6, v7, 23, v6
	v_or3_b32 v1, v1, v6, v2
	v_cvt_i32_f32_e32 v1, v1
.LBB167_76:
	s_or_b64 exec, exec, s[0:1]
.LBB167_77:
	s_mov_b64 s[0:1], -1
.LBB167_78:
	s_branch .LBB167_111
.LBB167_79:
	s_cmp_gt_i32 s39, 22
	s_cbranch_scc0 .LBB167_87
; %bb.80:
	s_cmp_lt_i32 s39, 24
	s_cbranch_scc1 .LBB167_90
; %bb.81:
	s_cmp_gt_i32 s39, 24
	s_cbranch_scc0 .LBB167_91
; %bb.82:
	global_load_ubyte v2, v[4:5], off
	s_movk_i32 s0, 0x7f
	s_mov_b64 s[36:37], 0
	s_waitcnt vmcnt(0)
	v_cmp_lt_i16_e32 vcc, s0, v2
	s_and_saveexec_b64 s[0:1], vcc
	s_xor_b64 s[0:1], exec, s[0:1]
	s_cbranch_execz .LBB167_103
; %bb.83:
	s_movk_i32 s36, 0x80
	v_cmp_ne_u16_e32 vcc, s36, v2
	s_and_b64 s[36:37], vcc, exec
	s_andn2_saveexec_b64 s[0:1], s[0:1]
	s_cbranch_execnz .LBB167_104
.LBB167_84:
	s_or_b64 exec, exec, s[0:1]
	v_mov_b32_e32 v1, 0
	s_and_saveexec_b64 s[0:1], s[36:37]
	s_cbranch_execz .LBB167_86
.LBB167_85:
	v_lshlrev_b32_e32 v1, 24, v2
	v_and_b32_e32 v2, 0xffff, v2
	v_and_b32_e32 v6, 3, v2
	v_ffbh_u32_e32 v8, v6
	v_min_u32_e32 v8, 32, v8
	v_subrev_u32_e32 v9, 29, v8
	v_bfe_u32 v7, v2, 2, 5
	v_lshlrev_b32_e32 v2, v9, v2
	v_sub_u32_e32 v8, 30, v8
	v_and_b32_e32 v2, 3, v2
	v_cmp_eq_u32_e32 vcc, 0, v7
	v_cndmask_b32_e32 v7, v7, v8, vcc
	v_cndmask_b32_e32 v2, v6, v2, vcc
	v_mov_b32_e32 v6, 0x37800000
	v_lshlrev_b32_e32 v2, 21, v2
	v_and_b32_e32 v1, 0x80000000, v1
	v_lshl_add_u32 v6, v7, 23, v6
	v_or3_b32 v1, v1, v6, v2
	v_cvt_i32_f32_e32 v1, v1
.LBB167_86:
	s_or_b64 exec, exec, s[0:1]
	s_mov_b64 s[0:1], 0
	s_branch .LBB167_92
.LBB167_87:
	s_mov_b64 s[36:37], -1
                                        ; implicit-def: $vgpr1
	s_branch .LBB167_98
.LBB167_88:
	s_andn2_saveexec_b64 s[0:1], s[0:1]
	s_cbranch_execz .LBB167_74
.LBB167_89:
	v_cmp_ne_u16_e32 vcc, 0, v2
	s_andn2_b64 s[36:37], s[36:37], exec
	s_and_b64 s[44:45], vcc, exec
	s_or_b64 s[36:37], s[36:37], s[44:45]
	s_or_b64 exec, exec, s[0:1]
	v_mov_b32_e32 v1, 0
	s_and_saveexec_b64 s[0:1], s[36:37]
	s_cbranch_execnz .LBB167_75
	s_branch .LBB167_76
.LBB167_90:
	s_mov_b64 s[0:1], -1
                                        ; implicit-def: $vgpr1
	s_branch .LBB167_95
.LBB167_91:
	s_mov_b64 s[0:1], -1
                                        ; implicit-def: $vgpr1
.LBB167_92:
	s_and_b64 vcc, exec, s[0:1]
	s_cbranch_vccz .LBB167_94
; %bb.93:
	global_load_ubyte v1, v[4:5], off
	s_mov_b32 s0, 0x7f800000
	s_waitcnt vmcnt(0)
	v_lshlrev_b32_e32 v1, 24, v1
	v_and_b32_e32 v2, 0x7f000000, v1
	v_ffbh_u32_e32 v6, v2
	v_min_u32_e32 v6, 32, v6
	v_sub_u32_e64 v6, v6, 4 clamp
	v_lshlrev_b32_e32 v8, v6, v2
	v_lshlrev_b32_e32 v6, 23, v6
	v_lshrrev_b32_e32 v8, 4, v8
	v_add_u32_e32 v7, 0x1000000, v2
	v_sub_u32_e32 v6, v8, v6
	v_ashrrev_i32_e32 v7, 8, v7
	v_add_u32_e32 v6, 0x3c000000, v6
	v_and_or_b32 v6, v7, s0, v6
	v_cmp_ne_u32_e32 vcc, 0, v2
	v_cndmask_b32_e32 v2, 0, v6, vcc
	s_brev_b32 s0, 1
	v_and_or_b32 v1, v1, s0, v2
	v_cvt_i32_f32_e32 v1, v1
.LBB167_94:
	s_mov_b64 s[0:1], 0
.LBB167_95:
	s_andn2_b64 vcc, exec, s[0:1]
	s_cbranch_vccnz .LBB167_97
; %bb.96:
	global_load_ubyte v1, v[4:5], off
	s_movk_i32 s0, 0x7f00
	s_brev_b32 s1, 16
	s_waitcnt vmcnt(0)
	v_lshlrev_b16_e32 v2, 8, v1
	v_lshlrev_b32_e32 v1, 25, v1
	v_lshrrev_b32_e32 v6, 4, v1
	v_and_or_b32 v7, v2, s0, 0.5
	v_or_b32_e32 v6, 0x70000000, v6
	v_add_f32_e32 v7, -0.5, v7
	v_mul_f32_e32 v6, 0x7800000, v6
	v_cmp_gt_u32_e32 vcc, s1, v1
	v_bfe_i32 v2, v2, 0, 16
	v_cndmask_b32_e32 v1, v6, v7, vcc
	s_brev_b32 s0, 1
	v_and_or_b32 v1, v2, s0, v1
	v_cvt_i32_f32_e32 v1, v1
.LBB167_97:
	s_mov_b64 s[36:37], 0
	s_mov_b64 s[0:1], -1
.LBB167_98:
	s_andn2_b64 vcc, exec, s[36:37]
	s_cbranch_vccnz .LBB167_111
; %bb.99:
	s_cmp_gt_i32 s39, 14
	s_cbranch_scc0 .LBB167_102
; %bb.100:
	s_cmp_eq_u32 s39, 15
	s_cbranch_scc0 .LBB167_105
; %bb.101:
	global_load_ushort v1, v[4:5], off
	s_mov_b64 s[0:1], -1
	s_mov_b64 s[40:41], 0
	s_waitcnt vmcnt(0)
	v_lshlrev_b32_e32 v1, 16, v1
	v_cvt_i32_f32_e32 v1, v1
	s_branch .LBB167_106
.LBB167_102:
	s_mov_b64 s[36:37], -1
                                        ; implicit-def: $vgpr1
	s_branch .LBB167_107
.LBB167_103:
	s_andn2_saveexec_b64 s[0:1], s[0:1]
	s_cbranch_execz .LBB167_84
.LBB167_104:
	v_cmp_ne_u16_e32 vcc, 0, v2
	s_andn2_b64 s[36:37], s[36:37], exec
	s_and_b64 s[44:45], vcc, exec
	s_or_b64 s[36:37], s[36:37], s[44:45]
	s_or_b64 exec, exec, s[0:1]
	v_mov_b32_e32 v1, 0
	s_and_saveexec_b64 s[0:1], s[36:37]
	s_cbranch_execnz .LBB167_85
	s_branch .LBB167_86
.LBB167_105:
	s_mov_b64 s[40:41], -1
                                        ; implicit-def: $vgpr1
.LBB167_106:
	s_mov_b64 s[36:37], 0
.LBB167_107:
	s_and_b64 vcc, exec, s[36:37]
	s_cbranch_vccz .LBB167_111
; %bb.108:
	s_cmp_eq_u32 s39, 11
	s_cbranch_scc0 .LBB167_110
; %bb.109:
	global_load_ubyte v1, v[4:5], off
	s_mov_b64 s[0:1], -1
	s_mov_b64 s[40:41], 0
	s_waitcnt vmcnt(0)
	v_cmp_ne_u16_e32 vcc, 0, v1
	v_cndmask_b32_e64 v1, 0, 1, vcc
	s_branch .LBB167_111
.LBB167_110:
	s_mov_b64 s[40:41], -1
                                        ; implicit-def: $vgpr1
.LBB167_111:
	s_branch .LBB167_21
.LBB167_112:
	s_and_b32 s36, 0xffff, s38
	s_cmp_lt_i32 s36, 5
	s_cbranch_scc1 .LBB167_117
; %bb.113:
	s_cmp_lt_i32 s36, 8
	s_cbranch_scc1 .LBB167_118
; %bb.114:
	;; [unrolled: 3-line block ×3, first 2 shown]
	s_cmp_gt_i32 s36, 9
	s_cbranch_scc0 .LBB167_120
; %bb.116:
	global_load_dwordx2 v[1:2], v[4:5], off
	s_mov_b64 s[0:1], 0
	s_waitcnt vmcnt(0)
	v_cvt_i32_f64_e32 v1, v[1:2]
	s_branch .LBB167_121
.LBB167_117:
                                        ; implicit-def: $vgpr1
	s_branch .LBB167_139
.LBB167_118:
	s_mov_b64 s[0:1], -1
                                        ; implicit-def: $vgpr1
	s_branch .LBB167_127
.LBB167_119:
	s_mov_b64 s[0:1], -1
                                        ; implicit-def: $vgpr1
	s_branch .LBB167_124
.LBB167_120:
	s_mov_b64 s[0:1], -1
                                        ; implicit-def: $vgpr1
.LBB167_121:
	s_andn2_b64 vcc, exec, s[0:1]
	s_cbranch_vccnz .LBB167_123
; %bb.122:
	global_load_dword v1, v[4:5], off
	s_waitcnt vmcnt(0)
	v_cvt_i32_f32_e32 v1, v1
.LBB167_123:
	s_mov_b64 s[0:1], 0
.LBB167_124:
	s_andn2_b64 vcc, exec, s[0:1]
	s_cbranch_vccnz .LBB167_126
; %bb.125:
	global_load_dword v1, v[4:5], off
	s_waitcnt vmcnt(0)
	v_cvt_i16_f16_e32 v1, v1
.LBB167_126:
	s_mov_b64 s[0:1], 0
.LBB167_127:
	s_andn2_b64 vcc, exec, s[0:1]
	s_cbranch_vccnz .LBB167_138
; %bb.128:
	s_cmp_lt_i32 s36, 6
	s_cbranch_scc1 .LBB167_131
; %bb.129:
	s_cmp_gt_i32 s36, 6
	s_cbranch_scc0 .LBB167_132
; %bb.130:
	global_load_dwordx2 v[1:2], v[4:5], off
	s_mov_b64 s[0:1], 0
	s_waitcnt vmcnt(0)
	v_cvt_i32_f64_e32 v1, v[1:2]
	s_branch .LBB167_133
.LBB167_131:
	s_mov_b64 s[0:1], -1
                                        ; implicit-def: $vgpr1
	s_branch .LBB167_136
.LBB167_132:
	s_mov_b64 s[0:1], -1
                                        ; implicit-def: $vgpr1
.LBB167_133:
	s_andn2_b64 vcc, exec, s[0:1]
	s_cbranch_vccnz .LBB167_135
; %bb.134:
	global_load_dword v1, v[4:5], off
	s_waitcnt vmcnt(0)
	v_cvt_i32_f32_e32 v1, v1
.LBB167_135:
	s_mov_b64 s[0:1], 0
.LBB167_136:
	s_andn2_b64 vcc, exec, s[0:1]
	s_cbranch_vccnz .LBB167_138
; %bb.137:
	global_load_ushort v1, v[4:5], off
	s_waitcnt vmcnt(0)
	v_cvt_i16_f16_e32 v1, v1
.LBB167_138:
	s_cbranch_execnz .LBB167_158
.LBB167_139:
	s_cmp_lt_i32 s36, 2
	s_cbranch_scc1 .LBB167_143
; %bb.140:
	s_cmp_lt_i32 s36, 3
	s_cbranch_scc1 .LBB167_144
; %bb.141:
	s_cmp_gt_i32 s36, 3
	s_cbranch_scc0 .LBB167_145
; %bb.142:
	global_load_dwordx2 v[1:2], v[4:5], off
	s_mov_b64 s[0:1], 0
	s_branch .LBB167_146
.LBB167_143:
	s_mov_b64 s[0:1], -1
                                        ; implicit-def: $vgpr1
	s_branch .LBB167_152
.LBB167_144:
	s_mov_b64 s[0:1], -1
                                        ; implicit-def: $vgpr1
	s_branch .LBB167_149
.LBB167_145:
	s_mov_b64 s[0:1], -1
                                        ; implicit-def: $vgpr1
.LBB167_146:
	s_andn2_b64 vcc, exec, s[0:1]
	s_cbranch_vccnz .LBB167_148
; %bb.147:
	global_load_dword v1, v[4:5], off
.LBB167_148:
	s_mov_b64 s[0:1], 0
.LBB167_149:
	s_andn2_b64 vcc, exec, s[0:1]
	s_cbranch_vccnz .LBB167_151
; %bb.150:
	global_load_ushort v1, v[4:5], off
.LBB167_151:
	s_mov_b64 s[0:1], 0
.LBB167_152:
	s_andn2_b64 vcc, exec, s[0:1]
	s_cbranch_vccnz .LBB167_158
; %bb.153:
	s_cmp_gt_i32 s36, 0
	s_cbranch_scc0 .LBB167_155
; %bb.154:
	global_load_ubyte v1, v[4:5], off
	s_mov_b64 s[0:1], 0
	s_branch .LBB167_156
.LBB167_155:
	s_mov_b64 s[0:1], -1
                                        ; implicit-def: $vgpr1
.LBB167_156:
	s_andn2_b64 vcc, exec, s[0:1]
	s_cbranch_vccnz .LBB167_158
; %bb.157:
	global_load_ubyte v1, v[4:5], off
.LBB167_158:
	s_branch .LBB167_22
.LBB167_159:
	s_mov_b64 s[0:1], 0
	s_mov_b64 s[38:39], 0
	s_branch .LBB167_384
.LBB167_160:
	s_mov_b64 s[38:39], -1
.LBB167_161:
	s_mov_b64 s[0:1], 0
                                        ; implicit-def: $vgpr4
.LBB167_162:
	s_and_b64 vcc, exec, s[36:37]
	s_cbranch_vccz .LBB167_278
; %bb.163:
	s_cmp_eq_u32 s45, 44
	s_cbranch_scc0 .LBB167_277
; %bb.164:
	global_load_ubyte v4, v[2:3], off
	s_mov_b64 s[0:1], -1
	s_mov_b64 s[38:39], 0
	s_waitcnt vmcnt(0)
	v_lshlrev_b32_e32 v5, 23, v4
	v_cvt_i32_f32_e32 v5, v5
	v_cmp_ne_u32_e32 vcc, 0, v4
	v_cndmask_b32_e32 v4, 0, v5, vcc
	s_branch .LBB167_278
.LBB167_165:
	s_mov_b64 s[44:45], -1
	s_mov_b64 s[0:1], 0
	s_mov_b64 s[36:37], 0
.LBB167_166:
	s_and_b64 vcc, exec, s[44:45]
	s_cbranch_vccz .LBB167_171
; %bb.167:
	s_cmp_eq_u32 s51, 44
	s_mov_b64 s[0:1], -1
	s_cbranch_scc0 .LBB167_171
; %bb.168:
	v_cvt_f32_i32_sdwa v2, sext(v4) dst_sel:DWORD dst_unused:UNUSED_PAD src0_sel:WORD_0
	s_movk_i32 s0, 0xff
	v_mov_b32_e32 v5, 0xff
	v_bfe_u32 v3, v2, 23, 8
	v_cmp_ne_u32_e32 vcc, s0, v3
	s_and_saveexec_b64 s[36:37], vcc
; %bb.169:
	s_mov_b32 s0, 0x3fffff
	v_lshrrev_b32_e32 v5, 23, v2
	v_and_b32_e32 v6, 0x400000, v2
	v_and_or_b32 v2, v2, s0, v3
	v_cmp_ne_u32_e32 vcc, 0, v6
	v_cmp_ne_u32_e64 s[0:1], 0, v2
	s_and_b64 s[0:1], vcc, s[0:1]
	v_cndmask_b32_e64 v2, 0, 1, s[0:1]
	v_add_u32_e32 v5, v5, v2
; %bb.170:
	s_or_b64 exec, exec, s[36:37]
	s_mov_b64 s[36:37], -1
	s_mov_b64 s[0:1], 0
	global_store_byte v[0:1], v5, off
.LBB167_171:
	s_mov_b64 s[44:45], 0
.LBB167_172:
	s_and_b64 vcc, exec, s[44:45]
	s_cbranch_vccz .LBB167_175
; %bb.173:
	s_cmp_eq_u32 s51, 29
	s_mov_b64 s[0:1], -1
	s_cbranch_scc0 .LBB167_175
; %bb.174:
	v_bfe_i32 v2, v4, 0, 16
	v_ashrrev_i32_e32 v3, 31, v2
	global_store_dwordx2 v[0:1], v[2:3], off
	s_mov_b64 s[36:37], -1
	s_mov_b64 s[0:1], 0
.LBB167_175:
	s_mov_b64 s[44:45], 0
.LBB167_176:
	s_and_b64 vcc, exec, s[44:45]
	s_cbranch_vccz .LBB167_192
; %bb.177:
	s_cmp_lt_i32 s51, 27
	s_mov_b64 s[36:37], -1
	s_cbranch_scc1 .LBB167_183
; %bb.178:
	s_cmp_gt_i32 s51, 27
	s_cbranch_scc0 .LBB167_180
; %bb.179:
	v_bfe_i32 v2, v4, 0, 16
	s_mov_b64 s[36:37], 0
	global_store_dword v[0:1], v2, off
.LBB167_180:
	s_andn2_b64 vcc, exec, s[36:37]
	s_cbranch_vccnz .LBB167_182
; %bb.181:
	global_store_short v[0:1], v4, off
.LBB167_182:
	s_mov_b64 s[36:37], 0
.LBB167_183:
	s_andn2_b64 vcc, exec, s[36:37]
	s_cbranch_vccnz .LBB167_191
; %bb.184:
	v_cvt_f32_i32_sdwa v2, sext(v4) dst_sel:DWORD dst_unused:UNUSED_PAD src0_sel:WORD_0
	s_mov_b32 s36, 0x43800000
	v_mov_b32_e32 v5, 0x80
	v_and_b32_e32 v3, 0x7fffffff, v2
	v_cmp_gt_u32_e32 vcc, s36, v3
	s_and_saveexec_b64 s[36:37], vcc
	s_cbranch_execz .LBB167_190
; %bb.185:
	s_mov_b32 s44, 0x3bffffff
	v_cmp_lt_u32_e32 vcc, s44, v3
	s_mov_b64 s[44:45], 0
                                        ; implicit-def: $vgpr3
	s_and_saveexec_b64 s[48:49], vcc
	s_xor_b64 s[48:49], exec, s[48:49]
	s_cbranch_execz .LBB167_426
; %bb.186:
	v_bfe_u32 v3, v2, 20, 1
	s_mov_b32 s52, 0x487ffff
	v_add3_u32 v3, v2, v3, s52
	s_mov_b64 s[44:45], exec
	v_lshrrev_b32_e32 v3, 20, v3
	s_andn2_saveexec_b64 s[48:49], s[48:49]
	s_cbranch_execnz .LBB167_427
.LBB167_187:
	s_or_b64 exec, exec, s[48:49]
	v_mov_b32_e32 v5, 0
	s_and_saveexec_b64 s[48:49], s[44:45]
.LBB167_188:
	v_lshrrev_b32_e32 v2, 24, v2
	s_movk_i32 s44, 0x80
	v_and_or_b32 v5, v2, s44, v3
.LBB167_189:
	s_or_b64 exec, exec, s[48:49]
.LBB167_190:
	s_or_b64 exec, exec, s[36:37]
	global_store_byte v[0:1], v5, off
.LBB167_191:
	s_mov_b64 s[36:37], -1
.LBB167_192:
	s_mov_b64 s[44:45], 0
.LBB167_193:
	s_and_b64 vcc, exec, s[44:45]
	s_cbranch_vccz .LBB167_234
; %bb.194:
	s_cmp_gt_i32 s51, 22
	s_mov_b64 s[44:45], -1
	s_cbranch_scc0 .LBB167_226
; %bb.195:
	s_cmp_lt_i32 s51, 24
	s_mov_b64 s[36:37], -1
	s_cbranch_scc1 .LBB167_215
; %bb.196:
	s_cmp_gt_i32 s51, 24
	s_cbranch_scc0 .LBB167_204
; %bb.197:
	v_cvt_f32_i32_sdwa v2, sext(v4) dst_sel:DWORD dst_unused:UNUSED_PAD src0_sel:WORD_0
	s_mov_b32 s36, 0x47800000
	v_mov_b32_e32 v5, 0x80
	v_and_b32_e32 v3, 0x7fffffff, v2
	v_cmp_gt_u32_e32 vcc, s36, v3
	s_and_saveexec_b64 s[36:37], vcc
	s_cbranch_execz .LBB167_203
; %bb.198:
	s_mov_b32 s44, 0x37ffffff
	v_cmp_lt_u32_e32 vcc, s44, v3
	s_mov_b64 s[44:45], 0
                                        ; implicit-def: $vgpr3
	s_and_saveexec_b64 s[48:49], vcc
	s_xor_b64 s[48:49], exec, s[48:49]
	s_cbranch_execz .LBB167_541
; %bb.199:
	v_bfe_u32 v3, v2, 21, 1
	s_mov_b32 s52, 0x88fffff
	v_add3_u32 v3, v2, v3, s52
	s_mov_b64 s[44:45], exec
	v_lshrrev_b32_e32 v3, 21, v3
	s_andn2_saveexec_b64 s[48:49], s[48:49]
	s_cbranch_execnz .LBB167_542
.LBB167_200:
	s_or_b64 exec, exec, s[48:49]
	v_mov_b32_e32 v5, 0
	s_and_saveexec_b64 s[48:49], s[44:45]
.LBB167_201:
	v_lshrrev_b32_e32 v2, 24, v2
	s_movk_i32 s44, 0x80
	v_and_or_b32 v5, v2, s44, v3
.LBB167_202:
	s_or_b64 exec, exec, s[48:49]
.LBB167_203:
	s_or_b64 exec, exec, s[36:37]
	s_mov_b64 s[36:37], 0
	global_store_byte v[0:1], v5, off
.LBB167_204:
	s_and_b64 vcc, exec, s[36:37]
	s_cbranch_vccz .LBB167_214
; %bb.205:
	v_cvt_f32_i32_sdwa v2, sext(v4) dst_sel:DWORD dst_unused:UNUSED_PAD src0_sel:WORD_0
	s_mov_b32 s36, 0x43f00000
                                        ; implicit-def: $vgpr3
	v_and_b32_e32 v5, 0x7fffffff, v2
	v_cmp_gt_u32_e32 vcc, s36, v5
	s_and_saveexec_b64 s[36:37], vcc
	s_xor_b64 s[36:37], exec, s[36:37]
	s_cbranch_execz .LBB167_211
; %bb.206:
	s_mov_b32 s44, 0x3c7fffff
	v_cmp_lt_u32_e32 vcc, s44, v5
                                        ; implicit-def: $vgpr3
	s_and_saveexec_b64 s[44:45], vcc
	s_xor_b64 s[44:45], exec, s[44:45]
; %bb.207:
	v_bfe_u32 v3, v2, 20, 1
	s_mov_b32 s48, 0x407ffff
	v_add3_u32 v3, v2, v3, s48
	v_lshrrev_b32_e32 v5, 20, v3
	v_and_b32_e32 v3, 0xff00000, v3
	s_mov_b32 s48, 0x7f00000
	v_mov_b32_e32 v6, 0x7e
	v_cmp_ne_u32_e32 vcc, s48, v3
	v_cndmask_b32_e32 v3, v6, v5, vcc
; %bb.208:
	s_andn2_saveexec_b64 s[44:45], s[44:45]
; %bb.209:
	s_mov_b32 s48, 0x46800000
	v_add_f32_e64 v3, |v2|, s48
; %bb.210:
	s_or_b64 exec, exec, s[44:45]
                                        ; implicit-def: $vgpr5
.LBB167_211:
	s_andn2_saveexec_b64 s[36:37], s[36:37]
; %bb.212:
	s_mov_b32 s44, 0x7f800000
	v_mov_b32_e32 v3, 0x7e
	v_mov_b32_e32 v6, 0x7f
	v_cmp_lt_u32_e32 vcc, s44, v5
	v_cndmask_b32_e32 v3, v3, v6, vcc
; %bb.213:
	s_or_b64 exec, exec, s[36:37]
	v_lshrrev_b32_e32 v2, 24, v2
	s_movk_i32 s36, 0x80
	v_and_or_b32 v2, v2, s36, v3
	global_store_byte v[0:1], v2, off
.LBB167_214:
	s_mov_b64 s[36:37], 0
.LBB167_215:
	s_andn2_b64 vcc, exec, s[36:37]
	s_cbranch_vccnz .LBB167_225
; %bb.216:
	v_cvt_f32_i32_sdwa v2, sext(v4) dst_sel:DWORD dst_unused:UNUSED_PAD src0_sel:WORD_0
	s_mov_b32 s36, 0x47800000
                                        ; implicit-def: $vgpr3
	v_and_b32_e32 v5, 0x7fffffff, v2
	v_cmp_gt_u32_e32 vcc, s36, v5
	s_and_saveexec_b64 s[36:37], vcc
	s_xor_b64 s[36:37], exec, s[36:37]
	s_cbranch_execz .LBB167_222
; %bb.217:
	s_mov_b32 s44, 0x387fffff
	v_cmp_lt_u32_e32 vcc, s44, v5
                                        ; implicit-def: $vgpr3
	s_and_saveexec_b64 s[44:45], vcc
	s_xor_b64 s[44:45], exec, s[44:45]
; %bb.218:
	v_bfe_u32 v3, v2, 21, 1
	s_mov_b32 s48, 0x80fffff
	v_add3_u32 v3, v2, v3, s48
	v_lshrrev_b32_e32 v3, 21, v3
; %bb.219:
	s_andn2_saveexec_b64 s[44:45], s[44:45]
; %bb.220:
	s_mov_b32 s48, 0x43000000
	v_add_f32_e64 v3, |v2|, s48
; %bb.221:
	s_or_b64 exec, exec, s[44:45]
                                        ; implicit-def: $vgpr5
.LBB167_222:
	s_andn2_saveexec_b64 s[36:37], s[36:37]
; %bb.223:
	s_mov_b32 s44, 0x7f800000
	v_mov_b32_e32 v3, 0x7c
	v_mov_b32_e32 v6, 0x7f
	v_cmp_lt_u32_e32 vcc, s44, v5
	v_cndmask_b32_e32 v3, v3, v6, vcc
; %bb.224:
	s_or_b64 exec, exec, s[36:37]
	v_lshrrev_b32_e32 v2, 24, v2
	s_movk_i32 s36, 0x80
	v_and_or_b32 v2, v2, s36, v3
	global_store_byte v[0:1], v2, off
.LBB167_225:
	s_mov_b64 s[44:45], 0
	s_mov_b64 s[36:37], -1
.LBB167_226:
	s_andn2_b64 vcc, exec, s[44:45]
	s_cbranch_vccnz .LBB167_234
; %bb.227:
	s_cmp_gt_i32 s51, 14
	s_mov_b64 s[44:45], -1
	s_cbranch_scc0 .LBB167_231
; %bb.228:
	s_cmp_eq_u32 s51, 15
	s_mov_b64 s[0:1], -1
	s_cbranch_scc0 .LBB167_230
; %bb.229:
	v_cvt_f32_i32_sdwa v2, sext(v4) dst_sel:DWORD dst_unused:UNUSED_PAD src0_sel:WORD_0
	s_movk_i32 s0, 0x7fff
	s_mov_b64 s[36:37], -1
	v_bfe_u32 v3, v2, 16, 1
	v_add3_u32 v2, v2, v3, s0
	global_store_short_d16_hi v[0:1], v2, off
	s_mov_b64 s[0:1], 0
.LBB167_230:
	s_mov_b64 s[44:45], 0
.LBB167_231:
	s_and_b64 vcc, exec, s[44:45]
	s_cbranch_vccz .LBB167_234
; %bb.232:
	s_cmp_eq_u32 s51, 11
	s_mov_b64 s[0:1], -1
	s_cbranch_scc0 .LBB167_234
; %bb.233:
	v_cmp_ne_u16_e32 vcc, 0, v4
	v_cndmask_b32_e64 v2, 0, 1, vcc
	s_mov_b64 s[36:37], -1
	s_mov_b64 s[0:1], 0
	global_store_byte v[0:1], v2, off
.LBB167_234:
	s_mov_b64 s[44:45], 0
.LBB167_235:
	s_and_b64 vcc, exec, s[44:45]
	s_cbranch_vccz .LBB167_274
; %bb.236:
	s_and_b32 s44, 0xffff, s50
	s_cmp_lt_i32 s44, 5
	s_mov_b64 s[36:37], -1
	s_cbranch_scc1 .LBB167_257
; %bb.237:
	s_cmp_lt_i32 s44, 8
	s_cbranch_scc1 .LBB167_247
; %bb.238:
	s_cmp_lt_i32 s44, 9
	s_cbranch_scc1 .LBB167_244
; %bb.239:
	s_cmp_gt_i32 s44, 9
	s_cbranch_scc0 .LBB167_241
; %bb.240:
	v_bfe_i32 v2, v4, 0, 16
	v_cvt_f64_i32_e32 v[5:6], v2
	v_mov_b32_e32 v7, 0
	v_mov_b32_e32 v8, v7
	s_mov_b64 s[36:37], 0
	global_store_dwordx4 v[0:1], v[5:8], off
.LBB167_241:
	s_andn2_b64 vcc, exec, s[36:37]
	s_cbranch_vccnz .LBB167_243
; %bb.242:
	v_cvt_f32_i32_sdwa v2, sext(v4) dst_sel:DWORD dst_unused:UNUSED_PAD src0_sel:WORD_0
	v_mov_b32_e32 v3, 0
	global_store_dwordx2 v[0:1], v[2:3], off
.LBB167_243:
	s_mov_b64 s[36:37], 0
.LBB167_244:
	s_andn2_b64 vcc, exec, s[36:37]
	s_cbranch_vccnz .LBB167_246
; %bb.245:
	v_cvt_f16_i16_e32 v2, v4
	global_store_dword v[0:1], v2, off
.LBB167_246:
	s_mov_b64 s[36:37], 0
.LBB167_247:
	s_andn2_b64 vcc, exec, s[36:37]
	s_cbranch_vccnz .LBB167_256
; %bb.248:
	s_cmp_lt_i32 s44, 6
	s_mov_b64 s[36:37], -1
	s_cbranch_scc1 .LBB167_254
; %bb.249:
	s_cmp_gt_i32 s44, 6
	s_cbranch_scc0 .LBB167_251
; %bb.250:
	v_bfe_i32 v2, v4, 0, 16
	v_cvt_f64_i32_e32 v[2:3], v2
	s_mov_b64 s[36:37], 0
	global_store_dwordx2 v[0:1], v[2:3], off
.LBB167_251:
	s_andn2_b64 vcc, exec, s[36:37]
	s_cbranch_vccnz .LBB167_253
; %bb.252:
	v_cvt_f32_i32_sdwa v2, sext(v4) dst_sel:DWORD dst_unused:UNUSED_PAD src0_sel:WORD_0
	global_store_dword v[0:1], v2, off
.LBB167_253:
	s_mov_b64 s[36:37], 0
.LBB167_254:
	s_andn2_b64 vcc, exec, s[36:37]
	s_cbranch_vccnz .LBB167_256
; %bb.255:
	v_cvt_f16_i16_e32 v2, v4
	global_store_short v[0:1], v2, off
.LBB167_256:
	s_mov_b64 s[36:37], 0
.LBB167_257:
	s_andn2_b64 vcc, exec, s[36:37]
	s_cbranch_vccnz .LBB167_273
; %bb.258:
	s_cmp_lt_i32 s44, 2
	s_mov_b64 s[36:37], -1
	s_cbranch_scc1 .LBB167_268
; %bb.259:
	s_cmp_lt_i32 s44, 3
	s_cbranch_scc1 .LBB167_265
; %bb.260:
	s_cmp_gt_i32 s44, 3
	v_bfe_i32 v2, v4, 0, 16
	s_cbranch_scc0 .LBB167_262
; %bb.261:
	v_ashrrev_i32_e32 v3, 31, v2
	global_store_dwordx2 v[0:1], v[2:3], off
	s_mov_b64 s[36:37], 0
.LBB167_262:
	s_andn2_b64 vcc, exec, s[36:37]
	s_cbranch_vccnz .LBB167_264
; %bb.263:
	global_store_dword v[0:1], v2, off
.LBB167_264:
	s_mov_b64 s[36:37], 0
.LBB167_265:
	s_andn2_b64 vcc, exec, s[36:37]
	s_cbranch_vccnz .LBB167_267
; %bb.266:
	global_store_short v[0:1], v4, off
.LBB167_267:
	s_mov_b64 s[36:37], 0
.LBB167_268:
	s_andn2_b64 vcc, exec, s[36:37]
	s_cbranch_vccnz .LBB167_273
; %bb.269:
	s_cmp_gt_i32 s44, 0
	s_mov_b64 s[36:37], -1
	s_cbranch_scc0 .LBB167_271
; %bb.270:
	global_store_byte v[0:1], v4, off
	s_mov_b64 s[36:37], 0
.LBB167_271:
	s_andn2_b64 vcc, exec, s[36:37]
	s_cbranch_vccnz .LBB167_273
; %bb.272:
	global_store_byte v[0:1], v4, off
.LBB167_273:
	s_mov_b64 s[36:37], -1
.LBB167_274:
	s_andn2_b64 vcc, exec, s[36:37]
	s_cbranch_vccnz .LBB167_276
; %bb.275:
	v_add_u32_e32 v10, 0x80, v10
	s_mov_b64 s[44:45], -1
	s_branch .LBB167_385
.LBB167_276:
	s_mov_b64 s[44:45], 0
                                        ; implicit-def: $vgpr10
	s_branch .LBB167_385
.LBB167_277:
	s_mov_b64 s[38:39], -1
                                        ; implicit-def: $vgpr4
.LBB167_278:
	s_mov_b64 s[36:37], 0
.LBB167_279:
	s_and_b64 vcc, exec, s[36:37]
	s_cbranch_vccz .LBB167_283
; %bb.280:
	s_cmp_eq_u32 s45, 29
	s_cbranch_scc0 .LBB167_282
; %bb.281:
	global_load_dwordx2 v[4:5], v[2:3], off
	s_mov_b64 s[0:1], -1
	s_mov_b64 s[38:39], 0
	s_branch .LBB167_283
.LBB167_282:
	s_mov_b64 s[38:39], -1
                                        ; implicit-def: $vgpr4
.LBB167_283:
	s_mov_b64 s[36:37], 0
.LBB167_284:
	s_and_b64 vcc, exec, s[36:37]
	s_cbranch_vccz .LBB167_300
; %bb.285:
	s_cmp_lt_i32 s45, 27
	s_cbranch_scc1 .LBB167_288
; %bb.286:
	s_cmp_gt_i32 s45, 27
	s_cbranch_scc0 .LBB167_289
; %bb.287:
	global_load_dword v4, v[2:3], off
	s_mov_b64 s[0:1], 0
	s_branch .LBB167_290
.LBB167_288:
	s_mov_b64 s[0:1], -1
                                        ; implicit-def: $vgpr4
	s_branch .LBB167_293
.LBB167_289:
	s_mov_b64 s[0:1], -1
                                        ; implicit-def: $vgpr4
.LBB167_290:
	s_andn2_b64 vcc, exec, s[0:1]
	s_cbranch_vccnz .LBB167_292
; %bb.291:
	global_load_ushort v4, v[2:3], off
.LBB167_292:
	s_mov_b64 s[0:1], 0
.LBB167_293:
	s_andn2_b64 vcc, exec, s[0:1]
	s_cbranch_vccnz .LBB167_299
; %bb.294:
	global_load_ubyte v5, v[2:3], off
	s_movk_i32 s0, 0x7f
	s_mov_b64 s[36:37], 0
	s_waitcnt vmcnt(0)
	v_cmp_lt_i16_e32 vcc, s0, v5
	s_and_saveexec_b64 s[0:1], vcc
	s_xor_b64 s[0:1], exec, s[0:1]
	s_cbranch_execz .LBB167_311
; %bb.295:
	s_movk_i32 s36, 0x80
	v_cmp_ne_u16_e32 vcc, s36, v5
	s_and_b64 s[36:37], vcc, exec
	s_andn2_saveexec_b64 s[0:1], s[0:1]
	s_cbranch_execnz .LBB167_312
.LBB167_296:
	s_or_b64 exec, exec, s[0:1]
	v_mov_b32_e32 v4, 0
	s_and_saveexec_b64 s[0:1], s[36:37]
	s_cbranch_execz .LBB167_298
.LBB167_297:
	v_lshlrev_b32_e32 v4, 24, v5
	v_and_b32_e32 v5, 0xffff, v5
	v_and_b32_e32 v6, 7, v5
	v_ffbh_u32_e32 v8, v6
	v_min_u32_e32 v8, 32, v8
	v_subrev_u32_e32 v9, 28, v8
	v_bfe_u32 v7, v5, 3, 4
	v_lshlrev_b32_e32 v5, v9, v5
	v_sub_u32_e32 v8, 29, v8
	v_and_b32_e32 v5, 7, v5
	v_cmp_eq_u32_e32 vcc, 0, v7
	v_cndmask_b32_e32 v7, v7, v8, vcc
	v_cndmask_b32_e32 v5, v6, v5, vcc
	v_mov_b32_e32 v6, 0x3b800000
	v_lshlrev_b32_e32 v5, 20, v5
	v_and_b32_e32 v4, 0x80000000, v4
	v_lshl_add_u32 v6, v7, 23, v6
	v_or3_b32 v4, v4, v6, v5
	v_cvt_i32_f32_e32 v4, v4
.LBB167_298:
	s_or_b64 exec, exec, s[0:1]
.LBB167_299:
	s_mov_b64 s[0:1], -1
.LBB167_300:
	s_mov_b64 s[36:37], 0
.LBB167_301:
	s_and_b64 vcc, exec, s[36:37]
	s_cbranch_vccz .LBB167_334
; %bb.302:
	s_cmp_gt_i32 s45, 22
	s_cbranch_scc0 .LBB167_310
; %bb.303:
	s_cmp_lt_i32 s45, 24
	s_cbranch_scc1 .LBB167_313
; %bb.304:
	s_cmp_gt_i32 s45, 24
	s_cbranch_scc0 .LBB167_314
; %bb.305:
	global_load_ubyte v5, v[2:3], off
	s_movk_i32 s0, 0x7f
	s_mov_b64 s[36:37], 0
	s_waitcnt vmcnt(0)
	v_cmp_lt_i16_e32 vcc, s0, v5
	s_and_saveexec_b64 s[0:1], vcc
	s_xor_b64 s[0:1], exec, s[0:1]
	s_cbranch_execz .LBB167_326
; %bb.306:
	s_movk_i32 s36, 0x80
	v_cmp_ne_u16_e32 vcc, s36, v5
	s_and_b64 s[36:37], vcc, exec
	s_andn2_saveexec_b64 s[0:1], s[0:1]
	s_cbranch_execnz .LBB167_327
.LBB167_307:
	s_or_b64 exec, exec, s[0:1]
	v_mov_b32_e32 v4, 0
	s_and_saveexec_b64 s[0:1], s[36:37]
	s_cbranch_execz .LBB167_309
.LBB167_308:
	v_lshlrev_b32_e32 v4, 24, v5
	v_and_b32_e32 v5, 0xffff, v5
	v_and_b32_e32 v6, 3, v5
	v_ffbh_u32_e32 v8, v6
	v_min_u32_e32 v8, 32, v8
	v_subrev_u32_e32 v9, 29, v8
	v_bfe_u32 v7, v5, 2, 5
	v_lshlrev_b32_e32 v5, v9, v5
	v_sub_u32_e32 v8, 30, v8
	v_and_b32_e32 v5, 3, v5
	v_cmp_eq_u32_e32 vcc, 0, v7
	v_cndmask_b32_e32 v7, v7, v8, vcc
	v_cndmask_b32_e32 v5, v6, v5, vcc
	v_mov_b32_e32 v6, 0x37800000
	v_lshlrev_b32_e32 v5, 21, v5
	v_and_b32_e32 v4, 0x80000000, v4
	v_lshl_add_u32 v6, v7, 23, v6
	v_or3_b32 v4, v4, v6, v5
	v_cvt_i32_f32_e32 v4, v4
.LBB167_309:
	s_or_b64 exec, exec, s[0:1]
	s_mov_b64 s[0:1], 0
	s_branch .LBB167_315
.LBB167_310:
	s_mov_b64 s[36:37], -1
                                        ; implicit-def: $vgpr4
	s_branch .LBB167_321
.LBB167_311:
	s_andn2_saveexec_b64 s[0:1], s[0:1]
	s_cbranch_execz .LBB167_296
.LBB167_312:
	v_cmp_ne_u16_e32 vcc, 0, v5
	s_andn2_b64 s[36:37], s[36:37], exec
	s_and_b64 s[48:49], vcc, exec
	s_or_b64 s[36:37], s[36:37], s[48:49]
	s_or_b64 exec, exec, s[0:1]
	v_mov_b32_e32 v4, 0
	s_and_saveexec_b64 s[0:1], s[36:37]
	s_cbranch_execnz .LBB167_297
	s_branch .LBB167_298
.LBB167_313:
	s_mov_b64 s[0:1], -1
                                        ; implicit-def: $vgpr4
	s_branch .LBB167_318
.LBB167_314:
	s_mov_b64 s[0:1], -1
                                        ; implicit-def: $vgpr4
.LBB167_315:
	s_and_b64 vcc, exec, s[0:1]
	s_cbranch_vccz .LBB167_317
; %bb.316:
	global_load_ubyte v4, v[2:3], off
	s_mov_b32 s0, 0x7f800000
	s_waitcnt vmcnt(0)
	v_lshlrev_b32_e32 v4, 24, v4
	v_and_b32_e32 v5, 0x7f000000, v4
	v_ffbh_u32_e32 v6, v5
	v_min_u32_e32 v6, 32, v6
	v_sub_u32_e64 v6, v6, 4 clamp
	v_lshlrev_b32_e32 v8, v6, v5
	v_lshlrev_b32_e32 v6, 23, v6
	v_lshrrev_b32_e32 v8, 4, v8
	v_add_u32_e32 v7, 0x1000000, v5
	v_sub_u32_e32 v6, v8, v6
	v_ashrrev_i32_e32 v7, 8, v7
	v_add_u32_e32 v6, 0x3c000000, v6
	v_and_or_b32 v6, v7, s0, v6
	v_cmp_ne_u32_e32 vcc, 0, v5
	v_cndmask_b32_e32 v5, 0, v6, vcc
	s_brev_b32 s0, 1
	v_and_or_b32 v4, v4, s0, v5
	v_cvt_i32_f32_e32 v4, v4
.LBB167_317:
	s_mov_b64 s[0:1], 0
.LBB167_318:
	s_andn2_b64 vcc, exec, s[0:1]
	s_cbranch_vccnz .LBB167_320
; %bb.319:
	global_load_ubyte v4, v[2:3], off
	s_movk_i32 s0, 0x7f00
	s_brev_b32 s1, 16
	s_waitcnt vmcnt(0)
	v_lshlrev_b16_e32 v5, 8, v4
	v_lshlrev_b32_e32 v4, 25, v4
	v_lshrrev_b32_e32 v6, 4, v4
	v_and_or_b32 v7, v5, s0, 0.5
	v_or_b32_e32 v6, 0x70000000, v6
	v_add_f32_e32 v7, -0.5, v7
	v_mul_f32_e32 v6, 0x7800000, v6
	v_cmp_gt_u32_e32 vcc, s1, v4
	v_bfe_i32 v5, v5, 0, 16
	v_cndmask_b32_e32 v4, v6, v7, vcc
	s_brev_b32 s0, 1
	v_and_or_b32 v4, v5, s0, v4
	v_cvt_i32_f32_e32 v4, v4
.LBB167_320:
	s_mov_b64 s[36:37], 0
	s_mov_b64 s[0:1], -1
.LBB167_321:
	s_andn2_b64 vcc, exec, s[36:37]
	s_cbranch_vccnz .LBB167_334
; %bb.322:
	s_cmp_gt_i32 s45, 14
	s_cbranch_scc0 .LBB167_325
; %bb.323:
	s_cmp_eq_u32 s45, 15
	s_cbranch_scc0 .LBB167_328
; %bb.324:
	global_load_ushort v4, v[2:3], off
	s_mov_b64 s[0:1], -1
	s_mov_b64 s[38:39], 0
	s_waitcnt vmcnt(0)
	v_lshlrev_b32_e32 v4, 16, v4
	v_cvt_i32_f32_e32 v4, v4
	s_branch .LBB167_329
.LBB167_325:
	s_mov_b64 s[36:37], -1
                                        ; implicit-def: $vgpr4
	s_branch .LBB167_330
.LBB167_326:
	s_andn2_saveexec_b64 s[0:1], s[0:1]
	s_cbranch_execz .LBB167_307
.LBB167_327:
	v_cmp_ne_u16_e32 vcc, 0, v5
	s_andn2_b64 s[36:37], s[36:37], exec
	s_and_b64 s[48:49], vcc, exec
	s_or_b64 s[36:37], s[36:37], s[48:49]
	s_or_b64 exec, exec, s[0:1]
	v_mov_b32_e32 v4, 0
	s_and_saveexec_b64 s[0:1], s[36:37]
	s_cbranch_execnz .LBB167_308
	s_branch .LBB167_309
.LBB167_328:
	s_mov_b64 s[38:39], -1
                                        ; implicit-def: $vgpr4
.LBB167_329:
	s_mov_b64 s[36:37], 0
.LBB167_330:
	s_and_b64 vcc, exec, s[36:37]
	s_cbranch_vccz .LBB167_334
; %bb.331:
	s_cmp_eq_u32 s45, 11
	s_cbranch_scc0 .LBB167_333
; %bb.332:
	global_load_ubyte v4, v[2:3], off
	s_mov_b64 s[0:1], -1
	s_mov_b64 s[38:39], 0
	s_waitcnt vmcnt(0)
	v_cmp_ne_u16_e32 vcc, 0, v4
	v_cndmask_b32_e64 v4, 0, 1, vcc
	s_branch .LBB167_334
.LBB167_333:
	s_mov_b64 s[38:39], -1
                                        ; implicit-def: $vgpr4
.LBB167_334:
	s_branch .LBB167_31
.LBB167_335:
	s_and_b32 s36, 0xffff, s44
	s_cmp_lt_i32 s36, 5
	s_cbranch_scc1 .LBB167_340
; %bb.336:
	s_cmp_lt_i32 s36, 8
	s_cbranch_scc1 .LBB167_341
; %bb.337:
	;; [unrolled: 3-line block ×3, first 2 shown]
	s_cmp_gt_i32 s36, 9
	s_cbranch_scc0 .LBB167_343
; %bb.339:
	global_load_dwordx2 v[4:5], v[2:3], off
	s_mov_b64 s[0:1], 0
	s_waitcnt vmcnt(0)
	v_cvt_i32_f64_e32 v4, v[4:5]
	s_branch .LBB167_344
.LBB167_340:
	s_mov_b64 s[0:1], -1
                                        ; implicit-def: $vgpr4
	s_branch .LBB167_362
.LBB167_341:
	s_mov_b64 s[0:1], -1
                                        ; implicit-def: $vgpr4
	s_branch .LBB167_350
.LBB167_342:
	s_mov_b64 s[0:1], -1
                                        ; implicit-def: $vgpr4
	s_branch .LBB167_347
.LBB167_343:
	s_mov_b64 s[0:1], -1
                                        ; implicit-def: $vgpr4
.LBB167_344:
	s_andn2_b64 vcc, exec, s[0:1]
	s_cbranch_vccnz .LBB167_346
; %bb.345:
	global_load_dword v4, v[2:3], off
	s_waitcnt vmcnt(0)
	v_cvt_i32_f32_e32 v4, v4
.LBB167_346:
	s_mov_b64 s[0:1], 0
.LBB167_347:
	s_andn2_b64 vcc, exec, s[0:1]
	s_cbranch_vccnz .LBB167_349
; %bb.348:
	global_load_dword v4, v[2:3], off
	s_waitcnt vmcnt(0)
	v_cvt_i16_f16_e32 v4, v4
.LBB167_349:
	s_mov_b64 s[0:1], 0
.LBB167_350:
	s_andn2_b64 vcc, exec, s[0:1]
	s_cbranch_vccnz .LBB167_361
; %bb.351:
	s_cmp_lt_i32 s36, 6
	s_cbranch_scc1 .LBB167_354
; %bb.352:
	s_cmp_gt_i32 s36, 6
	s_cbranch_scc0 .LBB167_355
; %bb.353:
	global_load_dwordx2 v[4:5], v[2:3], off
	s_mov_b64 s[0:1], 0
	s_waitcnt vmcnt(0)
	v_cvt_i32_f64_e32 v4, v[4:5]
	s_branch .LBB167_356
.LBB167_354:
	s_mov_b64 s[0:1], -1
                                        ; implicit-def: $vgpr4
	s_branch .LBB167_359
.LBB167_355:
	s_mov_b64 s[0:1], -1
                                        ; implicit-def: $vgpr4
.LBB167_356:
	s_andn2_b64 vcc, exec, s[0:1]
	s_cbranch_vccnz .LBB167_358
; %bb.357:
	global_load_dword v4, v[2:3], off
	s_waitcnt vmcnt(0)
	v_cvt_i32_f32_e32 v4, v4
.LBB167_358:
	s_mov_b64 s[0:1], 0
.LBB167_359:
	s_andn2_b64 vcc, exec, s[0:1]
	s_cbranch_vccnz .LBB167_361
; %bb.360:
	global_load_ushort v4, v[2:3], off
	s_waitcnt vmcnt(0)
	v_cvt_i16_f16_e32 v4, v4
.LBB167_361:
	s_mov_b64 s[0:1], 0
.LBB167_362:
	s_andn2_b64 vcc, exec, s[0:1]
	s_cbranch_vccnz .LBB167_382
; %bb.363:
	s_cmp_lt_i32 s36, 2
	s_cbranch_scc1 .LBB167_367
; %bb.364:
	s_cmp_lt_i32 s36, 3
	s_cbranch_scc1 .LBB167_368
; %bb.365:
	s_cmp_gt_i32 s36, 3
	s_cbranch_scc0 .LBB167_369
; %bb.366:
	global_load_dwordx2 v[4:5], v[2:3], off
	s_mov_b64 s[0:1], 0
	s_branch .LBB167_370
.LBB167_367:
	s_mov_b64 s[0:1], -1
                                        ; implicit-def: $vgpr4
	s_branch .LBB167_376
.LBB167_368:
	s_mov_b64 s[0:1], -1
                                        ; implicit-def: $vgpr4
	s_branch .LBB167_373
.LBB167_369:
	s_mov_b64 s[0:1], -1
                                        ; implicit-def: $vgpr4
.LBB167_370:
	s_andn2_b64 vcc, exec, s[0:1]
	s_cbranch_vccnz .LBB167_372
; %bb.371:
	global_load_dword v4, v[2:3], off
.LBB167_372:
	s_mov_b64 s[0:1], 0
.LBB167_373:
	s_andn2_b64 vcc, exec, s[0:1]
	s_cbranch_vccnz .LBB167_375
; %bb.374:
	global_load_ushort v4, v[2:3], off
.LBB167_375:
	s_mov_b64 s[0:1], 0
.LBB167_376:
	s_andn2_b64 vcc, exec, s[0:1]
	s_cbranch_vccnz .LBB167_382
; %bb.377:
	s_cmp_gt_i32 s36, 0
	s_cbranch_scc0 .LBB167_379
; %bb.378:
	global_load_ubyte v4, v[2:3], off
	s_mov_b64 s[0:1], 0
	s_branch .LBB167_380
.LBB167_379:
	s_mov_b64 s[0:1], -1
                                        ; implicit-def: $vgpr4
.LBB167_380:
	s_andn2_b64 vcc, exec, s[0:1]
	s_cbranch_vccnz .LBB167_382
; %bb.381:
	global_load_ubyte v4, v[2:3], off
.LBB167_382:
	s_branch .LBB167_32
.LBB167_383:
	s_mov_b64 s[0:1], 0
.LBB167_384:
                                        ; implicit-def: $vgpr10
	s_mov_b64 s[44:45], 0
.LBB167_385:
	s_and_b64 s[36:37], s[0:1], exec
	s_and_b64 s[38:39], s[38:39], exec
	;; [unrolled: 1-line block ×3, first 2 shown]
	s_orn2_b64 s[0:1], s[44:45], exec
.LBB167_386:
	s_or_b64 exec, exec, s[42:43]
	s_mov_b64 s[50:51], 0
	s_mov_b64 s[48:49], 0
                                        ; implicit-def: $sgpr73
                                        ; implicit-def: $vgpr4_vgpr5
                                        ; implicit-def: $vgpr0
                                        ; implicit-def: $vgpr3
                                        ; implicit-def: $vgpr1
	s_and_saveexec_b64 s[42:43], s[0:1]
	s_cbranch_execz .LBB167_394
; %bb.387:
	v_cmp_gt_i32_e32 vcc, s66, v10
	s_mov_b64 s[0:1], -1
	s_mov_b64 s[44:45], s[40:41]
	s_mov_b64 s[46:47], s[38:39]
	;; [unrolled: 1-line block ×3, first 2 shown]
	s_and_saveexec_b64 s[50:51], vcc
	s_cbranch_execz .LBB167_779
; %bb.388:
	s_andn2_b64 vcc, exec, s[20:21]
	s_cbranch_vccnz .LBB167_397
; %bb.389:
	s_andn2_b64 vcc, exec, s[34:35]
	s_cbranch_vccnz .LBB167_398
; %bb.390:
	s_add_i32 s0, s72, 1
	s_and_b32 s44, s0, 30
	s_add_u32 s0, s2, 0xffffffe8
	s_addc_u32 s1, s3, -1
	v_mov_b32_e32 v3, 0
	s_waitcnt vmcnt(0)
	v_mov_b32_e32 v5, 0
	v_mov_b32_e32 v0, 0
	;; [unrolled: 1-line block ×3, first 2 shown]
.LBB167_391:                            ; =>This Inner Loop Header: Depth=1
	s_load_dwordx4 s[52:55], s[0:1], 0x1c
	s_load_dwordx2 s[46:47], s[0:1], 0x2c
	s_load_dwordx2 s[48:49], s[0:1], 0xec
	s_load_dwordx4 s[56:59], s[0:1], 0xdc
	s_add_u32 s0, s0, 24
	s_waitcnt lgkmcnt(0)
	v_mul_hi_u32 v2, s53, v1
	s_addc_u32 s1, s1, 0
	s_add_i32 s44, s44, -2
	s_cmp_eq_u32 s44, 0
	v_add_u32_e32 v2, v1, v2
	v_lshrrev_b32_e32 v2, s54, v2
	v_mul_lo_u32 v4, v2, s52
	v_mul_hi_u32 v6, s46, v2
	v_sub_u32_e32 v4, v1, v4
	v_add_u32_e32 v1, v2, v6
	v_lshrrev_b32_e32 v1, s47, v1
	v_mul_lo_u32 v8, v1, s55
	v_mul_lo_u32 v6, v4, s56
	;; [unrolled: 1-line block ×4, first 2 shown]
	v_sub_u32_e32 v2, v2, v8
	v_mul_lo_u32 v8, v2, s59
	v_mul_lo_u32 v9, v2, s48
	;; [unrolled: 1-line block ×3, first 2 shown]
	v_add3_u32 v0, v6, v0, v8
	v_add3_u32 v5, v7, v5, v9
	;; [unrolled: 1-line block ×3, first 2 shown]
	s_cbranch_scc0 .LBB167_391
; %bb.392:
	s_bitcmp1_b32 s72, 0
	s_cselect_b64 s[44:45], -1, 0
	s_and_b64 vcc, exec, s[44:45]
	s_cbranch_vccnz .LBB167_399
; %bb.393:
	s_load_dwordx2 s[44:45], s[0:1], 0x1c
	s_load_dword s48, s[0:1], 0x24
	s_load_dwordx2 s[46:47], s[0:1], 0xdc
	s_waitcnt lgkmcnt(0)
	v_mul_hi_u32 v2, s45, v1
	v_add_u32_e32 v2, v1, v2
	v_lshrrev_b32_e32 v2, s48, v2
	v_mul_lo_u32 v2, v2, s44
	s_load_dword s44, s[0:1], 0xe4
	v_sub_u32_e32 v2, v1, v2
	v_mad_u64_u32 v[0:1], s[0:1], v2, s46, v[0:1]
	v_mad_u64_u32 v[5:6], s[0:1], v2, s47, v[5:6]
	s_waitcnt lgkmcnt(0)
	v_mad_u64_u32 v[3:4], s[0:1], v2, s44, v[3:4]
	s_branch .LBB167_399
.LBB167_394:
	s_or_b64 exec, exec, s[42:43]
	s_waitcnt lgkmcnt(0)
	s_mov_b64 s[10:11], 0
	s_and_saveexec_b64 s[0:1], s[40:41]
	s_cbranch_execnz .LBB167_1265
.LBB167_395:
	s_or_b64 exec, exec, s[0:1]
	s_and_saveexec_b64 s[0:1], s[46:47]
	s_xor_b64 s[0:1], exec, s[0:1]
	s_cbranch_execz .LBB167_1266
.LBB167_396:
	s_waitcnt vmcnt(0)
	global_load_ubyte v1, v[4:5], off
	s_or_b64 s[48:49], s[48:49], exec
	s_waitcnt vmcnt(0)
	v_cmp_ne_u16_e32 vcc, 0, v1
	v_cndmask_b32_e64 v1, 0, 1, vcc
	s_or_b64 exec, exec, s[0:1]
	s_and_saveexec_b64 s[0:1], s[50:51]
	s_cbranch_execz .LBB167_1312
	s_branch .LBB167_1267
.LBB167_397:
                                        ; implicit-def: $vgpr0
                                        ; implicit-def: $vgpr5
                                        ; implicit-def: $vgpr3
	s_andn2_b64 vcc, exec, s[0:1]
	s_cbranch_vccz .LBB167_400
	s_branch .LBB167_402
.LBB167_398:
	v_mov_b32_e32 v0, 0
	s_waitcnt vmcnt(0)
	v_mov_b32_e32 v5, 0
	v_mov_b32_e32 v3, 0
.LBB167_399:
	s_cbranch_execnz .LBB167_402
.LBB167_400:
	s_waitcnt lgkmcnt(0)
	v_mul_hi_u32 v0, s17, v10
	s_andn2_b64 vcc, exec, s[30:31]
	v_add_u32_e32 v0, v10, v0
	s_waitcnt vmcnt(0)
	v_lshrrev_b32_e32 v1, s18, v0
	v_mul_lo_u32 v0, v1, s16
	v_sub_u32_e32 v2, v10, v0
	v_mul_lo_u32 v0, v2, s12
	v_mul_lo_u32 v5, v2, s13
	;; [unrolled: 1-line block ×3, first 2 shown]
	s_cbranch_vccnz .LBB167_402
; %bb.401:
	v_mul_hi_u32 v2, s28, v1
	v_add_u32_e32 v2, v1, v2
	v_lshrrev_b32_e32 v2, s29, v2
	v_mul_lo_u32 v2, v2, s19
	v_sub_u32_e32 v2, v1, v2
	v_mad_u64_u32 v[0:1], s[0:1], v2, s15, v[0:1]
	v_mad_u64_u32 v[5:6], s[0:1], v2, s26, v[5:6]
	v_mad_u64_u32 v[3:4], s[0:1], v2, s27, v[3:4]
.LBB167_402:
	s_waitcnt vmcnt(0) lgkmcnt(0)
	v_mov_b32_e32 v1, s11
	s_and_b32 s48, s71, 0xff
	v_add_co_u32_e32 v4, vcc, s10, v5
	s_cmp_lt_i32 s48, 11
	v_addc_co_u32_e32 v5, vcc, 0, v1, vcc
	s_cbranch_scc1 .LBB167_409
; %bb.403:
	s_and_b32 s49, 0xffff, s48
	s_cmp_gt_i32 s49, 25
	s_cbranch_scc0 .LBB167_418
; %bb.404:
	s_cmp_gt_i32 s49, 28
	s_cbranch_scc0 .LBB167_420
; %bb.405:
	;; [unrolled: 3-line block ×4, first 2 shown]
	s_cmp_eq_u32 s49, 46
	s_mov_b64 s[46:47], 0
	s_cbranch_scc0 .LBB167_428
; %bb.408:
	global_load_dword v1, v[4:5], off
	s_mov_b64 s[0:1], -1
	s_mov_b64 s[44:45], 0
	s_waitcnt vmcnt(0)
	v_lshlrev_b32_e32 v1, 16, v1
	v_cvt_i32_f32_e32 v1, v1
	s_branch .LBB167_429
.LBB167_409:
	s_mov_b64 s[0:1], 0
                                        ; implicit-def: $vgpr1
	s_mov_b64 s[44:45], s[40:41]
	s_cbranch_execnz .LBB167_491
.LBB167_410:
	s_andn2_b64 vcc, exec, s[0:1]
	s_cbranch_vccnz .LBB167_539
.LBB167_411:
	v_mov_b32_e32 v4, s25
	s_and_b32 s52, s70, 0xff
	s_waitcnt vmcnt(0)
	v_add_co_u32_e32 v2, vcc, s24, v3
	s_cmp_lt_i32 s52, 11
	v_addc_co_u32_e32 v3, vcc, 0, v4, vcc
	s_cbranch_scc1 .LBB167_419
; %bb.412:
	s_and_b32 s53, 0xffff, s52
	s_cmp_gt_i32 s53, 25
	s_cbranch_scc0 .LBB167_421
; %bb.413:
	s_cmp_gt_i32 s53, 28
	s_cbranch_scc0 .LBB167_423
; %bb.414:
	;; [unrolled: 3-line block ×4, first 2 shown]
	s_cmp_eq_u32 s53, 46
	s_mov_b64 s[48:49], 0
	s_cbranch_scc0 .LBB167_543
; %bb.417:
	global_load_dword v4, v[2:3], off
	s_mov_b64 s[0:1], -1
	s_mov_b64 s[46:47], 0
	s_waitcnt vmcnt(0)
	v_lshlrev_b32_e32 v4, 16, v4
	v_cvt_i32_f32_e32 v4, v4
	s_branch .LBB167_544
.LBB167_418:
	s_mov_b64 s[46:47], -1
	s_mov_b64 s[0:1], 0
	s_mov_b64 s[44:45], s[40:41]
                                        ; implicit-def: $vgpr1
	s_branch .LBB167_457
.LBB167_419:
	s_mov_b64 s[48:49], -1
	s_mov_b64 s[0:1], 0
                                        ; implicit-def: $vgpr4
	s_mov_b64 s[46:47], s[38:39]
	s_branch .LBB167_605
.LBB167_420:
	s_mov_b64 s[46:47], -1
	s_mov_b64 s[0:1], 0
	s_mov_b64 s[44:45], s[40:41]
                                        ; implicit-def: $vgpr1
	s_branch .LBB167_440
.LBB167_421:
	s_mov_b64 s[48:49], -1
	s_mov_b64 s[0:1], 0
	s_mov_b64 s[46:47], s[38:39]
                                        ; implicit-def: $vgpr4
	s_branch .LBB167_571
.LBB167_422:
	s_mov_b64 s[46:47], -1
	s_mov_b64 s[0:1], 0
	s_mov_b64 s[44:45], s[40:41]
                                        ; implicit-def: $vgpr1
	s_branch .LBB167_435
.LBB167_423:
	s_mov_b64 s[48:49], -1
	s_mov_b64 s[0:1], 0
	s_mov_b64 s[46:47], s[38:39]
                                        ; implicit-def: $vgpr4
	s_branch .LBB167_554
.LBB167_424:
	s_mov_b64 s[46:47], -1
	s_mov_b64 s[0:1], 0
	s_mov_b64 s[44:45], s[40:41]
                                        ; implicit-def: $vgpr1
	s_branch .LBB167_429
.LBB167_425:
	s_mov_b64 s[48:49], -1
	s_mov_b64 s[0:1], 0
	s_mov_b64 s[46:47], s[38:39]
                                        ; implicit-def: $vgpr4
	s_branch .LBB167_549
.LBB167_426:
	s_andn2_saveexec_b64 s[48:49], s[48:49]
	s_cbranch_execz .LBB167_187
.LBB167_427:
	s_mov_b32 s52, 0x46000000
	v_add_f32_e64 v3, |v2|, s52
	v_and_b32_e32 v3, 0xff, v3
	v_cmp_ne_u32_e32 vcc, 0, v3
	s_andn2_b64 s[44:45], s[44:45], exec
	s_and_b64 s[52:53], vcc, exec
	s_or_b64 s[44:45], s[44:45], s[52:53]
	s_or_b64 exec, exec, s[48:49]
	v_mov_b32_e32 v5, 0
	s_and_saveexec_b64 s[48:49], s[44:45]
	s_cbranch_execnz .LBB167_188
	s_branch .LBB167_189
.LBB167_428:
	s_mov_b64 s[44:45], -1
                                        ; implicit-def: $vgpr1
	s_mov_b64 s[0:1], 0
.LBB167_429:
	s_and_b64 vcc, exec, s[46:47]
	s_cbranch_vccz .LBB167_434
; %bb.430:
	s_cmp_eq_u32 s49, 44
	s_cbranch_scc0 .LBB167_433
; %bb.431:
	global_load_ubyte v1, v[4:5], off
	s_mov_b64 s[0:1], -1
	s_mov_b64 s[44:45], 0
	s_waitcnt vmcnt(0)
	v_lshlrev_b32_e32 v2, 23, v1
	v_cvt_i32_f32_e32 v2, v2
	v_cmp_ne_u32_e32 vcc, 0, v1
	v_cndmask_b32_e32 v1, 0, v2, vcc
	s_branch .LBB167_434
.LBB167_432:
	s_mov_b64 s[48:49], -1
	s_mov_b64 s[0:1], 0
	s_mov_b64 s[46:47], s[38:39]
                                        ; implicit-def: $vgpr4
	s_branch .LBB167_544
.LBB167_433:
	s_mov_b64 s[44:45], -1
                                        ; implicit-def: $vgpr1
.LBB167_434:
	s_mov_b64 s[46:47], 0
.LBB167_435:
	s_and_b64 vcc, exec, s[46:47]
	s_cbranch_vccz .LBB167_439
; %bb.436:
	s_cmp_eq_u32 s49, 29
	s_cbranch_scc0 .LBB167_438
; %bb.437:
	global_load_dwordx2 v[1:2], v[4:5], off
	s_mov_b64 s[0:1], -1
	s_mov_b64 s[44:45], 0
	s_branch .LBB167_439
.LBB167_438:
	s_mov_b64 s[44:45], -1
                                        ; implicit-def: $vgpr1
.LBB167_439:
	s_mov_b64 s[46:47], 0
.LBB167_440:
	s_and_b64 vcc, exec, s[46:47]
	s_cbranch_vccz .LBB167_456
; %bb.441:
	s_cmp_lt_i32 s49, 27
	s_cbranch_scc1 .LBB167_444
; %bb.442:
	s_cmp_gt_i32 s49, 27
	s_cbranch_scc0 .LBB167_445
; %bb.443:
	global_load_dword v1, v[4:5], off
	s_mov_b64 s[0:1], 0
	s_branch .LBB167_446
.LBB167_444:
	s_mov_b64 s[0:1], -1
                                        ; implicit-def: $vgpr1
	s_branch .LBB167_449
.LBB167_445:
	s_mov_b64 s[0:1], -1
                                        ; implicit-def: $vgpr1
.LBB167_446:
	s_andn2_b64 vcc, exec, s[0:1]
	s_cbranch_vccnz .LBB167_448
; %bb.447:
	global_load_ushort v1, v[4:5], off
.LBB167_448:
	s_mov_b64 s[0:1], 0
.LBB167_449:
	s_andn2_b64 vcc, exec, s[0:1]
	s_cbranch_vccnz .LBB167_455
; %bb.450:
	global_load_ubyte v2, v[4:5], off
	s_movk_i32 s0, 0x7f
	s_mov_b64 s[46:47], 0
	s_waitcnt vmcnt(0)
	v_cmp_lt_i16_e32 vcc, s0, v2
	s_and_saveexec_b64 s[0:1], vcc
	s_xor_b64 s[0:1], exec, s[0:1]
	s_cbranch_execz .LBB167_467
; %bb.451:
	s_movk_i32 s46, 0x80
	v_cmp_ne_u16_e32 vcc, s46, v2
	s_and_b64 s[46:47], vcc, exec
	s_andn2_saveexec_b64 s[0:1], s[0:1]
	s_cbranch_execnz .LBB167_468
.LBB167_452:
	s_or_b64 exec, exec, s[0:1]
	v_mov_b32_e32 v1, 0
	s_and_saveexec_b64 s[0:1], s[46:47]
	s_cbranch_execz .LBB167_454
.LBB167_453:
	v_lshlrev_b32_e32 v1, 24, v2
	v_and_b32_e32 v2, 0xffff, v2
	v_and_b32_e32 v6, 7, v2
	v_ffbh_u32_e32 v8, v6
	v_min_u32_e32 v8, 32, v8
	v_subrev_u32_e32 v9, 28, v8
	v_bfe_u32 v7, v2, 3, 4
	v_lshlrev_b32_e32 v2, v9, v2
	v_sub_u32_e32 v8, 29, v8
	v_and_b32_e32 v2, 7, v2
	v_cmp_eq_u32_e32 vcc, 0, v7
	v_cndmask_b32_e32 v7, v7, v8, vcc
	v_cndmask_b32_e32 v2, v6, v2, vcc
	v_mov_b32_e32 v6, 0x3b800000
	v_lshlrev_b32_e32 v2, 20, v2
	v_and_b32_e32 v1, 0x80000000, v1
	v_lshl_add_u32 v6, v7, 23, v6
	v_or3_b32 v1, v1, v6, v2
	v_cvt_i32_f32_e32 v1, v1
.LBB167_454:
	s_or_b64 exec, exec, s[0:1]
.LBB167_455:
	s_mov_b64 s[0:1], -1
.LBB167_456:
	s_mov_b64 s[46:47], 0
.LBB167_457:
	s_and_b64 vcc, exec, s[46:47]
	s_cbranch_vccz .LBB167_490
; %bb.458:
	s_cmp_gt_i32 s49, 22
	s_cbranch_scc0 .LBB167_466
; %bb.459:
	s_cmp_lt_i32 s49, 24
	s_cbranch_scc1 .LBB167_469
; %bb.460:
	s_cmp_gt_i32 s49, 24
	s_cbranch_scc0 .LBB167_470
; %bb.461:
	global_load_ubyte v2, v[4:5], off
	s_movk_i32 s0, 0x7f
	s_mov_b64 s[46:47], 0
	s_waitcnt vmcnt(0)
	v_cmp_lt_i16_e32 vcc, s0, v2
	s_and_saveexec_b64 s[0:1], vcc
	s_xor_b64 s[0:1], exec, s[0:1]
	s_cbranch_execz .LBB167_482
; %bb.462:
	s_movk_i32 s46, 0x80
	v_cmp_ne_u16_e32 vcc, s46, v2
	s_and_b64 s[46:47], vcc, exec
	s_andn2_saveexec_b64 s[0:1], s[0:1]
	s_cbranch_execnz .LBB167_483
.LBB167_463:
	s_or_b64 exec, exec, s[0:1]
	v_mov_b32_e32 v1, 0
	s_and_saveexec_b64 s[0:1], s[46:47]
	s_cbranch_execz .LBB167_465
.LBB167_464:
	v_lshlrev_b32_e32 v1, 24, v2
	v_and_b32_e32 v2, 0xffff, v2
	v_and_b32_e32 v6, 3, v2
	v_ffbh_u32_e32 v8, v6
	v_min_u32_e32 v8, 32, v8
	v_subrev_u32_e32 v9, 29, v8
	v_bfe_u32 v7, v2, 2, 5
	v_lshlrev_b32_e32 v2, v9, v2
	v_sub_u32_e32 v8, 30, v8
	v_and_b32_e32 v2, 3, v2
	v_cmp_eq_u32_e32 vcc, 0, v7
	v_cndmask_b32_e32 v7, v7, v8, vcc
	v_cndmask_b32_e32 v2, v6, v2, vcc
	v_mov_b32_e32 v6, 0x37800000
	v_lshlrev_b32_e32 v2, 21, v2
	v_and_b32_e32 v1, 0x80000000, v1
	v_lshl_add_u32 v6, v7, 23, v6
	v_or3_b32 v1, v1, v6, v2
	v_cvt_i32_f32_e32 v1, v1
.LBB167_465:
	s_or_b64 exec, exec, s[0:1]
	s_mov_b64 s[0:1], 0
	s_branch .LBB167_471
.LBB167_466:
	s_mov_b64 s[46:47], -1
                                        ; implicit-def: $vgpr1
	s_branch .LBB167_477
.LBB167_467:
	s_andn2_saveexec_b64 s[0:1], s[0:1]
	s_cbranch_execz .LBB167_452
.LBB167_468:
	v_cmp_ne_u16_e32 vcc, 0, v2
	s_andn2_b64 s[46:47], s[46:47], exec
	s_and_b64 s[52:53], vcc, exec
	s_or_b64 s[46:47], s[46:47], s[52:53]
	s_or_b64 exec, exec, s[0:1]
	v_mov_b32_e32 v1, 0
	s_and_saveexec_b64 s[0:1], s[46:47]
	s_cbranch_execnz .LBB167_453
	s_branch .LBB167_454
.LBB167_469:
	s_mov_b64 s[0:1], -1
                                        ; implicit-def: $vgpr1
	s_branch .LBB167_474
.LBB167_470:
	s_mov_b64 s[0:1], -1
                                        ; implicit-def: $vgpr1
.LBB167_471:
	s_and_b64 vcc, exec, s[0:1]
	s_cbranch_vccz .LBB167_473
; %bb.472:
	global_load_ubyte v1, v[4:5], off
	s_mov_b32 s0, 0x7f800000
	s_waitcnt vmcnt(0)
	v_lshlrev_b32_e32 v1, 24, v1
	v_and_b32_e32 v2, 0x7f000000, v1
	v_ffbh_u32_e32 v6, v2
	v_min_u32_e32 v6, 32, v6
	v_sub_u32_e64 v6, v6, 4 clamp
	v_lshlrev_b32_e32 v8, v6, v2
	v_lshlrev_b32_e32 v6, 23, v6
	v_lshrrev_b32_e32 v8, 4, v8
	v_add_u32_e32 v7, 0x1000000, v2
	v_sub_u32_e32 v6, v8, v6
	v_ashrrev_i32_e32 v7, 8, v7
	v_add_u32_e32 v6, 0x3c000000, v6
	v_and_or_b32 v6, v7, s0, v6
	v_cmp_ne_u32_e32 vcc, 0, v2
	v_cndmask_b32_e32 v2, 0, v6, vcc
	s_brev_b32 s0, 1
	v_and_or_b32 v1, v1, s0, v2
	v_cvt_i32_f32_e32 v1, v1
.LBB167_473:
	s_mov_b64 s[0:1], 0
.LBB167_474:
	s_andn2_b64 vcc, exec, s[0:1]
	s_cbranch_vccnz .LBB167_476
; %bb.475:
	global_load_ubyte v1, v[4:5], off
	s_movk_i32 s0, 0x7f00
	s_brev_b32 s1, 16
	s_waitcnt vmcnt(0)
	v_lshlrev_b16_e32 v2, 8, v1
	v_lshlrev_b32_e32 v1, 25, v1
	v_lshrrev_b32_e32 v6, 4, v1
	v_and_or_b32 v7, v2, s0, 0.5
	v_or_b32_e32 v6, 0x70000000, v6
	v_add_f32_e32 v7, -0.5, v7
	v_mul_f32_e32 v6, 0x7800000, v6
	v_cmp_gt_u32_e32 vcc, s1, v1
	v_bfe_i32 v2, v2, 0, 16
	v_cndmask_b32_e32 v1, v6, v7, vcc
	s_brev_b32 s0, 1
	v_and_or_b32 v1, v2, s0, v1
	v_cvt_i32_f32_e32 v1, v1
.LBB167_476:
	s_mov_b64 s[46:47], 0
	s_mov_b64 s[0:1], -1
.LBB167_477:
	s_andn2_b64 vcc, exec, s[46:47]
	s_cbranch_vccnz .LBB167_490
; %bb.478:
	s_cmp_gt_i32 s49, 14
	s_cbranch_scc0 .LBB167_481
; %bb.479:
	s_cmp_eq_u32 s49, 15
	s_cbranch_scc0 .LBB167_484
; %bb.480:
	global_load_ushort v1, v[4:5], off
	s_mov_b64 s[0:1], -1
	s_mov_b64 s[44:45], 0
	s_waitcnt vmcnt(0)
	v_lshlrev_b32_e32 v1, 16, v1
	v_cvt_i32_f32_e32 v1, v1
	s_branch .LBB167_485
.LBB167_481:
	s_mov_b64 s[46:47], -1
                                        ; implicit-def: $vgpr1
	s_branch .LBB167_486
.LBB167_482:
	s_andn2_saveexec_b64 s[0:1], s[0:1]
	s_cbranch_execz .LBB167_463
.LBB167_483:
	v_cmp_ne_u16_e32 vcc, 0, v2
	s_andn2_b64 s[46:47], s[46:47], exec
	s_and_b64 s[52:53], vcc, exec
	s_or_b64 s[46:47], s[46:47], s[52:53]
	s_or_b64 exec, exec, s[0:1]
	v_mov_b32_e32 v1, 0
	s_and_saveexec_b64 s[0:1], s[46:47]
	s_cbranch_execnz .LBB167_464
	s_branch .LBB167_465
.LBB167_484:
	s_mov_b64 s[44:45], -1
                                        ; implicit-def: $vgpr1
.LBB167_485:
	s_mov_b64 s[46:47], 0
.LBB167_486:
	s_and_b64 vcc, exec, s[46:47]
	s_cbranch_vccz .LBB167_490
; %bb.487:
	s_cmp_eq_u32 s49, 11
	s_cbranch_scc0 .LBB167_489
; %bb.488:
	global_load_ubyte v1, v[4:5], off
	s_mov_b64 s[0:1], -1
	s_mov_b64 s[44:45], 0
	s_waitcnt vmcnt(0)
	v_cmp_ne_u16_e32 vcc, 0, v1
	v_cndmask_b32_e64 v1, 0, 1, vcc
	s_branch .LBB167_490
.LBB167_489:
	s_mov_b64 s[44:45], -1
                                        ; implicit-def: $vgpr1
.LBB167_490:
	s_branch .LBB167_410
.LBB167_491:
	s_and_b32 s46, 0xffff, s48
	s_cmp_lt_i32 s46, 5
	s_cbranch_scc1 .LBB167_496
; %bb.492:
	s_cmp_lt_i32 s46, 8
	s_cbranch_scc1 .LBB167_497
; %bb.493:
	;; [unrolled: 3-line block ×3, first 2 shown]
	s_cmp_gt_i32 s46, 9
	s_cbranch_scc0 .LBB167_499
; %bb.495:
	global_load_dwordx2 v[1:2], v[4:5], off
	s_mov_b64 s[0:1], 0
	s_waitcnt vmcnt(0)
	v_cvt_i32_f64_e32 v1, v[1:2]
	s_branch .LBB167_500
.LBB167_496:
	s_mov_b64 s[0:1], -1
                                        ; implicit-def: $vgpr1
	s_branch .LBB167_518
.LBB167_497:
	s_mov_b64 s[0:1], -1
                                        ; implicit-def: $vgpr1
	s_branch .LBB167_506
.LBB167_498:
	s_mov_b64 s[0:1], -1
                                        ; implicit-def: $vgpr1
	s_branch .LBB167_503
.LBB167_499:
	s_mov_b64 s[0:1], -1
                                        ; implicit-def: $vgpr1
.LBB167_500:
	s_andn2_b64 vcc, exec, s[0:1]
	s_cbranch_vccnz .LBB167_502
; %bb.501:
	global_load_dword v1, v[4:5], off
	s_waitcnt vmcnt(0)
	v_cvt_i32_f32_e32 v1, v1
.LBB167_502:
	s_mov_b64 s[0:1], 0
.LBB167_503:
	s_andn2_b64 vcc, exec, s[0:1]
	s_cbranch_vccnz .LBB167_505
; %bb.504:
	global_load_dword v1, v[4:5], off
	s_waitcnt vmcnt(0)
	v_cvt_i16_f16_e32 v1, v1
.LBB167_505:
	s_mov_b64 s[0:1], 0
.LBB167_506:
	s_andn2_b64 vcc, exec, s[0:1]
	s_cbranch_vccnz .LBB167_517
; %bb.507:
	s_cmp_lt_i32 s46, 6
	s_cbranch_scc1 .LBB167_510
; %bb.508:
	s_cmp_gt_i32 s46, 6
	s_cbranch_scc0 .LBB167_511
; %bb.509:
	global_load_dwordx2 v[1:2], v[4:5], off
	s_mov_b64 s[0:1], 0
	s_waitcnt vmcnt(0)
	v_cvt_i32_f64_e32 v1, v[1:2]
	s_branch .LBB167_512
.LBB167_510:
	s_mov_b64 s[0:1], -1
                                        ; implicit-def: $vgpr1
	s_branch .LBB167_515
.LBB167_511:
	s_mov_b64 s[0:1], -1
                                        ; implicit-def: $vgpr1
.LBB167_512:
	s_andn2_b64 vcc, exec, s[0:1]
	s_cbranch_vccnz .LBB167_514
; %bb.513:
	global_load_dword v1, v[4:5], off
	s_waitcnt vmcnt(0)
	v_cvt_i32_f32_e32 v1, v1
.LBB167_514:
	s_mov_b64 s[0:1], 0
.LBB167_515:
	s_andn2_b64 vcc, exec, s[0:1]
	s_cbranch_vccnz .LBB167_517
; %bb.516:
	global_load_ushort v1, v[4:5], off
	s_waitcnt vmcnt(0)
	v_cvt_i16_f16_e32 v1, v1
.LBB167_517:
	s_mov_b64 s[0:1], 0
.LBB167_518:
	s_andn2_b64 vcc, exec, s[0:1]
	s_cbranch_vccnz .LBB167_538
; %bb.519:
	s_cmp_lt_i32 s46, 2
	s_cbranch_scc1 .LBB167_523
; %bb.520:
	s_cmp_lt_i32 s46, 3
	s_cbranch_scc1 .LBB167_524
; %bb.521:
	s_cmp_gt_i32 s46, 3
	s_cbranch_scc0 .LBB167_525
; %bb.522:
	global_load_dwordx2 v[1:2], v[4:5], off
	s_mov_b64 s[0:1], 0
	s_branch .LBB167_526
.LBB167_523:
	s_mov_b64 s[0:1], -1
                                        ; implicit-def: $vgpr1
	s_branch .LBB167_532
.LBB167_524:
	s_mov_b64 s[0:1], -1
                                        ; implicit-def: $vgpr1
	s_branch .LBB167_529
.LBB167_525:
	s_mov_b64 s[0:1], -1
                                        ; implicit-def: $vgpr1
.LBB167_526:
	s_andn2_b64 vcc, exec, s[0:1]
	s_cbranch_vccnz .LBB167_528
; %bb.527:
	global_load_dword v1, v[4:5], off
.LBB167_528:
	s_mov_b64 s[0:1], 0
.LBB167_529:
	s_andn2_b64 vcc, exec, s[0:1]
	s_cbranch_vccnz .LBB167_531
; %bb.530:
	global_load_ushort v1, v[4:5], off
.LBB167_531:
	s_mov_b64 s[0:1], 0
.LBB167_532:
	s_andn2_b64 vcc, exec, s[0:1]
	s_cbranch_vccnz .LBB167_538
; %bb.533:
	s_cmp_gt_i32 s46, 0
	s_cbranch_scc0 .LBB167_535
; %bb.534:
	global_load_ubyte v1, v[4:5], off
	s_mov_b64 s[0:1], 0
	s_branch .LBB167_536
.LBB167_535:
	s_mov_b64 s[0:1], -1
                                        ; implicit-def: $vgpr1
.LBB167_536:
	s_andn2_b64 vcc, exec, s[0:1]
	s_cbranch_vccnz .LBB167_538
; %bb.537:
	global_load_ubyte v1, v[4:5], off
.LBB167_538:
	s_branch .LBB167_411
.LBB167_539:
	s_mov_b64 s[52:53], 0
	s_mov_b64 s[0:1], s[36:37]
	;; [unrolled: 1-line block ×3, first 2 shown]
.LBB167_540:
                                        ; implicit-def: $vgpr10
	s_branch .LBB167_778
.LBB167_541:
	s_andn2_saveexec_b64 s[48:49], s[48:49]
	s_cbranch_execz .LBB167_200
.LBB167_542:
	s_mov_b32 s52, 0x42800000
	v_add_f32_e64 v3, |v2|, s52
	v_and_b32_e32 v3, 0xff, v3
	v_cmp_ne_u32_e32 vcc, 0, v3
	s_andn2_b64 s[44:45], s[44:45], exec
	s_and_b64 s[52:53], vcc, exec
	s_or_b64 s[44:45], s[44:45], s[52:53]
	s_or_b64 exec, exec, s[48:49]
	v_mov_b32_e32 v5, 0
	s_and_saveexec_b64 s[48:49], s[44:45]
	s_cbranch_execnz .LBB167_201
	s_branch .LBB167_202
.LBB167_543:
	s_mov_b64 s[46:47], -1
                                        ; implicit-def: $vgpr4
	s_mov_b64 s[0:1], 0
.LBB167_544:
	s_and_b64 vcc, exec, s[48:49]
	s_cbranch_vccz .LBB167_548
; %bb.545:
	s_cmp_eq_u32 s53, 44
	s_cbranch_scc0 .LBB167_547
; %bb.546:
	global_load_ubyte v4, v[2:3], off
	s_mov_b64 s[0:1], -1
	s_mov_b64 s[46:47], 0
	s_waitcnt vmcnt(0)
	v_lshlrev_b32_e32 v5, 23, v4
	v_cvt_i32_f32_e32 v5, v5
	v_cmp_ne_u32_e32 vcc, 0, v4
	v_cndmask_b32_e32 v4, 0, v5, vcc
	s_branch .LBB167_548
.LBB167_547:
	s_mov_b64 s[46:47], -1
                                        ; implicit-def: $vgpr4
.LBB167_548:
	s_mov_b64 s[48:49], 0
.LBB167_549:
	s_and_b64 vcc, exec, s[48:49]
	s_cbranch_vccz .LBB167_553
; %bb.550:
	s_cmp_eq_u32 s53, 29
	s_cbranch_scc0 .LBB167_552
; %bb.551:
	global_load_dwordx2 v[4:5], v[2:3], off
	s_mov_b64 s[0:1], -1
	s_mov_b64 s[46:47], 0
	s_branch .LBB167_553
.LBB167_552:
	s_mov_b64 s[46:47], -1
                                        ; implicit-def: $vgpr4
.LBB167_553:
	s_mov_b64 s[48:49], 0
.LBB167_554:
	s_and_b64 vcc, exec, s[48:49]
	s_cbranch_vccz .LBB167_570
; %bb.555:
	s_cmp_lt_i32 s53, 27
	s_cbranch_scc1 .LBB167_558
; %bb.556:
	s_cmp_gt_i32 s53, 27
	s_cbranch_scc0 .LBB167_559
; %bb.557:
	global_load_dword v4, v[2:3], off
	s_mov_b64 s[0:1], 0
	s_branch .LBB167_560
.LBB167_558:
	s_mov_b64 s[0:1], -1
                                        ; implicit-def: $vgpr4
	s_branch .LBB167_563
.LBB167_559:
	s_mov_b64 s[0:1], -1
                                        ; implicit-def: $vgpr4
.LBB167_560:
	s_andn2_b64 vcc, exec, s[0:1]
	s_cbranch_vccnz .LBB167_562
; %bb.561:
	global_load_ushort v4, v[2:3], off
.LBB167_562:
	s_mov_b64 s[0:1], 0
.LBB167_563:
	s_andn2_b64 vcc, exec, s[0:1]
	s_cbranch_vccnz .LBB167_569
; %bb.564:
	global_load_ubyte v5, v[2:3], off
	s_movk_i32 s0, 0x7f
	s_mov_b64 s[48:49], 0
	s_waitcnt vmcnt(0)
	v_cmp_lt_i16_e32 vcc, s0, v5
	s_and_saveexec_b64 s[0:1], vcc
	s_xor_b64 s[0:1], exec, s[0:1]
	s_cbranch_execz .LBB167_581
; %bb.565:
	s_movk_i32 s48, 0x80
	v_cmp_ne_u16_e32 vcc, s48, v5
	s_and_b64 s[48:49], vcc, exec
	s_andn2_saveexec_b64 s[0:1], s[0:1]
	s_cbranch_execnz .LBB167_582
.LBB167_566:
	s_or_b64 exec, exec, s[0:1]
	v_mov_b32_e32 v4, 0
	s_and_saveexec_b64 s[0:1], s[48:49]
	s_cbranch_execz .LBB167_568
.LBB167_567:
	v_lshlrev_b32_e32 v4, 24, v5
	v_and_b32_e32 v5, 0xffff, v5
	v_and_b32_e32 v6, 7, v5
	v_ffbh_u32_e32 v8, v6
	v_min_u32_e32 v8, 32, v8
	v_subrev_u32_e32 v9, 28, v8
	v_bfe_u32 v7, v5, 3, 4
	v_lshlrev_b32_e32 v5, v9, v5
	v_sub_u32_e32 v8, 29, v8
	v_and_b32_e32 v5, 7, v5
	v_cmp_eq_u32_e32 vcc, 0, v7
	v_cndmask_b32_e32 v7, v7, v8, vcc
	v_cndmask_b32_e32 v5, v6, v5, vcc
	v_mov_b32_e32 v6, 0x3b800000
	v_lshlrev_b32_e32 v5, 20, v5
	v_and_b32_e32 v4, 0x80000000, v4
	v_lshl_add_u32 v6, v7, 23, v6
	v_or3_b32 v4, v4, v6, v5
	v_cvt_i32_f32_e32 v4, v4
.LBB167_568:
	s_or_b64 exec, exec, s[0:1]
.LBB167_569:
	s_mov_b64 s[0:1], -1
.LBB167_570:
	s_mov_b64 s[48:49], 0
.LBB167_571:
	s_and_b64 vcc, exec, s[48:49]
	s_cbranch_vccz .LBB167_604
; %bb.572:
	s_cmp_gt_i32 s53, 22
	s_cbranch_scc0 .LBB167_580
; %bb.573:
	s_cmp_lt_i32 s53, 24
	s_cbranch_scc1 .LBB167_583
; %bb.574:
	s_cmp_gt_i32 s53, 24
	s_cbranch_scc0 .LBB167_584
; %bb.575:
	global_load_ubyte v5, v[2:3], off
	s_movk_i32 s0, 0x7f
	s_mov_b64 s[48:49], 0
	s_waitcnt vmcnt(0)
	v_cmp_lt_i16_e32 vcc, s0, v5
	s_and_saveexec_b64 s[0:1], vcc
	s_xor_b64 s[0:1], exec, s[0:1]
	s_cbranch_execz .LBB167_596
; %bb.576:
	s_movk_i32 s48, 0x80
	v_cmp_ne_u16_e32 vcc, s48, v5
	s_and_b64 s[48:49], vcc, exec
	s_andn2_saveexec_b64 s[0:1], s[0:1]
	s_cbranch_execnz .LBB167_597
.LBB167_577:
	s_or_b64 exec, exec, s[0:1]
	v_mov_b32_e32 v4, 0
	s_and_saveexec_b64 s[0:1], s[48:49]
	s_cbranch_execz .LBB167_579
.LBB167_578:
	v_lshlrev_b32_e32 v4, 24, v5
	v_and_b32_e32 v5, 0xffff, v5
	v_and_b32_e32 v6, 3, v5
	v_ffbh_u32_e32 v8, v6
	v_min_u32_e32 v8, 32, v8
	v_subrev_u32_e32 v9, 29, v8
	v_bfe_u32 v7, v5, 2, 5
	v_lshlrev_b32_e32 v5, v9, v5
	v_sub_u32_e32 v8, 30, v8
	v_and_b32_e32 v5, 3, v5
	v_cmp_eq_u32_e32 vcc, 0, v7
	v_cndmask_b32_e32 v7, v7, v8, vcc
	v_cndmask_b32_e32 v5, v6, v5, vcc
	v_mov_b32_e32 v6, 0x37800000
	v_lshlrev_b32_e32 v5, 21, v5
	v_and_b32_e32 v4, 0x80000000, v4
	v_lshl_add_u32 v6, v7, 23, v6
	v_or3_b32 v4, v4, v6, v5
	v_cvt_i32_f32_e32 v4, v4
.LBB167_579:
	s_or_b64 exec, exec, s[0:1]
	s_mov_b64 s[0:1], 0
	s_branch .LBB167_585
.LBB167_580:
	s_mov_b64 s[48:49], -1
                                        ; implicit-def: $vgpr4
	s_branch .LBB167_591
.LBB167_581:
	s_andn2_saveexec_b64 s[0:1], s[0:1]
	s_cbranch_execz .LBB167_566
.LBB167_582:
	v_cmp_ne_u16_e32 vcc, 0, v5
	s_andn2_b64 s[48:49], s[48:49], exec
	s_and_b64 s[54:55], vcc, exec
	s_or_b64 s[48:49], s[48:49], s[54:55]
	s_or_b64 exec, exec, s[0:1]
	v_mov_b32_e32 v4, 0
	s_and_saveexec_b64 s[0:1], s[48:49]
	s_cbranch_execnz .LBB167_567
	s_branch .LBB167_568
.LBB167_583:
	s_mov_b64 s[0:1], -1
                                        ; implicit-def: $vgpr4
	s_branch .LBB167_588
.LBB167_584:
	s_mov_b64 s[0:1], -1
                                        ; implicit-def: $vgpr4
.LBB167_585:
	s_and_b64 vcc, exec, s[0:1]
	s_cbranch_vccz .LBB167_587
; %bb.586:
	global_load_ubyte v4, v[2:3], off
	s_mov_b32 s0, 0x7f800000
	s_waitcnt vmcnt(0)
	v_lshlrev_b32_e32 v4, 24, v4
	v_and_b32_e32 v5, 0x7f000000, v4
	v_ffbh_u32_e32 v6, v5
	v_min_u32_e32 v6, 32, v6
	v_sub_u32_e64 v6, v6, 4 clamp
	v_lshlrev_b32_e32 v8, v6, v5
	v_lshlrev_b32_e32 v6, 23, v6
	v_lshrrev_b32_e32 v8, 4, v8
	v_add_u32_e32 v7, 0x1000000, v5
	v_sub_u32_e32 v6, v8, v6
	v_ashrrev_i32_e32 v7, 8, v7
	v_add_u32_e32 v6, 0x3c000000, v6
	v_and_or_b32 v6, v7, s0, v6
	v_cmp_ne_u32_e32 vcc, 0, v5
	v_cndmask_b32_e32 v5, 0, v6, vcc
	s_brev_b32 s0, 1
	v_and_or_b32 v4, v4, s0, v5
	v_cvt_i32_f32_e32 v4, v4
.LBB167_587:
	s_mov_b64 s[0:1], 0
.LBB167_588:
	s_andn2_b64 vcc, exec, s[0:1]
	s_cbranch_vccnz .LBB167_590
; %bb.589:
	global_load_ubyte v4, v[2:3], off
	s_movk_i32 s0, 0x7f00
	s_brev_b32 s1, 16
	s_waitcnt vmcnt(0)
	v_lshlrev_b16_e32 v5, 8, v4
	v_lshlrev_b32_e32 v4, 25, v4
	v_lshrrev_b32_e32 v6, 4, v4
	v_and_or_b32 v7, v5, s0, 0.5
	v_or_b32_e32 v6, 0x70000000, v6
	v_add_f32_e32 v7, -0.5, v7
	v_mul_f32_e32 v6, 0x7800000, v6
	v_cmp_gt_u32_e32 vcc, s1, v4
	v_bfe_i32 v5, v5, 0, 16
	v_cndmask_b32_e32 v4, v6, v7, vcc
	s_brev_b32 s0, 1
	v_and_or_b32 v4, v5, s0, v4
	v_cvt_i32_f32_e32 v4, v4
.LBB167_590:
	s_mov_b64 s[48:49], 0
	s_mov_b64 s[0:1], -1
.LBB167_591:
	s_andn2_b64 vcc, exec, s[48:49]
	s_cbranch_vccnz .LBB167_604
; %bb.592:
	s_cmp_gt_i32 s53, 14
	s_cbranch_scc0 .LBB167_595
; %bb.593:
	s_cmp_eq_u32 s53, 15
	s_cbranch_scc0 .LBB167_598
; %bb.594:
	global_load_ushort v4, v[2:3], off
	s_mov_b64 s[0:1], -1
	s_mov_b64 s[46:47], 0
	s_waitcnt vmcnt(0)
	v_lshlrev_b32_e32 v4, 16, v4
	v_cvt_i32_f32_e32 v4, v4
	s_branch .LBB167_599
.LBB167_595:
	s_mov_b64 s[48:49], -1
                                        ; implicit-def: $vgpr4
	s_branch .LBB167_600
.LBB167_596:
	s_andn2_saveexec_b64 s[0:1], s[0:1]
	s_cbranch_execz .LBB167_577
.LBB167_597:
	v_cmp_ne_u16_e32 vcc, 0, v5
	s_andn2_b64 s[48:49], s[48:49], exec
	s_and_b64 s[54:55], vcc, exec
	s_or_b64 s[48:49], s[48:49], s[54:55]
	s_or_b64 exec, exec, s[0:1]
	v_mov_b32_e32 v4, 0
	s_and_saveexec_b64 s[0:1], s[48:49]
	s_cbranch_execnz .LBB167_578
	s_branch .LBB167_579
.LBB167_598:
	s_mov_b64 s[46:47], -1
                                        ; implicit-def: $vgpr4
.LBB167_599:
	s_mov_b64 s[48:49], 0
.LBB167_600:
	s_and_b64 vcc, exec, s[48:49]
	s_cbranch_vccz .LBB167_604
; %bb.601:
	s_cmp_eq_u32 s53, 11
	s_cbranch_scc0 .LBB167_603
; %bb.602:
	global_load_ubyte v4, v[2:3], off
	s_mov_b64 s[0:1], -1
	s_mov_b64 s[46:47], 0
	s_waitcnt vmcnt(0)
	v_cmp_ne_u16_e32 vcc, 0, v4
	v_cndmask_b32_e64 v4, 0, 1, vcc
	s_branch .LBB167_604
.LBB167_603:
	s_mov_b64 s[46:47], -1
                                        ; implicit-def: $vgpr4
.LBB167_604:
	s_mov_b64 s[48:49], 0
.LBB167_605:
	s_and_b64 vcc, exec, s[48:49]
	s_cbranch_vccz .LBB167_654
; %bb.606:
	s_and_b32 s48, 0xffff, s52
	s_cmp_lt_i32 s48, 5
	s_cbranch_scc1 .LBB167_611
; %bb.607:
	s_cmp_lt_i32 s48, 8
	s_cbranch_scc1 .LBB167_612
; %bb.608:
	;; [unrolled: 3-line block ×3, first 2 shown]
	s_cmp_gt_i32 s48, 9
	s_cbranch_scc0 .LBB167_614
; %bb.610:
	global_load_dwordx2 v[4:5], v[2:3], off
	s_mov_b64 s[0:1], 0
	s_waitcnt vmcnt(0)
	v_cvt_i32_f64_e32 v4, v[4:5]
	s_branch .LBB167_615
.LBB167_611:
	s_mov_b64 s[0:1], -1
                                        ; implicit-def: $vgpr4
	s_branch .LBB167_633
.LBB167_612:
	s_mov_b64 s[0:1], -1
                                        ; implicit-def: $vgpr4
	s_branch .LBB167_621
.LBB167_613:
	s_mov_b64 s[0:1], -1
                                        ; implicit-def: $vgpr4
	s_branch .LBB167_618
.LBB167_614:
	s_mov_b64 s[0:1], -1
                                        ; implicit-def: $vgpr4
.LBB167_615:
	s_andn2_b64 vcc, exec, s[0:1]
	s_cbranch_vccnz .LBB167_617
; %bb.616:
	global_load_dword v4, v[2:3], off
	s_waitcnt vmcnt(0)
	v_cvt_i32_f32_e32 v4, v4
.LBB167_617:
	s_mov_b64 s[0:1], 0
.LBB167_618:
	s_andn2_b64 vcc, exec, s[0:1]
	s_cbranch_vccnz .LBB167_620
; %bb.619:
	global_load_dword v4, v[2:3], off
	s_waitcnt vmcnt(0)
	v_cvt_i16_f16_e32 v4, v4
.LBB167_620:
	s_mov_b64 s[0:1], 0
.LBB167_621:
	s_andn2_b64 vcc, exec, s[0:1]
	s_cbranch_vccnz .LBB167_632
; %bb.622:
	s_cmp_lt_i32 s48, 6
	s_cbranch_scc1 .LBB167_625
; %bb.623:
	s_cmp_gt_i32 s48, 6
	s_cbranch_scc0 .LBB167_626
; %bb.624:
	global_load_dwordx2 v[4:5], v[2:3], off
	s_mov_b64 s[0:1], 0
	s_waitcnt vmcnt(0)
	v_cvt_i32_f64_e32 v4, v[4:5]
	s_branch .LBB167_627
.LBB167_625:
	s_mov_b64 s[0:1], -1
                                        ; implicit-def: $vgpr4
	s_branch .LBB167_630
.LBB167_626:
	s_mov_b64 s[0:1], -1
                                        ; implicit-def: $vgpr4
.LBB167_627:
	s_andn2_b64 vcc, exec, s[0:1]
	s_cbranch_vccnz .LBB167_629
; %bb.628:
	global_load_dword v4, v[2:3], off
	s_waitcnt vmcnt(0)
	v_cvt_i32_f32_e32 v4, v4
.LBB167_629:
	s_mov_b64 s[0:1], 0
.LBB167_630:
	s_andn2_b64 vcc, exec, s[0:1]
	s_cbranch_vccnz .LBB167_632
; %bb.631:
	global_load_ushort v4, v[2:3], off
	s_waitcnt vmcnt(0)
	v_cvt_i16_f16_e32 v4, v4
.LBB167_632:
	s_mov_b64 s[0:1], 0
.LBB167_633:
	s_andn2_b64 vcc, exec, s[0:1]
	s_cbranch_vccnz .LBB167_653
; %bb.634:
	s_cmp_lt_i32 s48, 2
	s_cbranch_scc1 .LBB167_638
; %bb.635:
	s_cmp_lt_i32 s48, 3
	s_cbranch_scc1 .LBB167_639
; %bb.636:
	s_cmp_gt_i32 s48, 3
	s_cbranch_scc0 .LBB167_640
; %bb.637:
	global_load_dwordx2 v[4:5], v[2:3], off
	s_mov_b64 s[0:1], 0
	s_branch .LBB167_641
.LBB167_638:
	s_mov_b64 s[0:1], -1
                                        ; implicit-def: $vgpr4
	s_branch .LBB167_647
.LBB167_639:
	s_mov_b64 s[0:1], -1
                                        ; implicit-def: $vgpr4
	s_branch .LBB167_644
.LBB167_640:
	s_mov_b64 s[0:1], -1
                                        ; implicit-def: $vgpr4
.LBB167_641:
	s_andn2_b64 vcc, exec, s[0:1]
	s_cbranch_vccnz .LBB167_643
; %bb.642:
	global_load_dword v4, v[2:3], off
.LBB167_643:
	s_mov_b64 s[0:1], 0
.LBB167_644:
	s_andn2_b64 vcc, exec, s[0:1]
	s_cbranch_vccnz .LBB167_646
; %bb.645:
	global_load_ushort v4, v[2:3], off
.LBB167_646:
	s_mov_b64 s[0:1], 0
.LBB167_647:
	s_andn2_b64 vcc, exec, s[0:1]
	s_cbranch_vccnz .LBB167_653
; %bb.648:
	s_cmp_gt_i32 s48, 0
	s_cbranch_scc0 .LBB167_650
; %bb.649:
	global_load_ubyte v4, v[2:3], off
	s_mov_b64 s[0:1], 0
	s_branch .LBB167_651
.LBB167_650:
	s_mov_b64 s[0:1], -1
                                        ; implicit-def: $vgpr4
.LBB167_651:
	s_andn2_b64 vcc, exec, s[0:1]
	s_cbranch_vccnz .LBB167_653
; %bb.652:
	global_load_ubyte v4, v[2:3], off
.LBB167_653:
	s_mov_b64 s[0:1], -1
.LBB167_654:
	s_andn2_b64 vcc, exec, s[0:1]
	s_cbranch_vccnz .LBB167_662
; %bb.655:
	v_mov_b32_e32 v2, 6
	v_mov_b32_e32 v3, 7
	v_ashrrev_i16_sdwa v3, v3, sext(v1) dst_sel:DWORD dst_unused:UNUSED_PAD src0_sel:DWORD src1_sel:BYTE_0
	s_waitcnt vmcnt(0)
	v_ashrrev_i32_sdwa v1, v4, sext(v1) dst_sel:DWORD dst_unused:UNUSED_PAD src0_sel:DWORD src1_sel:BYTE_0
	v_cmp_gt_u16_sdwa vcc, v4, v2 src0_sel:BYTE_0 src1_sel:DWORD
	v_cndmask_b32_e32 v4, v1, v3, vcc
	v_mov_b32_e32 v1, s9
	s_and_b32 s56, s69, 0xff
	v_add_co_u32_e32 v0, vcc, s8, v0
	s_cmp_lt_i32 s56, 11
	v_addc_co_u32_e32 v1, vcc, 0, v1, vcc
	s_cbranch_scc1 .LBB167_663
; %bb.656:
	s_and_b32 s57, 0xffff, s56
	s_cmp_gt_i32 s57, 25
	s_cbranch_scc0 .LBB167_664
; %bb.657:
	s_cmp_gt_i32 s57, 28
	s_cbranch_scc0 .LBB167_665
; %bb.658:
	;; [unrolled: 3-line block ×4, first 2 shown]
	s_mov_b64 s[52:53], 0
	s_mov_b64 s[0:1], -1
	s_cmp_eq_u32 s57, 46
	s_mov_b64 s[48:49], 0
	s_cbranch_scc0 .LBB167_668
; %bb.661:
	v_cvt_f32_i32_sdwa v2, sext(v4) dst_sel:DWORD dst_unused:UNUSED_PAD src0_sel:WORD_0
	s_movk_i32 s0, 0x7fff
	s_mov_b64 s[48:49], -1
	v_bfe_u32 v3, v2, 16, 1
	v_add3_u32 v2, v2, v3, s0
	v_lshrrev_b32_e32 v2, 16, v2
	global_store_dword v[0:1], v2, off
	s_mov_b64 s[0:1], 0
	s_branch .LBB167_668
.LBB167_662:
	s_mov_b64 s[52:53], 0
                                        ; implicit-def: $vgpr10
	s_mov_b64 s[0:1], s[36:37]
	s_branch .LBB167_778
.LBB167_663:
	s_mov_b64 s[52:53], -1
	s_mov_b64 s[48:49], 0
	s_mov_b64 s[0:1], s[36:37]
	s_branch .LBB167_737
.LBB167_664:
	s_mov_b64 s[52:53], -1
	s_mov_b64 s[48:49], 0
	s_mov_b64 s[0:1], s[36:37]
	s_branch .LBB167_695
.LBB167_665:
	s_mov_b64 s[52:53], -1
	s_mov_b64 s[48:49], 0
	s_mov_b64 s[0:1], s[36:37]
	s_branch .LBB167_678
.LBB167_666:
	s_mov_b64 s[52:53], -1
	s_mov_b64 s[48:49], 0
	s_mov_b64 s[0:1], s[36:37]
	s_branch .LBB167_674
.LBB167_667:
	s_mov_b64 s[52:53], -1
	s_mov_b64 s[48:49], 0
	s_mov_b64 s[0:1], s[36:37]
.LBB167_668:
	s_and_b64 vcc, exec, s[52:53]
	s_cbranch_vccz .LBB167_673
; %bb.669:
	s_cmp_eq_u32 s57, 44
	s_mov_b64 s[0:1], -1
	s_cbranch_scc0 .LBB167_673
; %bb.670:
	v_cvt_f32_i32_sdwa v2, sext(v4) dst_sel:DWORD dst_unused:UNUSED_PAD src0_sel:WORD_0
	s_movk_i32 s0, 0xff
	v_mov_b32_e32 v5, 0xff
	v_bfe_u32 v3, v2, 23, 8
	v_cmp_ne_u32_e32 vcc, s0, v3
	s_and_saveexec_b64 s[48:49], vcc
; %bb.671:
	s_mov_b32 s0, 0x3fffff
	v_lshrrev_b32_e32 v5, 23, v2
	v_and_b32_e32 v6, 0x400000, v2
	v_and_or_b32 v2, v2, s0, v3
	v_cmp_ne_u32_e32 vcc, 0, v6
	v_cmp_ne_u32_e64 s[0:1], 0, v2
	s_and_b64 s[0:1], vcc, s[0:1]
	v_cndmask_b32_e64 v2, 0, 1, s[0:1]
	v_add_u32_e32 v5, v5, v2
; %bb.672:
	s_or_b64 exec, exec, s[48:49]
	s_mov_b64 s[48:49], -1
	s_mov_b64 s[0:1], 0
	global_store_byte v[0:1], v5, off
.LBB167_673:
	s_mov_b64 s[52:53], 0
.LBB167_674:
	s_and_b64 vcc, exec, s[52:53]
	s_cbranch_vccz .LBB167_677
; %bb.675:
	s_cmp_eq_u32 s57, 29
	s_mov_b64 s[0:1], -1
	s_cbranch_scc0 .LBB167_677
; %bb.676:
	v_bfe_i32 v2, v4, 0, 16
	v_ashrrev_i32_e32 v3, 31, v2
	global_store_dwordx2 v[0:1], v[2:3], off
	s_mov_b64 s[48:49], -1
	s_mov_b64 s[0:1], 0
.LBB167_677:
	s_mov_b64 s[52:53], 0
.LBB167_678:
	s_and_b64 vcc, exec, s[52:53]
	s_cbranch_vccz .LBB167_694
; %bb.679:
	s_cmp_lt_i32 s57, 27
	s_mov_b64 s[48:49], -1
	s_cbranch_scc1 .LBB167_685
; %bb.680:
	s_cmp_gt_i32 s57, 27
	s_cbranch_scc0 .LBB167_682
; %bb.681:
	v_bfe_i32 v2, v4, 0, 16
	s_mov_b64 s[48:49], 0
	global_store_dword v[0:1], v2, off
.LBB167_682:
	s_andn2_b64 vcc, exec, s[48:49]
	s_cbranch_vccnz .LBB167_684
; %bb.683:
	global_store_short v[0:1], v4, off
.LBB167_684:
	s_mov_b64 s[48:49], 0
.LBB167_685:
	s_andn2_b64 vcc, exec, s[48:49]
	s_cbranch_vccnz .LBB167_693
; %bb.686:
	v_cvt_f32_i32_sdwa v2, sext(v4) dst_sel:DWORD dst_unused:UNUSED_PAD src0_sel:WORD_0
	s_mov_b32 s48, 0x43800000
	v_mov_b32_e32 v5, 0x80
	v_and_b32_e32 v3, 0x7fffffff, v2
	v_cmp_gt_u32_e32 vcc, s48, v3
	s_and_saveexec_b64 s[48:49], vcc
	s_cbranch_execz .LBB167_692
; %bb.687:
	s_mov_b32 s52, 0x3bffffff
	v_cmp_lt_u32_e32 vcc, s52, v3
	s_mov_b64 s[52:53], 0
                                        ; implicit-def: $vgpr3
	s_and_saveexec_b64 s[54:55], vcc
	s_xor_b64 s[54:55], exec, s[54:55]
	s_cbranch_execz .LBB167_806
; %bb.688:
	v_bfe_u32 v3, v2, 20, 1
	s_mov_b32 s58, 0x487ffff
	v_add3_u32 v3, v2, v3, s58
	s_mov_b64 s[52:53], exec
	v_lshrrev_b32_e32 v3, 20, v3
	s_andn2_saveexec_b64 s[54:55], s[54:55]
	s_cbranch_execnz .LBB167_807
.LBB167_689:
	s_or_b64 exec, exec, s[54:55]
	v_mov_b32_e32 v5, 0
	s_and_saveexec_b64 s[54:55], s[52:53]
.LBB167_690:
	v_lshrrev_b32_e32 v2, 24, v2
	s_movk_i32 s52, 0x80
	v_and_or_b32 v5, v2, s52, v3
.LBB167_691:
	s_or_b64 exec, exec, s[54:55]
.LBB167_692:
	s_or_b64 exec, exec, s[48:49]
	global_store_byte v[0:1], v5, off
.LBB167_693:
	s_mov_b64 s[48:49], -1
.LBB167_694:
	s_mov_b64 s[52:53], 0
.LBB167_695:
	s_and_b64 vcc, exec, s[52:53]
	s_cbranch_vccz .LBB167_736
; %bb.696:
	s_cmp_gt_i32 s57, 22
	s_mov_b64 s[52:53], -1
	s_cbranch_scc0 .LBB167_728
; %bb.697:
	s_cmp_lt_i32 s57, 24
	s_mov_b64 s[48:49], -1
	s_cbranch_scc1 .LBB167_717
; %bb.698:
	s_cmp_gt_i32 s57, 24
	s_cbranch_scc0 .LBB167_706
; %bb.699:
	v_cvt_f32_i32_sdwa v2, sext(v4) dst_sel:DWORD dst_unused:UNUSED_PAD src0_sel:WORD_0
	s_mov_b32 s48, 0x47800000
	v_mov_b32_e32 v5, 0x80
	v_and_b32_e32 v3, 0x7fffffff, v2
	v_cmp_gt_u32_e32 vcc, s48, v3
	s_and_saveexec_b64 s[48:49], vcc
	s_cbranch_execz .LBB167_705
; %bb.700:
	s_mov_b32 s52, 0x37ffffff
	v_cmp_lt_u32_e32 vcc, s52, v3
	s_mov_b64 s[52:53], 0
                                        ; implicit-def: $vgpr3
	s_and_saveexec_b64 s[54:55], vcc
	s_xor_b64 s[54:55], exec, s[54:55]
	s_cbranch_execz .LBB167_934
; %bb.701:
	v_bfe_u32 v3, v2, 21, 1
	s_mov_b32 s58, 0x88fffff
	v_add3_u32 v3, v2, v3, s58
	s_mov_b64 s[52:53], exec
	v_lshrrev_b32_e32 v3, 21, v3
	s_andn2_saveexec_b64 s[54:55], s[54:55]
	s_cbranch_execnz .LBB167_935
.LBB167_702:
	s_or_b64 exec, exec, s[54:55]
	v_mov_b32_e32 v5, 0
	s_and_saveexec_b64 s[54:55], s[52:53]
.LBB167_703:
	v_lshrrev_b32_e32 v2, 24, v2
	s_movk_i32 s52, 0x80
	v_and_or_b32 v5, v2, s52, v3
.LBB167_704:
	s_or_b64 exec, exec, s[54:55]
.LBB167_705:
	s_or_b64 exec, exec, s[48:49]
	s_mov_b64 s[48:49], 0
	global_store_byte v[0:1], v5, off
.LBB167_706:
	s_and_b64 vcc, exec, s[48:49]
	s_cbranch_vccz .LBB167_716
; %bb.707:
	v_cvt_f32_i32_sdwa v2, sext(v4) dst_sel:DWORD dst_unused:UNUSED_PAD src0_sel:WORD_0
	s_mov_b32 s48, 0x43f00000
                                        ; implicit-def: $vgpr3
	v_and_b32_e32 v5, 0x7fffffff, v2
	v_cmp_gt_u32_e32 vcc, s48, v5
	s_and_saveexec_b64 s[48:49], vcc
	s_xor_b64 s[48:49], exec, s[48:49]
	s_cbranch_execz .LBB167_713
; %bb.708:
	s_mov_b32 s52, 0x3c7fffff
	v_cmp_lt_u32_e32 vcc, s52, v5
                                        ; implicit-def: $vgpr3
	s_and_saveexec_b64 s[52:53], vcc
	s_xor_b64 s[52:53], exec, s[52:53]
; %bb.709:
	v_bfe_u32 v3, v2, 20, 1
	s_mov_b32 s54, 0x407ffff
	v_add3_u32 v3, v2, v3, s54
	v_lshrrev_b32_e32 v5, 20, v3
	v_and_b32_e32 v3, 0xff00000, v3
	s_mov_b32 s54, 0x7f00000
	v_mov_b32_e32 v6, 0x7e
	v_cmp_ne_u32_e32 vcc, s54, v3
	v_cndmask_b32_e32 v3, v6, v5, vcc
; %bb.710:
	s_andn2_saveexec_b64 s[52:53], s[52:53]
; %bb.711:
	s_mov_b32 s54, 0x46800000
	v_add_f32_e64 v3, |v2|, s54
; %bb.712:
	s_or_b64 exec, exec, s[52:53]
                                        ; implicit-def: $vgpr5
.LBB167_713:
	s_andn2_saveexec_b64 s[48:49], s[48:49]
; %bb.714:
	s_mov_b32 s52, 0x7f800000
	v_mov_b32_e32 v3, 0x7e
	v_mov_b32_e32 v6, 0x7f
	v_cmp_lt_u32_e32 vcc, s52, v5
	v_cndmask_b32_e32 v3, v3, v6, vcc
; %bb.715:
	s_or_b64 exec, exec, s[48:49]
	v_lshrrev_b32_e32 v2, 24, v2
	s_movk_i32 s48, 0x80
	v_and_or_b32 v2, v2, s48, v3
	global_store_byte v[0:1], v2, off
.LBB167_716:
	s_mov_b64 s[48:49], 0
.LBB167_717:
	s_andn2_b64 vcc, exec, s[48:49]
	s_cbranch_vccnz .LBB167_727
; %bb.718:
	v_cvt_f32_i32_sdwa v2, sext(v4) dst_sel:DWORD dst_unused:UNUSED_PAD src0_sel:WORD_0
	s_mov_b32 s48, 0x47800000
                                        ; implicit-def: $vgpr3
	v_and_b32_e32 v5, 0x7fffffff, v2
	v_cmp_gt_u32_e32 vcc, s48, v5
	s_and_saveexec_b64 s[48:49], vcc
	s_xor_b64 s[48:49], exec, s[48:49]
	s_cbranch_execz .LBB167_724
; %bb.719:
	s_mov_b32 s52, 0x387fffff
	v_cmp_lt_u32_e32 vcc, s52, v5
                                        ; implicit-def: $vgpr3
	s_and_saveexec_b64 s[52:53], vcc
	s_xor_b64 s[52:53], exec, s[52:53]
; %bb.720:
	v_bfe_u32 v3, v2, 21, 1
	s_mov_b32 s54, 0x80fffff
	v_add3_u32 v3, v2, v3, s54
	v_lshrrev_b32_e32 v3, 21, v3
; %bb.721:
	s_andn2_saveexec_b64 s[52:53], s[52:53]
; %bb.722:
	s_mov_b32 s54, 0x43000000
	v_add_f32_e64 v3, |v2|, s54
; %bb.723:
	s_or_b64 exec, exec, s[52:53]
                                        ; implicit-def: $vgpr5
.LBB167_724:
	s_andn2_saveexec_b64 s[48:49], s[48:49]
; %bb.725:
	s_mov_b32 s52, 0x7f800000
	v_mov_b32_e32 v3, 0x7c
	v_mov_b32_e32 v6, 0x7f
	v_cmp_lt_u32_e32 vcc, s52, v5
	v_cndmask_b32_e32 v3, v3, v6, vcc
; %bb.726:
	s_or_b64 exec, exec, s[48:49]
	v_lshrrev_b32_e32 v2, 24, v2
	s_movk_i32 s48, 0x80
	v_and_or_b32 v2, v2, s48, v3
	global_store_byte v[0:1], v2, off
.LBB167_727:
	s_mov_b64 s[52:53], 0
	s_mov_b64 s[48:49], -1
.LBB167_728:
	s_andn2_b64 vcc, exec, s[52:53]
	s_cbranch_vccnz .LBB167_736
; %bb.729:
	s_cmp_gt_i32 s57, 14
	s_mov_b64 s[52:53], -1
	s_cbranch_scc0 .LBB167_733
; %bb.730:
	s_cmp_eq_u32 s57, 15
	s_mov_b64 s[0:1], -1
	s_cbranch_scc0 .LBB167_732
; %bb.731:
	v_cvt_f32_i32_sdwa v2, sext(v4) dst_sel:DWORD dst_unused:UNUSED_PAD src0_sel:WORD_0
	s_movk_i32 s0, 0x7fff
	s_mov_b64 s[48:49], -1
	v_bfe_u32 v3, v2, 16, 1
	v_add3_u32 v2, v2, v3, s0
	global_store_short_d16_hi v[0:1], v2, off
	s_mov_b64 s[0:1], 0
.LBB167_732:
	s_mov_b64 s[52:53], 0
.LBB167_733:
	s_and_b64 vcc, exec, s[52:53]
	s_cbranch_vccz .LBB167_736
; %bb.734:
	s_cmp_eq_u32 s57, 11
	s_mov_b64 s[0:1], -1
	s_cbranch_scc0 .LBB167_736
; %bb.735:
	v_cmp_ne_u16_e32 vcc, 0, v4
	v_cndmask_b32_e64 v2, 0, 1, vcc
	s_mov_b64 s[48:49], -1
	s_mov_b64 s[0:1], 0
	global_store_byte v[0:1], v2, off
.LBB167_736:
	s_mov_b64 s[52:53], 0
.LBB167_737:
	s_and_b64 vcc, exec, s[52:53]
	s_cbranch_vccz .LBB167_776
; %bb.738:
	s_and_b32 s52, 0xffff, s56
	s_cmp_lt_i32 s52, 5
	s_mov_b64 s[48:49], -1
	s_cbranch_scc1 .LBB167_759
; %bb.739:
	s_cmp_lt_i32 s52, 8
	s_cbranch_scc1 .LBB167_749
; %bb.740:
	s_cmp_lt_i32 s52, 9
	s_cbranch_scc1 .LBB167_746
; %bb.741:
	s_cmp_gt_i32 s52, 9
	s_cbranch_scc0 .LBB167_743
; %bb.742:
	v_bfe_i32 v2, v4, 0, 16
	v_cvt_f64_i32_e32 v[5:6], v2
	v_mov_b32_e32 v7, 0
	v_mov_b32_e32 v8, v7
	s_mov_b64 s[48:49], 0
	global_store_dwordx4 v[0:1], v[5:8], off
.LBB167_743:
	s_andn2_b64 vcc, exec, s[48:49]
	s_cbranch_vccnz .LBB167_745
; %bb.744:
	v_cvt_f32_i32_sdwa v2, sext(v4) dst_sel:DWORD dst_unused:UNUSED_PAD src0_sel:WORD_0
	v_mov_b32_e32 v3, 0
	global_store_dwordx2 v[0:1], v[2:3], off
.LBB167_745:
	s_mov_b64 s[48:49], 0
.LBB167_746:
	s_andn2_b64 vcc, exec, s[48:49]
	s_cbranch_vccnz .LBB167_748
; %bb.747:
	v_cvt_f16_i16_e32 v2, v4
	global_store_dword v[0:1], v2, off
.LBB167_748:
	s_mov_b64 s[48:49], 0
.LBB167_749:
	s_andn2_b64 vcc, exec, s[48:49]
	s_cbranch_vccnz .LBB167_758
; %bb.750:
	s_cmp_lt_i32 s52, 6
	s_mov_b64 s[48:49], -1
	s_cbranch_scc1 .LBB167_756
; %bb.751:
	s_cmp_gt_i32 s52, 6
	s_cbranch_scc0 .LBB167_753
; %bb.752:
	v_bfe_i32 v2, v4, 0, 16
	v_cvt_f64_i32_e32 v[2:3], v2
	s_mov_b64 s[48:49], 0
	global_store_dwordx2 v[0:1], v[2:3], off
.LBB167_753:
	s_andn2_b64 vcc, exec, s[48:49]
	s_cbranch_vccnz .LBB167_755
; %bb.754:
	v_cvt_f32_i32_sdwa v2, sext(v4) dst_sel:DWORD dst_unused:UNUSED_PAD src0_sel:WORD_0
	global_store_dword v[0:1], v2, off
.LBB167_755:
	s_mov_b64 s[48:49], 0
.LBB167_756:
	s_andn2_b64 vcc, exec, s[48:49]
	s_cbranch_vccnz .LBB167_758
; %bb.757:
	v_cvt_f16_i16_e32 v2, v4
	global_store_short v[0:1], v2, off
.LBB167_758:
	s_mov_b64 s[48:49], 0
.LBB167_759:
	s_andn2_b64 vcc, exec, s[48:49]
	s_cbranch_vccnz .LBB167_775
; %bb.760:
	s_cmp_lt_i32 s52, 2
	s_mov_b64 s[48:49], -1
	s_cbranch_scc1 .LBB167_770
; %bb.761:
	s_cmp_lt_i32 s52, 3
	s_cbranch_scc1 .LBB167_767
; %bb.762:
	s_cmp_gt_i32 s52, 3
	v_bfe_i32 v2, v4, 0, 16
	s_cbranch_scc0 .LBB167_764
; %bb.763:
	v_ashrrev_i32_e32 v3, 31, v2
	s_mov_b64 s[48:49], 0
	global_store_dwordx2 v[0:1], v[2:3], off
.LBB167_764:
	s_andn2_b64 vcc, exec, s[48:49]
	s_cbranch_vccnz .LBB167_766
; %bb.765:
	global_store_dword v[0:1], v2, off
.LBB167_766:
	s_mov_b64 s[48:49], 0
.LBB167_767:
	s_andn2_b64 vcc, exec, s[48:49]
	s_cbranch_vccnz .LBB167_769
; %bb.768:
	global_store_short v[0:1], v4, off
.LBB167_769:
	s_mov_b64 s[48:49], 0
.LBB167_770:
	s_andn2_b64 vcc, exec, s[48:49]
	s_cbranch_vccnz .LBB167_775
; %bb.771:
	s_cmp_gt_i32 s52, 0
	s_mov_b64 s[48:49], -1
	s_cbranch_scc0 .LBB167_773
; %bb.772:
	s_mov_b64 s[48:49], 0
	global_store_byte v[0:1], v4, off
.LBB167_773:
	s_andn2_b64 vcc, exec, s[48:49]
	s_cbranch_vccnz .LBB167_775
; %bb.774:
	global_store_byte v[0:1], v4, off
.LBB167_775:
	s_mov_b64 s[48:49], -1
.LBB167_776:
	s_andn2_b64 vcc, exec, s[48:49]
	s_cbranch_vccnz .LBB167_788
; %bb.777:
	v_add_u32_e32 v10, 0x80, v10
	s_mov_b64 s[52:53], -1
.LBB167_778:
	s_andn2_b64 s[48:49], s[36:37], exec
	s_and_b64 s[0:1], s[0:1], exec
	s_or_b64 s[48:49], s[48:49], s[0:1]
	s_andn2_b64 s[0:1], s[38:39], exec
	s_and_b64 s[46:47], s[46:47], exec
	s_or_b64 s[46:47], s[0:1], s[46:47]
	;; [unrolled: 3-line block ×3, first 2 shown]
	s_orn2_b64 s[0:1], s[52:53], exec
.LBB167_779:
	s_or_b64 exec, exec, s[50:51]
	s_mov_b64 s[52:53], 0
	s_mov_b64 s[54:55], 0
	;; [unrolled: 1-line block ×3, first 2 shown]
                                        ; implicit-def: $sgpr73
                                        ; implicit-def: $vgpr4_vgpr5
                                        ; implicit-def: $vgpr0
                                        ; implicit-def: $vgpr3
                                        ; implicit-def: $vgpr1
	s_and_saveexec_b64 s[50:51], s[0:1]
	s_cbranch_execz .LBB167_1264
; %bb.780:
	v_cmp_gt_i32_e32 vcc, s66, v10
	s_mov_b64 s[64:65], -1
	s_mov_b64 s[0:1], s[44:45]
	s_mov_b64 s[56:57], s[46:47]
	;; [unrolled: 1-line block ×3, first 2 shown]
	s_and_saveexec_b64 s[52:53], vcc
	s_cbranch_execz .LBB167_1172
; %bb.781:
	s_andn2_b64 vcc, exec, s[20:21]
	s_cbranch_vccnz .LBB167_787
; %bb.782:
	s_andn2_b64 vcc, exec, s[34:35]
	s_cbranch_vccnz .LBB167_789
; %bb.783:
	s_add_i32 s0, s72, 1
	s_and_b32 s54, s0, 30
	s_add_u32 s0, s2, 0xffffffe8
	s_addc_u32 s1, s3, -1
	v_mov_b32_e32 v3, 0
	s_waitcnt vmcnt(0)
	v_mov_b32_e32 v5, 0
	v_mov_b32_e32 v0, 0
	;; [unrolled: 1-line block ×3, first 2 shown]
.LBB167_784:                            ; =>This Inner Loop Header: Depth=1
	s_load_dwordx4 s[56:59], s[0:1], 0x1c
	s_load_dwordx2 s[64:65], s[0:1], 0x2c
	s_load_dwordx2 s[74:75], s[0:1], 0xec
	s_load_dwordx4 s[60:63], s[0:1], 0xdc
	s_add_u32 s0, s0, 24
	s_waitcnt lgkmcnt(0)
	v_mul_hi_u32 v2, s57, v1
	s_addc_u32 s1, s1, 0
	s_add_i32 s54, s54, -2
	s_cmp_eq_u32 s54, 0
	v_add_u32_e32 v2, v1, v2
	v_lshrrev_b32_e32 v2, s58, v2
	v_mul_lo_u32 v4, v2, s56
	v_mul_hi_u32 v6, s64, v2
	v_sub_u32_e32 v4, v1, v4
	v_add_u32_e32 v1, v2, v6
	v_lshrrev_b32_e32 v1, s65, v1
	v_mul_lo_u32 v8, v1, s59
	v_mul_lo_u32 v6, v4, s60
	;; [unrolled: 1-line block ×4, first 2 shown]
	v_sub_u32_e32 v2, v2, v8
	v_mul_lo_u32 v8, v2, s63
	v_mul_lo_u32 v9, v2, s74
	;; [unrolled: 1-line block ×3, first 2 shown]
	v_add3_u32 v0, v6, v0, v8
	v_add3_u32 v5, v7, v5, v9
	v_add3_u32 v3, v4, v3, v2
	s_cbranch_scc0 .LBB167_784
; %bb.785:
	s_bitcmp1_b32 s72, 0
	s_cselect_b64 s[54:55], -1, 0
	s_and_b64 vcc, exec, s[54:55]
	s_cbranch_vccnz .LBB167_790
; %bb.786:
	s_load_dwordx2 s[54:55], s[0:1], 0x1c
	s_load_dword s58, s[0:1], 0x24
	s_load_dwordx2 s[56:57], s[0:1], 0xdc
	s_waitcnt lgkmcnt(0)
	v_mul_hi_u32 v2, s55, v1
	v_add_u32_e32 v2, v1, v2
	v_lshrrev_b32_e32 v2, s58, v2
	v_mul_lo_u32 v2, v2, s54
	s_load_dword s54, s[0:1], 0xe4
	v_sub_u32_e32 v2, v1, v2
	v_mad_u64_u32 v[0:1], s[0:1], v2, s56, v[0:1]
	v_mad_u64_u32 v[5:6], s[0:1], v2, s57, v[5:6]
	s_waitcnt lgkmcnt(0)
	v_mad_u64_u32 v[3:4], s[0:1], v2, s54, v[3:4]
	s_branch .LBB167_790
.LBB167_787:
	s_mov_b64 s[0:1], -1
                                        ; implicit-def: $vgpr0
                                        ; implicit-def: $vgpr5
                                        ; implicit-def: $vgpr3
	s_branch .LBB167_791
.LBB167_788:
	s_mov_b64 s[52:53], 0
	s_branch .LBB167_540
.LBB167_789:
	v_mov_b32_e32 v0, 0
	s_waitcnt vmcnt(0)
	v_mov_b32_e32 v5, 0
	v_mov_b32_e32 v3, 0
.LBB167_790:
	s_mov_b64 s[0:1], 0
.LBB167_791:
	s_andn2_b64 vcc, exec, s[0:1]
	s_cbranch_vccnz .LBB167_794
; %bb.792:
	s_waitcnt lgkmcnt(0)
	v_mul_hi_u32 v0, s17, v10
	s_andn2_b64 vcc, exec, s[30:31]
	v_add_u32_e32 v0, v10, v0
	s_waitcnt vmcnt(0)
	v_lshrrev_b32_e32 v1, s18, v0
	v_mul_lo_u32 v0, v1, s16
	v_sub_u32_e32 v2, v10, v0
	v_mul_lo_u32 v0, v2, s12
	v_mul_lo_u32 v5, v2, s13
	v_mul_lo_u32 v3, v2, s14
	s_cbranch_vccnz .LBB167_794
; %bb.793:
	v_mul_hi_u32 v2, s28, v1
	v_add_u32_e32 v2, v1, v2
	v_lshrrev_b32_e32 v2, s29, v2
	v_mul_lo_u32 v2, v2, s19
	v_sub_u32_e32 v2, v1, v2
	v_mad_u64_u32 v[0:1], s[0:1], v2, s15, v[0:1]
	v_mad_u64_u32 v[5:6], s[0:1], v2, s26, v[5:6]
	;; [unrolled: 1-line block ×3, first 2 shown]
.LBB167_794:
	s_waitcnt vmcnt(0) lgkmcnt(0)
	v_mov_b32_e32 v1, s11
	s_and_b32 s58, s71, 0xff
	v_add_co_u32_e32 v4, vcc, s10, v5
	s_cmp_lt_i32 s58, 11
	v_addc_co_u32_e32 v5, vcc, 0, v1, vcc
	s_cbranch_scc1 .LBB167_801
; %bb.795:
	s_and_b32 s59, 0xffff, s58
	s_cmp_gt_i32 s59, 25
	s_cbranch_scc0 .LBB167_802
; %bb.796:
	s_cmp_gt_i32 s59, 28
	s_cbranch_scc0 .LBB167_803
; %bb.797:
	;; [unrolled: 3-line block ×4, first 2 shown]
	s_cmp_eq_u32 s59, 46
	s_mov_b64 s[56:57], 0
	s_cbranch_scc0 .LBB167_808
; %bb.800:
	global_load_dword v1, v[4:5], off
	s_mov_b64 s[0:1], -1
	s_mov_b64 s[54:55], 0
	s_waitcnt vmcnt(0)
	v_lshlrev_b32_e32 v1, 16, v1
	v_cvt_i32_f32_e32 v1, v1
	s_branch .LBB167_809
.LBB167_801:
	s_mov_b64 s[56:57], -1
	s_mov_b64 s[0:1], 0
                                        ; implicit-def: $vgpr1
	s_mov_b64 s[54:55], s[44:45]
	s_branch .LBB167_870
.LBB167_802:
	s_mov_b64 s[56:57], -1
	s_mov_b64 s[0:1], 0
	s_mov_b64 s[54:55], s[44:45]
                                        ; implicit-def: $vgpr1
	s_branch .LBB167_836
.LBB167_803:
	s_mov_b64 s[56:57], -1
	s_mov_b64 s[0:1], 0
	s_mov_b64 s[54:55], s[44:45]
                                        ; implicit-def: $vgpr1
	s_branch .LBB167_819
.LBB167_804:
	s_mov_b64 s[56:57], -1
	s_mov_b64 s[0:1], 0
	s_mov_b64 s[54:55], s[44:45]
                                        ; implicit-def: $vgpr1
	s_branch .LBB167_814
.LBB167_805:
	s_mov_b64 s[56:57], -1
	s_mov_b64 s[0:1], 0
	s_mov_b64 s[54:55], s[44:45]
                                        ; implicit-def: $vgpr1
	s_branch .LBB167_809
.LBB167_806:
	s_andn2_saveexec_b64 s[54:55], s[54:55]
	s_cbranch_execz .LBB167_689
.LBB167_807:
	s_mov_b32 s58, 0x46000000
	v_add_f32_e64 v3, |v2|, s58
	v_and_b32_e32 v3, 0xff, v3
	v_cmp_ne_u32_e32 vcc, 0, v3
	s_andn2_b64 s[52:53], s[52:53], exec
	s_and_b64 s[58:59], vcc, exec
	s_or_b64 s[52:53], s[52:53], s[58:59]
	s_or_b64 exec, exec, s[54:55]
	v_mov_b32_e32 v5, 0
	s_and_saveexec_b64 s[54:55], s[52:53]
	s_cbranch_execnz .LBB167_690
	s_branch .LBB167_691
.LBB167_808:
	s_mov_b64 s[54:55], -1
                                        ; implicit-def: $vgpr1
	s_mov_b64 s[0:1], 0
.LBB167_809:
	s_and_b64 vcc, exec, s[56:57]
	s_cbranch_vccz .LBB167_813
; %bb.810:
	s_cmp_eq_u32 s59, 44
	s_cbranch_scc0 .LBB167_812
; %bb.811:
	global_load_ubyte v1, v[4:5], off
	s_mov_b64 s[0:1], -1
	s_mov_b64 s[54:55], 0
	s_waitcnt vmcnt(0)
	v_lshlrev_b32_e32 v2, 23, v1
	v_cvt_i32_f32_e32 v2, v2
	v_cmp_ne_u32_e32 vcc, 0, v1
	v_cndmask_b32_e32 v1, 0, v2, vcc
	s_branch .LBB167_813
.LBB167_812:
	s_mov_b64 s[54:55], -1
                                        ; implicit-def: $vgpr1
.LBB167_813:
	s_mov_b64 s[56:57], 0
.LBB167_814:
	s_and_b64 vcc, exec, s[56:57]
	s_cbranch_vccz .LBB167_818
; %bb.815:
	s_cmp_eq_u32 s59, 29
	s_cbranch_scc0 .LBB167_817
; %bb.816:
	global_load_dwordx2 v[1:2], v[4:5], off
	s_mov_b64 s[0:1], -1
	s_mov_b64 s[54:55], 0
	s_branch .LBB167_818
.LBB167_817:
	s_mov_b64 s[54:55], -1
                                        ; implicit-def: $vgpr1
.LBB167_818:
	s_mov_b64 s[56:57], 0
.LBB167_819:
	s_and_b64 vcc, exec, s[56:57]
	s_cbranch_vccz .LBB167_835
; %bb.820:
	s_cmp_lt_i32 s59, 27
	s_cbranch_scc1 .LBB167_823
; %bb.821:
	s_cmp_gt_i32 s59, 27
	s_cbranch_scc0 .LBB167_824
; %bb.822:
	global_load_dword v1, v[4:5], off
	s_mov_b64 s[0:1], 0
	s_branch .LBB167_825
.LBB167_823:
	s_mov_b64 s[0:1], -1
                                        ; implicit-def: $vgpr1
	s_branch .LBB167_828
.LBB167_824:
	s_mov_b64 s[0:1], -1
                                        ; implicit-def: $vgpr1
.LBB167_825:
	s_andn2_b64 vcc, exec, s[0:1]
	s_cbranch_vccnz .LBB167_827
; %bb.826:
	global_load_ushort v1, v[4:5], off
.LBB167_827:
	s_mov_b64 s[0:1], 0
.LBB167_828:
	s_andn2_b64 vcc, exec, s[0:1]
	s_cbranch_vccnz .LBB167_834
; %bb.829:
	global_load_ubyte v2, v[4:5], off
	s_movk_i32 s0, 0x7f
	s_mov_b64 s[56:57], 0
	s_waitcnt vmcnt(0)
	v_cmp_lt_i16_e32 vcc, s0, v2
	s_and_saveexec_b64 s[0:1], vcc
	s_xor_b64 s[0:1], exec, s[0:1]
	s_cbranch_execz .LBB167_846
; %bb.830:
	s_movk_i32 s56, 0x80
	v_cmp_ne_u16_e32 vcc, s56, v2
	s_and_b64 s[56:57], vcc, exec
	s_andn2_saveexec_b64 s[0:1], s[0:1]
	s_cbranch_execnz .LBB167_847
.LBB167_831:
	s_or_b64 exec, exec, s[0:1]
	v_mov_b32_e32 v1, 0
	s_and_saveexec_b64 s[0:1], s[56:57]
	s_cbranch_execz .LBB167_833
.LBB167_832:
	v_lshlrev_b32_e32 v1, 24, v2
	v_and_b32_e32 v2, 0xffff, v2
	v_and_b32_e32 v6, 7, v2
	v_ffbh_u32_e32 v8, v6
	v_min_u32_e32 v8, 32, v8
	v_subrev_u32_e32 v9, 28, v8
	v_bfe_u32 v7, v2, 3, 4
	v_lshlrev_b32_e32 v2, v9, v2
	v_sub_u32_e32 v8, 29, v8
	v_and_b32_e32 v2, 7, v2
	v_cmp_eq_u32_e32 vcc, 0, v7
	v_cndmask_b32_e32 v7, v7, v8, vcc
	v_cndmask_b32_e32 v2, v6, v2, vcc
	v_mov_b32_e32 v6, 0x3b800000
	v_lshlrev_b32_e32 v2, 20, v2
	v_and_b32_e32 v1, 0x80000000, v1
	v_lshl_add_u32 v6, v7, 23, v6
	v_or3_b32 v1, v1, v6, v2
	v_cvt_i32_f32_e32 v1, v1
.LBB167_833:
	s_or_b64 exec, exec, s[0:1]
.LBB167_834:
	s_mov_b64 s[0:1], -1
.LBB167_835:
	s_mov_b64 s[56:57], 0
.LBB167_836:
	s_and_b64 vcc, exec, s[56:57]
	s_cbranch_vccz .LBB167_869
; %bb.837:
	s_cmp_gt_i32 s59, 22
	s_cbranch_scc0 .LBB167_845
; %bb.838:
	s_cmp_lt_i32 s59, 24
	s_cbranch_scc1 .LBB167_848
; %bb.839:
	s_cmp_gt_i32 s59, 24
	s_cbranch_scc0 .LBB167_849
; %bb.840:
	global_load_ubyte v2, v[4:5], off
	s_movk_i32 s0, 0x7f
	s_mov_b64 s[56:57], 0
	s_waitcnt vmcnt(0)
	v_cmp_lt_i16_e32 vcc, s0, v2
	s_and_saveexec_b64 s[0:1], vcc
	s_xor_b64 s[0:1], exec, s[0:1]
	s_cbranch_execz .LBB167_861
; %bb.841:
	s_movk_i32 s56, 0x80
	v_cmp_ne_u16_e32 vcc, s56, v2
	s_and_b64 s[56:57], vcc, exec
	s_andn2_saveexec_b64 s[0:1], s[0:1]
	s_cbranch_execnz .LBB167_862
.LBB167_842:
	s_or_b64 exec, exec, s[0:1]
	v_mov_b32_e32 v1, 0
	s_and_saveexec_b64 s[0:1], s[56:57]
	s_cbranch_execz .LBB167_844
.LBB167_843:
	v_lshlrev_b32_e32 v1, 24, v2
	v_and_b32_e32 v2, 0xffff, v2
	v_and_b32_e32 v6, 3, v2
	v_ffbh_u32_e32 v8, v6
	v_min_u32_e32 v8, 32, v8
	v_subrev_u32_e32 v9, 29, v8
	v_bfe_u32 v7, v2, 2, 5
	v_lshlrev_b32_e32 v2, v9, v2
	v_sub_u32_e32 v8, 30, v8
	v_and_b32_e32 v2, 3, v2
	v_cmp_eq_u32_e32 vcc, 0, v7
	v_cndmask_b32_e32 v7, v7, v8, vcc
	v_cndmask_b32_e32 v2, v6, v2, vcc
	v_mov_b32_e32 v6, 0x37800000
	v_lshlrev_b32_e32 v2, 21, v2
	v_and_b32_e32 v1, 0x80000000, v1
	v_lshl_add_u32 v6, v7, 23, v6
	v_or3_b32 v1, v1, v6, v2
	v_cvt_i32_f32_e32 v1, v1
.LBB167_844:
	s_or_b64 exec, exec, s[0:1]
	s_mov_b64 s[0:1], 0
	s_branch .LBB167_850
.LBB167_845:
	s_mov_b64 s[56:57], -1
                                        ; implicit-def: $vgpr1
	s_branch .LBB167_856
.LBB167_846:
	s_andn2_saveexec_b64 s[0:1], s[0:1]
	s_cbranch_execz .LBB167_831
.LBB167_847:
	v_cmp_ne_u16_e32 vcc, 0, v2
	s_andn2_b64 s[56:57], s[56:57], exec
	s_and_b64 s[60:61], vcc, exec
	s_or_b64 s[56:57], s[56:57], s[60:61]
	s_or_b64 exec, exec, s[0:1]
	v_mov_b32_e32 v1, 0
	s_and_saveexec_b64 s[0:1], s[56:57]
	s_cbranch_execnz .LBB167_832
	s_branch .LBB167_833
.LBB167_848:
	s_mov_b64 s[0:1], -1
                                        ; implicit-def: $vgpr1
	s_branch .LBB167_853
.LBB167_849:
	s_mov_b64 s[0:1], -1
                                        ; implicit-def: $vgpr1
.LBB167_850:
	s_and_b64 vcc, exec, s[0:1]
	s_cbranch_vccz .LBB167_852
; %bb.851:
	global_load_ubyte v1, v[4:5], off
	s_mov_b32 s0, 0x7f800000
	s_waitcnt vmcnt(0)
	v_lshlrev_b32_e32 v1, 24, v1
	v_and_b32_e32 v2, 0x7f000000, v1
	v_ffbh_u32_e32 v6, v2
	v_min_u32_e32 v6, 32, v6
	v_sub_u32_e64 v6, v6, 4 clamp
	v_lshlrev_b32_e32 v8, v6, v2
	v_lshlrev_b32_e32 v6, 23, v6
	v_lshrrev_b32_e32 v8, 4, v8
	v_add_u32_e32 v7, 0x1000000, v2
	v_sub_u32_e32 v6, v8, v6
	v_ashrrev_i32_e32 v7, 8, v7
	v_add_u32_e32 v6, 0x3c000000, v6
	v_and_or_b32 v6, v7, s0, v6
	v_cmp_ne_u32_e32 vcc, 0, v2
	v_cndmask_b32_e32 v2, 0, v6, vcc
	s_brev_b32 s0, 1
	v_and_or_b32 v1, v1, s0, v2
	v_cvt_i32_f32_e32 v1, v1
.LBB167_852:
	s_mov_b64 s[0:1], 0
.LBB167_853:
	s_andn2_b64 vcc, exec, s[0:1]
	s_cbranch_vccnz .LBB167_855
; %bb.854:
	global_load_ubyte v1, v[4:5], off
	s_movk_i32 s0, 0x7f00
	s_brev_b32 s1, 16
	s_waitcnt vmcnt(0)
	v_lshlrev_b16_e32 v2, 8, v1
	v_lshlrev_b32_e32 v1, 25, v1
	v_lshrrev_b32_e32 v6, 4, v1
	v_and_or_b32 v7, v2, s0, 0.5
	v_or_b32_e32 v6, 0x70000000, v6
	v_add_f32_e32 v7, -0.5, v7
	v_mul_f32_e32 v6, 0x7800000, v6
	v_cmp_gt_u32_e32 vcc, s1, v1
	v_bfe_i32 v2, v2, 0, 16
	v_cndmask_b32_e32 v1, v6, v7, vcc
	s_brev_b32 s0, 1
	v_and_or_b32 v1, v2, s0, v1
	v_cvt_i32_f32_e32 v1, v1
.LBB167_855:
	s_mov_b64 s[56:57], 0
	s_mov_b64 s[0:1], -1
.LBB167_856:
	s_andn2_b64 vcc, exec, s[56:57]
	s_cbranch_vccnz .LBB167_869
; %bb.857:
	s_cmp_gt_i32 s59, 14
	s_cbranch_scc0 .LBB167_860
; %bb.858:
	s_cmp_eq_u32 s59, 15
	s_cbranch_scc0 .LBB167_863
; %bb.859:
	global_load_ushort v1, v[4:5], off
	s_mov_b64 s[0:1], -1
	s_mov_b64 s[54:55], 0
	s_waitcnt vmcnt(0)
	v_lshlrev_b32_e32 v1, 16, v1
	v_cvt_i32_f32_e32 v1, v1
	s_branch .LBB167_864
.LBB167_860:
	s_mov_b64 s[56:57], -1
                                        ; implicit-def: $vgpr1
	s_branch .LBB167_865
.LBB167_861:
	s_andn2_saveexec_b64 s[0:1], s[0:1]
	s_cbranch_execz .LBB167_842
.LBB167_862:
	v_cmp_ne_u16_e32 vcc, 0, v2
	s_andn2_b64 s[56:57], s[56:57], exec
	s_and_b64 s[60:61], vcc, exec
	s_or_b64 s[56:57], s[56:57], s[60:61]
	s_or_b64 exec, exec, s[0:1]
	v_mov_b32_e32 v1, 0
	s_and_saveexec_b64 s[0:1], s[56:57]
	s_cbranch_execnz .LBB167_843
	s_branch .LBB167_844
.LBB167_863:
	s_mov_b64 s[54:55], -1
                                        ; implicit-def: $vgpr1
.LBB167_864:
	s_mov_b64 s[56:57], 0
.LBB167_865:
	s_and_b64 vcc, exec, s[56:57]
	s_cbranch_vccz .LBB167_869
; %bb.866:
	s_cmp_eq_u32 s59, 11
	s_cbranch_scc0 .LBB167_868
; %bb.867:
	global_load_ubyte v1, v[4:5], off
	s_mov_b64 s[0:1], -1
	s_mov_b64 s[54:55], 0
	s_waitcnt vmcnt(0)
	v_cmp_ne_u16_e32 vcc, 0, v1
	v_cndmask_b32_e64 v1, 0, 1, vcc
	s_branch .LBB167_869
.LBB167_868:
	s_mov_b64 s[54:55], -1
                                        ; implicit-def: $vgpr1
.LBB167_869:
	s_mov_b64 s[56:57], 0
.LBB167_870:
	s_and_b64 vcc, exec, s[56:57]
	s_cbranch_vccz .LBB167_919
; %bb.871:
	s_and_b32 s56, 0xffff, s58
	s_cmp_lt_i32 s56, 5
	s_cbranch_scc1 .LBB167_876
; %bb.872:
	s_cmp_lt_i32 s56, 8
	s_cbranch_scc1 .LBB167_877
; %bb.873:
	;; [unrolled: 3-line block ×3, first 2 shown]
	s_cmp_gt_i32 s56, 9
	s_cbranch_scc0 .LBB167_879
; %bb.875:
	global_load_dwordx2 v[1:2], v[4:5], off
	s_mov_b64 s[0:1], 0
	s_waitcnt vmcnt(0)
	v_cvt_i32_f64_e32 v1, v[1:2]
	s_branch .LBB167_880
.LBB167_876:
	s_mov_b64 s[0:1], -1
                                        ; implicit-def: $vgpr1
	s_branch .LBB167_898
.LBB167_877:
	s_mov_b64 s[0:1], -1
                                        ; implicit-def: $vgpr1
	s_branch .LBB167_886
.LBB167_878:
	s_mov_b64 s[0:1], -1
                                        ; implicit-def: $vgpr1
	s_branch .LBB167_883
.LBB167_879:
	s_mov_b64 s[0:1], -1
                                        ; implicit-def: $vgpr1
.LBB167_880:
	s_andn2_b64 vcc, exec, s[0:1]
	s_cbranch_vccnz .LBB167_882
; %bb.881:
	global_load_dword v1, v[4:5], off
	s_waitcnt vmcnt(0)
	v_cvt_i32_f32_e32 v1, v1
.LBB167_882:
	s_mov_b64 s[0:1], 0
.LBB167_883:
	s_andn2_b64 vcc, exec, s[0:1]
	s_cbranch_vccnz .LBB167_885
; %bb.884:
	global_load_dword v1, v[4:5], off
	s_waitcnt vmcnt(0)
	v_cvt_i16_f16_e32 v1, v1
.LBB167_885:
	s_mov_b64 s[0:1], 0
.LBB167_886:
	s_andn2_b64 vcc, exec, s[0:1]
	s_cbranch_vccnz .LBB167_897
; %bb.887:
	s_cmp_lt_i32 s56, 6
	s_cbranch_scc1 .LBB167_890
; %bb.888:
	s_cmp_gt_i32 s56, 6
	s_cbranch_scc0 .LBB167_891
; %bb.889:
	global_load_dwordx2 v[1:2], v[4:5], off
	s_mov_b64 s[0:1], 0
	s_waitcnt vmcnt(0)
	v_cvt_i32_f64_e32 v1, v[1:2]
	s_branch .LBB167_892
.LBB167_890:
	s_mov_b64 s[0:1], -1
                                        ; implicit-def: $vgpr1
	s_branch .LBB167_895
.LBB167_891:
	s_mov_b64 s[0:1], -1
                                        ; implicit-def: $vgpr1
.LBB167_892:
	s_andn2_b64 vcc, exec, s[0:1]
	s_cbranch_vccnz .LBB167_894
; %bb.893:
	global_load_dword v1, v[4:5], off
	s_waitcnt vmcnt(0)
	v_cvt_i32_f32_e32 v1, v1
.LBB167_894:
	s_mov_b64 s[0:1], 0
.LBB167_895:
	s_andn2_b64 vcc, exec, s[0:1]
	s_cbranch_vccnz .LBB167_897
; %bb.896:
	global_load_ushort v1, v[4:5], off
	s_waitcnt vmcnt(0)
	v_cvt_i16_f16_e32 v1, v1
.LBB167_897:
	s_mov_b64 s[0:1], 0
.LBB167_898:
	s_andn2_b64 vcc, exec, s[0:1]
	s_cbranch_vccnz .LBB167_918
; %bb.899:
	s_cmp_lt_i32 s56, 2
	s_cbranch_scc1 .LBB167_903
; %bb.900:
	s_cmp_lt_i32 s56, 3
	s_cbranch_scc1 .LBB167_904
; %bb.901:
	s_cmp_gt_i32 s56, 3
	s_cbranch_scc0 .LBB167_905
; %bb.902:
	global_load_dwordx2 v[1:2], v[4:5], off
	s_mov_b64 s[0:1], 0
	s_branch .LBB167_906
.LBB167_903:
	s_mov_b64 s[0:1], -1
                                        ; implicit-def: $vgpr1
	s_branch .LBB167_912
.LBB167_904:
	s_mov_b64 s[0:1], -1
                                        ; implicit-def: $vgpr1
	s_branch .LBB167_909
.LBB167_905:
	s_mov_b64 s[0:1], -1
                                        ; implicit-def: $vgpr1
.LBB167_906:
	s_andn2_b64 vcc, exec, s[0:1]
	s_cbranch_vccnz .LBB167_908
; %bb.907:
	global_load_dword v1, v[4:5], off
.LBB167_908:
	s_mov_b64 s[0:1], 0
.LBB167_909:
	s_andn2_b64 vcc, exec, s[0:1]
	s_cbranch_vccnz .LBB167_911
; %bb.910:
	global_load_ushort v1, v[4:5], off
.LBB167_911:
	s_mov_b64 s[0:1], 0
.LBB167_912:
	s_andn2_b64 vcc, exec, s[0:1]
	s_cbranch_vccnz .LBB167_918
; %bb.913:
	s_cmp_gt_i32 s56, 0
	s_cbranch_scc0 .LBB167_915
; %bb.914:
	global_load_ubyte v1, v[4:5], off
	s_mov_b64 s[0:1], 0
	s_branch .LBB167_916
.LBB167_915:
	s_mov_b64 s[0:1], -1
                                        ; implicit-def: $vgpr1
.LBB167_916:
	s_andn2_b64 vcc, exec, s[0:1]
	s_cbranch_vccnz .LBB167_918
; %bb.917:
	global_load_ubyte v1, v[4:5], off
.LBB167_918:
	s_mov_b64 s[0:1], -1
.LBB167_919:
	s_andn2_b64 vcc, exec, s[0:1]
	s_cbranch_vccnz .LBB167_927
; %bb.920:
	v_mov_b32_e32 v4, s25
	s_and_b32 s60, s70, 0xff
	s_waitcnt vmcnt(0)
	v_add_co_u32_e32 v2, vcc, s24, v3
	s_cmp_lt_i32 s60, 11
	v_addc_co_u32_e32 v3, vcc, 0, v4, vcc
	s_cbranch_scc1 .LBB167_929
; %bb.921:
	s_and_b32 s61, 0xffff, s60
	s_cmp_gt_i32 s61, 25
	s_cbranch_scc0 .LBB167_930
; %bb.922:
	s_cmp_gt_i32 s61, 28
	s_cbranch_scc0 .LBB167_931
; %bb.923:
	;; [unrolled: 3-line block ×4, first 2 shown]
	s_cmp_eq_u32 s61, 46
	s_mov_b64 s[58:59], 0
	s_cbranch_scc0 .LBB167_936
; %bb.926:
	global_load_dword v4, v[2:3], off
	s_mov_b64 s[0:1], -1
	s_mov_b64 s[56:57], 0
	s_waitcnt vmcnt(0)
	v_lshlrev_b32_e32 v4, 16, v4
	v_cvt_i32_f32_e32 v4, v4
	s_branch .LBB167_937
.LBB167_927:
	s_mov_b64 s[60:61], 0
	s_mov_b64 s[0:1], s[48:49]
	;; [unrolled: 1-line block ×3, first 2 shown]
.LBB167_928:
                                        ; implicit-def: $vgpr10
	s_branch .LBB167_1171
.LBB167_929:
	s_mov_b64 s[58:59], -1
	s_mov_b64 s[0:1], 0
                                        ; implicit-def: $vgpr4
	s_mov_b64 s[56:57], s[46:47]
	s_branch .LBB167_998
.LBB167_930:
	s_mov_b64 s[58:59], -1
	s_mov_b64 s[0:1], 0
	s_mov_b64 s[56:57], s[46:47]
                                        ; implicit-def: $vgpr4
	s_branch .LBB167_964
.LBB167_931:
	s_mov_b64 s[58:59], -1
	s_mov_b64 s[0:1], 0
	s_mov_b64 s[56:57], s[46:47]
                                        ; implicit-def: $vgpr4
	s_branch .LBB167_947
.LBB167_932:
	s_mov_b64 s[58:59], -1
	s_mov_b64 s[0:1], 0
	s_mov_b64 s[56:57], s[46:47]
                                        ; implicit-def: $vgpr4
	s_branch .LBB167_942
.LBB167_933:
	s_mov_b64 s[58:59], -1
	s_mov_b64 s[0:1], 0
	s_mov_b64 s[56:57], s[46:47]
                                        ; implicit-def: $vgpr4
	s_branch .LBB167_937
.LBB167_934:
	s_andn2_saveexec_b64 s[54:55], s[54:55]
	s_cbranch_execz .LBB167_702
.LBB167_935:
	s_mov_b32 s58, 0x42800000
	v_add_f32_e64 v3, |v2|, s58
	v_and_b32_e32 v3, 0xff, v3
	v_cmp_ne_u32_e32 vcc, 0, v3
	s_andn2_b64 s[52:53], s[52:53], exec
	s_and_b64 s[58:59], vcc, exec
	s_or_b64 s[52:53], s[52:53], s[58:59]
	s_or_b64 exec, exec, s[54:55]
	v_mov_b32_e32 v5, 0
	s_and_saveexec_b64 s[54:55], s[52:53]
	s_cbranch_execnz .LBB167_703
	s_branch .LBB167_704
.LBB167_936:
	s_mov_b64 s[56:57], -1
                                        ; implicit-def: $vgpr4
	s_mov_b64 s[0:1], 0
.LBB167_937:
	s_and_b64 vcc, exec, s[58:59]
	s_cbranch_vccz .LBB167_941
; %bb.938:
	s_cmp_eq_u32 s61, 44
	s_cbranch_scc0 .LBB167_940
; %bb.939:
	global_load_ubyte v4, v[2:3], off
	s_mov_b64 s[0:1], -1
	s_mov_b64 s[56:57], 0
	s_waitcnt vmcnt(0)
	v_lshlrev_b32_e32 v5, 23, v4
	v_cvt_i32_f32_e32 v5, v5
	v_cmp_ne_u32_e32 vcc, 0, v4
	v_cndmask_b32_e32 v4, 0, v5, vcc
	s_branch .LBB167_941
.LBB167_940:
	s_mov_b64 s[56:57], -1
                                        ; implicit-def: $vgpr4
.LBB167_941:
	s_mov_b64 s[58:59], 0
.LBB167_942:
	s_and_b64 vcc, exec, s[58:59]
	s_cbranch_vccz .LBB167_946
; %bb.943:
	s_cmp_eq_u32 s61, 29
	s_cbranch_scc0 .LBB167_945
; %bb.944:
	global_load_dwordx2 v[4:5], v[2:3], off
	s_mov_b64 s[0:1], -1
	s_mov_b64 s[56:57], 0
	s_branch .LBB167_946
.LBB167_945:
	s_mov_b64 s[56:57], -1
                                        ; implicit-def: $vgpr4
.LBB167_946:
	s_mov_b64 s[58:59], 0
.LBB167_947:
	s_and_b64 vcc, exec, s[58:59]
	s_cbranch_vccz .LBB167_963
; %bb.948:
	s_cmp_lt_i32 s61, 27
	s_cbranch_scc1 .LBB167_951
; %bb.949:
	s_cmp_gt_i32 s61, 27
	s_cbranch_scc0 .LBB167_952
; %bb.950:
	global_load_dword v4, v[2:3], off
	s_mov_b64 s[0:1], 0
	s_branch .LBB167_953
.LBB167_951:
	s_mov_b64 s[0:1], -1
                                        ; implicit-def: $vgpr4
	s_branch .LBB167_956
.LBB167_952:
	s_mov_b64 s[0:1], -1
                                        ; implicit-def: $vgpr4
.LBB167_953:
	s_andn2_b64 vcc, exec, s[0:1]
	s_cbranch_vccnz .LBB167_955
; %bb.954:
	global_load_ushort v4, v[2:3], off
.LBB167_955:
	s_mov_b64 s[0:1], 0
.LBB167_956:
	s_andn2_b64 vcc, exec, s[0:1]
	s_cbranch_vccnz .LBB167_962
; %bb.957:
	global_load_ubyte v5, v[2:3], off
	s_movk_i32 s0, 0x7f
	s_mov_b64 s[58:59], 0
	s_waitcnt vmcnt(0)
	v_cmp_lt_i16_e32 vcc, s0, v5
	s_and_saveexec_b64 s[0:1], vcc
	s_xor_b64 s[0:1], exec, s[0:1]
	s_cbranch_execz .LBB167_974
; %bb.958:
	s_movk_i32 s58, 0x80
	v_cmp_ne_u16_e32 vcc, s58, v5
	s_and_b64 s[58:59], vcc, exec
	s_andn2_saveexec_b64 s[0:1], s[0:1]
	s_cbranch_execnz .LBB167_975
.LBB167_959:
	s_or_b64 exec, exec, s[0:1]
	v_mov_b32_e32 v4, 0
	s_and_saveexec_b64 s[0:1], s[58:59]
	s_cbranch_execz .LBB167_961
.LBB167_960:
	v_lshlrev_b32_e32 v4, 24, v5
	v_and_b32_e32 v5, 0xffff, v5
	v_and_b32_e32 v6, 7, v5
	v_ffbh_u32_e32 v8, v6
	v_min_u32_e32 v8, 32, v8
	v_subrev_u32_e32 v9, 28, v8
	v_bfe_u32 v7, v5, 3, 4
	v_lshlrev_b32_e32 v5, v9, v5
	v_sub_u32_e32 v8, 29, v8
	v_and_b32_e32 v5, 7, v5
	v_cmp_eq_u32_e32 vcc, 0, v7
	v_cndmask_b32_e32 v7, v7, v8, vcc
	v_cndmask_b32_e32 v5, v6, v5, vcc
	v_mov_b32_e32 v6, 0x3b800000
	v_lshlrev_b32_e32 v5, 20, v5
	v_and_b32_e32 v4, 0x80000000, v4
	v_lshl_add_u32 v6, v7, 23, v6
	v_or3_b32 v4, v4, v6, v5
	v_cvt_i32_f32_e32 v4, v4
.LBB167_961:
	s_or_b64 exec, exec, s[0:1]
.LBB167_962:
	s_mov_b64 s[0:1], -1
.LBB167_963:
	s_mov_b64 s[58:59], 0
.LBB167_964:
	s_and_b64 vcc, exec, s[58:59]
	s_cbranch_vccz .LBB167_997
; %bb.965:
	s_cmp_gt_i32 s61, 22
	s_cbranch_scc0 .LBB167_973
; %bb.966:
	s_cmp_lt_i32 s61, 24
	s_cbranch_scc1 .LBB167_976
; %bb.967:
	s_cmp_gt_i32 s61, 24
	s_cbranch_scc0 .LBB167_977
; %bb.968:
	global_load_ubyte v5, v[2:3], off
	s_movk_i32 s0, 0x7f
	s_mov_b64 s[58:59], 0
	s_waitcnt vmcnt(0)
	v_cmp_lt_i16_e32 vcc, s0, v5
	s_and_saveexec_b64 s[0:1], vcc
	s_xor_b64 s[0:1], exec, s[0:1]
	s_cbranch_execz .LBB167_989
; %bb.969:
	s_movk_i32 s58, 0x80
	v_cmp_ne_u16_e32 vcc, s58, v5
	s_and_b64 s[58:59], vcc, exec
	s_andn2_saveexec_b64 s[0:1], s[0:1]
	s_cbranch_execnz .LBB167_990
.LBB167_970:
	s_or_b64 exec, exec, s[0:1]
	v_mov_b32_e32 v4, 0
	s_and_saveexec_b64 s[0:1], s[58:59]
	s_cbranch_execz .LBB167_972
.LBB167_971:
	v_lshlrev_b32_e32 v4, 24, v5
	v_and_b32_e32 v5, 0xffff, v5
	v_and_b32_e32 v6, 3, v5
	v_ffbh_u32_e32 v8, v6
	v_min_u32_e32 v8, 32, v8
	v_subrev_u32_e32 v9, 29, v8
	v_bfe_u32 v7, v5, 2, 5
	v_lshlrev_b32_e32 v5, v9, v5
	v_sub_u32_e32 v8, 30, v8
	v_and_b32_e32 v5, 3, v5
	v_cmp_eq_u32_e32 vcc, 0, v7
	v_cndmask_b32_e32 v7, v7, v8, vcc
	v_cndmask_b32_e32 v5, v6, v5, vcc
	v_mov_b32_e32 v6, 0x37800000
	v_lshlrev_b32_e32 v5, 21, v5
	v_and_b32_e32 v4, 0x80000000, v4
	v_lshl_add_u32 v6, v7, 23, v6
	v_or3_b32 v4, v4, v6, v5
	v_cvt_i32_f32_e32 v4, v4
.LBB167_972:
	s_or_b64 exec, exec, s[0:1]
	s_mov_b64 s[0:1], 0
	s_branch .LBB167_978
.LBB167_973:
	s_mov_b64 s[58:59], -1
                                        ; implicit-def: $vgpr4
	s_branch .LBB167_984
.LBB167_974:
	s_andn2_saveexec_b64 s[0:1], s[0:1]
	s_cbranch_execz .LBB167_959
.LBB167_975:
	v_cmp_ne_u16_e32 vcc, 0, v5
	s_andn2_b64 s[58:59], s[58:59], exec
	s_and_b64 s[62:63], vcc, exec
	s_or_b64 s[58:59], s[58:59], s[62:63]
	s_or_b64 exec, exec, s[0:1]
	v_mov_b32_e32 v4, 0
	s_and_saveexec_b64 s[0:1], s[58:59]
	s_cbranch_execnz .LBB167_960
	s_branch .LBB167_961
.LBB167_976:
	s_mov_b64 s[0:1], -1
                                        ; implicit-def: $vgpr4
	s_branch .LBB167_981
.LBB167_977:
	s_mov_b64 s[0:1], -1
                                        ; implicit-def: $vgpr4
.LBB167_978:
	s_and_b64 vcc, exec, s[0:1]
	s_cbranch_vccz .LBB167_980
; %bb.979:
	global_load_ubyte v4, v[2:3], off
	s_mov_b32 s0, 0x7f800000
	s_waitcnt vmcnt(0)
	v_lshlrev_b32_e32 v4, 24, v4
	v_and_b32_e32 v5, 0x7f000000, v4
	v_ffbh_u32_e32 v6, v5
	v_min_u32_e32 v6, 32, v6
	v_sub_u32_e64 v6, v6, 4 clamp
	v_lshlrev_b32_e32 v8, v6, v5
	v_lshlrev_b32_e32 v6, 23, v6
	v_lshrrev_b32_e32 v8, 4, v8
	v_add_u32_e32 v7, 0x1000000, v5
	v_sub_u32_e32 v6, v8, v6
	v_ashrrev_i32_e32 v7, 8, v7
	v_add_u32_e32 v6, 0x3c000000, v6
	v_and_or_b32 v6, v7, s0, v6
	v_cmp_ne_u32_e32 vcc, 0, v5
	v_cndmask_b32_e32 v5, 0, v6, vcc
	s_brev_b32 s0, 1
	v_and_or_b32 v4, v4, s0, v5
	v_cvt_i32_f32_e32 v4, v4
.LBB167_980:
	s_mov_b64 s[0:1], 0
.LBB167_981:
	s_andn2_b64 vcc, exec, s[0:1]
	s_cbranch_vccnz .LBB167_983
; %bb.982:
	global_load_ubyte v4, v[2:3], off
	s_movk_i32 s0, 0x7f00
	s_brev_b32 s1, 16
	s_waitcnt vmcnt(0)
	v_lshlrev_b16_e32 v5, 8, v4
	v_lshlrev_b32_e32 v4, 25, v4
	v_lshrrev_b32_e32 v6, 4, v4
	v_and_or_b32 v7, v5, s0, 0.5
	v_or_b32_e32 v6, 0x70000000, v6
	v_add_f32_e32 v7, -0.5, v7
	v_mul_f32_e32 v6, 0x7800000, v6
	v_cmp_gt_u32_e32 vcc, s1, v4
	v_bfe_i32 v5, v5, 0, 16
	v_cndmask_b32_e32 v4, v6, v7, vcc
	s_brev_b32 s0, 1
	v_and_or_b32 v4, v5, s0, v4
	v_cvt_i32_f32_e32 v4, v4
.LBB167_983:
	s_mov_b64 s[58:59], 0
	s_mov_b64 s[0:1], -1
.LBB167_984:
	s_andn2_b64 vcc, exec, s[58:59]
	s_cbranch_vccnz .LBB167_997
; %bb.985:
	s_cmp_gt_i32 s61, 14
	s_cbranch_scc0 .LBB167_988
; %bb.986:
	s_cmp_eq_u32 s61, 15
	s_cbranch_scc0 .LBB167_991
; %bb.987:
	global_load_ushort v4, v[2:3], off
	s_mov_b64 s[0:1], -1
	s_mov_b64 s[56:57], 0
	s_waitcnt vmcnt(0)
	v_lshlrev_b32_e32 v4, 16, v4
	v_cvt_i32_f32_e32 v4, v4
	s_branch .LBB167_992
.LBB167_988:
	s_mov_b64 s[58:59], -1
                                        ; implicit-def: $vgpr4
	s_branch .LBB167_993
.LBB167_989:
	s_andn2_saveexec_b64 s[0:1], s[0:1]
	s_cbranch_execz .LBB167_970
.LBB167_990:
	v_cmp_ne_u16_e32 vcc, 0, v5
	s_andn2_b64 s[58:59], s[58:59], exec
	s_and_b64 s[62:63], vcc, exec
	s_or_b64 s[58:59], s[58:59], s[62:63]
	s_or_b64 exec, exec, s[0:1]
	v_mov_b32_e32 v4, 0
	s_and_saveexec_b64 s[0:1], s[58:59]
	s_cbranch_execnz .LBB167_971
	s_branch .LBB167_972
.LBB167_991:
	s_mov_b64 s[56:57], -1
                                        ; implicit-def: $vgpr4
.LBB167_992:
	s_mov_b64 s[58:59], 0
.LBB167_993:
	s_and_b64 vcc, exec, s[58:59]
	s_cbranch_vccz .LBB167_997
; %bb.994:
	s_cmp_eq_u32 s61, 11
	s_cbranch_scc0 .LBB167_996
; %bb.995:
	global_load_ubyte v4, v[2:3], off
	s_mov_b64 s[0:1], -1
	s_mov_b64 s[56:57], 0
	s_waitcnt vmcnt(0)
	v_cmp_ne_u16_e32 vcc, 0, v4
	v_cndmask_b32_e64 v4, 0, 1, vcc
	s_branch .LBB167_997
.LBB167_996:
	s_mov_b64 s[56:57], -1
                                        ; implicit-def: $vgpr4
.LBB167_997:
	s_mov_b64 s[58:59], 0
.LBB167_998:
	s_and_b64 vcc, exec, s[58:59]
	s_cbranch_vccz .LBB167_1047
; %bb.999:
	s_and_b32 s58, 0xffff, s60
	s_cmp_lt_i32 s58, 5
	s_cbranch_scc1 .LBB167_1004
; %bb.1000:
	s_cmp_lt_i32 s58, 8
	s_cbranch_scc1 .LBB167_1005
; %bb.1001:
	;; [unrolled: 3-line block ×3, first 2 shown]
	s_cmp_gt_i32 s58, 9
	s_cbranch_scc0 .LBB167_1007
; %bb.1003:
	global_load_dwordx2 v[4:5], v[2:3], off
	s_mov_b64 s[0:1], 0
	s_waitcnt vmcnt(0)
	v_cvt_i32_f64_e32 v4, v[4:5]
	s_branch .LBB167_1008
.LBB167_1004:
	s_mov_b64 s[0:1], -1
                                        ; implicit-def: $vgpr4
	s_branch .LBB167_1026
.LBB167_1005:
	s_mov_b64 s[0:1], -1
                                        ; implicit-def: $vgpr4
	s_branch .LBB167_1014
.LBB167_1006:
	s_mov_b64 s[0:1], -1
                                        ; implicit-def: $vgpr4
	s_branch .LBB167_1011
.LBB167_1007:
	s_mov_b64 s[0:1], -1
                                        ; implicit-def: $vgpr4
.LBB167_1008:
	s_andn2_b64 vcc, exec, s[0:1]
	s_cbranch_vccnz .LBB167_1010
; %bb.1009:
	global_load_dword v4, v[2:3], off
	s_waitcnt vmcnt(0)
	v_cvt_i32_f32_e32 v4, v4
.LBB167_1010:
	s_mov_b64 s[0:1], 0
.LBB167_1011:
	s_andn2_b64 vcc, exec, s[0:1]
	s_cbranch_vccnz .LBB167_1013
; %bb.1012:
	global_load_dword v4, v[2:3], off
	s_waitcnt vmcnt(0)
	v_cvt_i16_f16_e32 v4, v4
.LBB167_1013:
	s_mov_b64 s[0:1], 0
.LBB167_1014:
	s_andn2_b64 vcc, exec, s[0:1]
	s_cbranch_vccnz .LBB167_1025
; %bb.1015:
	s_cmp_lt_i32 s58, 6
	s_cbranch_scc1 .LBB167_1018
; %bb.1016:
	s_cmp_gt_i32 s58, 6
	s_cbranch_scc0 .LBB167_1019
; %bb.1017:
	global_load_dwordx2 v[4:5], v[2:3], off
	s_mov_b64 s[0:1], 0
	s_waitcnt vmcnt(0)
	v_cvt_i32_f64_e32 v4, v[4:5]
	s_branch .LBB167_1020
.LBB167_1018:
	s_mov_b64 s[0:1], -1
                                        ; implicit-def: $vgpr4
	s_branch .LBB167_1023
.LBB167_1019:
	s_mov_b64 s[0:1], -1
                                        ; implicit-def: $vgpr4
.LBB167_1020:
	s_andn2_b64 vcc, exec, s[0:1]
	s_cbranch_vccnz .LBB167_1022
; %bb.1021:
	global_load_dword v4, v[2:3], off
	s_waitcnt vmcnt(0)
	v_cvt_i32_f32_e32 v4, v4
.LBB167_1022:
	s_mov_b64 s[0:1], 0
.LBB167_1023:
	s_andn2_b64 vcc, exec, s[0:1]
	s_cbranch_vccnz .LBB167_1025
; %bb.1024:
	global_load_ushort v4, v[2:3], off
	s_waitcnt vmcnt(0)
	v_cvt_i16_f16_e32 v4, v4
.LBB167_1025:
	s_mov_b64 s[0:1], 0
.LBB167_1026:
	s_andn2_b64 vcc, exec, s[0:1]
	s_cbranch_vccnz .LBB167_1046
; %bb.1027:
	s_cmp_lt_i32 s58, 2
	s_cbranch_scc1 .LBB167_1031
; %bb.1028:
	s_cmp_lt_i32 s58, 3
	s_cbranch_scc1 .LBB167_1032
; %bb.1029:
	s_cmp_gt_i32 s58, 3
	s_cbranch_scc0 .LBB167_1033
; %bb.1030:
	global_load_dwordx2 v[4:5], v[2:3], off
	s_mov_b64 s[0:1], 0
	s_branch .LBB167_1034
.LBB167_1031:
	s_mov_b64 s[0:1], -1
                                        ; implicit-def: $vgpr4
	s_branch .LBB167_1040
.LBB167_1032:
	s_mov_b64 s[0:1], -1
                                        ; implicit-def: $vgpr4
	s_branch .LBB167_1037
.LBB167_1033:
	s_mov_b64 s[0:1], -1
                                        ; implicit-def: $vgpr4
.LBB167_1034:
	s_andn2_b64 vcc, exec, s[0:1]
	s_cbranch_vccnz .LBB167_1036
; %bb.1035:
	global_load_dword v4, v[2:3], off
.LBB167_1036:
	s_mov_b64 s[0:1], 0
.LBB167_1037:
	s_andn2_b64 vcc, exec, s[0:1]
	s_cbranch_vccnz .LBB167_1039
; %bb.1038:
	global_load_ushort v4, v[2:3], off
.LBB167_1039:
	s_mov_b64 s[0:1], 0
.LBB167_1040:
	s_andn2_b64 vcc, exec, s[0:1]
	s_cbranch_vccnz .LBB167_1046
; %bb.1041:
	s_cmp_gt_i32 s58, 0
	s_cbranch_scc0 .LBB167_1043
; %bb.1042:
	global_load_ubyte v4, v[2:3], off
	s_mov_b64 s[0:1], 0
	s_branch .LBB167_1044
.LBB167_1043:
	s_mov_b64 s[0:1], -1
                                        ; implicit-def: $vgpr4
.LBB167_1044:
	s_andn2_b64 vcc, exec, s[0:1]
	s_cbranch_vccnz .LBB167_1046
; %bb.1045:
	global_load_ubyte v4, v[2:3], off
.LBB167_1046:
	s_mov_b64 s[0:1], -1
.LBB167_1047:
	s_andn2_b64 vcc, exec, s[0:1]
	s_cbranch_vccnz .LBB167_1055
; %bb.1048:
	v_mov_b32_e32 v2, 6
	v_mov_b32_e32 v3, 7
	v_ashrrev_i16_sdwa v3, v3, sext(v1) dst_sel:DWORD dst_unused:UNUSED_PAD src0_sel:DWORD src1_sel:BYTE_0
	s_waitcnt vmcnt(0)
	v_ashrrev_i32_sdwa v1, v4, sext(v1) dst_sel:DWORD dst_unused:UNUSED_PAD src0_sel:DWORD src1_sel:BYTE_0
	v_cmp_gt_u16_sdwa vcc, v4, v2 src0_sel:BYTE_0 src1_sel:DWORD
	v_cndmask_b32_e32 v2, v1, v3, vcc
	v_mov_b32_e32 v1, s9
	s_and_b32 s64, s69, 0xff
	v_add_co_u32_e32 v0, vcc, s8, v0
	s_cmp_lt_i32 s64, 11
	v_addc_co_u32_e32 v1, vcc, 0, v1, vcc
	s_cbranch_scc1 .LBB167_1056
; %bb.1049:
	s_and_b32 s65, 0xffff, s64
	s_cmp_gt_i32 s65, 25
	s_cbranch_scc0 .LBB167_1057
; %bb.1050:
	s_cmp_gt_i32 s65, 28
	s_cbranch_scc0 .LBB167_1058
; %bb.1051:
	;; [unrolled: 3-line block ×4, first 2 shown]
	s_mov_b64 s[60:61], 0
	s_mov_b64 s[0:1], -1
	s_cmp_eq_u32 s65, 46
	s_mov_b64 s[58:59], 0
	s_cbranch_scc0 .LBB167_1061
; %bb.1054:
	v_cvt_f32_i32_sdwa v3, sext(v2) dst_sel:DWORD dst_unused:UNUSED_PAD src0_sel:WORD_0
	s_movk_i32 s0, 0x7fff
	s_mov_b64 s[58:59], -1
	v_bfe_u32 v4, v3, 16, 1
	v_add3_u32 v3, v3, v4, s0
	v_lshrrev_b32_e32 v3, 16, v3
	global_store_dword v[0:1], v3, off
	s_mov_b64 s[0:1], 0
	s_branch .LBB167_1061
.LBB167_1055:
	s_mov_b64 s[60:61], 0
                                        ; implicit-def: $vgpr10
	s_mov_b64 s[0:1], s[48:49]
	s_branch .LBB167_1171
.LBB167_1056:
	s_mov_b64 s[60:61], -1
	s_mov_b64 s[58:59], 0
	s_mov_b64 s[0:1], s[48:49]
	s_branch .LBB167_1130
.LBB167_1057:
	s_mov_b64 s[60:61], -1
	s_mov_b64 s[58:59], 0
	s_mov_b64 s[0:1], s[48:49]
	s_branch .LBB167_1088
.LBB167_1058:
	s_mov_b64 s[60:61], -1
	s_mov_b64 s[58:59], 0
	s_mov_b64 s[0:1], s[48:49]
	s_branch .LBB167_1071
.LBB167_1059:
	s_mov_b64 s[60:61], -1
	s_mov_b64 s[58:59], 0
	s_mov_b64 s[0:1], s[48:49]
	s_branch .LBB167_1067
.LBB167_1060:
	s_mov_b64 s[60:61], -1
	s_mov_b64 s[58:59], 0
	s_mov_b64 s[0:1], s[48:49]
.LBB167_1061:
	s_and_b64 vcc, exec, s[60:61]
	s_cbranch_vccz .LBB167_1066
; %bb.1062:
	s_cmp_eq_u32 s65, 44
	s_mov_b64 s[0:1], -1
	s_cbranch_scc0 .LBB167_1066
; %bb.1063:
	v_cvt_f32_i32_sdwa v3, sext(v2) dst_sel:DWORD dst_unused:UNUSED_PAD src0_sel:WORD_0
	s_movk_i32 s0, 0xff
	v_mov_b32_e32 v5, 0xff
	v_bfe_u32 v4, v3, 23, 8
	v_cmp_ne_u32_e32 vcc, s0, v4
	s_and_saveexec_b64 s[58:59], vcc
; %bb.1064:
	s_mov_b32 s0, 0x3fffff
	v_lshrrev_b32_e32 v5, 23, v3
	v_and_b32_e32 v6, 0x400000, v3
	v_and_or_b32 v3, v3, s0, v4
	v_cmp_ne_u32_e32 vcc, 0, v6
	v_cmp_ne_u32_e64 s[0:1], 0, v3
	s_and_b64 s[0:1], vcc, s[0:1]
	v_cndmask_b32_e64 v3, 0, 1, s[0:1]
	v_add_u32_e32 v5, v5, v3
; %bb.1065:
	s_or_b64 exec, exec, s[58:59]
	s_mov_b64 s[58:59], -1
	s_mov_b64 s[0:1], 0
	global_store_byte v[0:1], v5, off
.LBB167_1066:
	s_mov_b64 s[60:61], 0
.LBB167_1067:
	s_and_b64 vcc, exec, s[60:61]
	s_cbranch_vccz .LBB167_1070
; %bb.1068:
	s_cmp_eq_u32 s65, 29
	s_mov_b64 s[0:1], -1
	s_cbranch_scc0 .LBB167_1070
; %bb.1069:
	v_bfe_i32 v3, v2, 0, 16
	v_ashrrev_i32_e32 v4, 31, v3
	global_store_dwordx2 v[0:1], v[3:4], off
	s_mov_b64 s[58:59], -1
	s_mov_b64 s[0:1], 0
.LBB167_1070:
	s_mov_b64 s[60:61], 0
.LBB167_1071:
	s_and_b64 vcc, exec, s[60:61]
	s_cbranch_vccz .LBB167_1087
; %bb.1072:
	s_cmp_lt_i32 s65, 27
	s_mov_b64 s[58:59], -1
	s_cbranch_scc1 .LBB167_1078
; %bb.1073:
	s_cmp_gt_i32 s65, 27
	s_cbranch_scc0 .LBB167_1075
; %bb.1074:
	v_bfe_i32 v3, v2, 0, 16
	s_mov_b64 s[58:59], 0
	global_store_dword v[0:1], v3, off
.LBB167_1075:
	s_andn2_b64 vcc, exec, s[58:59]
	s_cbranch_vccnz .LBB167_1077
; %bb.1076:
	global_store_short v[0:1], v2, off
.LBB167_1077:
	s_mov_b64 s[58:59], 0
.LBB167_1078:
	s_andn2_b64 vcc, exec, s[58:59]
	s_cbranch_vccnz .LBB167_1086
; %bb.1079:
	v_cvt_f32_i32_sdwa v3, sext(v2) dst_sel:DWORD dst_unused:UNUSED_PAD src0_sel:WORD_0
	s_mov_b32 s58, 0x43800000
	v_mov_b32_e32 v5, 0x80
	v_and_b32_e32 v4, 0x7fffffff, v3
	v_cmp_gt_u32_e32 vcc, s58, v4
	s_and_saveexec_b64 s[58:59], vcc
	s_cbranch_execz .LBB167_1085
; %bb.1080:
	s_mov_b32 s60, 0x3bffffff
	v_cmp_lt_u32_e32 vcc, s60, v4
	s_mov_b64 s[60:61], 0
                                        ; implicit-def: $vgpr4
	s_and_saveexec_b64 s[62:63], vcc
	s_xor_b64 s[62:63], exec, s[62:63]
	s_cbranch_execz .LBB167_1199
; %bb.1081:
	v_bfe_u32 v4, v3, 20, 1
	s_mov_b32 s67, 0x487ffff
	v_add3_u32 v4, v3, v4, s67
	s_mov_b64 s[60:61], exec
	v_lshrrev_b32_e32 v4, 20, v4
	s_andn2_saveexec_b64 s[62:63], s[62:63]
	s_cbranch_execnz .LBB167_1200
.LBB167_1082:
	s_or_b64 exec, exec, s[62:63]
	v_mov_b32_e32 v5, 0
	s_and_saveexec_b64 s[62:63], s[60:61]
.LBB167_1083:
	v_lshrrev_b32_e32 v3, 24, v3
	s_movk_i32 s60, 0x80
	v_and_or_b32 v5, v3, s60, v4
.LBB167_1084:
	s_or_b64 exec, exec, s[62:63]
.LBB167_1085:
	s_or_b64 exec, exec, s[58:59]
	global_store_byte v[0:1], v5, off
.LBB167_1086:
	s_mov_b64 s[58:59], -1
.LBB167_1087:
	s_mov_b64 s[60:61], 0
.LBB167_1088:
	s_and_b64 vcc, exec, s[60:61]
	s_cbranch_vccz .LBB167_1129
; %bb.1089:
	s_cmp_gt_i32 s65, 22
	s_mov_b64 s[60:61], -1
	s_cbranch_scc0 .LBB167_1121
; %bb.1090:
	s_cmp_lt_i32 s65, 24
	s_mov_b64 s[58:59], -1
	s_cbranch_scc1 .LBB167_1110
; %bb.1091:
	s_cmp_gt_i32 s65, 24
	s_cbranch_scc0 .LBB167_1099
; %bb.1092:
	v_cvt_f32_i32_sdwa v3, sext(v2) dst_sel:DWORD dst_unused:UNUSED_PAD src0_sel:WORD_0
	s_mov_b32 s58, 0x47800000
	v_mov_b32_e32 v5, 0x80
	v_and_b32_e32 v4, 0x7fffffff, v3
	v_cmp_gt_u32_e32 vcc, s58, v4
	s_and_saveexec_b64 s[58:59], vcc
	s_cbranch_execz .LBB167_1098
; %bb.1093:
	s_mov_b32 s60, 0x37ffffff
	v_cmp_lt_u32_e32 vcc, s60, v4
	s_mov_b64 s[60:61], 0
                                        ; implicit-def: $vgpr4
	s_and_saveexec_b64 s[62:63], vcc
	s_xor_b64 s[62:63], exec, s[62:63]
	s_cbranch_execz .LBB167_2236
; %bb.1094:
	v_bfe_u32 v4, v3, 21, 1
	s_mov_b32 s67, 0x88fffff
	v_add3_u32 v4, v3, v4, s67
	s_mov_b64 s[60:61], exec
	v_lshrrev_b32_e32 v4, 21, v4
	s_andn2_saveexec_b64 s[62:63], s[62:63]
	s_cbranch_execnz .LBB167_2237
.LBB167_1095:
	s_or_b64 exec, exec, s[62:63]
	v_mov_b32_e32 v5, 0
	s_and_saveexec_b64 s[62:63], s[60:61]
.LBB167_1096:
	v_lshrrev_b32_e32 v3, 24, v3
	s_movk_i32 s60, 0x80
	v_and_or_b32 v5, v3, s60, v4
.LBB167_1097:
	s_or_b64 exec, exec, s[62:63]
.LBB167_1098:
	s_or_b64 exec, exec, s[58:59]
	s_mov_b64 s[58:59], 0
	global_store_byte v[0:1], v5, off
.LBB167_1099:
	s_and_b64 vcc, exec, s[58:59]
	s_cbranch_vccz .LBB167_1109
; %bb.1100:
	v_cvt_f32_i32_sdwa v3, sext(v2) dst_sel:DWORD dst_unused:UNUSED_PAD src0_sel:WORD_0
	s_mov_b32 s58, 0x43f00000
                                        ; implicit-def: $vgpr4
	v_and_b32_e32 v5, 0x7fffffff, v3
	v_cmp_gt_u32_e32 vcc, s58, v5
	s_and_saveexec_b64 s[58:59], vcc
	s_xor_b64 s[58:59], exec, s[58:59]
	s_cbranch_execz .LBB167_1106
; %bb.1101:
	s_mov_b32 s60, 0x3c7fffff
	v_cmp_lt_u32_e32 vcc, s60, v5
                                        ; implicit-def: $vgpr4
	s_and_saveexec_b64 s[60:61], vcc
	s_xor_b64 s[60:61], exec, s[60:61]
; %bb.1102:
	v_bfe_u32 v4, v3, 20, 1
	s_mov_b32 s62, 0x407ffff
	v_add3_u32 v4, v3, v4, s62
	v_lshrrev_b32_e32 v5, 20, v4
	v_and_b32_e32 v4, 0xff00000, v4
	s_mov_b32 s62, 0x7f00000
	v_mov_b32_e32 v6, 0x7e
	v_cmp_ne_u32_e32 vcc, s62, v4
	v_cndmask_b32_e32 v4, v6, v5, vcc
; %bb.1103:
	s_andn2_saveexec_b64 s[60:61], s[60:61]
; %bb.1104:
	s_mov_b32 s62, 0x46800000
	v_add_f32_e64 v4, |v3|, s62
; %bb.1105:
	s_or_b64 exec, exec, s[60:61]
                                        ; implicit-def: $vgpr5
.LBB167_1106:
	s_andn2_saveexec_b64 s[58:59], s[58:59]
; %bb.1107:
	s_mov_b32 s60, 0x7f800000
	v_mov_b32_e32 v4, 0x7e
	v_mov_b32_e32 v6, 0x7f
	v_cmp_lt_u32_e32 vcc, s60, v5
	v_cndmask_b32_e32 v4, v4, v6, vcc
; %bb.1108:
	s_or_b64 exec, exec, s[58:59]
	v_lshrrev_b32_e32 v3, 24, v3
	s_movk_i32 s58, 0x80
	v_and_or_b32 v3, v3, s58, v4
	global_store_byte v[0:1], v3, off
.LBB167_1109:
	s_mov_b64 s[58:59], 0
.LBB167_1110:
	s_andn2_b64 vcc, exec, s[58:59]
	s_cbranch_vccnz .LBB167_1120
; %bb.1111:
	v_cvt_f32_i32_sdwa v3, sext(v2) dst_sel:DWORD dst_unused:UNUSED_PAD src0_sel:WORD_0
	s_mov_b32 s58, 0x47800000
                                        ; implicit-def: $vgpr4
	v_and_b32_e32 v5, 0x7fffffff, v3
	v_cmp_gt_u32_e32 vcc, s58, v5
	s_and_saveexec_b64 s[58:59], vcc
	s_xor_b64 s[58:59], exec, s[58:59]
	s_cbranch_execz .LBB167_1117
; %bb.1112:
	s_mov_b32 s60, 0x387fffff
	v_cmp_lt_u32_e32 vcc, s60, v5
                                        ; implicit-def: $vgpr4
	s_and_saveexec_b64 s[60:61], vcc
	s_xor_b64 s[60:61], exec, s[60:61]
; %bb.1113:
	v_bfe_u32 v4, v3, 21, 1
	s_mov_b32 s62, 0x80fffff
	v_add3_u32 v4, v3, v4, s62
	v_lshrrev_b32_e32 v4, 21, v4
; %bb.1114:
	s_andn2_saveexec_b64 s[60:61], s[60:61]
; %bb.1115:
	s_mov_b32 s62, 0x43000000
	v_add_f32_e64 v4, |v3|, s62
; %bb.1116:
	s_or_b64 exec, exec, s[60:61]
                                        ; implicit-def: $vgpr5
.LBB167_1117:
	s_andn2_saveexec_b64 s[58:59], s[58:59]
; %bb.1118:
	s_mov_b32 s60, 0x7f800000
	v_mov_b32_e32 v4, 0x7c
	v_mov_b32_e32 v6, 0x7f
	v_cmp_lt_u32_e32 vcc, s60, v5
	v_cndmask_b32_e32 v4, v4, v6, vcc
; %bb.1119:
	s_or_b64 exec, exec, s[58:59]
	v_lshrrev_b32_e32 v3, 24, v3
	s_movk_i32 s58, 0x80
	v_and_or_b32 v3, v3, s58, v4
	global_store_byte v[0:1], v3, off
.LBB167_1120:
	s_mov_b64 s[60:61], 0
	s_mov_b64 s[58:59], -1
.LBB167_1121:
	s_andn2_b64 vcc, exec, s[60:61]
	s_cbranch_vccnz .LBB167_1129
; %bb.1122:
	s_cmp_gt_i32 s65, 14
	s_mov_b64 s[60:61], -1
	s_cbranch_scc0 .LBB167_1126
; %bb.1123:
	s_cmp_eq_u32 s65, 15
	s_mov_b64 s[0:1], -1
	s_cbranch_scc0 .LBB167_1125
; %bb.1124:
	v_cvt_f32_i32_sdwa v3, sext(v2) dst_sel:DWORD dst_unused:UNUSED_PAD src0_sel:WORD_0
	s_movk_i32 s0, 0x7fff
	s_mov_b64 s[58:59], -1
	v_bfe_u32 v4, v3, 16, 1
	v_add3_u32 v3, v3, v4, s0
	global_store_short_d16_hi v[0:1], v3, off
	s_mov_b64 s[0:1], 0
.LBB167_1125:
	s_mov_b64 s[60:61], 0
.LBB167_1126:
	s_and_b64 vcc, exec, s[60:61]
	s_cbranch_vccz .LBB167_1129
; %bb.1127:
	s_cmp_eq_u32 s65, 11
	s_mov_b64 s[0:1], -1
	s_cbranch_scc0 .LBB167_1129
; %bb.1128:
	v_cmp_ne_u16_e32 vcc, 0, v2
	v_cndmask_b32_e64 v3, 0, 1, vcc
	s_mov_b64 s[58:59], -1
	s_mov_b64 s[0:1], 0
	global_store_byte v[0:1], v3, off
.LBB167_1129:
	s_mov_b64 s[60:61], 0
.LBB167_1130:
	s_and_b64 vcc, exec, s[60:61]
	s_cbranch_vccz .LBB167_1169
; %bb.1131:
	s_and_b32 s60, 0xffff, s64
	s_cmp_lt_i32 s60, 5
	s_mov_b64 s[58:59], -1
	s_cbranch_scc1 .LBB167_1152
; %bb.1132:
	s_cmp_lt_i32 s60, 8
	s_cbranch_scc1 .LBB167_1142
; %bb.1133:
	s_cmp_lt_i32 s60, 9
	s_cbranch_scc1 .LBB167_1139
; %bb.1134:
	s_cmp_gt_i32 s60, 9
	s_cbranch_scc0 .LBB167_1136
; %bb.1135:
	v_bfe_i32 v3, v2, 0, 16
	v_cvt_f64_i32_e32 v[3:4], v3
	v_mov_b32_e32 v5, 0
	v_mov_b32_e32 v6, v5
	s_mov_b64 s[58:59], 0
	global_store_dwordx4 v[0:1], v[3:6], off
.LBB167_1136:
	s_andn2_b64 vcc, exec, s[58:59]
	s_cbranch_vccnz .LBB167_1138
; %bb.1137:
	v_cvt_f32_i32_sdwa v3, sext(v2) dst_sel:DWORD dst_unused:UNUSED_PAD src0_sel:WORD_0
	v_mov_b32_e32 v4, 0
	global_store_dwordx2 v[0:1], v[3:4], off
.LBB167_1138:
	s_mov_b64 s[58:59], 0
.LBB167_1139:
	s_andn2_b64 vcc, exec, s[58:59]
	s_cbranch_vccnz .LBB167_1141
; %bb.1140:
	v_cvt_f16_i16_e32 v3, v2
	global_store_dword v[0:1], v3, off
.LBB167_1141:
	s_mov_b64 s[58:59], 0
.LBB167_1142:
	s_andn2_b64 vcc, exec, s[58:59]
	s_cbranch_vccnz .LBB167_1151
; %bb.1143:
	s_cmp_lt_i32 s60, 6
	s_mov_b64 s[58:59], -1
	s_cbranch_scc1 .LBB167_1149
; %bb.1144:
	s_cmp_gt_i32 s60, 6
	s_cbranch_scc0 .LBB167_1146
; %bb.1145:
	v_bfe_i32 v3, v2, 0, 16
	v_cvt_f64_i32_e32 v[3:4], v3
	s_mov_b64 s[58:59], 0
	global_store_dwordx2 v[0:1], v[3:4], off
.LBB167_1146:
	s_andn2_b64 vcc, exec, s[58:59]
	s_cbranch_vccnz .LBB167_1148
; %bb.1147:
	v_cvt_f32_i32_sdwa v3, sext(v2) dst_sel:DWORD dst_unused:UNUSED_PAD src0_sel:WORD_0
	global_store_dword v[0:1], v3, off
.LBB167_1148:
	s_mov_b64 s[58:59], 0
.LBB167_1149:
	s_andn2_b64 vcc, exec, s[58:59]
	s_cbranch_vccnz .LBB167_1151
; %bb.1150:
	v_cvt_f16_i16_e32 v3, v2
	global_store_short v[0:1], v3, off
.LBB167_1151:
	s_mov_b64 s[58:59], 0
.LBB167_1152:
	s_andn2_b64 vcc, exec, s[58:59]
	s_cbranch_vccnz .LBB167_1168
; %bb.1153:
	s_cmp_lt_i32 s60, 2
	s_mov_b64 s[58:59], -1
	s_cbranch_scc1 .LBB167_1163
; %bb.1154:
	s_cmp_lt_i32 s60, 3
	s_cbranch_scc1 .LBB167_1160
; %bb.1155:
	s_cmp_gt_i32 s60, 3
	s_cbranch_scc0 .LBB167_1157
; %bb.1156:
	v_bfe_i32 v3, v2, 0, 16
	v_ashrrev_i32_e32 v4, 31, v3
	s_mov_b64 s[58:59], 0
	global_store_dwordx2 v[0:1], v[3:4], off
.LBB167_1157:
	s_andn2_b64 vcc, exec, s[58:59]
	s_cbranch_vccnz .LBB167_1159
; %bb.1158:
	v_bfe_i32 v3, v2, 0, 16
	global_store_dword v[0:1], v3, off
.LBB167_1159:
	s_mov_b64 s[58:59], 0
.LBB167_1160:
	s_andn2_b64 vcc, exec, s[58:59]
	s_cbranch_vccnz .LBB167_1162
; %bb.1161:
	global_store_short v[0:1], v2, off
.LBB167_1162:
	s_mov_b64 s[58:59], 0
.LBB167_1163:
	s_andn2_b64 vcc, exec, s[58:59]
	s_cbranch_vccnz .LBB167_1168
; %bb.1164:
	s_cmp_gt_i32 s60, 0
	s_mov_b64 s[58:59], -1
	s_cbranch_scc0 .LBB167_1166
; %bb.1165:
	s_mov_b64 s[58:59], 0
	global_store_byte v[0:1], v2, off
.LBB167_1166:
	s_andn2_b64 vcc, exec, s[58:59]
	s_cbranch_vccnz .LBB167_1168
; %bb.1167:
	global_store_byte v[0:1], v2, off
.LBB167_1168:
	s_mov_b64 s[58:59], -1
.LBB167_1169:
	s_andn2_b64 vcc, exec, s[58:59]
	s_cbranch_vccnz .LBB167_1181
; %bb.1170:
	v_add_u32_e32 v10, 0x80, v10
	s_mov_b64 s[60:61], -1
.LBB167_1171:
	s_andn2_b64 s[58:59], s[48:49], exec
	s_and_b64 s[0:1], s[0:1], exec
	s_or_b64 s[58:59], s[58:59], s[0:1]
	s_andn2_b64 s[0:1], s[46:47], exec
	s_and_b64 s[56:57], s[56:57], exec
	s_or_b64 s[56:57], s[0:1], s[56:57]
	;; [unrolled: 3-line block ×3, first 2 shown]
	s_orn2_b64 s[64:65], s[60:61], exec
.LBB167_1172:
	s_or_b64 exec, exec, s[52:53]
	s_mov_b64 s[60:61], 0
	s_mov_b64 s[54:55], 0
	;; [unrolled: 1-line block ×3, first 2 shown]
                                        ; implicit-def: $sgpr73
                                        ; implicit-def: $vgpr4_vgpr5
                                        ; implicit-def: $vgpr0
                                        ; implicit-def: $vgpr3
                                        ; implicit-def: $vgpr1
	s_and_saveexec_b64 s[52:53], s[64:65]
	s_cbranch_execz .LBB167_1263
; %bb.1173:
	v_cmp_gt_i32_e32 vcc, s66, v10
	s_mov_b64 s[64:65], s[0:1]
	s_mov_b64 s[66:67], 0
                                        ; implicit-def: $sgpr73
                                        ; implicit-def: $vgpr4_vgpr5
                                        ; implicit-def: $vgpr0
                                        ; implicit-def: $vgpr3
                                        ; implicit-def: $vgpr1
	s_and_saveexec_b64 s[54:55], vcc
	s_cbranch_execz .LBB167_1262
; %bb.1174:
	s_andn2_b64 vcc, exec, s[20:21]
	s_cbranch_vccnz .LBB167_1180
; %bb.1175:
	s_andn2_b64 vcc, exec, s[34:35]
	s_cbranch_vccnz .LBB167_1182
; %bb.1176:
	s_add_i32 s34, s72, 1
	s_and_b32 s60, s34, 30
	s_add_u32 s34, s2, 0xffffffe8
	s_addc_u32 s35, s3, -1
	v_mov_b32_e32 v3, 0
	s_waitcnt vmcnt(0)
	v_mov_b32_e32 v5, 0
	v_mov_b32_e32 v0, 0
	;; [unrolled: 1-line block ×3, first 2 shown]
.LBB167_1177:                           ; =>This Inner Loop Header: Depth=1
	s_load_dwordx4 s[64:67], s[34:35], 0x1c
	s_load_dwordx2 s[62:63], s[34:35], 0x2c
	s_load_dwordx2 s[74:75], s[34:35], 0xec
	s_load_dwordx4 s[76:79], s[34:35], 0xdc
	s_add_u32 s34, s34, 24
	s_waitcnt lgkmcnt(0)
	v_mul_hi_u32 v2, s65, v1
	s_addc_u32 s35, s35, 0
	s_add_i32 s60, s60, -2
	s_cmp_eq_u32 s60, 0
	v_add_u32_e32 v2, v1, v2
	v_lshrrev_b32_e32 v2, s66, v2
	v_mul_lo_u32 v4, v2, s64
	v_mul_hi_u32 v6, s62, v2
	v_sub_u32_e32 v4, v1, v4
	v_add_u32_e32 v1, v2, v6
	v_lshrrev_b32_e32 v1, s63, v1
	v_mul_lo_u32 v8, v1, s67
	v_mul_lo_u32 v6, v4, s76
	;; [unrolled: 1-line block ×4, first 2 shown]
	v_sub_u32_e32 v2, v2, v8
	v_mul_lo_u32 v8, v2, s79
	v_mul_lo_u32 v9, v2, s74
	;; [unrolled: 1-line block ×3, first 2 shown]
	v_add3_u32 v0, v6, v0, v8
	v_add3_u32 v5, v7, v5, v9
	;; [unrolled: 1-line block ×3, first 2 shown]
	s_cbranch_scc0 .LBB167_1177
; %bb.1178:
	s_bitcmp1_b32 s72, 0
	s_cselect_b64 s[60:61], -1, 0
	s_and_b64 vcc, exec, s[60:61]
	s_cbranch_vccnz .LBB167_1183
; %bb.1179:
	s_load_dwordx2 s[60:61], s[34:35], 0x1c
	s_load_dword s64, s[34:35], 0x24
	s_load_dwordx2 s[62:63], s[34:35], 0xdc
	s_waitcnt lgkmcnt(0)
	v_mul_hi_u32 v2, s61, v1
	v_add_u32_e32 v2, v1, v2
	v_lshrrev_b32_e32 v2, s64, v2
	v_mul_lo_u32 v2, v2, s60
	s_load_dword s60, s[34:35], 0xe4
	v_sub_u32_e32 v2, v1, v2
	v_mad_u64_u32 v[0:1], s[34:35], v2, s62, v[0:1]
	v_mad_u64_u32 v[5:6], s[34:35], v2, s63, v[5:6]
	s_waitcnt lgkmcnt(0)
	v_mad_u64_u32 v[3:4], s[34:35], v2, s60, v[3:4]
	s_branch .LBB167_1183
.LBB167_1180:
	s_mov_b64 s[34:35], -1
                                        ; implicit-def: $vgpr0
                                        ; implicit-def: $vgpr5
                                        ; implicit-def: $vgpr3
	s_branch .LBB167_1184
.LBB167_1181:
	s_mov_b64 s[60:61], 0
	s_branch .LBB167_928
.LBB167_1182:
	v_mov_b32_e32 v0, 0
	s_waitcnt vmcnt(0)
	v_mov_b32_e32 v5, 0
	v_mov_b32_e32 v3, 0
.LBB167_1183:
	s_mov_b64 s[34:35], 0
.LBB167_1184:
	s_andn2_b64 vcc, exec, s[34:35]
	s_cbranch_vccnz .LBB167_1187
; %bb.1185:
	s_waitcnt lgkmcnt(0)
	v_mul_hi_u32 v0, s17, v10
	s_andn2_b64 vcc, exec, s[30:31]
	v_add_u32_e32 v0, v10, v0
	s_waitcnt vmcnt(0)
	v_lshrrev_b32_e32 v1, s18, v0
	v_mul_lo_u32 v0, v1, s16
	v_sub_u32_e32 v2, v10, v0
	v_mul_lo_u32 v0, v2, s12
	v_mul_lo_u32 v5, v2, s13
	;; [unrolled: 1-line block ×3, first 2 shown]
	s_cbranch_vccnz .LBB167_1187
; %bb.1186:
	v_mul_hi_u32 v2, s28, v1
	v_add_u32_e32 v2, v1, v2
	v_lshrrev_b32_e32 v2, s29, v2
	v_mul_lo_u32 v2, v2, s19
	v_sub_u32_e32 v2, v1, v2
	v_mad_u64_u32 v[0:1], s[12:13], v2, s15, v[0:1]
	v_mad_u64_u32 v[5:6], s[12:13], v2, s26, v[5:6]
	;; [unrolled: 1-line block ×3, first 2 shown]
.LBB167_1187:
	s_waitcnt vmcnt(0) lgkmcnt(0)
	v_mov_b32_e32 v1, s11
	s_and_b32 s73, s71, 0xff
	v_add_co_u32_e32 v4, vcc, s10, v5
	s_cmp_lt_i32 s73, 11
	v_addc_co_u32_e32 v5, vcc, 0, v1, vcc
	s_cbranch_scc1 .LBB167_1194
; %bb.1188:
	s_and_b32 s18, 0xffff, s73
	s_cmp_gt_i32 s18, 25
	s_mov_b64 s[12:13], 0
	s_cbranch_scc0 .LBB167_1195
; %bb.1189:
	s_cmp_gt_i32 s18, 28
	s_cbranch_scc0 .LBB167_1196
; %bb.1190:
	s_cmp_gt_i32 s18, 43
	;; [unrolled: 3-line block ×3, first 2 shown]
	s_cbranch_scc0 .LBB167_1198
; %bb.1192:
	s_cmp_eq_u32 s18, 46
	s_mov_b64 s[16:17], 0
	s_cbranch_scc0 .LBB167_1201
; %bb.1193:
	global_load_dword v1, v[4:5], off
	s_mov_b64 s[10:11], 0
	s_mov_b64 s[14:15], -1
	s_waitcnt vmcnt(0)
	v_lshlrev_b32_e32 v1, 16, v1
	v_cvt_i32_f32_e32 v1, v1
	s_branch .LBB167_1202
.LBB167_1194:
	s_mov_b64 s[16:17], -1
	s_mov_b64 s[14:15], 0
	s_mov_b64 s[12:13], 0
	;; [unrolled: 1-line block ×3, first 2 shown]
                                        ; implicit-def: $vgpr1
	s_branch .LBB167_1261
.LBB167_1195:
	s_mov_b64 s[16:17], -1
	s_mov_b64 s[14:15], 0
	s_mov_b64 s[10:11], s[0:1]
                                        ; implicit-def: $vgpr1
	s_branch .LBB167_1229
.LBB167_1196:
	s_mov_b64 s[16:17], -1
	s_mov_b64 s[14:15], 0
	s_mov_b64 s[10:11], s[0:1]
                                        ; implicit-def: $vgpr1
	s_branch .LBB167_1212
.LBB167_1197:
	s_mov_b64 s[16:17], -1
	s_mov_b64 s[14:15], 0
	s_mov_b64 s[10:11], s[0:1]
                                        ; implicit-def: $vgpr1
	s_branch .LBB167_1207
.LBB167_1198:
	s_mov_b64 s[16:17], -1
	s_mov_b64 s[14:15], 0
	s_mov_b64 s[10:11], s[0:1]
                                        ; implicit-def: $vgpr1
	s_branch .LBB167_1202
.LBB167_1199:
	s_andn2_saveexec_b64 s[62:63], s[62:63]
	s_cbranch_execz .LBB167_1082
.LBB167_1200:
	s_mov_b32 s67, 0x46000000
	v_add_f32_e64 v4, |v3|, s67
	v_and_b32_e32 v4, 0xff, v4
	v_cmp_ne_u32_e32 vcc, 0, v4
	s_andn2_b64 s[60:61], s[60:61], exec
	s_and_b64 s[74:75], vcc, exec
	s_or_b64 s[60:61], s[60:61], s[74:75]
	s_or_b64 exec, exec, s[62:63]
	v_mov_b32_e32 v5, 0
	s_and_saveexec_b64 s[62:63], s[60:61]
	s_cbranch_execnz .LBB167_1083
	s_branch .LBB167_1084
.LBB167_1201:
	s_mov_b64 s[10:11], -1
                                        ; implicit-def: $vgpr1
	s_mov_b64 s[14:15], 0
.LBB167_1202:
	s_and_b64 vcc, exec, s[16:17]
	s_cbranch_vccz .LBB167_1206
; %bb.1203:
	s_cmp_eq_u32 s18, 44
	s_cbranch_scc0 .LBB167_1205
; %bb.1204:
	global_load_ubyte v1, v[4:5], off
	s_mov_b64 s[10:11], 0
	s_mov_b64 s[14:15], -1
	s_waitcnt vmcnt(0)
	v_lshlrev_b32_e32 v2, 23, v1
	v_cvt_i32_f32_e32 v2, v2
	v_cmp_ne_u32_e32 vcc, 0, v1
	v_cndmask_b32_e32 v1, 0, v2, vcc
	s_branch .LBB167_1206
.LBB167_1205:
	s_mov_b64 s[10:11], -1
                                        ; implicit-def: $vgpr1
.LBB167_1206:
	s_mov_b64 s[16:17], 0
.LBB167_1207:
	s_and_b64 vcc, exec, s[16:17]
	s_cbranch_vccz .LBB167_1211
; %bb.1208:
	s_cmp_eq_u32 s18, 29
	s_cbranch_scc0 .LBB167_1210
; %bb.1209:
	global_load_dwordx2 v[1:2], v[4:5], off
	s_mov_b64 s[10:11], 0
	s_mov_b64 s[14:15], -1
	s_branch .LBB167_1211
.LBB167_1210:
	s_mov_b64 s[10:11], -1
                                        ; implicit-def: $vgpr1
.LBB167_1211:
	s_mov_b64 s[16:17], 0
.LBB167_1212:
	s_and_b64 vcc, exec, s[16:17]
	s_cbranch_vccz .LBB167_1228
; %bb.1213:
	s_cmp_lt_i32 s18, 27
	s_cbranch_scc1 .LBB167_1216
; %bb.1214:
	s_cmp_gt_i32 s18, 27
	s_cbranch_scc0 .LBB167_1217
; %bb.1215:
	global_load_dword v1, v[4:5], off
	s_mov_b64 s[14:15], 0
	s_branch .LBB167_1218
.LBB167_1216:
	s_mov_b64 s[14:15], -1
                                        ; implicit-def: $vgpr1
	s_branch .LBB167_1221
.LBB167_1217:
	s_mov_b64 s[14:15], -1
                                        ; implicit-def: $vgpr1
.LBB167_1218:
	s_andn2_b64 vcc, exec, s[14:15]
	s_cbranch_vccnz .LBB167_1220
; %bb.1219:
	global_load_ushort v1, v[4:5], off
.LBB167_1220:
	s_mov_b64 s[14:15], 0
.LBB167_1221:
	s_andn2_b64 vcc, exec, s[14:15]
	s_cbranch_vccnz .LBB167_1227
; %bb.1222:
	global_load_ubyte v2, v[4:5], off
	s_movk_i32 s14, 0x7f
	s_mov_b64 s[16:17], 0
	s_waitcnt vmcnt(0)
	v_cmp_lt_i16_e32 vcc, s14, v2
	s_and_saveexec_b64 s[14:15], vcc
	s_xor_b64 s[14:15], exec, s[14:15]
	s_cbranch_execz .LBB167_1239
; %bb.1223:
	s_movk_i32 s16, 0x80
	v_cmp_ne_u16_e32 vcc, s16, v2
	s_and_b64 s[16:17], vcc, exec
	s_andn2_saveexec_b64 s[14:15], s[14:15]
	s_cbranch_execnz .LBB167_1240
.LBB167_1224:
	s_or_b64 exec, exec, s[14:15]
	v_mov_b32_e32 v1, 0
	s_and_saveexec_b64 s[14:15], s[16:17]
	s_cbranch_execz .LBB167_1226
.LBB167_1225:
	v_lshlrev_b32_e32 v1, 24, v2
	v_and_b32_e32 v2, 0xffff, v2
	v_and_b32_e32 v6, 7, v2
	v_ffbh_u32_e32 v8, v6
	v_min_u32_e32 v8, 32, v8
	v_subrev_u32_e32 v9, 28, v8
	v_bfe_u32 v7, v2, 3, 4
	v_lshlrev_b32_e32 v2, v9, v2
	v_sub_u32_e32 v8, 29, v8
	v_and_b32_e32 v2, 7, v2
	v_cmp_eq_u32_e32 vcc, 0, v7
	v_cndmask_b32_e32 v7, v7, v8, vcc
	v_cndmask_b32_e32 v2, v6, v2, vcc
	v_mov_b32_e32 v6, 0x3b800000
	v_lshlrev_b32_e32 v2, 20, v2
	v_and_b32_e32 v1, 0x80000000, v1
	v_lshl_add_u32 v6, v7, 23, v6
	v_or3_b32 v1, v1, v6, v2
	v_cvt_i32_f32_e32 v1, v1
.LBB167_1226:
	s_or_b64 exec, exec, s[14:15]
.LBB167_1227:
	s_mov_b64 s[14:15], -1
.LBB167_1228:
	s_mov_b64 s[16:17], 0
.LBB167_1229:
	s_and_b64 vcc, exec, s[16:17]
	s_cbranch_vccz .LBB167_1260
; %bb.1230:
	s_cmp_gt_i32 s18, 22
	s_cbranch_scc0 .LBB167_1238
; %bb.1231:
	s_cmp_lt_i32 s18, 24
	s_cbranch_scc1 .LBB167_1241
; %bb.1232:
	s_cmp_gt_i32 s18, 24
	s_cbranch_scc0 .LBB167_1242
; %bb.1233:
	global_load_ubyte v2, v[4:5], off
	s_movk_i32 s12, 0x7f
	s_mov_b64 s[14:15], 0
	s_waitcnt vmcnt(0)
	v_cmp_lt_i16_e32 vcc, s12, v2
	s_and_saveexec_b64 s[12:13], vcc
	s_xor_b64 s[12:13], exec, s[12:13]
	s_cbranch_execz .LBB167_1254
; %bb.1234:
	s_movk_i32 s14, 0x80
	v_cmp_ne_u16_e32 vcc, s14, v2
	s_and_b64 s[14:15], vcc, exec
	s_andn2_saveexec_b64 s[12:13], s[12:13]
	s_cbranch_execnz .LBB167_1255
.LBB167_1235:
	s_or_b64 exec, exec, s[12:13]
	v_mov_b32_e32 v1, 0
	s_and_saveexec_b64 s[12:13], s[14:15]
	s_cbranch_execz .LBB167_1237
.LBB167_1236:
	v_lshlrev_b32_e32 v1, 24, v2
	v_and_b32_e32 v2, 0xffff, v2
	v_and_b32_e32 v6, 3, v2
	v_ffbh_u32_e32 v8, v6
	v_min_u32_e32 v8, 32, v8
	v_subrev_u32_e32 v9, 29, v8
	v_bfe_u32 v7, v2, 2, 5
	v_lshlrev_b32_e32 v2, v9, v2
	v_sub_u32_e32 v8, 30, v8
	v_and_b32_e32 v2, 3, v2
	v_cmp_eq_u32_e32 vcc, 0, v7
	v_cndmask_b32_e32 v7, v7, v8, vcc
	v_cndmask_b32_e32 v2, v6, v2, vcc
	v_mov_b32_e32 v6, 0x37800000
	v_lshlrev_b32_e32 v2, 21, v2
	v_and_b32_e32 v1, 0x80000000, v1
	v_lshl_add_u32 v6, v7, 23, v6
	v_or3_b32 v1, v1, v6, v2
	v_cvt_i32_f32_e32 v1, v1
.LBB167_1237:
	s_or_b64 exec, exec, s[12:13]
	s_mov_b64 s[12:13], 0
	s_branch .LBB167_1243
.LBB167_1238:
	s_mov_b64 s[12:13], -1
                                        ; implicit-def: $vgpr1
	s_branch .LBB167_1249
.LBB167_1239:
	s_andn2_saveexec_b64 s[14:15], s[14:15]
	s_cbranch_execz .LBB167_1224
.LBB167_1240:
	v_cmp_ne_u16_e32 vcc, 0, v2
	s_andn2_b64 s[16:17], s[16:17], exec
	s_and_b64 s[26:27], vcc, exec
	s_or_b64 s[16:17], s[16:17], s[26:27]
	s_or_b64 exec, exec, s[14:15]
	v_mov_b32_e32 v1, 0
	s_and_saveexec_b64 s[14:15], s[16:17]
	s_cbranch_execnz .LBB167_1225
	s_branch .LBB167_1226
.LBB167_1241:
	s_mov_b64 s[12:13], -1
                                        ; implicit-def: $vgpr1
	s_branch .LBB167_1246
.LBB167_1242:
	s_mov_b64 s[12:13], -1
                                        ; implicit-def: $vgpr1
.LBB167_1243:
	s_and_b64 vcc, exec, s[12:13]
	s_cbranch_vccz .LBB167_1245
; %bb.1244:
	global_load_ubyte v1, v[4:5], off
	s_mov_b32 s12, 0x7f800000
	s_waitcnt vmcnt(0)
	v_lshlrev_b32_e32 v1, 24, v1
	v_and_b32_e32 v2, 0x7f000000, v1
	v_ffbh_u32_e32 v6, v2
	v_min_u32_e32 v6, 32, v6
	v_sub_u32_e64 v6, v6, 4 clamp
	v_lshlrev_b32_e32 v8, v6, v2
	v_lshlrev_b32_e32 v6, 23, v6
	v_lshrrev_b32_e32 v8, 4, v8
	v_add_u32_e32 v7, 0x1000000, v2
	v_sub_u32_e32 v6, v8, v6
	v_ashrrev_i32_e32 v7, 8, v7
	v_add_u32_e32 v6, 0x3c000000, v6
	v_and_or_b32 v6, v7, s12, v6
	v_cmp_ne_u32_e32 vcc, 0, v2
	v_cndmask_b32_e32 v2, 0, v6, vcc
	s_brev_b32 s12, 1
	v_and_or_b32 v1, v1, s12, v2
	v_cvt_i32_f32_e32 v1, v1
.LBB167_1245:
	s_mov_b64 s[12:13], 0
.LBB167_1246:
	s_andn2_b64 vcc, exec, s[12:13]
	s_cbranch_vccnz .LBB167_1248
; %bb.1247:
	global_load_ubyte v1, v[4:5], off
	s_movk_i32 s12, 0x7f00
	s_brev_b32 s13, 16
	s_waitcnt vmcnt(0)
	v_lshlrev_b16_e32 v2, 8, v1
	v_lshlrev_b32_e32 v1, 25, v1
	v_lshrrev_b32_e32 v6, 4, v1
	v_and_or_b32 v7, v2, s12, 0.5
	v_or_b32_e32 v6, 0x70000000, v6
	v_add_f32_e32 v7, -0.5, v7
	v_mul_f32_e32 v6, 0x7800000, v6
	v_cmp_gt_u32_e32 vcc, s13, v1
	v_bfe_i32 v2, v2, 0, 16
	v_cndmask_b32_e32 v1, v6, v7, vcc
	s_brev_b32 s12, 1
	v_and_or_b32 v1, v2, s12, v1
	v_cvt_i32_f32_e32 v1, v1
.LBB167_1248:
	s_mov_b64 s[12:13], 0
	s_mov_b64 s[14:15], -1
.LBB167_1249:
	s_andn2_b64 vcc, exec, s[12:13]
	s_mov_b64 s[12:13], 0
	s_cbranch_vccnz .LBB167_1260
; %bb.1250:
	s_cmp_gt_i32 s18, 14
	s_cbranch_scc0 .LBB167_1253
; %bb.1251:
	s_cmp_eq_u32 s18, 15
	s_cbranch_scc0 .LBB167_1256
; %bb.1252:
	global_load_ushort v1, v[4:5], off
	s_mov_b64 s[10:11], 0
	s_mov_b64 s[14:15], -1
	s_waitcnt vmcnt(0)
	v_lshlrev_b32_e32 v1, 16, v1
	v_cvt_i32_f32_e32 v1, v1
	s_branch .LBB167_1257
.LBB167_1253:
	s_mov_b64 s[16:17], -1
                                        ; implicit-def: $vgpr1
	s_branch .LBB167_1258
.LBB167_1254:
	s_andn2_saveexec_b64 s[12:13], s[12:13]
	s_cbranch_execz .LBB167_1235
.LBB167_1255:
	v_cmp_ne_u16_e32 vcc, 0, v2
	s_andn2_b64 s[14:15], s[14:15], exec
	s_and_b64 s[16:17], vcc, exec
	s_or_b64 s[14:15], s[14:15], s[16:17]
	s_or_b64 exec, exec, s[12:13]
	v_mov_b32_e32 v1, 0
	s_and_saveexec_b64 s[12:13], s[14:15]
	s_cbranch_execnz .LBB167_1236
	s_branch .LBB167_1237
.LBB167_1256:
	s_mov_b64 s[10:11], -1
                                        ; implicit-def: $vgpr1
.LBB167_1257:
	s_mov_b64 s[16:17], 0
.LBB167_1258:
	s_and_b64 vcc, exec, s[16:17]
	s_cbranch_vccz .LBB167_1260
; %bb.1259:
	s_cmp_lg_u32 s18, 11
	s_cselect_b64 s[16:17], -1, 0
	s_andn2_b64 s[10:11], s[10:11], exec
	s_and_b64 s[16:17], s[16:17], exec
	s_mov_b64 s[12:13], -1
	s_or_b64 s[10:11], s[10:11], s[16:17]
.LBB167_1260:
	s_mov_b64 s[16:17], 0
.LBB167_1261:
	s_and_b64 s[60:61], s[12:13], exec
	s_andn2_b64 s[12:13], s[0:1], exec
	s_and_b64 s[10:11], s[10:11], exec
	s_and_b64 s[62:63], s[14:15], exec
	;; [unrolled: 1-line block ×3, first 2 shown]
	s_or_b64 s[64:65], s[12:13], s[10:11]
.LBB167_1262:
	s_or_b64 exec, exec, s[54:55]
	s_andn2_b64 s[0:1], s[0:1], exec
	s_waitcnt lgkmcnt(0)
	s_and_b64 s[10:11], s[64:65], exec
	s_and_b64 s[62:63], s[62:63], exec
	;; [unrolled: 1-line block ×4, first 2 shown]
	s_or_b64 s[0:1], s[0:1], s[10:11]
.LBB167_1263:
	s_or_b64 exec, exec, s[52:53]
	s_waitcnt lgkmcnt(0)
	s_andn2_b64 s[10:11], s[48:49], exec
	s_and_b64 s[12:13], s[58:59], exec
	s_or_b64 s[48:49], s[10:11], s[12:13]
	s_andn2_b64 s[10:11], s[46:47], exec
	s_and_b64 s[12:13], s[56:57], exec
	s_or_b64 s[46:47], s[10:11], s[12:13]
	s_andn2_b64 s[10:11], s[44:45], exec
	s_and_b64 s[0:1], s[0:1], exec
	s_and_b64 s[56:57], s[62:63], exec
	;; [unrolled: 1-line block ×4, first 2 shown]
	s_or_b64 s[44:45], s[10:11], s[0:1]
.LBB167_1264:
	s_or_b64 exec, exec, s[50:51]
	s_andn2_b64 s[0:1], s[36:37], exec
	s_waitcnt lgkmcnt(0)
	s_and_b64 s[10:11], s[48:49], exec
	s_or_b64 s[36:37], s[0:1], s[10:11]
	s_andn2_b64 s[0:1], s[38:39], exec
	s_and_b64 s[10:11], s[46:47], exec
	s_or_b64 s[38:39], s[0:1], s[10:11]
	s_andn2_b64 s[0:1], s[40:41], exec
	s_and_b64 s[10:11], s[44:45], exec
	s_and_b64 s[48:49], s[56:57], exec
	;; [unrolled: 1-line block ×4, first 2 shown]
	s_or_b64 s[40:41], s[0:1], s[10:11]
	s_or_b64 exec, exec, s[42:43]
	s_mov_b64 s[10:11], 0
	s_and_saveexec_b64 s[0:1], s[40:41]
	s_cbranch_execz .LBB167_395
.LBB167_1265:
	s_mov_b64 s[10:11], exec
	s_andn2_b64 s[46:47], s[46:47], exec
	s_trap 2
	s_or_b64 exec, exec, s[0:1]
	s_and_saveexec_b64 s[0:1], s[46:47]
	s_xor_b64 s[0:1], exec, s[0:1]
	s_cbranch_execnz .LBB167_396
.LBB167_1266:
	s_or_b64 exec, exec, s[0:1]
	s_and_saveexec_b64 s[0:1], s[50:51]
	s_cbranch_execz .LBB167_1312
.LBB167_1267:
	s_sext_i32_i16 s12, s73
	s_cmp_lt_i32 s12, 5
	s_cbranch_scc1 .LBB167_1272
; %bb.1268:
	s_cmp_lt_i32 s12, 8
	s_cbranch_scc1 .LBB167_1273
; %bb.1269:
	;; [unrolled: 3-line block ×3, first 2 shown]
	s_cmp_gt_i32 s12, 9
	s_cbranch_scc0 .LBB167_1275
; %bb.1271:
	s_waitcnt vmcnt(0)
	global_load_dwordx2 v[1:2], v[4:5], off
	s_mov_b64 s[12:13], 0
	s_waitcnt vmcnt(0)
	v_cvt_i32_f64_e32 v1, v[1:2]
	s_branch .LBB167_1276
.LBB167_1272:
                                        ; implicit-def: $vgpr1
	s_branch .LBB167_1293
.LBB167_1273:
                                        ; implicit-def: $vgpr1
	s_branch .LBB167_1282
.LBB167_1274:
	s_mov_b64 s[12:13], -1
                                        ; implicit-def: $vgpr1
	s_branch .LBB167_1279
.LBB167_1275:
	s_mov_b64 s[12:13], -1
                                        ; implicit-def: $vgpr1
.LBB167_1276:
	s_andn2_b64 vcc, exec, s[12:13]
	s_cbranch_vccnz .LBB167_1278
; %bb.1277:
	s_waitcnt vmcnt(0)
	global_load_dword v1, v[4:5], off
	s_waitcnt vmcnt(0)
	v_cvt_i32_f32_e32 v1, v1
.LBB167_1278:
	s_mov_b64 s[12:13], 0
.LBB167_1279:
	s_andn2_b64 vcc, exec, s[12:13]
	s_cbranch_vccnz .LBB167_1281
; %bb.1280:
	s_waitcnt vmcnt(0)
	global_load_dword v1, v[4:5], off
	s_waitcnt vmcnt(0)
	v_cvt_i16_f16_e32 v1, v1
.LBB167_1281:
	s_cbranch_execnz .LBB167_1292
.LBB167_1282:
	s_sext_i32_i16 s12, s73
	s_cmp_lt_i32 s12, 6
	s_cbranch_scc1 .LBB167_1285
; %bb.1283:
	s_cmp_gt_i32 s12, 6
	s_cbranch_scc0 .LBB167_1286
; %bb.1284:
	s_waitcnt vmcnt(0)
	global_load_dwordx2 v[1:2], v[4:5], off
	s_mov_b64 s[12:13], 0
	s_waitcnt vmcnt(0)
	v_cvt_i32_f64_e32 v1, v[1:2]
	s_branch .LBB167_1287
.LBB167_1285:
	s_mov_b64 s[12:13], -1
                                        ; implicit-def: $vgpr1
	s_branch .LBB167_1290
.LBB167_1286:
	s_mov_b64 s[12:13], -1
                                        ; implicit-def: $vgpr1
.LBB167_1287:
	s_andn2_b64 vcc, exec, s[12:13]
	s_cbranch_vccnz .LBB167_1289
; %bb.1288:
	s_waitcnt vmcnt(0)
	global_load_dword v1, v[4:5], off
	s_waitcnt vmcnt(0)
	v_cvt_i32_f32_e32 v1, v1
.LBB167_1289:
	s_mov_b64 s[12:13], 0
.LBB167_1290:
	s_andn2_b64 vcc, exec, s[12:13]
	s_cbranch_vccnz .LBB167_1292
; %bb.1291:
	s_waitcnt vmcnt(0)
	global_load_ushort v1, v[4:5], off
	s_waitcnt vmcnt(0)
	v_cvt_i16_f16_e32 v1, v1
.LBB167_1292:
	s_cbranch_execnz .LBB167_1311
.LBB167_1293:
	s_sext_i32_i16 s12, s73
	s_cmp_lt_i32 s12, 2
	s_cbranch_scc1 .LBB167_1297
; %bb.1294:
	s_cmp_lt_i32 s12, 3
	s_cbranch_scc1 .LBB167_1298
; %bb.1295:
	s_cmp_gt_i32 s12, 3
	s_cbranch_scc0 .LBB167_1299
; %bb.1296:
	s_waitcnt vmcnt(0)
	global_load_dwordx2 v[1:2], v[4:5], off
	s_mov_b64 s[12:13], 0
	s_branch .LBB167_1300
.LBB167_1297:
                                        ; implicit-def: $vgpr1
	s_branch .LBB167_1306
.LBB167_1298:
	s_mov_b64 s[12:13], -1
                                        ; implicit-def: $vgpr1
	s_branch .LBB167_1303
.LBB167_1299:
	s_mov_b64 s[12:13], -1
                                        ; implicit-def: $vgpr1
.LBB167_1300:
	s_andn2_b64 vcc, exec, s[12:13]
	s_cbranch_vccnz .LBB167_1302
; %bb.1301:
	s_waitcnt vmcnt(0)
	global_load_dword v1, v[4:5], off
.LBB167_1302:
	s_mov_b64 s[12:13], 0
.LBB167_1303:
	s_andn2_b64 vcc, exec, s[12:13]
	s_cbranch_vccnz .LBB167_1305
; %bb.1304:
	s_waitcnt vmcnt(0)
	global_load_ushort v1, v[4:5], off
.LBB167_1305:
	s_cbranch_execnz .LBB167_1311
.LBB167_1306:
	s_sext_i32_i16 s12, s73
	s_cmp_gt_i32 s12, 0
	s_cbranch_scc0 .LBB167_1308
; %bb.1307:
	s_waitcnt vmcnt(0)
	global_load_ubyte v1, v[4:5], off
	s_mov_b64 s[12:13], 0
	s_branch .LBB167_1309
.LBB167_1308:
	s_mov_b64 s[12:13], -1
                                        ; implicit-def: $vgpr1
.LBB167_1309:
	s_andn2_b64 vcc, exec, s[12:13]
	s_cbranch_vccnz .LBB167_1311
; %bb.1310:
	s_waitcnt vmcnt(0)
	global_load_ubyte v1, v[4:5], off
.LBB167_1311:
	s_or_b64 s[48:49], s[48:49], exec
.LBB167_1312:
	s_or_b64 exec, exec, s[0:1]
	s_mov_b64 s[16:17], 0
	s_mov_b64 s[18:19], 0
	;; [unrolled: 1-line block ×3, first 2 shown]
                                        ; implicit-def: $sgpr26
                                        ; implicit-def: $vgpr4_vgpr5
                                        ; implicit-def: $vgpr6
	s_and_saveexec_b64 s[0:1], s[48:49]
	s_cbranch_execz .LBB167_1320
; %bb.1313:
	s_waitcnt vmcnt(0)
	v_mov_b32_e32 v2, s25
	s_and_b32 s26, s70, 0xff
	v_add_co_u32_e32 v4, vcc, s24, v3
	s_cmp_lt_i32 s26, 11
	v_addc_co_u32_e32 v5, vcc, 0, v2, vcc
	s_cbranch_scc1 .LBB167_1323
; %bb.1314:
	s_and_b32 s24, 0xffff, s26
	s_cmp_gt_i32 s24, 25
	s_cbranch_scc0 .LBB167_1324
; %bb.1315:
	s_cmp_gt_i32 s24, 28
	s_cbranch_scc0 .LBB167_1325
; %bb.1316:
	;; [unrolled: 3-line block ×4, first 2 shown]
	s_cmp_eq_u32 s24, 46
	s_cbranch_scc0 .LBB167_1328
; %bb.1319:
	global_load_dword v2, v[4:5], off
	s_mov_b64 s[12:13], 0
	s_mov_b64 s[14:15], -1
	s_waitcnt vmcnt(0)
	v_lshlrev_b32_e32 v2, 16, v2
	v_cvt_i32_f32_e32 v6, v2
	s_branch .LBB167_1330
.LBB167_1320:
	s_or_b64 exec, exec, s[0:1]
	s_and_saveexec_b64 s[0:1], s[38:39]
	s_cbranch_execnz .LBB167_1389
.LBB167_1321:
	s_or_b64 exec, exec, s[0:1]
	s_and_saveexec_b64 s[0:1], s[16:17]
	s_xor_b64 s[0:1], exec, s[0:1]
	s_cbranch_execz .LBB167_1390
.LBB167_1322:
	s_waitcnt vmcnt(0)
	global_load_ubyte v2, v[4:5], off
	s_or_b64 s[14:15], s[14:15], exec
	s_waitcnt vmcnt(0)
	v_cmp_ne_u16_e32 vcc, 0, v2
	v_cndmask_b32_e64 v6, 0, 1, vcc
	s_or_b64 exec, exec, s[0:1]
	s_and_saveexec_b64 s[0:1], s[18:19]
	s_cbranch_execz .LBB167_1436
	s_branch .LBB167_1391
.LBB167_1323:
	s_mov_b64 s[18:19], -1
                                        ; implicit-def: $vgpr6
	s_mov_b64 s[12:13], s[38:39]
	s_branch .LBB167_1388
.LBB167_1324:
	s_mov_b64 s[12:13], s[38:39]
                                        ; implicit-def: $vgpr6
	s_cbranch_execnz .LBB167_1357
	s_branch .LBB167_1387
.LBB167_1325:
	s_mov_b64 s[18:19], -1
	s_mov_b64 s[12:13], s[38:39]
                                        ; implicit-def: $vgpr6
	s_branch .LBB167_1340
.LBB167_1326:
	s_mov_b64 s[18:19], -1
	s_mov_b64 s[12:13], s[38:39]
                                        ; implicit-def: $vgpr6
	s_branch .LBB167_1335
.LBB167_1327:
	s_mov_b64 s[18:19], -1
	s_mov_b64 s[12:13], s[38:39]
	s_branch .LBB167_1329
.LBB167_1328:
	s_mov_b64 s[12:13], -1
.LBB167_1329:
                                        ; implicit-def: $vgpr6
.LBB167_1330:
	s_and_b64 vcc, exec, s[18:19]
	s_cbranch_vccz .LBB167_1334
; %bb.1331:
	s_cmp_eq_u32 s24, 44
	s_cbranch_scc0 .LBB167_1333
; %bb.1332:
	global_load_ubyte v2, v[4:5], off
	s_mov_b64 s[12:13], 0
	s_mov_b64 s[14:15], -1
	s_waitcnt vmcnt(0)
	v_lshlrev_b32_e32 v3, 23, v2
	v_cvt_i32_f32_e32 v3, v3
	v_cmp_ne_u32_e32 vcc, 0, v2
	v_cndmask_b32_e32 v6, 0, v3, vcc
	s_branch .LBB167_1334
.LBB167_1333:
	s_mov_b64 s[12:13], -1
                                        ; implicit-def: $vgpr6
.LBB167_1334:
	s_mov_b64 s[18:19], 0
.LBB167_1335:
	s_and_b64 vcc, exec, s[18:19]
	s_cbranch_vccz .LBB167_1339
; %bb.1336:
	s_cmp_eq_u32 s24, 29
	s_cbranch_scc0 .LBB167_1338
; %bb.1337:
	global_load_dwordx2 v[6:7], v[4:5], off
	s_mov_b64 s[12:13], 0
	s_mov_b64 s[14:15], -1
	s_branch .LBB167_1339
.LBB167_1338:
	s_mov_b64 s[12:13], -1
                                        ; implicit-def: $vgpr6
.LBB167_1339:
	s_mov_b64 s[18:19], 0
.LBB167_1340:
	s_and_b64 vcc, exec, s[18:19]
	s_cbranch_vccz .LBB167_1356
; %bb.1341:
	s_cmp_lt_i32 s24, 27
	s_cbranch_scc1 .LBB167_1344
; %bb.1342:
	s_cmp_gt_i32 s24, 27
	s_cbranch_scc0 .LBB167_1345
; %bb.1343:
	global_load_dword v6, v[4:5], off
	s_mov_b64 s[14:15], 0
	s_branch .LBB167_1346
.LBB167_1344:
	s_mov_b64 s[14:15], -1
                                        ; implicit-def: $vgpr6
	s_branch .LBB167_1349
.LBB167_1345:
	s_mov_b64 s[14:15], -1
                                        ; implicit-def: $vgpr6
.LBB167_1346:
	s_andn2_b64 vcc, exec, s[14:15]
	s_cbranch_vccnz .LBB167_1348
; %bb.1347:
	global_load_ushort v6, v[4:5], off
.LBB167_1348:
	s_mov_b64 s[14:15], 0
.LBB167_1349:
	s_andn2_b64 vcc, exec, s[14:15]
	s_cbranch_vccnz .LBB167_1355
; %bb.1350:
	global_load_ubyte v2, v[4:5], off
	s_movk_i32 s14, 0x7f
	s_mov_b64 s[18:19], 0
	s_waitcnt vmcnt(0)
	v_cmp_lt_i16_e32 vcc, s14, v2
	s_and_saveexec_b64 s[14:15], vcc
	s_xor_b64 s[14:15], exec, s[14:15]
	s_cbranch_execz .LBB167_1366
; %bb.1351:
	s_movk_i32 s18, 0x80
	v_cmp_ne_u16_e32 vcc, s18, v2
	s_and_b64 s[18:19], vcc, exec
	s_andn2_saveexec_b64 s[14:15], s[14:15]
	s_cbranch_execnz .LBB167_1367
.LBB167_1352:
	s_or_b64 exec, exec, s[14:15]
	v_mov_b32_e32 v6, 0
	s_and_saveexec_b64 s[14:15], s[18:19]
	s_cbranch_execz .LBB167_1354
.LBB167_1353:
	v_lshlrev_b32_e32 v3, 24, v2
	v_and_b32_e32 v2, 0xffff, v2
	v_and_b32_e32 v6, 7, v2
	v_ffbh_u32_e32 v8, v6
	v_min_u32_e32 v8, 32, v8
	v_subrev_u32_e32 v9, 28, v8
	v_bfe_u32 v7, v2, 3, 4
	v_lshlrev_b32_e32 v2, v9, v2
	v_sub_u32_e32 v8, 29, v8
	v_and_b32_e32 v2, 7, v2
	v_cmp_eq_u32_e32 vcc, 0, v7
	v_cndmask_b32_e32 v7, v7, v8, vcc
	v_cndmask_b32_e32 v2, v6, v2, vcc
	v_mov_b32_e32 v6, 0x3b800000
	v_lshlrev_b32_e32 v2, 20, v2
	v_and_b32_e32 v3, 0x80000000, v3
	v_lshl_add_u32 v6, v7, 23, v6
	v_or3_b32 v2, v3, v6, v2
	v_cvt_i32_f32_e32 v6, v2
.LBB167_1354:
	s_or_b64 exec, exec, s[14:15]
.LBB167_1355:
	s_mov_b64 s[14:15], -1
.LBB167_1356:
	s_branch .LBB167_1387
.LBB167_1357:
	s_cmp_gt_i32 s24, 22
	s_cbranch_scc0 .LBB167_1365
; %bb.1358:
	s_cmp_lt_i32 s24, 24
	s_cbranch_scc1 .LBB167_1368
; %bb.1359:
	s_cmp_gt_i32 s24, 24
	s_cbranch_scc0 .LBB167_1369
; %bb.1360:
	global_load_ubyte v2, v[4:5], off
	s_movk_i32 s14, 0x7f
	s_waitcnt vmcnt(0)
	v_cmp_lt_i16_e32 vcc, s14, v2
	s_and_saveexec_b64 s[14:15], vcc
	s_xor_b64 s[14:15], exec, s[14:15]
	s_cbranch_execz .LBB167_1381
; %bb.1361:
	s_movk_i32 s16, 0x80
	v_cmp_ne_u16_e32 vcc, s16, v2
	s_and_b64 s[16:17], vcc, exec
	s_andn2_saveexec_b64 s[14:15], s[14:15]
	s_cbranch_execnz .LBB167_1382
.LBB167_1362:
	s_or_b64 exec, exec, s[14:15]
	v_mov_b32_e32 v6, 0
	s_and_saveexec_b64 s[14:15], s[16:17]
	s_cbranch_execz .LBB167_1364
.LBB167_1363:
	v_lshlrev_b32_e32 v3, 24, v2
	v_and_b32_e32 v2, 0xffff, v2
	v_and_b32_e32 v6, 3, v2
	v_ffbh_u32_e32 v8, v6
	v_min_u32_e32 v8, 32, v8
	v_subrev_u32_e32 v9, 29, v8
	v_bfe_u32 v7, v2, 2, 5
	v_lshlrev_b32_e32 v2, v9, v2
	v_sub_u32_e32 v8, 30, v8
	v_and_b32_e32 v2, 3, v2
	v_cmp_eq_u32_e32 vcc, 0, v7
	v_cndmask_b32_e32 v7, v7, v8, vcc
	v_cndmask_b32_e32 v2, v6, v2, vcc
	v_mov_b32_e32 v6, 0x37800000
	v_lshlrev_b32_e32 v2, 21, v2
	v_and_b32_e32 v3, 0x80000000, v3
	v_lshl_add_u32 v6, v7, 23, v6
	v_or3_b32 v2, v3, v6, v2
	v_cvt_i32_f32_e32 v6, v2
.LBB167_1364:
	s_or_b64 exec, exec, s[14:15]
	s_mov_b64 s[14:15], 0
	s_branch .LBB167_1370
.LBB167_1365:
	s_mov_b64 s[16:17], -1
                                        ; implicit-def: $vgpr6
	s_branch .LBB167_1376
.LBB167_1366:
	s_andn2_saveexec_b64 s[14:15], s[14:15]
	s_cbranch_execz .LBB167_1352
.LBB167_1367:
	v_cmp_ne_u16_e32 vcc, 0, v2
	s_andn2_b64 s[18:19], s[18:19], exec
	s_and_b64 s[28:29], vcc, exec
	s_or_b64 s[18:19], s[18:19], s[28:29]
	s_or_b64 exec, exec, s[14:15]
	v_mov_b32_e32 v6, 0
	s_and_saveexec_b64 s[14:15], s[18:19]
	s_cbranch_execnz .LBB167_1353
	s_branch .LBB167_1354
.LBB167_1368:
	s_mov_b64 s[14:15], -1
                                        ; implicit-def: $vgpr6
	s_branch .LBB167_1373
.LBB167_1369:
	s_mov_b64 s[14:15], -1
                                        ; implicit-def: $vgpr6
.LBB167_1370:
	s_and_b64 vcc, exec, s[14:15]
	s_cbranch_vccz .LBB167_1372
; %bb.1371:
	global_load_ubyte v2, v[4:5], off
	s_mov_b32 s14, 0x7f800000
	s_waitcnt vmcnt(0)
	v_lshlrev_b32_e32 v2, 24, v2
	v_and_b32_e32 v3, 0x7f000000, v2
	v_ffbh_u32_e32 v6, v3
	v_min_u32_e32 v6, 32, v6
	v_sub_u32_e64 v6, v6, 4 clamp
	v_lshlrev_b32_e32 v8, v6, v3
	v_lshlrev_b32_e32 v6, 23, v6
	v_lshrrev_b32_e32 v8, 4, v8
	v_add_u32_e32 v7, 0x1000000, v3
	v_sub_u32_e32 v6, v8, v6
	v_ashrrev_i32_e32 v7, 8, v7
	v_add_u32_e32 v6, 0x3c000000, v6
	v_and_or_b32 v6, v7, s14, v6
	v_cmp_ne_u32_e32 vcc, 0, v3
	v_cndmask_b32_e32 v3, 0, v6, vcc
	s_brev_b32 s14, 1
	v_and_or_b32 v2, v2, s14, v3
	v_cvt_i32_f32_e32 v6, v2
.LBB167_1372:
	s_mov_b64 s[14:15], 0
.LBB167_1373:
	s_andn2_b64 vcc, exec, s[14:15]
	s_cbranch_vccnz .LBB167_1375
; %bb.1374:
	global_load_ubyte v2, v[4:5], off
	s_movk_i32 s14, 0x7f00
	s_brev_b32 s15, 16
	s_waitcnt vmcnt(0)
	v_lshlrev_b16_e32 v3, 8, v2
	v_lshlrev_b32_e32 v2, 25, v2
	v_lshrrev_b32_e32 v6, 4, v2
	v_and_or_b32 v7, v3, s14, 0.5
	v_or_b32_e32 v6, 0x70000000, v6
	v_add_f32_e32 v7, -0.5, v7
	v_mul_f32_e32 v6, 0x7800000, v6
	v_cmp_gt_u32_e32 vcc, s15, v2
	v_bfe_i32 v3, v3, 0, 16
	v_cndmask_b32_e32 v2, v6, v7, vcc
	s_brev_b32 s14, 1
	v_and_or_b32 v2, v3, s14, v2
	v_cvt_i32_f32_e32 v6, v2
.LBB167_1375:
	s_mov_b64 s[16:17], 0
	s_mov_b64 s[14:15], -1
.LBB167_1376:
	s_andn2_b64 vcc, exec, s[16:17]
	s_mov_b64 s[16:17], 0
	s_cbranch_vccnz .LBB167_1387
; %bb.1377:
	s_cmp_gt_i32 s24, 14
	s_cbranch_scc0 .LBB167_1380
; %bb.1378:
	s_cmp_eq_u32 s24, 15
	s_cbranch_scc0 .LBB167_1383
; %bb.1379:
	global_load_ushort v2, v[4:5], off
	s_mov_b64 s[12:13], 0
	s_mov_b64 s[14:15], -1
	s_waitcnt vmcnt(0)
	v_lshlrev_b32_e32 v2, 16, v2
	v_cvt_i32_f32_e32 v6, v2
	s_branch .LBB167_1384
.LBB167_1380:
	s_mov_b64 s[18:19], -1
                                        ; implicit-def: $vgpr6
	s_branch .LBB167_1385
.LBB167_1381:
	s_andn2_saveexec_b64 s[14:15], s[14:15]
	s_cbranch_execz .LBB167_1362
.LBB167_1382:
	v_cmp_ne_u16_e32 vcc, 0, v2
	s_andn2_b64 s[16:17], s[16:17], exec
	s_and_b64 s[18:19], vcc, exec
	s_or_b64 s[16:17], s[16:17], s[18:19]
	s_or_b64 exec, exec, s[14:15]
	v_mov_b32_e32 v6, 0
	s_and_saveexec_b64 s[14:15], s[16:17]
	s_cbranch_execnz .LBB167_1363
	s_branch .LBB167_1364
.LBB167_1383:
	s_mov_b64 s[12:13], -1
                                        ; implicit-def: $vgpr6
.LBB167_1384:
	s_mov_b64 s[18:19], 0
.LBB167_1385:
	s_and_b64 vcc, exec, s[18:19]
	s_cbranch_vccz .LBB167_1387
; %bb.1386:
	s_cmp_lg_u32 s24, 11
	s_cselect_b64 s[18:19], -1, 0
	s_andn2_b64 s[12:13], s[12:13], exec
	s_and_b64 s[18:19], s[18:19], exec
	s_mov_b64 s[16:17], -1
	s_or_b64 s[12:13], s[12:13], s[18:19]
.LBB167_1387:
	s_mov_b64 s[18:19], 0
.LBB167_1388:
	s_andn2_b64 s[24:25], s[38:39], exec
	s_and_b64 s[12:13], s[12:13], exec
	s_and_b64 s[14:15], s[14:15], exec
	;; [unrolled: 1-line block ×4, first 2 shown]
	s_or_b64 s[38:39], s[24:25], s[12:13]
	s_or_b64 exec, exec, s[0:1]
	s_and_saveexec_b64 s[0:1], s[38:39]
	s_cbranch_execz .LBB167_1321
.LBB167_1389:
	s_or_b64 s[10:11], s[10:11], exec
	s_andn2_b64 s[16:17], s[16:17], exec
	s_trap 2
	s_or_b64 exec, exec, s[0:1]
	s_and_saveexec_b64 s[0:1], s[16:17]
	s_xor_b64 s[0:1], exec, s[0:1]
	s_cbranch_execnz .LBB167_1322
.LBB167_1390:
	s_or_b64 exec, exec, s[0:1]
	s_and_saveexec_b64 s[0:1], s[18:19]
	s_cbranch_execz .LBB167_1436
.LBB167_1391:
	s_sext_i32_i16 s12, s26
	s_cmp_lt_i32 s12, 5
	s_cbranch_scc1 .LBB167_1396
; %bb.1392:
	s_cmp_lt_i32 s12, 8
	s_cbranch_scc1 .LBB167_1397
; %bb.1393:
	;; [unrolled: 3-line block ×3, first 2 shown]
	s_cmp_gt_i32 s12, 9
	s_cbranch_scc0 .LBB167_1399
; %bb.1395:
	s_waitcnt vmcnt(0)
	global_load_dwordx2 v[2:3], v[4:5], off
	s_mov_b64 s[12:13], 0
	s_waitcnt vmcnt(0)
	v_cvt_i32_f64_e32 v6, v[2:3]
	s_branch .LBB167_1400
.LBB167_1396:
                                        ; implicit-def: $vgpr6
	s_branch .LBB167_1417
.LBB167_1397:
                                        ; implicit-def: $vgpr6
	s_branch .LBB167_1406
.LBB167_1398:
	s_mov_b64 s[12:13], -1
                                        ; implicit-def: $vgpr6
	s_branch .LBB167_1403
.LBB167_1399:
	s_mov_b64 s[12:13], -1
                                        ; implicit-def: $vgpr6
.LBB167_1400:
	s_andn2_b64 vcc, exec, s[12:13]
	s_cbranch_vccnz .LBB167_1402
; %bb.1401:
	s_waitcnt vmcnt(0)
	global_load_dword v2, v[4:5], off
	s_waitcnt vmcnt(0)
	v_cvt_i32_f32_e32 v6, v2
.LBB167_1402:
	s_mov_b64 s[12:13], 0
.LBB167_1403:
	s_andn2_b64 vcc, exec, s[12:13]
	s_cbranch_vccnz .LBB167_1405
; %bb.1404:
	s_waitcnt vmcnt(0)
	global_load_dword v2, v[4:5], off
	s_waitcnt vmcnt(0)
	v_cvt_i16_f16_e32 v6, v2
.LBB167_1405:
	s_cbranch_execnz .LBB167_1416
.LBB167_1406:
	s_sext_i32_i16 s12, s26
	s_cmp_lt_i32 s12, 6
	s_cbranch_scc1 .LBB167_1409
; %bb.1407:
	s_cmp_gt_i32 s12, 6
	s_cbranch_scc0 .LBB167_1410
; %bb.1408:
	s_waitcnt vmcnt(0)
	global_load_dwordx2 v[2:3], v[4:5], off
	s_mov_b64 s[12:13], 0
	s_waitcnt vmcnt(0)
	v_cvt_i32_f64_e32 v6, v[2:3]
	s_branch .LBB167_1411
.LBB167_1409:
	s_mov_b64 s[12:13], -1
                                        ; implicit-def: $vgpr6
	s_branch .LBB167_1414
.LBB167_1410:
	s_mov_b64 s[12:13], -1
                                        ; implicit-def: $vgpr6
.LBB167_1411:
	s_andn2_b64 vcc, exec, s[12:13]
	s_cbranch_vccnz .LBB167_1413
; %bb.1412:
	s_waitcnt vmcnt(0)
	global_load_dword v2, v[4:5], off
	s_waitcnt vmcnt(0)
	v_cvt_i32_f32_e32 v6, v2
.LBB167_1413:
	s_mov_b64 s[12:13], 0
.LBB167_1414:
	s_andn2_b64 vcc, exec, s[12:13]
	s_cbranch_vccnz .LBB167_1416
; %bb.1415:
	s_waitcnt vmcnt(0)
	global_load_ushort v2, v[4:5], off
	s_waitcnt vmcnt(0)
	v_cvt_i16_f16_e32 v6, v2
.LBB167_1416:
	s_cbranch_execnz .LBB167_1435
.LBB167_1417:
	s_sext_i32_i16 s12, s26
	s_cmp_lt_i32 s12, 2
	s_cbranch_scc1 .LBB167_1421
; %bb.1418:
	s_cmp_lt_i32 s12, 3
	s_cbranch_scc1 .LBB167_1422
; %bb.1419:
	s_cmp_gt_i32 s12, 3
	s_cbranch_scc0 .LBB167_1423
; %bb.1420:
	s_waitcnt vmcnt(0)
	global_load_dwordx2 v[6:7], v[4:5], off
	s_mov_b64 s[12:13], 0
	s_branch .LBB167_1424
.LBB167_1421:
                                        ; implicit-def: $vgpr6
	s_branch .LBB167_1430
.LBB167_1422:
	s_mov_b64 s[12:13], -1
                                        ; implicit-def: $vgpr6
	s_branch .LBB167_1427
.LBB167_1423:
	s_mov_b64 s[12:13], -1
                                        ; implicit-def: $vgpr6
.LBB167_1424:
	s_andn2_b64 vcc, exec, s[12:13]
	s_cbranch_vccnz .LBB167_1426
; %bb.1425:
	s_waitcnt vmcnt(0)
	global_load_dword v6, v[4:5], off
.LBB167_1426:
	s_mov_b64 s[12:13], 0
.LBB167_1427:
	s_andn2_b64 vcc, exec, s[12:13]
	s_cbranch_vccnz .LBB167_1429
; %bb.1428:
	s_waitcnt vmcnt(0)
	global_load_ushort v6, v[4:5], off
.LBB167_1429:
	s_cbranch_execnz .LBB167_1435
.LBB167_1430:
	s_sext_i32_i16 s12, s26
	s_cmp_gt_i32 s12, 0
	s_cbranch_scc0 .LBB167_1432
; %bb.1431:
	s_waitcnt vmcnt(0)
	global_load_ubyte v6, v[4:5], off
	s_mov_b64 s[12:13], 0
	s_branch .LBB167_1433
.LBB167_1432:
	s_mov_b64 s[12:13], -1
                                        ; implicit-def: $vgpr6
.LBB167_1433:
	s_andn2_b64 vcc, exec, s[12:13]
	s_cbranch_vccnz .LBB167_1435
; %bb.1434:
	s_waitcnt vmcnt(0)
	global_load_ubyte v6, v[4:5], off
.LBB167_1435:
	s_or_b64 s[14:15], s[14:15], exec
.LBB167_1436:
	s_or_b64 exec, exec, s[0:1]
	s_mov_b64 s[18:19], 0
	s_mov_b64 s[16:17], 0
                                        ; implicit-def: $sgpr24
                                        ; implicit-def: $vgpr2_vgpr3
                                        ; implicit-def: $vgpr4
	s_and_saveexec_b64 s[12:13], s[14:15]
	s_cbranch_execz .LBB167_1444
; %bb.1437:
	s_waitcnt vmcnt(0)
	v_mov_b32_e32 v2, 6
	v_mov_b32_e32 v3, 7
	v_ashrrev_i16_sdwa v3, v3, sext(v1) dst_sel:DWORD dst_unused:UNUSED_PAD src0_sel:DWORD src1_sel:BYTE_0
	v_ashrrev_i32_sdwa v1, v6, sext(v1) dst_sel:DWORD dst_unused:UNUSED_PAD src0_sel:DWORD src1_sel:BYTE_0
	v_cmp_gt_u16_sdwa vcc, v6, v2 src0_sel:BYTE_0 src1_sel:DWORD
	v_cndmask_b32_e32 v4, v1, v3, vcc
	v_mov_b32_e32 v1, s9
	s_and_b32 s24, s69, 0xff
	v_add_co_u32_e32 v2, vcc, s8, v0
	s_cmp_lt_i32 s24, 11
	v_addc_co_u32_e32 v3, vcc, 0, v1, vcc
	s_cbranch_scc1 .LBB167_1447
; %bb.1438:
	s_and_b32 s25, 0xffff, s24
	s_mov_b64 s[14:15], -1
	s_cmp_gt_i32 s25, 25
	s_mov_b64 s[0:1], s[36:37]
	s_cbranch_scc0 .LBB167_1475
; %bb.1439:
	s_mov_b64 s[8:9], -1
	s_cmp_gt_i32 s25, 28
	s_mov_b64 s[0:1], s[36:37]
	s_cbranch_scc0 .LBB167_1459
; %bb.1440:
	s_cmp_gt_i32 s25, 43
	s_mov_b64 s[0:1], s[36:37]
	s_cbranch_scc0 .LBB167_1455
; %bb.1441:
	;; [unrolled: 4-line block ×3, first 2 shown]
	s_cmp_eq_u32 s25, 46
	s_mov_b64 s[0:1], -1
	s_cbranch_scc0 .LBB167_1448
; %bb.1443:
	v_cvt_f32_i32_sdwa v0, sext(v4) dst_sel:DWORD dst_unused:UNUSED_PAD src0_sel:WORD_0
	s_movk_i32 s0, 0x7fff
	s_mov_b64 s[8:9], 0
	v_bfe_u32 v1, v0, 16, 1
	v_add3_u32 v0, v0, v1, s0
	v_lshrrev_b32_e32 v0, 16, v0
	global_store_dword v[2:3], v0, off
	s_mov_b64 s[0:1], 0
	s_branch .LBB167_1449
.LBB167_1444:
	s_or_b64 exec, exec, s[12:13]
	s_and_saveexec_b64 s[0:1], s[36:37]
	s_cbranch_execnz .LBB167_1517
.LBB167_1445:
	s_or_b64 exec, exec, s[0:1]
	s_and_saveexec_b64 s[0:1], s[18:19]
	s_xor_b64 s[0:1], exec, s[0:1]
	s_cbranch_execz .LBB167_1518
.LBB167_1446:
	v_mov_b32_e32 v0, 0
	s_waitcnt vmcnt(0)
	v_cmp_ne_u16_sdwa s[8:9], v4, v0 src0_sel:BYTE_0 src1_sel:DWORD
	v_cndmask_b32_e64 v0, 0, 1, s[8:9]
	global_store_byte v[2:3], v0, off
	s_or_b64 exec, exec, s[0:1]
	s_and_saveexec_b64 s[0:1], s[16:17]
	s_xor_b64 s[0:1], exec, s[0:1]
	s_cbranch_execz .LBB167_1556
	s_branch .LBB167_1519
.LBB167_1447:
	s_mov_b64 s[14:15], 0
	s_mov_b64 s[8:9], -1
	s_mov_b64 s[0:1], s[36:37]
	s_branch .LBB167_1516
.LBB167_1448:
	s_mov_b64 s[8:9], 0
.LBB167_1449:
	s_and_b64 vcc, exec, s[8:9]
	s_cbranch_vccz .LBB167_1454
; %bb.1450:
	s_cmp_eq_u32 s25, 44
	s_mov_b64 s[0:1], -1
	s_cbranch_scc0 .LBB167_1454
; %bb.1451:
	v_cvt_f32_i32_sdwa v0, sext(v4) dst_sel:DWORD dst_unused:UNUSED_PAD src0_sel:WORD_0
	s_movk_i32 s0, 0xff
	v_mov_b32_e32 v5, 0xff
	v_bfe_u32 v1, v0, 23, 8
	v_cmp_ne_u32_e32 vcc, s0, v1
	s_and_saveexec_b64 s[8:9], vcc
; %bb.1452:
	s_mov_b32 s0, 0x3fffff
	v_lshrrev_b32_e32 v5, 23, v0
	v_and_b32_e32 v6, 0x400000, v0
	v_and_or_b32 v0, v0, s0, v1
	v_cmp_ne_u32_e32 vcc, 0, v6
	v_cmp_ne_u32_e64 s[0:1], 0, v0
	s_and_b64 s[0:1], vcc, s[0:1]
	v_cndmask_b32_e64 v0, 0, 1, s[0:1]
	v_add_u32_e32 v5, v5, v0
; %bb.1453:
	s_or_b64 exec, exec, s[8:9]
	s_mov_b64 s[0:1], 0
	global_store_byte v[2:3], v5, off
.LBB167_1454:
	s_mov_b64 s[8:9], 0
.LBB167_1455:
	s_and_b64 vcc, exec, s[8:9]
	s_cbranch_vccz .LBB167_1458
; %bb.1456:
	s_cmp_eq_u32 s25, 29
	s_mov_b64 s[0:1], -1
	s_cbranch_scc0 .LBB167_1458
; %bb.1457:
	v_bfe_i32 v0, v4, 0, 16
	v_ashrrev_i32_e32 v1, 31, v0
	global_store_dwordx2 v[2:3], v[0:1], off
	s_mov_b64 s[0:1], 0
.LBB167_1458:
	s_mov_b64 s[8:9], 0
.LBB167_1459:
	s_and_b64 vcc, exec, s[8:9]
	s_cbranch_vccz .LBB167_1474
; %bb.1460:
	s_cmp_lt_i32 s25, 27
	s_mov_b64 s[8:9], -1
	s_cbranch_scc1 .LBB167_1466
; %bb.1461:
	s_cmp_gt_i32 s25, 27
	s_cbranch_scc0 .LBB167_1463
; %bb.1462:
	v_bfe_i32 v0, v4, 0, 16
	s_mov_b64 s[8:9], 0
	global_store_dword v[2:3], v0, off
.LBB167_1463:
	s_andn2_b64 vcc, exec, s[8:9]
	s_cbranch_vccnz .LBB167_1465
; %bb.1464:
	global_store_short v[2:3], v4, off
.LBB167_1465:
	s_mov_b64 s[8:9], 0
.LBB167_1466:
	s_andn2_b64 vcc, exec, s[8:9]
	s_cbranch_vccnz .LBB167_1474
; %bb.1467:
	v_cvt_f32_i32_sdwa v0, sext(v4) dst_sel:DWORD dst_unused:UNUSED_PAD src0_sel:WORD_0
	s_mov_b32 s8, 0x43800000
	v_mov_b32_e32 v5, 0x80
	v_and_b32_e32 v1, 0x7fffffff, v0
	v_cmp_gt_u32_e32 vcc, s8, v1
	s_and_saveexec_b64 s[8:9], vcc
	s_cbranch_execz .LBB167_1473
; %bb.1468:
	s_mov_b32 s14, 0x3bffffff
	v_cmp_lt_u32_e32 vcc, s14, v1
	s_mov_b64 s[14:15], 0
                                        ; implicit-def: $vgpr1
	s_and_saveexec_b64 s[16:17], vcc
	s_xor_b64 s[16:17], exec, s[16:17]
	s_cbranch_execz .LBB167_1615
; %bb.1469:
	v_bfe_u32 v1, v0, 20, 1
	s_mov_b32 s18, 0x487ffff
	v_add3_u32 v1, v0, v1, s18
	s_mov_b64 s[14:15], exec
	v_lshrrev_b32_e32 v1, 20, v1
	s_andn2_saveexec_b64 s[16:17], s[16:17]
	s_cbranch_execnz .LBB167_1616
.LBB167_1470:
	s_or_b64 exec, exec, s[16:17]
	v_mov_b32_e32 v5, 0
	s_and_saveexec_b64 s[16:17], s[14:15]
.LBB167_1471:
	v_lshrrev_b32_e32 v0, 24, v0
	s_movk_i32 s14, 0x80
	v_and_or_b32 v5, v0, s14, v1
.LBB167_1472:
	s_or_b64 exec, exec, s[16:17]
.LBB167_1473:
	s_or_b64 exec, exec, s[8:9]
	global_store_byte v[2:3], v5, off
.LBB167_1474:
	s_mov_b64 s[14:15], 0
.LBB167_1475:
	s_mov_b64 s[8:9], 0
	s_and_b64 vcc, exec, s[14:15]
	s_cbranch_vccz .LBB167_1515
; %bb.1476:
	s_cmp_gt_i32 s25, 22
	s_mov_b64 s[14:15], -1
	s_cbranch_scc0 .LBB167_1508
; %bb.1477:
	s_cmp_lt_i32 s25, 24
	s_cbranch_scc1 .LBB167_1497
; %bb.1478:
	s_cmp_gt_i32 s25, 24
	s_cbranch_scc0 .LBB167_1486
; %bb.1479:
	v_cvt_f32_i32_sdwa v0, sext(v4) dst_sel:DWORD dst_unused:UNUSED_PAD src0_sel:WORD_0
	s_mov_b32 s14, 0x47800000
	v_mov_b32_e32 v5, 0x80
	v_and_b32_e32 v1, 0x7fffffff, v0
	v_cmp_gt_u32_e32 vcc, s14, v1
	s_and_saveexec_b64 s[14:15], vcc
	s_cbranch_execz .LBB167_1485
; %bb.1480:
	s_mov_b32 s16, 0x37ffffff
	v_cmp_lt_u32_e32 vcc, s16, v1
	s_mov_b64 s[16:17], 0
                                        ; implicit-def: $vgpr1
	s_and_saveexec_b64 s[18:19], vcc
	s_xor_b64 s[18:19], exec, s[18:19]
	s_cbranch_execz .LBB167_1735
; %bb.1481:
	v_bfe_u32 v1, v0, 21, 1
	s_mov_b32 s26, 0x88fffff
	v_add3_u32 v1, v0, v1, s26
	s_mov_b64 s[16:17], exec
	v_lshrrev_b32_e32 v1, 21, v1
	s_andn2_saveexec_b64 s[18:19], s[18:19]
	s_cbranch_execnz .LBB167_1736
.LBB167_1482:
	s_or_b64 exec, exec, s[18:19]
	v_mov_b32_e32 v5, 0
	s_and_saveexec_b64 s[18:19], s[16:17]
.LBB167_1483:
	v_lshrrev_b32_e32 v0, 24, v0
	s_movk_i32 s16, 0x80
	v_and_or_b32 v5, v0, s16, v1
.LBB167_1484:
	s_or_b64 exec, exec, s[18:19]
.LBB167_1485:
	s_or_b64 exec, exec, s[14:15]
	s_mov_b64 s[14:15], 0
	global_store_byte v[2:3], v5, off
.LBB167_1486:
	s_and_b64 vcc, exec, s[14:15]
	s_cbranch_vccz .LBB167_1496
; %bb.1487:
	v_cvt_f32_i32_sdwa v0, sext(v4) dst_sel:DWORD dst_unused:UNUSED_PAD src0_sel:WORD_0
	s_mov_b32 s14, 0x43f00000
                                        ; implicit-def: $vgpr1
	v_and_b32_e32 v5, 0x7fffffff, v0
	v_cmp_gt_u32_e32 vcc, s14, v5
	s_and_saveexec_b64 s[14:15], vcc
	s_xor_b64 s[14:15], exec, s[14:15]
	s_cbranch_execz .LBB167_1493
; %bb.1488:
	s_mov_b32 s16, 0x3c7fffff
	v_cmp_lt_u32_e32 vcc, s16, v5
                                        ; implicit-def: $vgpr1
	s_and_saveexec_b64 s[16:17], vcc
	s_xor_b64 s[16:17], exec, s[16:17]
; %bb.1489:
	v_bfe_u32 v1, v0, 20, 1
	s_mov_b32 s18, 0x407ffff
	v_add3_u32 v1, v0, v1, s18
	v_lshrrev_b32_e32 v5, 20, v1
	v_and_b32_e32 v1, 0xff00000, v1
	s_mov_b32 s18, 0x7f00000
	v_mov_b32_e32 v6, 0x7e
	v_cmp_ne_u32_e32 vcc, s18, v1
	v_cndmask_b32_e32 v1, v6, v5, vcc
; %bb.1490:
	s_andn2_saveexec_b64 s[16:17], s[16:17]
; %bb.1491:
	s_mov_b32 s18, 0x46800000
	v_add_f32_e64 v1, |v0|, s18
; %bb.1492:
	s_or_b64 exec, exec, s[16:17]
                                        ; implicit-def: $vgpr5
.LBB167_1493:
	s_andn2_saveexec_b64 s[14:15], s[14:15]
; %bb.1494:
	s_mov_b32 s16, 0x7f800000
	v_mov_b32_e32 v1, 0x7e
	v_mov_b32_e32 v6, 0x7f
	v_cmp_lt_u32_e32 vcc, s16, v5
	v_cndmask_b32_e32 v1, v1, v6, vcc
; %bb.1495:
	s_or_b64 exec, exec, s[14:15]
	v_lshrrev_b32_e32 v0, 24, v0
	s_movk_i32 s14, 0x80
	v_and_or_b32 v0, v0, s14, v1
	global_store_byte v[2:3], v0, off
.LBB167_1496:
	s_mov_b64 s[14:15], 0
.LBB167_1497:
	s_andn2_b64 vcc, exec, s[14:15]
	s_cbranch_vccnz .LBB167_1507
; %bb.1498:
	v_cvt_f32_i32_sdwa v0, sext(v4) dst_sel:DWORD dst_unused:UNUSED_PAD src0_sel:WORD_0
	s_mov_b32 s14, 0x47800000
                                        ; implicit-def: $vgpr1
	v_and_b32_e32 v5, 0x7fffffff, v0
	v_cmp_gt_u32_e32 vcc, s14, v5
	s_and_saveexec_b64 s[14:15], vcc
	s_xor_b64 s[14:15], exec, s[14:15]
	s_cbranch_execz .LBB167_1504
; %bb.1499:
	s_mov_b32 s16, 0x387fffff
	v_cmp_lt_u32_e32 vcc, s16, v5
                                        ; implicit-def: $vgpr1
	s_and_saveexec_b64 s[16:17], vcc
	s_xor_b64 s[16:17], exec, s[16:17]
; %bb.1500:
	v_bfe_u32 v1, v0, 21, 1
	s_mov_b32 s18, 0x80fffff
	v_add3_u32 v1, v0, v1, s18
	v_lshrrev_b32_e32 v1, 21, v1
; %bb.1501:
	s_andn2_saveexec_b64 s[16:17], s[16:17]
; %bb.1502:
	s_mov_b32 s18, 0x43000000
	v_add_f32_e64 v1, |v0|, s18
; %bb.1503:
	s_or_b64 exec, exec, s[16:17]
                                        ; implicit-def: $vgpr5
.LBB167_1504:
	s_andn2_saveexec_b64 s[14:15], s[14:15]
; %bb.1505:
	s_mov_b32 s16, 0x7f800000
	v_mov_b32_e32 v1, 0x7c
	v_mov_b32_e32 v6, 0x7f
	v_cmp_lt_u32_e32 vcc, s16, v5
	v_cndmask_b32_e32 v1, v1, v6, vcc
; %bb.1506:
	s_or_b64 exec, exec, s[14:15]
	v_lshrrev_b32_e32 v0, 24, v0
	s_movk_i32 s14, 0x80
	v_and_or_b32 v0, v0, s14, v1
	global_store_byte v[2:3], v0, off
.LBB167_1507:
	s_mov_b64 s[14:15], 0
.LBB167_1508:
	s_andn2_b64 vcc, exec, s[14:15]
	s_mov_b64 s[14:15], 0
	s_cbranch_vccnz .LBB167_1516
; %bb.1509:
	s_cmp_gt_i32 s25, 14
	s_mov_b64 s[16:17], -1
	s_cbranch_scc0 .LBB167_1513
; %bb.1510:
	s_cmp_eq_u32 s25, 15
	s_mov_b64 s[0:1], -1
	s_cbranch_scc0 .LBB167_1512
; %bb.1511:
	v_cvt_f32_i32_sdwa v0, sext(v4) dst_sel:DWORD dst_unused:UNUSED_PAD src0_sel:WORD_0
	s_movk_i32 s0, 0x7fff
	v_bfe_u32 v1, v0, 16, 1
	v_add3_u32 v0, v0, v1, s0
	global_store_short_d16_hi v[2:3], v0, off
	s_mov_b64 s[0:1], 0
.LBB167_1512:
	s_mov_b64 s[16:17], 0
.LBB167_1513:
	s_and_b64 vcc, exec, s[16:17]
	s_cbranch_vccz .LBB167_1516
; %bb.1514:
	s_cmp_lg_u32 s25, 11
	s_cselect_b64 s[16:17], -1, 0
	s_andn2_b64 s[0:1], s[0:1], exec
	s_and_b64 s[16:17], s[16:17], exec
	s_mov_b64 s[14:15], -1
	s_or_b64 s[0:1], s[0:1], s[16:17]
	s_branch .LBB167_1516
.LBB167_1515:
	s_mov_b64 s[14:15], 0
.LBB167_1516:
	s_and_b64 s[16:17], s[8:9], exec
	s_andn2_b64 s[8:9], s[36:37], exec
	s_and_b64 s[0:1], s[0:1], exec
	s_and_b64 s[18:19], s[14:15], exec
	s_or_b64 s[36:37], s[8:9], s[0:1]
	s_or_b64 exec, exec, s[12:13]
	s_and_saveexec_b64 s[0:1], s[36:37]
	s_cbranch_execz .LBB167_1445
.LBB167_1517:
	s_or_b64 s[10:11], s[10:11], exec
	s_andn2_b64 s[18:19], s[18:19], exec
	s_trap 2
	s_or_b64 exec, exec, s[0:1]
	s_and_saveexec_b64 s[0:1], s[18:19]
	s_xor_b64 s[0:1], exec, s[0:1]
	s_cbranch_execnz .LBB167_1446
.LBB167_1518:
	s_or_b64 exec, exec, s[0:1]
	s_and_saveexec_b64 s[0:1], s[16:17]
	s_xor_b64 s[0:1], exec, s[0:1]
	s_cbranch_execz .LBB167_1556
.LBB167_1519:
	s_sext_i32_i16 s12, s24
	s_cmp_lt_i32 s12, 5
	s_mov_b64 s[8:9], -1
	s_cbranch_scc1 .LBB167_1540
; %bb.1520:
	s_cmp_lt_i32 s12, 8
	s_cbranch_scc1 .LBB167_1530
; %bb.1521:
	s_cmp_lt_i32 s12, 9
	s_cbranch_scc1 .LBB167_1527
; %bb.1522:
	s_cmp_gt_i32 s12, 9
	s_cbranch_scc0 .LBB167_1524
; %bb.1523:
	s_waitcnt vmcnt(0)
	v_bfe_i32 v0, v4, 0, 8
	v_bfe_i32 v0, v0, 0, 16
	v_cvt_f64_i32_e32 v[5:6], v0
	v_mov_b32_e32 v7, 0
	v_mov_b32_e32 v8, v7
	s_mov_b64 s[8:9], 0
	global_store_dwordx4 v[2:3], v[5:8], off
.LBB167_1524:
	s_andn2_b64 vcc, exec, s[8:9]
	s_cbranch_vccnz .LBB167_1526
; %bb.1525:
	s_waitcnt vmcnt(0)
	v_bfe_i32 v0, v4, 0, 8
	v_cvt_f32_i32_sdwa v0, sext(v0) dst_sel:DWORD dst_unused:UNUSED_PAD src0_sel:WORD_0
	v_mov_b32_e32 v1, 0
	global_store_dwordx2 v[2:3], v[0:1], off
.LBB167_1526:
	s_mov_b64 s[8:9], 0
.LBB167_1527:
	s_andn2_b64 vcc, exec, s[8:9]
	s_cbranch_vccnz .LBB167_1529
; %bb.1528:
	s_waitcnt vmcnt(0)
	v_cvt_f16_i16_sdwa v0, sext(v4) dst_sel:DWORD dst_unused:UNUSED_PAD src0_sel:BYTE_0
	global_store_dword v[2:3], v0, off
.LBB167_1529:
	s_mov_b64 s[8:9], 0
.LBB167_1530:
	s_andn2_b64 vcc, exec, s[8:9]
	s_cbranch_vccnz .LBB167_1539
; %bb.1531:
	s_sext_i32_i16 s12, s24
	s_cmp_lt_i32 s12, 6
	s_mov_b64 s[8:9], -1
	s_cbranch_scc1 .LBB167_1537
; %bb.1532:
	s_cmp_gt_i32 s12, 6
	s_cbranch_scc0 .LBB167_1534
; %bb.1533:
	s_waitcnt vmcnt(0)
	v_bfe_i32 v0, v4, 0, 8
	v_bfe_i32 v0, v0, 0, 16
	v_cvt_f64_i32_e32 v[0:1], v0
	s_mov_b64 s[8:9], 0
	global_store_dwordx2 v[2:3], v[0:1], off
.LBB167_1534:
	s_andn2_b64 vcc, exec, s[8:9]
	s_cbranch_vccnz .LBB167_1536
; %bb.1535:
	s_waitcnt vmcnt(0)
	v_bfe_i32 v0, v4, 0, 8
	v_cvt_f32_i32_sdwa v0, sext(v0) dst_sel:DWORD dst_unused:UNUSED_PAD src0_sel:WORD_0
	global_store_dword v[2:3], v0, off
.LBB167_1536:
	s_mov_b64 s[8:9], 0
.LBB167_1537:
	s_andn2_b64 vcc, exec, s[8:9]
	s_cbranch_vccnz .LBB167_1539
; %bb.1538:
	s_waitcnt vmcnt(0)
	v_cvt_f16_i16_sdwa v0, sext(v4) dst_sel:DWORD dst_unused:UNUSED_PAD src0_sel:BYTE_0
	global_store_short v[2:3], v0, off
.LBB167_1539:
	s_mov_b64 s[8:9], 0
.LBB167_1540:
	s_andn2_b64 vcc, exec, s[8:9]
	s_cbranch_vccnz .LBB167_1556
; %bb.1541:
	s_sext_i32_i16 s12, s24
	s_cmp_lt_i32 s12, 2
	s_mov_b64 s[8:9], -1
	s_cbranch_scc1 .LBB167_1551
; %bb.1542:
	s_cmp_lt_i32 s12, 3
	s_cbranch_scc1 .LBB167_1548
; %bb.1543:
	s_cmp_gt_i32 s12, 3
	s_cbranch_scc0 .LBB167_1545
; %bb.1544:
	s_waitcnt vmcnt(0)
	v_bfe_i32 v0, v4, 0, 8
	v_ashrrev_i32_e32 v1, 31, v0
	s_mov_b64 s[8:9], 0
	global_store_dwordx2 v[2:3], v[0:1], off
.LBB167_1545:
	s_andn2_b64 vcc, exec, s[8:9]
	s_cbranch_vccnz .LBB167_1547
; %bb.1546:
	s_waitcnt vmcnt(0)
	v_bfe_i32 v0, v4, 0, 8
	global_store_dword v[2:3], v0, off
.LBB167_1547:
	s_mov_b64 s[8:9], 0
.LBB167_1548:
	s_andn2_b64 vcc, exec, s[8:9]
	s_cbranch_vccnz .LBB167_1550
; %bb.1549:
	s_waitcnt vmcnt(0)
	v_bfe_i32 v0, v4, 0, 8
	global_store_short v[2:3], v0, off
.LBB167_1550:
	s_mov_b64 s[8:9], 0
.LBB167_1551:
	s_andn2_b64 vcc, exec, s[8:9]
	s_cbranch_vccnz .LBB167_1556
; %bb.1552:
	s_sext_i32_i16 s8, s24
	s_cmp_gt_i32 s8, 0
	s_mov_b64 s[8:9], -1
	s_cbranch_scc0 .LBB167_1554
; %bb.1553:
	s_mov_b64 s[8:9], 0
	s_waitcnt vmcnt(0)
	global_store_byte v[2:3], v4, off
.LBB167_1554:
	s_andn2_b64 vcc, exec, s[8:9]
	s_cbranch_vccnz .LBB167_1556
; %bb.1555:
	s_waitcnt vmcnt(0)
	global_store_byte v[2:3], v4, off
.LBB167_1556:
	s_or_b64 exec, exec, s[0:1]
	s_and_b64 s[12:13], s[10:11], exec
                                        ; implicit-def: $vgpr21
                                        ; implicit-def: $vgpr10
.LBB167_1557:
	s_or_saveexec_b64 s[14:15], s[22:23]
	s_mov_b64 s[0:1], 0
                                        ; implicit-def: $vgpr0_vgpr1
                                        ; implicit-def: $sgpr18
                                        ; implicit-def: $vgpr2
	s_xor_b64 exec, exec, s[14:15]
	s_cbranch_execz .LBB167_3038
; %bb.1558:
	v_cndmask_b32_e64 v0, 0, 1, s[20:21]
	v_cmp_ne_u32_e64 s[0:1], 1, v0
	s_andn2_b64 vcc, exec, s[20:21]
	s_cbranch_vccnz .LBB167_1564
; %bb.1559:
	s_cmp_lg_u32 s33, 0
	s_cbranch_scc0 .LBB167_1565
; %bb.1560:
	s_min_u32 s8, s68, 15
	s_add_i32 s6, s8, 1
	s_and_b32 s9, s6, 30
	s_add_u32 s6, s2, 0xffffffe8
	s_addc_u32 s7, s3, -1
	v_mov_b32_e32 v13, 0
	v_mov_b32_e32 v8, 0
	s_waitcnt vmcnt(0)
	v_mov_b32_e32 v6, 0
	v_mov_b32_e32 v0, v10
.LBB167_1561:                           ; =>This Inner Loop Header: Depth=1
	s_load_dwordx4 s[16:19], s[6:7], 0x1c
	s_load_dwordx2 s[10:11], s[6:7], 0x2c
	s_load_dwordx2 s[24:25], s[6:7], 0xec
	s_load_dwordx4 s[20:23], s[6:7], 0xdc
	s_add_u32 s6, s6, 24
	s_waitcnt lgkmcnt(0)
	v_mul_hi_u32 v1, s17, v0
	s_addc_u32 s7, s7, 0
	s_add_i32 s9, s9, -2
	s_cmp_lg_u32 s9, 0
	v_add_u32_e32 v1, v0, v1
	v_lshrrev_b32_e32 v1, s18, v1
	v_mul_lo_u32 v2, v1, s16
	v_mul_hi_u32 v3, s10, v1
	v_sub_u32_e32 v2, v0, v2
	v_add_u32_e32 v0, v1, v3
	v_lshrrev_b32_e32 v0, s11, v0
	v_mul_lo_u32 v5, v0, s19
	v_mul_lo_u32 v3, v2, s20
	;; [unrolled: 1-line block ×4, first 2 shown]
	v_sub_u32_e32 v1, v1, v5
	v_mul_lo_u32 v5, v1, s23
	v_mul_lo_u32 v7, v1, s24
	;; [unrolled: 1-line block ×3, first 2 shown]
	v_add3_u32 v6, v3, v6, v5
	v_add3_u32 v8, v4, v8, v7
	;; [unrolled: 1-line block ×3, first 2 shown]
	s_cbranch_scc1 .LBB167_1561
; %bb.1562:
	s_bitcmp1_b32 s8, 0
	s_cselect_b64 s[8:9], -1, 0
	s_and_b64 vcc, exec, s[8:9]
	s_cbranch_vccnz .LBB167_1566
; %bb.1563:
	s_load_dwordx2 s[8:9], s[6:7], 0x1c
	s_load_dword s16, s[6:7], 0x24
	s_load_dwordx2 s[10:11], s[6:7], 0xdc
	s_waitcnt lgkmcnt(0)
	v_mul_hi_u32 v1, s9, v0
	v_add_u32_e32 v1, v0, v1
	v_lshrrev_b32_e32 v1, s16, v1
	v_mul_lo_u32 v1, v1, s8
	s_load_dword s8, s[6:7], 0xe4
	v_sub_u32_e32 v0, v0, v1
	v_mad_u64_u32 v[6:7], s[6:7], v0, s10, v[6:7]
	v_mad_u64_u32 v[8:9], s[6:7], v0, s11, v[8:9]
	s_waitcnt lgkmcnt(0)
	v_mad_u64_u32 v[13:14], s[6:7], v0, s8, v[13:14]
	s_cbranch_execz .LBB167_1567
	s_branch .LBB167_1569
.LBB167_1564:
                                        ; implicit-def: $vgpr6
                                        ; implicit-def: $vgpr8
                                        ; implicit-def: $vgpr13
	s_branch .LBB167_1567
.LBB167_1565:
	s_waitcnt vmcnt(0)
	v_mov_b32_e32 v6, 0
	v_mov_b32_e32 v8, 0
	;; [unrolled: 1-line block ×3, first 2 shown]
.LBB167_1566:
	s_cbranch_execnz .LBB167_1569
.LBB167_1567:
	s_load_dwordx4 s[8:11], s[2:3], 0x4
	s_load_dwordx4 s[16:19], s[2:3], 0xc4
	s_cmp_lt_u32 s33, 2
	s_waitcnt lgkmcnt(0)
	v_mul_hi_u32 v0, s9, v10
	v_add_u32_e32 v0, v10, v0
	v_lshrrev_b32_e32 v0, s10, v0
	s_waitcnt vmcnt(0)
	v_mul_lo_u32 v1, v0, s8
	v_sub_u32_e32 v1, v10, v1
	v_mul_lo_u32 v6, v1, s16
	v_mul_lo_u32 v8, v1, s17
	;; [unrolled: 1-line block ×3, first 2 shown]
	s_cbranch_scc1 .LBB167_1569
; %bb.1568:
	s_load_dwordx4 s[8:11], s[2:3], 0x10
	s_load_dwordx4 s[16:19], s[2:3], 0xd0
	s_waitcnt lgkmcnt(0)
	v_mul_hi_u32 v1, s9, v0
	v_add_u32_e32 v1, v0, v1
	v_lshrrev_b32_e32 v1, s10, v1
	v_mul_lo_u32 v1, v1, s8
	v_sub_u32_e32 v0, v0, v1
	v_mad_u64_u32 v[6:7], s[6:7], v0, s16, v[6:7]
	v_mad_u64_u32 v[8:9], s[6:7], v0, s17, v[8:9]
	;; [unrolled: 1-line block ×3, first 2 shown]
.LBB167_1569:
	s_and_b64 vcc, exec, s[0:1]
	v_add_u32_e32 v0, 0x80, v10
	s_cbranch_vccnz .LBB167_1575
; %bb.1570:
	s_cmp_lg_u32 s33, 0
	s_cbranch_scc0 .LBB167_1576
; %bb.1571:
	s_min_u32 s8, s68, 15
	s_add_i32 s6, s8, 1
	s_and_b32 s9, s6, 30
	s_add_u32 s6, s2, 0xffffffe8
	s_addc_u32 s7, s3, -1
	v_mov_b32_e32 v18, 0
	v_mov_b32_e32 v11, 0
	s_waitcnt vmcnt(0)
	v_mov_b32_e32 v4, 0
	v_mov_b32_e32 v1, v0
.LBB167_1572:                           ; =>This Inner Loop Header: Depth=1
	s_load_dwordx4 s[16:19], s[6:7], 0x1c
	s_load_dwordx2 s[10:11], s[6:7], 0x2c
	s_load_dwordx2 s[24:25], s[6:7], 0xec
	s_load_dwordx4 s[20:23], s[6:7], 0xdc
	s_add_u32 s6, s6, 24
	s_waitcnt lgkmcnt(0)
	v_mul_hi_u32 v2, s17, v1
	s_addc_u32 s7, s7, 0
	s_add_i32 s9, s9, -2
	s_cmp_lg_u32 s9, 0
	v_add_u32_e32 v2, v1, v2
	v_lshrrev_b32_e32 v2, s18, v2
	v_mul_lo_u32 v3, v2, s16
	v_mul_hi_u32 v5, s10, v2
	v_sub_u32_e32 v3, v1, v3
	v_add_u32_e32 v1, v2, v5
	v_lshrrev_b32_e32 v1, s11, v1
	v_mul_lo_u32 v9, v1, s19
	v_mul_lo_u32 v5, v3, s20
	;; [unrolled: 1-line block ×4, first 2 shown]
	v_sub_u32_e32 v2, v2, v9
	v_mul_lo_u32 v9, v2, s23
	v_mul_lo_u32 v12, v2, s24
	;; [unrolled: 1-line block ×3, first 2 shown]
	v_add3_u32 v4, v5, v4, v9
	v_add3_u32 v11, v7, v11, v12
	;; [unrolled: 1-line block ×3, first 2 shown]
	s_cbranch_scc1 .LBB167_1572
; %bb.1573:
	s_bitcmp1_b32 s8, 0
	s_cselect_b64 s[8:9], -1, 0
	s_and_b64 vcc, exec, s[8:9]
	s_cbranch_vccnz .LBB167_1577
; %bb.1574:
	s_load_dwordx2 s[8:9], s[6:7], 0x1c
	s_load_dword s16, s[6:7], 0x24
	s_load_dwordx2 s[10:11], s[6:7], 0xdc
	s_waitcnt lgkmcnt(0)
	v_mul_hi_u32 v2, s9, v1
	v_add_u32_e32 v2, v1, v2
	v_lshrrev_b32_e32 v2, s16, v2
	v_mul_lo_u32 v2, v2, s8
	s_load_dword s8, s[6:7], 0xe4
	v_sub_u32_e32 v1, v1, v2
	v_mad_u64_u32 v[4:5], s[6:7], v1, s10, v[4:5]
	v_mad_u64_u32 v[11:12], s[6:7], v1, s11, v[11:12]
	s_waitcnt lgkmcnt(0)
	v_mad_u64_u32 v[18:19], s[6:7], v1, s8, v[18:19]
	s_cbranch_execz .LBB167_1578
	s_branch .LBB167_1580
.LBB167_1575:
                                        ; implicit-def: $vgpr4
                                        ; implicit-def: $vgpr11
                                        ; implicit-def: $vgpr18
	s_branch .LBB167_1578
.LBB167_1576:
	s_waitcnt vmcnt(0)
	v_mov_b32_e32 v4, 0
	v_mov_b32_e32 v11, 0
	;; [unrolled: 1-line block ×3, first 2 shown]
.LBB167_1577:
	s_cbranch_execnz .LBB167_1580
.LBB167_1578:
	s_load_dwordx4 s[8:11], s[2:3], 0x4
	s_load_dwordx4 s[16:19], s[2:3], 0xc4
	s_cmp_lt_u32 s33, 2
	s_waitcnt vmcnt(0) lgkmcnt(0)
	v_mul_hi_u32 v1, s9, v0
	v_add_u32_e32 v1, v0, v1
	v_lshrrev_b32_e32 v1, s10, v1
	v_mul_lo_u32 v2, v1, s8
	v_sub_u32_e32 v0, v0, v2
	v_mul_lo_u32 v4, v0, s16
	v_mul_lo_u32 v11, v0, s17
	;; [unrolled: 1-line block ×3, first 2 shown]
	s_cbranch_scc1 .LBB167_1580
; %bb.1579:
	s_load_dwordx4 s[8:11], s[2:3], 0x10
	s_load_dwordx4 s[16:19], s[2:3], 0xd0
	s_waitcnt lgkmcnt(0)
	v_mul_hi_u32 v0, s9, v1
	v_add_u32_e32 v0, v1, v0
	v_lshrrev_b32_e32 v0, s10, v0
	v_mul_lo_u32 v0, v0, s8
	v_sub_u32_e32 v0, v1, v0
	v_mad_u64_u32 v[4:5], s[6:7], v0, s16, v[4:5]
	v_mad_u64_u32 v[11:12], s[6:7], v0, s17, v[11:12]
	;; [unrolled: 1-line block ×3, first 2 shown]
.LBB167_1580:
	s_and_b64 vcc, exec, s[0:1]
	v_add_u32_e32 v0, 0x100, v10
	s_cbranch_vccnz .LBB167_1586
; %bb.1581:
	s_cmp_lg_u32 s33, 0
	s_cbranch_scc0 .LBB167_1587
; %bb.1582:
	s_min_u32 s8, s68, 15
	s_add_i32 s6, s8, 1
	s_and_b32 s9, s6, 30
	s_add_u32 s6, s2, 0xffffffe8
	s_addc_u32 s7, s3, -1
	v_mov_b32_e32 v19, 0
	v_mov_b32_e32 v16, 0
	s_waitcnt vmcnt(0)
	v_mov_b32_e32 v2, 0
	v_mov_b32_e32 v1, v0
.LBB167_1583:                           ; =>This Inner Loop Header: Depth=1
	s_load_dwordx4 s[16:19], s[6:7], 0x1c
	s_load_dwordx2 s[10:11], s[6:7], 0x2c
	s_load_dwordx2 s[24:25], s[6:7], 0xec
	s_load_dwordx4 s[20:23], s[6:7], 0xdc
	s_add_u32 s6, s6, 24
	s_waitcnt lgkmcnt(0)
	v_mul_hi_u32 v3, s17, v1
	s_addc_u32 s7, s7, 0
	s_add_i32 s9, s9, -2
	s_cmp_lg_u32 s9, 0
	v_add_u32_e32 v3, v1, v3
	v_lshrrev_b32_e32 v3, s18, v3
	v_mul_lo_u32 v5, v3, s16
	v_mul_hi_u32 v7, s10, v3
	v_sub_u32_e32 v5, v1, v5
	v_add_u32_e32 v1, v3, v7
	v_lshrrev_b32_e32 v1, s11, v1
	v_mul_lo_u32 v10, v1, s19
	v_mul_lo_u32 v7, v5, s20
	;; [unrolled: 1-line block ×4, first 2 shown]
	v_sub_u32_e32 v3, v3, v10
	v_mul_lo_u32 v10, v3, s23
	v_mul_lo_u32 v12, v3, s24
	;; [unrolled: 1-line block ×3, first 2 shown]
	v_add3_u32 v2, v7, v2, v10
	v_add3_u32 v16, v9, v16, v12
	;; [unrolled: 1-line block ×3, first 2 shown]
	s_cbranch_scc1 .LBB167_1583
; %bb.1584:
	s_bitcmp1_b32 s8, 0
	s_cselect_b64 s[8:9], -1, 0
	s_and_b64 vcc, exec, s[8:9]
	s_cbranch_vccnz .LBB167_1588
; %bb.1585:
	s_load_dwordx2 s[8:9], s[6:7], 0x1c
	s_load_dword s16, s[6:7], 0x24
	s_load_dwordx2 s[10:11], s[6:7], 0xdc
	s_waitcnt lgkmcnt(0)
	v_mul_hi_u32 v3, s9, v1
	v_add_u32_e32 v3, v1, v3
	v_lshrrev_b32_e32 v3, s16, v3
	v_mul_lo_u32 v3, v3, s8
	s_load_dword s8, s[6:7], 0xe4
	v_sub_u32_e32 v1, v1, v3
	v_mad_u64_u32 v[2:3], s[6:7], v1, s10, v[2:3]
	v_mad_u64_u32 v[16:17], s[6:7], v1, s11, v[16:17]
	s_waitcnt lgkmcnt(0)
	v_mad_u64_u32 v[19:20], s[6:7], v1, s8, v[19:20]
	s_cbranch_execz .LBB167_1589
	s_branch .LBB167_1591
.LBB167_1586:
                                        ; implicit-def: $vgpr2
                                        ; implicit-def: $vgpr16
                                        ; implicit-def: $vgpr19
	s_branch .LBB167_1589
.LBB167_1587:
	s_waitcnt vmcnt(0)
	v_mov_b32_e32 v2, 0
	v_mov_b32_e32 v16, 0
	;; [unrolled: 1-line block ×3, first 2 shown]
.LBB167_1588:
	s_cbranch_execnz .LBB167_1591
.LBB167_1589:
	s_load_dwordx4 s[8:11], s[2:3], 0x4
	s_load_dwordx4 s[16:19], s[2:3], 0xc4
	s_cmp_lt_u32 s33, 2
	s_waitcnt vmcnt(0) lgkmcnt(0)
	v_mul_hi_u32 v1, s9, v0
	v_add_u32_e32 v1, v0, v1
	v_lshrrev_b32_e32 v1, s10, v1
	v_mul_lo_u32 v2, v1, s8
	v_sub_u32_e32 v0, v0, v2
	v_mul_lo_u32 v2, v0, s16
	v_mul_lo_u32 v16, v0, s17
	;; [unrolled: 1-line block ×3, first 2 shown]
	s_cbranch_scc1 .LBB167_1591
; %bb.1590:
	s_load_dwordx4 s[8:11], s[2:3], 0x10
	s_load_dwordx4 s[16:19], s[2:3], 0xd0
	s_waitcnt lgkmcnt(0)
	v_mul_hi_u32 v0, s9, v1
	v_add_u32_e32 v0, v1, v0
	v_lshrrev_b32_e32 v0, s10, v0
	v_mul_lo_u32 v0, v0, s8
	v_sub_u32_e32 v0, v1, v0
	v_mad_u64_u32 v[2:3], s[6:7], v0, s16, v[2:3]
	v_mad_u64_u32 v[16:17], s[6:7], v0, s17, v[16:17]
	;; [unrolled: 1-line block ×3, first 2 shown]
.LBB167_1591:
	s_and_b64 vcc, exec, s[0:1]
	s_cbranch_vccnz .LBB167_1597
; %bb.1592:
	s_cmp_lg_u32 s33, 0
	s_cbranch_scc0 .LBB167_1598
; %bb.1593:
	s_min_u32 s6, s68, 15
	s_add_i32 s0, s6, 1
	s_and_b32 s7, s0, 30
	s_add_u32 s0, s2, 0xffffffe8
	s_addc_u32 s1, s3, -1
	v_mov_b32_e32 v9, 0
	v_mov_b32_e32 v14, 0
	;; [unrolled: 1-line block ×3, first 2 shown]
	s_waitcnt vmcnt(0)
	v_mov_b32_e32 v1, v21
.LBB167_1594:                           ; =>This Inner Loop Header: Depth=1
	s_load_dwordx4 s[8:11], s[0:1], 0x1c
	s_load_dwordx2 s[20:21], s[0:1], 0x2c
	s_load_dwordx2 s[22:23], s[0:1], 0xec
	s_load_dwordx4 s[16:19], s[0:1], 0xdc
	s_add_u32 s0, s0, 24
	s_waitcnt lgkmcnt(0)
	v_mul_hi_u32 v3, s9, v1
	s_addc_u32 s1, s1, 0
	s_add_i32 s7, s7, -2
	s_cmp_lg_u32 s7, 0
	v_add_u32_e32 v3, v1, v3
	v_lshrrev_b32_e32 v3, s10, v3
	v_mul_lo_u32 v5, v3, s8
	v_mul_hi_u32 v7, s20, v3
	v_sub_u32_e32 v5, v1, v5
	v_add_u32_e32 v1, v3, v7
	v_lshrrev_b32_e32 v1, s21, v1
	v_mul_lo_u32 v12, v1, s11
	v_mul_lo_u32 v7, v5, s16
	;; [unrolled: 1-line block ×4, first 2 shown]
	v_sub_u32_e32 v3, v3, v12
	v_mul_lo_u32 v12, v3, s19
	v_mul_lo_u32 v15, v3, s22
	;; [unrolled: 1-line block ×3, first 2 shown]
	v_add3_u32 v0, v7, v0, v12
	v_add3_u32 v14, v10, v14, v15
	;; [unrolled: 1-line block ×3, first 2 shown]
	s_cbranch_scc1 .LBB167_1594
; %bb.1595:
	s_bitcmp1_b32 s6, 0
	s_cselect_b64 s[6:7], -1, 0
	s_and_b64 vcc, exec, s[6:7]
	s_cbranch_vccnz .LBB167_1599
; %bb.1596:
	s_load_dwordx2 s[6:7], s[0:1], 0x1c
	s_load_dword s10, s[0:1], 0x24
	s_load_dwordx2 s[8:9], s[0:1], 0xdc
	s_waitcnt lgkmcnt(0)
	v_mul_hi_u32 v3, s7, v1
	v_add_u32_e32 v3, v1, v3
	v_lshrrev_b32_e32 v3, s10, v3
	v_mul_lo_u32 v3, v3, s6
	s_load_dword s6, s[0:1], 0xe4
	v_sub_u32_e32 v3, v1, v3
	v_mad_u64_u32 v[0:1], s[0:1], v3, s8, v[0:1]
	v_mad_u64_u32 v[14:15], s[0:1], v3, s9, v[14:15]
	s_waitcnt lgkmcnt(0)
	v_mad_u64_u32 v[9:10], s[0:1], v3, s6, v[9:10]
	s_cbranch_execz .LBB167_1600
	s_branch .LBB167_1602
.LBB167_1597:
                                        ; implicit-def: $vgpr0
                                        ; implicit-def: $vgpr14
                                        ; implicit-def: $vgpr9
	s_branch .LBB167_1600
.LBB167_1598:
	v_mov_b32_e32 v0, 0
	v_mov_b32_e32 v14, 0
	;; [unrolled: 1-line block ×3, first 2 shown]
.LBB167_1599:
	s_cbranch_execnz .LBB167_1602
.LBB167_1600:
	s_load_dwordx4 s[8:11], s[2:3], 0x4
	s_load_dwordx4 s[16:19], s[2:3], 0xc4
	s_cmp_lt_u32 s33, 2
	s_waitcnt lgkmcnt(0)
	v_mul_hi_u32 v0, s9, v21
	v_add_u32_e32 v0, v21, v0
	s_waitcnt vmcnt(0)
	v_lshrrev_b32_e32 v1, s10, v0
	v_mul_lo_u32 v0, v1, s8
	v_sub_u32_e32 v3, v21, v0
	v_mul_lo_u32 v0, v3, s16
	v_mul_lo_u32 v14, v3, s17
	v_mul_lo_u32 v9, v3, s18
	s_cbranch_scc1 .LBB167_1602
; %bb.1601:
	s_load_dwordx4 s[8:11], s[2:3], 0x10
	s_load_dwordx4 s[16:19], s[2:3], 0xd0
	s_waitcnt lgkmcnt(0)
	v_mul_hi_u32 v3, s9, v1
	v_add_u32_e32 v3, v1, v3
	v_lshrrev_b32_e32 v3, s10, v3
	v_mul_lo_u32 v3, v3, s8
	v_sub_u32_e32 v3, v1, v3
	v_mad_u64_u32 v[0:1], s[0:1], v3, s16, v[0:1]
	v_mad_u64_u32 v[14:15], s[0:1], v3, s17, v[14:15]
	;; [unrolled: 1-line block ×3, first 2 shown]
.LBB167_1602:
	s_load_dwordx4 s[8:11], s[2:3], 0x188
	s_load_dword s20, s[4:5], 0x1a8
	s_waitcnt vmcnt(0) lgkmcnt(0)
	v_mov_b32_e32 v1, s11
	s_bfe_u32 s18, s20, 0x80010
	v_add_co_u32_e32 v20, vcc, s10, v8
	s_cmp_lt_i32 s18, 11
	v_addc_co_u32_e32 v21, vcc, 0, v1, vcc
	s_cbranch_scc1 .LBB167_1609
; %bb.1603:
	s_and_b32 s19, 0xffff, s18
	s_cmp_gt_i32 s19, 25
	s_mov_b64 s[6:7], 0
	s_cbranch_scc0 .LBB167_1611
; %bb.1604:
	s_cmp_gt_i32 s19, 28
	s_cbranch_scc0 .LBB167_1612
; %bb.1605:
	s_cmp_gt_i32 s19, 43
	;; [unrolled: 3-line block ×3, first 2 shown]
	s_cbranch_scc0 .LBB167_1614
; %bb.1607:
	s_cmp_eq_u32 s19, 46
	s_mov_b64 s[4:5], 0
	s_cbranch_scc0 .LBB167_1617
; %bb.1608:
	global_load_dword v1, v[20:21], off
	s_mov_b64 s[0:1], 0
	s_mov_b64 s[16:17], -1
	s_waitcnt vmcnt(0)
	v_lshlrev_b32_e32 v1, 16, v1
	v_cvt_i32_f32_e32 v7, v1
	s_branch .LBB167_1618
.LBB167_1609:
	s_mov_b64 s[16:17], 0
                                        ; implicit-def: $vgpr7
	s_mov_b64 s[4:5], s[12:13]
	s_cbranch_execnz .LBB167_1676
.LBB167_1610:
	s_andn2_b64 vcc, exec, s[16:17]
	s_cbranch_vccz .LBB167_1721
	s_branch .LBB167_3036
.LBB167_1611:
	s_mov_b64 s[16:17], 0
	s_mov_b64 s[0:1], 0
                                        ; implicit-def: $vgpr7
	s_cbranch_execnz .LBB167_1643
	s_branch .LBB167_1672
.LBB167_1612:
	s_mov_b64 s[16:17], 0
	s_mov_b64 s[0:1], 0
                                        ; implicit-def: $vgpr7
	s_cbranch_execz .LBB167_1642
	s_branch .LBB167_1627
.LBB167_1613:
	s_mov_b64 s[16:17], 0
	s_mov_b64 s[0:1], 0
                                        ; implicit-def: $vgpr7
	s_cbranch_execnz .LBB167_1623
	s_branch .LBB167_1626
.LBB167_1614:
	s_mov_b64 s[4:5], -1
	s_mov_b64 s[16:17], 0
	s_mov_b64 s[0:1], 0
                                        ; implicit-def: $vgpr7
	s_branch .LBB167_1618
.LBB167_1615:
	s_andn2_saveexec_b64 s[16:17], s[16:17]
	s_cbranch_execz .LBB167_1470
.LBB167_1616:
	s_mov_b32 s18, 0x46000000
	v_add_f32_e64 v1, |v0|, s18
	v_and_b32_e32 v1, 0xff, v1
	v_cmp_ne_u32_e32 vcc, 0, v1
	s_andn2_b64 s[14:15], s[14:15], exec
	s_and_b64 s[18:19], vcc, exec
	s_or_b64 s[14:15], s[14:15], s[18:19]
	s_or_b64 exec, exec, s[16:17]
	v_mov_b32_e32 v5, 0
	s_and_saveexec_b64 s[16:17], s[14:15]
	s_cbranch_execnz .LBB167_1471
	s_branch .LBB167_1472
.LBB167_1617:
	s_mov_b64 s[0:1], -1
                                        ; implicit-def: $vgpr7
	s_mov_b64 s[16:17], 0
.LBB167_1618:
	s_and_b64 vcc, exec, s[4:5]
	s_cbranch_vccz .LBB167_1621
; %bb.1619:
	s_cmp_eq_u32 s19, 44
	s_cbranch_scc0 .LBB167_1622
; %bb.1620:
	global_load_ubyte v1, v[20:21], off
	s_mov_b64 s[0:1], 0
	s_mov_b64 s[16:17], -1
	s_waitcnt vmcnt(0)
	v_lshlrev_b32_e32 v3, 23, v1
	v_cvt_i32_f32_e32 v3, v3
	v_cmp_ne_u32_e32 vcc, 0, v1
	v_cndmask_b32_e32 v7, 0, v3, vcc
.LBB167_1621:
	s_branch .LBB167_1626
.LBB167_1622:
	s_mov_b64 s[0:1], -1
                                        ; implicit-def: $vgpr7
	s_branch .LBB167_1626
.LBB167_1623:
	s_cmp_eq_u32 s19, 29
	s_cbranch_scc0 .LBB167_1625
; %bb.1624:
	global_load_dwordx2 v[7:8], v[20:21], off
	s_mov_b64 s[0:1], 0
	s_mov_b64 s[16:17], -1
	s_branch .LBB167_1626
.LBB167_1625:
	s_mov_b64 s[0:1], -1
                                        ; implicit-def: $vgpr7
.LBB167_1626:
	s_branch .LBB167_1642
.LBB167_1627:
	s_cmp_lt_i32 s19, 27
	s_cbranch_scc1 .LBB167_1630
; %bb.1628:
	s_cmp_gt_i32 s19, 27
	s_cbranch_scc0 .LBB167_1631
; %bb.1629:
	global_load_dword v7, v[20:21], off
	s_mov_b64 s[4:5], 0
	s_branch .LBB167_1632
.LBB167_1630:
	s_mov_b64 s[4:5], -1
                                        ; implicit-def: $vgpr7
	s_branch .LBB167_1635
.LBB167_1631:
	s_mov_b64 s[4:5], -1
                                        ; implicit-def: $vgpr7
.LBB167_1632:
	s_andn2_b64 vcc, exec, s[4:5]
	s_cbranch_vccnz .LBB167_1634
; %bb.1633:
	global_load_ushort v7, v[20:21], off
.LBB167_1634:
	s_mov_b64 s[4:5], 0
.LBB167_1635:
	s_andn2_b64 vcc, exec, s[4:5]
	s_cbranch_vccnz .LBB167_1641
; %bb.1636:
	global_load_ubyte v1, v[20:21], off
	s_movk_i32 s4, 0x7f
	s_mov_b64 s[16:17], 0
	s_waitcnt vmcnt(0)
	v_cmp_lt_i16_e32 vcc, s4, v1
	s_and_saveexec_b64 s[4:5], vcc
	s_xor_b64 s[4:5], exec, s[4:5]
	s_cbranch_execz .LBB167_1652
; %bb.1637:
	s_movk_i32 s16, 0x80
	v_cmp_ne_u16_e32 vcc, s16, v1
	s_and_b64 s[16:17], vcc, exec
	s_andn2_saveexec_b64 s[4:5], s[4:5]
	s_cbranch_execnz .LBB167_1653
.LBB167_1638:
	s_or_b64 exec, exec, s[4:5]
	v_mov_b32_e32 v7, 0
	s_and_saveexec_b64 s[4:5], s[16:17]
	s_cbranch_execz .LBB167_1640
.LBB167_1639:
	v_lshlrev_b32_e32 v3, 24, v1
	v_and_b32_e32 v1, 0xffff, v1
	v_and_b32_e32 v5, 7, v1
	v_ffbh_u32_e32 v8, v5
	v_min_u32_e32 v8, 32, v8
	v_subrev_u32_e32 v10, 28, v8
	v_bfe_u32 v7, v1, 3, 4
	v_lshlrev_b32_e32 v1, v10, v1
	v_sub_u32_e32 v8, 29, v8
	v_and_b32_e32 v1, 7, v1
	v_cmp_eq_u32_e32 vcc, 0, v7
	v_cndmask_b32_e32 v7, v7, v8, vcc
	v_cndmask_b32_e32 v1, v5, v1, vcc
	v_mov_b32_e32 v5, 0x3b800000
	v_lshlrev_b32_e32 v1, 20, v1
	v_and_b32_e32 v3, 0x80000000, v3
	v_lshl_add_u32 v5, v7, 23, v5
	v_or3_b32 v1, v3, v5, v1
	v_cvt_i32_f32_e32 v7, v1
.LBB167_1640:
	s_or_b64 exec, exec, s[4:5]
.LBB167_1641:
	s_mov_b64 s[16:17], -1
.LBB167_1642:
	s_branch .LBB167_1672
.LBB167_1643:
	s_cmp_gt_i32 s19, 22
	s_cbranch_scc0 .LBB167_1651
; %bb.1644:
	s_cmp_lt_i32 s19, 24
	s_cbranch_scc1 .LBB167_1654
; %bb.1645:
	s_cmp_gt_i32 s19, 24
	s_cbranch_scc0 .LBB167_1655
; %bb.1646:
	global_load_ubyte v1, v[20:21], off
	s_movk_i32 s4, 0x7f
	s_waitcnt vmcnt(0)
	v_cmp_lt_i16_e32 vcc, s4, v1
	s_and_saveexec_b64 s[4:5], vcc
	s_xor_b64 s[4:5], exec, s[4:5]
	s_cbranch_execz .LBB167_1666
; %bb.1647:
	s_movk_i32 s6, 0x80
	v_cmp_ne_u16_e32 vcc, s6, v1
	s_and_b64 s[6:7], vcc, exec
	s_andn2_saveexec_b64 s[4:5], s[4:5]
	s_cbranch_execnz .LBB167_1667
.LBB167_1648:
	s_or_b64 exec, exec, s[4:5]
	v_mov_b32_e32 v7, 0
	s_and_saveexec_b64 s[4:5], s[6:7]
	s_cbranch_execz .LBB167_1650
.LBB167_1649:
	v_lshlrev_b32_e32 v3, 24, v1
	v_and_b32_e32 v1, 0xffff, v1
	v_and_b32_e32 v5, 3, v1
	v_ffbh_u32_e32 v8, v5
	v_min_u32_e32 v8, 32, v8
	v_subrev_u32_e32 v10, 29, v8
	v_bfe_u32 v7, v1, 2, 5
	v_lshlrev_b32_e32 v1, v10, v1
	v_sub_u32_e32 v8, 30, v8
	v_and_b32_e32 v1, 3, v1
	v_cmp_eq_u32_e32 vcc, 0, v7
	v_cndmask_b32_e32 v7, v7, v8, vcc
	v_cndmask_b32_e32 v1, v5, v1, vcc
	v_mov_b32_e32 v5, 0x37800000
	v_lshlrev_b32_e32 v1, 21, v1
	v_and_b32_e32 v3, 0x80000000, v3
	v_lshl_add_u32 v5, v7, 23, v5
	v_or3_b32 v1, v3, v5, v1
	v_cvt_i32_f32_e32 v7, v1
.LBB167_1650:
	s_or_b64 exec, exec, s[4:5]
	s_mov_b64 s[4:5], 0
	s_branch .LBB167_1656
.LBB167_1651:
                                        ; implicit-def: $vgpr7
	s_mov_b64 s[6:7], 0
	s_branch .LBB167_1662
.LBB167_1652:
	s_andn2_saveexec_b64 s[4:5], s[4:5]
	s_cbranch_execz .LBB167_1638
.LBB167_1653:
	v_cmp_ne_u16_e32 vcc, 0, v1
	s_andn2_b64 s[16:17], s[16:17], exec
	s_and_b64 s[22:23], vcc, exec
	s_or_b64 s[16:17], s[16:17], s[22:23]
	s_or_b64 exec, exec, s[4:5]
	v_mov_b32_e32 v7, 0
	s_and_saveexec_b64 s[4:5], s[16:17]
	s_cbranch_execnz .LBB167_1639
	s_branch .LBB167_1640
.LBB167_1654:
	s_mov_b64 s[4:5], -1
                                        ; implicit-def: $vgpr7
	s_branch .LBB167_1659
.LBB167_1655:
	s_mov_b64 s[4:5], -1
                                        ; implicit-def: $vgpr7
.LBB167_1656:
	s_and_b64 vcc, exec, s[4:5]
	s_cbranch_vccz .LBB167_1658
; %bb.1657:
	global_load_ubyte v1, v[20:21], off
	s_mov_b32 s4, 0x7f800000
	s_waitcnt vmcnt(0)
	v_lshlrev_b32_e32 v1, 24, v1
	v_and_b32_e32 v3, 0x7f000000, v1
	v_ffbh_u32_e32 v5, v3
	v_min_u32_e32 v5, 32, v5
	v_sub_u32_e64 v5, v5, 4 clamp
	v_lshlrev_b32_e32 v8, v5, v3
	v_lshlrev_b32_e32 v5, 23, v5
	v_lshrrev_b32_e32 v8, 4, v8
	v_add_u32_e32 v7, 0x1000000, v3
	v_sub_u32_e32 v5, v8, v5
	v_ashrrev_i32_e32 v7, 8, v7
	v_add_u32_e32 v5, 0x3c000000, v5
	v_and_or_b32 v5, v7, s4, v5
	v_cmp_ne_u32_e32 vcc, 0, v3
	v_cndmask_b32_e32 v3, 0, v5, vcc
	s_brev_b32 s4, 1
	v_and_or_b32 v1, v1, s4, v3
	v_cvt_i32_f32_e32 v7, v1
.LBB167_1658:
	s_mov_b64 s[4:5], 0
.LBB167_1659:
	s_andn2_b64 vcc, exec, s[4:5]
	s_cbranch_vccnz .LBB167_1661
; %bb.1660:
	global_load_ubyte v1, v[20:21], off
	s_movk_i32 s4, 0x7f00
	s_brev_b32 s5, 16
	s_waitcnt vmcnt(0)
	v_lshlrev_b16_e32 v3, 8, v1
	v_lshlrev_b32_e32 v1, 25, v1
	v_lshrrev_b32_e32 v5, 4, v1
	v_and_or_b32 v7, v3, s4, 0.5
	v_or_b32_e32 v5, 0x70000000, v5
	v_add_f32_e32 v7, -0.5, v7
	v_mul_f32_e32 v5, 0x7800000, v5
	v_cmp_gt_u32_e32 vcc, s5, v1
	v_bfe_i32 v3, v3, 0, 16
	v_cndmask_b32_e32 v1, v5, v7, vcc
	s_brev_b32 s4, 1
	v_and_or_b32 v1, v3, s4, v1
	v_cvt_i32_f32_e32 v7, v1
.LBB167_1661:
	s_mov_b64 s[16:17], -1
	s_mov_b64 s[6:7], 0
	s_cbranch_execnz .LBB167_1672
.LBB167_1662:
	s_cmp_gt_i32 s19, 14
	s_cbranch_scc0 .LBB167_1665
; %bb.1663:
	s_cmp_eq_u32 s19, 15
	s_cbranch_scc0 .LBB167_1668
; %bb.1664:
	global_load_ushort v1, v[20:21], off
	s_mov_b64 s[0:1], 0
	s_mov_b64 s[16:17], -1
	s_waitcnt vmcnt(0)
	v_lshlrev_b32_e32 v1, 16, v1
	v_cvt_i32_f32_e32 v7, v1
	s_branch .LBB167_1669
.LBB167_1665:
	s_mov_b64 s[4:5], -1
                                        ; implicit-def: $vgpr7
	s_branch .LBB167_1670
.LBB167_1666:
	s_andn2_saveexec_b64 s[4:5], s[4:5]
	s_cbranch_execz .LBB167_1648
.LBB167_1667:
	v_cmp_ne_u16_e32 vcc, 0, v1
	s_andn2_b64 s[6:7], s[6:7], exec
	s_and_b64 s[16:17], vcc, exec
	s_or_b64 s[6:7], s[6:7], s[16:17]
	s_or_b64 exec, exec, s[4:5]
	v_mov_b32_e32 v7, 0
	s_and_saveexec_b64 s[4:5], s[6:7]
	s_cbranch_execnz .LBB167_1649
	s_branch .LBB167_1650
.LBB167_1668:
	s_mov_b64 s[0:1], -1
                                        ; implicit-def: $vgpr7
.LBB167_1669:
	s_mov_b64 s[4:5], 0
.LBB167_1670:
	s_and_b64 vcc, exec, s[4:5]
	s_cbranch_vccz .LBB167_1672
; %bb.1671:
	s_cmp_lg_u32 s19, 11
	s_mov_b64 s[6:7], -1
	s_cselect_b64 s[0:1], -1, 0
.LBB167_1672:
	s_and_b64 vcc, exec, s[0:1]
	s_mov_b64 s[4:5], s[12:13]
	s_cbranch_vccnz .LBB167_1733
; %bb.1673:
	s_andn2_b64 vcc, exec, s[6:7]
	s_cbranch_vccnz .LBB167_1675
.LBB167_1674:
	global_load_ubyte v1, v[20:21], off
	s_mov_b64 s[16:17], -1
	s_waitcnt vmcnt(0)
	v_cmp_ne_u16_e32 vcc, 0, v1
	v_cndmask_b32_e64 v7, 0, 1, vcc
.LBB167_1675:
	s_branch .LBB167_1610
.LBB167_1676:
	s_and_b32 s6, 0xffff, s18
	s_cmp_lt_i32 s6, 5
	s_cbranch_scc1 .LBB167_1681
; %bb.1677:
	s_cmp_lt_i32 s6, 8
	s_cbranch_scc1 .LBB167_1682
; %bb.1678:
	;; [unrolled: 3-line block ×3, first 2 shown]
	s_cmp_gt_i32 s6, 9
	s_cbranch_scc0 .LBB167_1684
; %bb.1680:
	global_load_dwordx2 v[7:8], v[20:21], off
	s_mov_b64 s[0:1], 0
	s_waitcnt vmcnt(0)
	v_cvt_i32_f64_e32 v7, v[7:8]
	s_branch .LBB167_1685
.LBB167_1681:
                                        ; implicit-def: $vgpr7
	s_branch .LBB167_1702
.LBB167_1682:
                                        ; implicit-def: $vgpr7
	s_branch .LBB167_1691
.LBB167_1683:
	s_mov_b64 s[0:1], -1
                                        ; implicit-def: $vgpr7
	s_branch .LBB167_1688
.LBB167_1684:
	s_mov_b64 s[0:1], -1
                                        ; implicit-def: $vgpr7
.LBB167_1685:
	s_andn2_b64 vcc, exec, s[0:1]
	s_cbranch_vccnz .LBB167_1687
; %bb.1686:
	global_load_dword v1, v[20:21], off
	s_waitcnt vmcnt(0)
	v_cvt_i32_f32_e32 v7, v1
.LBB167_1687:
	s_mov_b64 s[0:1], 0
.LBB167_1688:
	s_andn2_b64 vcc, exec, s[0:1]
	s_cbranch_vccnz .LBB167_1690
; %bb.1689:
	global_load_dword v1, v[20:21], off
	s_waitcnt vmcnt(0)
	v_cvt_i16_f16_e32 v7, v1
.LBB167_1690:
	s_cbranch_execnz .LBB167_1701
.LBB167_1691:
	s_cmp_lt_i32 s6, 6
	s_cbranch_scc1 .LBB167_1694
; %bb.1692:
	s_cmp_gt_i32 s6, 6
	s_cbranch_scc0 .LBB167_1695
; %bb.1693:
	global_load_dwordx2 v[7:8], v[20:21], off
	s_mov_b64 s[0:1], 0
	s_waitcnt vmcnt(0)
	v_cvt_i32_f64_e32 v7, v[7:8]
	s_branch .LBB167_1696
.LBB167_1694:
	s_mov_b64 s[0:1], -1
                                        ; implicit-def: $vgpr7
	s_branch .LBB167_1699
.LBB167_1695:
	s_mov_b64 s[0:1], -1
                                        ; implicit-def: $vgpr7
.LBB167_1696:
	s_andn2_b64 vcc, exec, s[0:1]
	s_cbranch_vccnz .LBB167_1698
; %bb.1697:
	global_load_dword v1, v[20:21], off
	s_waitcnt vmcnt(0)
	v_cvt_i32_f32_e32 v7, v1
.LBB167_1698:
	s_mov_b64 s[0:1], 0
.LBB167_1699:
	s_andn2_b64 vcc, exec, s[0:1]
	s_cbranch_vccnz .LBB167_1701
; %bb.1700:
	global_load_ushort v1, v[20:21], off
	s_waitcnt vmcnt(0)
	v_cvt_i16_f16_e32 v7, v1
.LBB167_1701:
	s_cbranch_execnz .LBB167_1720
.LBB167_1702:
	s_cmp_lt_i32 s6, 2
	s_cbranch_scc1 .LBB167_1706
; %bb.1703:
	s_cmp_lt_i32 s6, 3
	s_cbranch_scc1 .LBB167_1707
; %bb.1704:
	s_cmp_gt_i32 s6, 3
	s_cbranch_scc0 .LBB167_1708
; %bb.1705:
	global_load_dwordx2 v[7:8], v[20:21], off
	s_mov_b64 s[0:1], 0
	s_branch .LBB167_1709
.LBB167_1706:
                                        ; implicit-def: $vgpr7
	s_branch .LBB167_1715
.LBB167_1707:
	s_mov_b64 s[0:1], -1
                                        ; implicit-def: $vgpr7
	s_branch .LBB167_1712
.LBB167_1708:
	s_mov_b64 s[0:1], -1
                                        ; implicit-def: $vgpr7
.LBB167_1709:
	s_andn2_b64 vcc, exec, s[0:1]
	s_cbranch_vccnz .LBB167_1711
; %bb.1710:
	global_load_dword v7, v[20:21], off
.LBB167_1711:
	s_mov_b64 s[0:1], 0
.LBB167_1712:
	s_andn2_b64 vcc, exec, s[0:1]
	s_cbranch_vccnz .LBB167_1714
; %bb.1713:
	global_load_ushort v7, v[20:21], off
.LBB167_1714:
	s_cbranch_execnz .LBB167_1720
.LBB167_1715:
	s_cmp_gt_i32 s6, 0
	s_cbranch_scc0 .LBB167_1717
; %bb.1716:
	global_load_ubyte v7, v[20:21], off
	s_mov_b64 s[0:1], 0
	s_branch .LBB167_1718
.LBB167_1717:
	s_mov_b64 s[0:1], -1
                                        ; implicit-def: $vgpr7
.LBB167_1718:
	s_andn2_b64 vcc, exec, s[0:1]
	s_cbranch_vccnz .LBB167_1720
; %bb.1719:
	global_load_ubyte v7, v[20:21], off
.LBB167_1720:
.LBB167_1721:
	s_load_dwordx2 s[0:1], s[2:3], 0x198
	s_lshr_b32 s21, s20, 24
	s_cmp_lt_i32 s21, 11
	s_waitcnt lgkmcnt(0)
	v_mov_b32_e32 v1, s1
	v_add_co_u32_e32 v20, vcc, s0, v13
	v_addc_co_u32_e32 v21, vcc, 0, v1, vcc
	s_cbranch_scc1 .LBB167_1728
; %bb.1722:
	s_and_b32 s22, 0xffff, s21
	s_cmp_gt_i32 s22, 25
	s_mov_b64 s[6:7], 0
	s_cbranch_scc0 .LBB167_1730
; %bb.1723:
	s_cmp_gt_i32 s22, 28
	s_cbranch_scc0 .LBB167_1731
; %bb.1724:
	s_cmp_gt_i32 s22, 43
	;; [unrolled: 3-line block ×3, first 2 shown]
	s_cbranch_scc0 .LBB167_1734
; %bb.1726:
	s_cmp_eq_u32 s22, 46
	s_mov_b64 s[18:19], 0
	s_cbranch_scc0 .LBB167_1737
; %bb.1727:
	global_load_dword v1, v[20:21], off
	s_mov_b64 s[2:3], 0
	s_mov_b64 s[16:17], -1
	s_waitcnt vmcnt(0)
	v_lshlrev_b32_e32 v1, 16, v1
	v_cvt_i32_f32_e32 v12, v1
	s_branch .LBB167_1738
.LBB167_1728:
	s_mov_b64 s[16:17], 0
                                        ; implicit-def: $vgpr12
	s_cbranch_execnz .LBB167_1799
.LBB167_1729:
	s_andn2_b64 vcc, exec, s[16:17]
	s_cbranch_vccnz .LBB167_3036
	s_branch .LBB167_1846
.LBB167_1730:
	s_mov_b64 s[16:17], 0
	s_mov_b64 s[2:3], 0
                                        ; implicit-def: $vgpr12
	s_cbranch_execnz .LBB167_1765
	s_branch .LBB167_1795
.LBB167_1731:
	s_mov_b64 s[18:19], -1
	s_mov_b64 s[16:17], 0
	s_mov_b64 s[2:3], 0
                                        ; implicit-def: $vgpr12
	s_branch .LBB167_1748
.LBB167_1732:
	s_mov_b64 s[18:19], -1
	s_mov_b64 s[16:17], 0
	s_mov_b64 s[2:3], 0
                                        ; implicit-def: $vgpr12
	s_branch .LBB167_1743
.LBB167_1733:
	s_or_b64 s[4:5], s[12:13], exec
	s_trap 2
	s_cbranch_execz .LBB167_1674
	s_branch .LBB167_1675
.LBB167_1734:
	s_mov_b64 s[18:19], -1
	s_mov_b64 s[16:17], 0
	s_mov_b64 s[2:3], 0
                                        ; implicit-def: $vgpr12
	s_branch .LBB167_1738
.LBB167_1735:
	s_andn2_saveexec_b64 s[18:19], s[18:19]
	s_cbranch_execz .LBB167_1482
.LBB167_1736:
	s_mov_b32 s26, 0x42800000
	v_add_f32_e64 v1, |v0|, s26
	v_and_b32_e32 v1, 0xff, v1
	v_cmp_ne_u32_e32 vcc, 0, v1
	s_andn2_b64 s[16:17], s[16:17], exec
	s_and_b64 s[26:27], vcc, exec
	s_or_b64 s[16:17], s[16:17], s[26:27]
	s_or_b64 exec, exec, s[18:19]
	v_mov_b32_e32 v5, 0
	s_and_saveexec_b64 s[18:19], s[16:17]
	s_cbranch_execnz .LBB167_1483
	s_branch .LBB167_1484
.LBB167_1737:
	s_mov_b64 s[2:3], -1
                                        ; implicit-def: $vgpr12
	s_mov_b64 s[16:17], 0
.LBB167_1738:
	s_and_b64 vcc, exec, s[18:19]
	s_cbranch_vccz .LBB167_1742
; %bb.1739:
	s_cmp_eq_u32 s22, 44
	s_cbranch_scc0 .LBB167_1741
; %bb.1740:
	global_load_ubyte v1, v[20:21], off
	s_mov_b64 s[2:3], 0
	s_mov_b64 s[16:17], -1
	s_waitcnt vmcnt(0)
	v_lshlrev_b32_e32 v3, 23, v1
	v_cvt_i32_f32_e32 v3, v3
	v_cmp_ne_u32_e32 vcc, 0, v1
	v_cndmask_b32_e32 v12, 0, v3, vcc
	s_branch .LBB167_1742
.LBB167_1741:
	s_mov_b64 s[2:3], -1
                                        ; implicit-def: $vgpr12
.LBB167_1742:
	s_mov_b64 s[18:19], 0
.LBB167_1743:
	s_and_b64 vcc, exec, s[18:19]
	s_cbranch_vccz .LBB167_1747
; %bb.1744:
	s_cmp_eq_u32 s22, 29
	s_cbranch_scc0 .LBB167_1746
; %bb.1745:
	global_load_dwordx2 v[12:13], v[20:21], off
	s_mov_b64 s[2:3], 0
	s_mov_b64 s[16:17], -1
	s_branch .LBB167_1747
.LBB167_1746:
	s_mov_b64 s[2:3], -1
                                        ; implicit-def: $vgpr12
.LBB167_1747:
	s_mov_b64 s[18:19], 0
.LBB167_1748:
	s_and_b64 vcc, exec, s[18:19]
	s_cbranch_vccz .LBB167_1764
; %bb.1749:
	s_cmp_lt_i32 s22, 27
	s_cbranch_scc1 .LBB167_1752
; %bb.1750:
	s_cmp_gt_i32 s22, 27
	s_cbranch_scc0 .LBB167_1753
; %bb.1751:
	global_load_dword v12, v[20:21], off
	s_mov_b64 s[16:17], 0
	s_branch .LBB167_1754
.LBB167_1752:
	s_mov_b64 s[16:17], -1
                                        ; implicit-def: $vgpr12
	s_branch .LBB167_1757
.LBB167_1753:
	s_mov_b64 s[16:17], -1
                                        ; implicit-def: $vgpr12
.LBB167_1754:
	s_andn2_b64 vcc, exec, s[16:17]
	s_cbranch_vccnz .LBB167_1756
; %bb.1755:
	global_load_ushort v12, v[20:21], off
.LBB167_1756:
	s_mov_b64 s[16:17], 0
.LBB167_1757:
	s_andn2_b64 vcc, exec, s[16:17]
	s_cbranch_vccnz .LBB167_1763
; %bb.1758:
	global_load_ubyte v1, v[20:21], off
	s_movk_i32 s16, 0x7f
	s_mov_b64 s[18:19], 0
	s_waitcnt vmcnt(0)
	v_cmp_lt_i16_e32 vcc, s16, v1
	s_and_saveexec_b64 s[16:17], vcc
	s_xor_b64 s[16:17], exec, s[16:17]
	s_cbranch_execz .LBB167_1774
; %bb.1759:
	s_movk_i32 s18, 0x80
	v_cmp_ne_u16_e32 vcc, s18, v1
	s_and_b64 s[18:19], vcc, exec
	s_andn2_saveexec_b64 s[16:17], s[16:17]
	s_cbranch_execnz .LBB167_1775
.LBB167_1760:
	s_or_b64 exec, exec, s[16:17]
	v_mov_b32_e32 v12, 0
	s_and_saveexec_b64 s[16:17], s[18:19]
	s_cbranch_execz .LBB167_1762
.LBB167_1761:
	v_lshlrev_b32_e32 v3, 24, v1
	v_and_b32_e32 v1, 0xffff, v1
	v_and_b32_e32 v5, 7, v1
	v_ffbh_u32_e32 v10, v5
	v_min_u32_e32 v10, 32, v10
	v_subrev_u32_e32 v12, 28, v10
	v_bfe_u32 v8, v1, 3, 4
	v_lshlrev_b32_e32 v1, v12, v1
	v_sub_u32_e32 v10, 29, v10
	v_and_b32_e32 v1, 7, v1
	v_cmp_eq_u32_e32 vcc, 0, v8
	v_cndmask_b32_e32 v8, v8, v10, vcc
	v_cndmask_b32_e32 v1, v5, v1, vcc
	v_mov_b32_e32 v5, 0x3b800000
	v_lshlrev_b32_e32 v1, 20, v1
	v_and_b32_e32 v3, 0x80000000, v3
	v_lshl_add_u32 v5, v8, 23, v5
	v_or3_b32 v1, v3, v5, v1
	v_cvt_i32_f32_e32 v12, v1
.LBB167_1762:
	s_or_b64 exec, exec, s[16:17]
.LBB167_1763:
	s_mov_b64 s[16:17], -1
.LBB167_1764:
	s_branch .LBB167_1795
.LBB167_1765:
	s_cmp_gt_i32 s22, 22
	s_cbranch_scc0 .LBB167_1773
; %bb.1766:
	s_cmp_lt_i32 s22, 24
	s_cbranch_scc1 .LBB167_1776
; %bb.1767:
	s_cmp_gt_i32 s22, 24
	s_cbranch_scc0 .LBB167_1777
; %bb.1768:
	global_load_ubyte v1, v[20:21], off
	s_movk_i32 s6, 0x7f
	s_mov_b64 s[16:17], 0
	s_waitcnt vmcnt(0)
	v_cmp_lt_i16_e32 vcc, s6, v1
	s_and_saveexec_b64 s[6:7], vcc
	s_xor_b64 s[6:7], exec, s[6:7]
	s_cbranch_execz .LBB167_1789
; %bb.1769:
	s_movk_i32 s16, 0x80
	v_cmp_ne_u16_e32 vcc, s16, v1
	s_and_b64 s[16:17], vcc, exec
	s_andn2_saveexec_b64 s[6:7], s[6:7]
	s_cbranch_execnz .LBB167_1790
.LBB167_1770:
	s_or_b64 exec, exec, s[6:7]
	v_mov_b32_e32 v12, 0
	s_and_saveexec_b64 s[6:7], s[16:17]
	s_cbranch_execz .LBB167_1772
.LBB167_1771:
	v_lshlrev_b32_e32 v3, 24, v1
	v_and_b32_e32 v1, 0xffff, v1
	v_and_b32_e32 v5, 3, v1
	v_ffbh_u32_e32 v10, v5
	v_min_u32_e32 v10, 32, v10
	v_subrev_u32_e32 v12, 29, v10
	v_bfe_u32 v8, v1, 2, 5
	v_lshlrev_b32_e32 v1, v12, v1
	v_sub_u32_e32 v10, 30, v10
	v_and_b32_e32 v1, 3, v1
	v_cmp_eq_u32_e32 vcc, 0, v8
	v_cndmask_b32_e32 v8, v8, v10, vcc
	v_cndmask_b32_e32 v1, v5, v1, vcc
	v_mov_b32_e32 v5, 0x37800000
	v_lshlrev_b32_e32 v1, 21, v1
	v_and_b32_e32 v3, 0x80000000, v3
	v_lshl_add_u32 v5, v8, 23, v5
	v_or3_b32 v1, v3, v5, v1
	v_cvt_i32_f32_e32 v12, v1
.LBB167_1772:
	s_or_b64 exec, exec, s[6:7]
	s_mov_b64 s[6:7], 0
	s_branch .LBB167_1778
.LBB167_1773:
	s_mov_b64 s[6:7], -1
                                        ; implicit-def: $vgpr12
	s_branch .LBB167_1784
.LBB167_1774:
	s_andn2_saveexec_b64 s[16:17], s[16:17]
	s_cbranch_execz .LBB167_1760
.LBB167_1775:
	v_cmp_ne_u16_e32 vcc, 0, v1
	s_andn2_b64 s[18:19], s[18:19], exec
	s_and_b64 s[24:25], vcc, exec
	s_or_b64 s[18:19], s[18:19], s[24:25]
	s_or_b64 exec, exec, s[16:17]
	v_mov_b32_e32 v12, 0
	s_and_saveexec_b64 s[16:17], s[18:19]
	s_cbranch_execnz .LBB167_1761
	s_branch .LBB167_1762
.LBB167_1776:
	s_mov_b64 s[6:7], -1
                                        ; implicit-def: $vgpr12
	s_branch .LBB167_1781
.LBB167_1777:
	s_mov_b64 s[6:7], -1
                                        ; implicit-def: $vgpr12
.LBB167_1778:
	s_and_b64 vcc, exec, s[6:7]
	s_cbranch_vccz .LBB167_1780
; %bb.1779:
	global_load_ubyte v1, v[20:21], off
	s_mov_b32 s6, 0x7f800000
	s_waitcnt vmcnt(0)
	v_lshlrev_b32_e32 v1, 24, v1
	v_and_b32_e32 v3, 0x7f000000, v1
	v_ffbh_u32_e32 v5, v3
	v_min_u32_e32 v5, 32, v5
	v_sub_u32_e64 v5, v5, 4 clamp
	v_lshlrev_b32_e32 v10, v5, v3
	v_lshlrev_b32_e32 v5, 23, v5
	v_lshrrev_b32_e32 v10, 4, v10
	v_add_u32_e32 v8, 0x1000000, v3
	v_sub_u32_e32 v5, v10, v5
	v_ashrrev_i32_e32 v8, 8, v8
	v_add_u32_e32 v5, 0x3c000000, v5
	v_and_or_b32 v5, v8, s6, v5
	v_cmp_ne_u32_e32 vcc, 0, v3
	v_cndmask_b32_e32 v3, 0, v5, vcc
	s_brev_b32 s6, 1
	v_and_or_b32 v1, v1, s6, v3
	v_cvt_i32_f32_e32 v12, v1
.LBB167_1780:
	s_mov_b64 s[6:7], 0
.LBB167_1781:
	s_andn2_b64 vcc, exec, s[6:7]
	s_cbranch_vccnz .LBB167_1783
; %bb.1782:
	global_load_ubyte v1, v[20:21], off
	s_movk_i32 s6, 0x7f00
	s_brev_b32 s7, 16
	s_waitcnt vmcnt(0)
	v_lshlrev_b16_e32 v3, 8, v1
	v_lshlrev_b32_e32 v1, 25, v1
	v_lshrrev_b32_e32 v5, 4, v1
	v_and_or_b32 v8, v3, s6, 0.5
	v_or_b32_e32 v5, 0x70000000, v5
	v_add_f32_e32 v8, -0.5, v8
	v_mul_f32_e32 v5, 0x7800000, v5
	v_cmp_gt_u32_e32 vcc, s7, v1
	v_bfe_i32 v3, v3, 0, 16
	v_cndmask_b32_e32 v1, v5, v8, vcc
	s_brev_b32 s6, 1
	v_and_or_b32 v1, v3, s6, v1
	v_cvt_i32_f32_e32 v12, v1
.LBB167_1783:
	s_mov_b64 s[6:7], 0
	s_mov_b64 s[16:17], -1
.LBB167_1784:
	s_andn2_b64 vcc, exec, s[6:7]
	s_mov_b64 s[6:7], 0
	s_cbranch_vccnz .LBB167_1795
; %bb.1785:
	s_cmp_gt_i32 s22, 14
	s_cbranch_scc0 .LBB167_1788
; %bb.1786:
	s_cmp_eq_u32 s22, 15
	s_cbranch_scc0 .LBB167_1791
; %bb.1787:
	global_load_ushort v1, v[20:21], off
	s_mov_b64 s[2:3], 0
	s_mov_b64 s[16:17], -1
	s_waitcnt vmcnt(0)
	v_lshlrev_b32_e32 v1, 16, v1
	v_cvt_i32_f32_e32 v12, v1
	s_branch .LBB167_1792
.LBB167_1788:
	s_mov_b64 s[18:19], -1
                                        ; implicit-def: $vgpr12
	s_branch .LBB167_1793
.LBB167_1789:
	s_andn2_saveexec_b64 s[6:7], s[6:7]
	s_cbranch_execz .LBB167_1770
.LBB167_1790:
	v_cmp_ne_u16_e32 vcc, 0, v1
	s_andn2_b64 s[16:17], s[16:17], exec
	s_and_b64 s[18:19], vcc, exec
	s_or_b64 s[16:17], s[16:17], s[18:19]
	s_or_b64 exec, exec, s[6:7]
	v_mov_b32_e32 v12, 0
	s_and_saveexec_b64 s[6:7], s[16:17]
	s_cbranch_execnz .LBB167_1771
	s_branch .LBB167_1772
.LBB167_1791:
	s_mov_b64 s[2:3], -1
                                        ; implicit-def: $vgpr12
.LBB167_1792:
	s_mov_b64 s[18:19], 0
.LBB167_1793:
	s_and_b64 vcc, exec, s[18:19]
	s_cbranch_vccz .LBB167_1795
; %bb.1794:
	s_cmp_lg_u32 s22, 11
	s_mov_b64 s[6:7], -1
	s_cselect_b64 s[2:3], -1, 0
.LBB167_1795:
	s_and_b64 vcc, exec, s[2:3]
	s_cbranch_vccnz .LBB167_1858
; %bb.1796:
	s_andn2_b64 vcc, exec, s[6:7]
	s_cbranch_vccnz .LBB167_1798
.LBB167_1797:
	global_load_ubyte v1, v[20:21], off
	s_mov_b64 s[16:17], -1
	s_waitcnt vmcnt(0)
	v_cmp_ne_u16_e32 vcc, 0, v1
	v_cndmask_b32_e64 v12, 0, 1, vcc
.LBB167_1798:
	s_branch .LBB167_1729
.LBB167_1799:
	s_and_b32 s6, 0xffff, s21
	s_cmp_lt_i32 s6, 5
	s_cbranch_scc1 .LBB167_1804
; %bb.1800:
	s_cmp_lt_i32 s6, 8
	s_cbranch_scc1 .LBB167_1805
; %bb.1801:
	;; [unrolled: 3-line block ×3, first 2 shown]
	s_cmp_gt_i32 s6, 9
	s_cbranch_scc0 .LBB167_1807
; %bb.1803:
	global_load_dwordx2 v[12:13], v[20:21], off
	s_mov_b64 s[2:3], 0
	s_waitcnt vmcnt(0)
	v_cvt_i32_f64_e32 v12, v[12:13]
	s_branch .LBB167_1808
.LBB167_1804:
                                        ; implicit-def: $vgpr12
	s_branch .LBB167_1826
.LBB167_1805:
	s_mov_b64 s[2:3], -1
                                        ; implicit-def: $vgpr12
	s_branch .LBB167_1814
.LBB167_1806:
	s_mov_b64 s[2:3], -1
                                        ; implicit-def: $vgpr12
	s_branch .LBB167_1811
.LBB167_1807:
	s_mov_b64 s[2:3], -1
                                        ; implicit-def: $vgpr12
.LBB167_1808:
	s_andn2_b64 vcc, exec, s[2:3]
	s_cbranch_vccnz .LBB167_1810
; %bb.1809:
	global_load_dword v1, v[20:21], off
	s_waitcnt vmcnt(0)
	v_cvt_i32_f32_e32 v12, v1
.LBB167_1810:
	s_mov_b64 s[2:3], 0
.LBB167_1811:
	s_andn2_b64 vcc, exec, s[2:3]
	s_cbranch_vccnz .LBB167_1813
; %bb.1812:
	global_load_dword v1, v[20:21], off
	s_waitcnt vmcnt(0)
	v_cvt_i16_f16_e32 v12, v1
.LBB167_1813:
	s_mov_b64 s[2:3], 0
.LBB167_1814:
	s_andn2_b64 vcc, exec, s[2:3]
	s_cbranch_vccnz .LBB167_1825
; %bb.1815:
	s_cmp_lt_i32 s6, 6
	s_cbranch_scc1 .LBB167_1818
; %bb.1816:
	s_cmp_gt_i32 s6, 6
	s_cbranch_scc0 .LBB167_1819
; %bb.1817:
	global_load_dwordx2 v[12:13], v[20:21], off
	s_mov_b64 s[2:3], 0
	s_waitcnt vmcnt(0)
	v_cvt_i32_f64_e32 v12, v[12:13]
	s_branch .LBB167_1820
.LBB167_1818:
	s_mov_b64 s[2:3], -1
                                        ; implicit-def: $vgpr12
	s_branch .LBB167_1823
.LBB167_1819:
	s_mov_b64 s[2:3], -1
                                        ; implicit-def: $vgpr12
.LBB167_1820:
	s_andn2_b64 vcc, exec, s[2:3]
	s_cbranch_vccnz .LBB167_1822
; %bb.1821:
	global_load_dword v1, v[20:21], off
	s_waitcnt vmcnt(0)
	v_cvt_i32_f32_e32 v12, v1
.LBB167_1822:
	s_mov_b64 s[2:3], 0
.LBB167_1823:
	s_andn2_b64 vcc, exec, s[2:3]
	s_cbranch_vccnz .LBB167_1825
; %bb.1824:
	global_load_ushort v1, v[20:21], off
	s_waitcnt vmcnt(0)
	v_cvt_i16_f16_e32 v12, v1
.LBB167_1825:
	s_cbranch_execnz .LBB167_1845
.LBB167_1826:
	s_cmp_lt_i32 s6, 2
	s_cbranch_scc1 .LBB167_1830
; %bb.1827:
	s_cmp_lt_i32 s6, 3
	s_cbranch_scc1 .LBB167_1831
; %bb.1828:
	s_cmp_gt_i32 s6, 3
	s_cbranch_scc0 .LBB167_1832
; %bb.1829:
	global_load_dwordx2 v[12:13], v[20:21], off
	s_mov_b64 s[2:3], 0
	s_branch .LBB167_1833
.LBB167_1830:
	s_mov_b64 s[2:3], -1
                                        ; implicit-def: $vgpr12
	s_branch .LBB167_1839
.LBB167_1831:
	s_mov_b64 s[2:3], -1
                                        ; implicit-def: $vgpr12
	s_branch .LBB167_1836
.LBB167_1832:
	s_mov_b64 s[2:3], -1
                                        ; implicit-def: $vgpr12
.LBB167_1833:
	s_andn2_b64 vcc, exec, s[2:3]
	s_cbranch_vccnz .LBB167_1835
; %bb.1834:
	global_load_dword v12, v[20:21], off
.LBB167_1835:
	s_mov_b64 s[2:3], 0
.LBB167_1836:
	s_andn2_b64 vcc, exec, s[2:3]
	s_cbranch_vccnz .LBB167_1838
; %bb.1837:
	global_load_ushort v12, v[20:21], off
.LBB167_1838:
	s_mov_b64 s[2:3], 0
.LBB167_1839:
	s_andn2_b64 vcc, exec, s[2:3]
	s_cbranch_vccnz .LBB167_1845
; %bb.1840:
	s_cmp_gt_i32 s6, 0
	s_cbranch_scc0 .LBB167_1842
; %bb.1841:
	global_load_ubyte v12, v[20:21], off
	s_mov_b64 s[2:3], 0
	s_branch .LBB167_1843
.LBB167_1842:
	s_mov_b64 s[2:3], -1
                                        ; implicit-def: $vgpr12
.LBB167_1843:
	s_andn2_b64 vcc, exec, s[2:3]
	s_cbranch_vccnz .LBB167_1845
; %bb.1844:
	global_load_ubyte v12, v[20:21], off
.LBB167_1845:
.LBB167_1846:
	s_lshr_b32 s2, s20, 16
	v_mov_b32_e32 v1, s11
	s_and_b32 s22, s2, 0xff
	v_add_co_u32_e32 v20, vcc, s10, v11
	s_cmp_lt_i32 s22, 11
	v_addc_co_u32_e32 v21, vcc, 0, v1, vcc
	s_cbranch_scc1 .LBB167_1853
; %bb.1847:
	s_and_b32 s23, 0xffff, s22
	s_cmp_gt_i32 s23, 25
	s_mov_b64 s[6:7], 0
	s_cbranch_scc0 .LBB167_1855
; %bb.1848:
	s_cmp_gt_i32 s23, 28
	s_cbranch_scc0 .LBB167_1856
; %bb.1849:
	s_cmp_gt_i32 s23, 43
	;; [unrolled: 3-line block ×3, first 2 shown]
	s_cbranch_scc0 .LBB167_1859
; %bb.1851:
	s_cmp_eq_u32 s23, 46
	s_mov_b64 s[18:19], 0
	s_cbranch_scc0 .LBB167_1860
; %bb.1852:
	global_load_dword v1, v[20:21], off
	s_mov_b64 s[2:3], 0
	s_mov_b64 s[16:17], -1
	s_waitcnt vmcnt(0)
	v_lshlrev_b32_e32 v1, 16, v1
	v_cvt_i32_f32_e32 v10, v1
	s_branch .LBB167_1861
.LBB167_1853:
	s_mov_b64 s[16:17], 0
                                        ; implicit-def: $vgpr10
	s_cbranch_execnz .LBB167_1923
.LBB167_1854:
	s_andn2_b64 vcc, exec, s[16:17]
	s_cbranch_vccnz .LBB167_3036
	s_branch .LBB167_1971
.LBB167_1855:
	s_mov_b64 s[18:19], -1
	s_mov_b64 s[16:17], 0
	s_mov_b64 s[2:3], 0
                                        ; implicit-def: $vgpr10
	s_branch .LBB167_1888
.LBB167_1856:
	s_mov_b64 s[18:19], -1
	s_mov_b64 s[16:17], 0
	s_mov_b64 s[2:3], 0
                                        ; implicit-def: $vgpr10
	s_branch .LBB167_1871
.LBB167_1857:
	s_mov_b64 s[18:19], -1
	s_mov_b64 s[16:17], 0
	s_mov_b64 s[2:3], 0
                                        ; implicit-def: $vgpr10
	s_branch .LBB167_1866
.LBB167_1858:
	s_trap 2
	s_or_b64 s[4:5], s[4:5], exec
	s_cbranch_execz .LBB167_1797
	s_branch .LBB167_1798
.LBB167_1859:
	s_mov_b64 s[18:19], -1
	s_mov_b64 s[16:17], 0
	s_mov_b64 s[2:3], 0
                                        ; implicit-def: $vgpr10
	s_branch .LBB167_1861
.LBB167_1860:
	s_mov_b64 s[2:3], -1
                                        ; implicit-def: $vgpr10
	s_mov_b64 s[16:17], 0
.LBB167_1861:
	s_and_b64 vcc, exec, s[18:19]
	s_cbranch_vccz .LBB167_1865
; %bb.1862:
	s_cmp_eq_u32 s23, 44
	s_cbranch_scc0 .LBB167_1864
; %bb.1863:
	global_load_ubyte v1, v[20:21], off
	s_mov_b64 s[2:3], 0
	s_mov_b64 s[16:17], -1
	s_waitcnt vmcnt(0)
	v_lshlrev_b32_e32 v3, 23, v1
	v_cvt_i32_f32_e32 v3, v3
	v_cmp_ne_u32_e32 vcc, 0, v1
	v_cndmask_b32_e32 v10, 0, v3, vcc
	s_branch .LBB167_1865
.LBB167_1864:
	s_mov_b64 s[2:3], -1
                                        ; implicit-def: $vgpr10
.LBB167_1865:
	s_mov_b64 s[18:19], 0
.LBB167_1866:
	s_and_b64 vcc, exec, s[18:19]
	s_cbranch_vccz .LBB167_1870
; %bb.1867:
	s_cmp_eq_u32 s23, 29
	s_cbranch_scc0 .LBB167_1869
; %bb.1868:
	global_load_dwordx2 v[10:11], v[20:21], off
	s_mov_b64 s[2:3], 0
	s_mov_b64 s[16:17], -1
	s_branch .LBB167_1870
.LBB167_1869:
	s_mov_b64 s[2:3], -1
                                        ; implicit-def: $vgpr10
.LBB167_1870:
	s_mov_b64 s[18:19], 0
.LBB167_1871:
	s_and_b64 vcc, exec, s[18:19]
	s_cbranch_vccz .LBB167_1887
; %bb.1872:
	s_cmp_lt_i32 s23, 27
	s_cbranch_scc1 .LBB167_1875
; %bb.1873:
	s_cmp_gt_i32 s23, 27
	s_cbranch_scc0 .LBB167_1876
; %bb.1874:
	global_load_dword v10, v[20:21], off
	s_mov_b64 s[16:17], 0
	s_branch .LBB167_1877
.LBB167_1875:
	s_mov_b64 s[16:17], -1
                                        ; implicit-def: $vgpr10
	s_branch .LBB167_1880
.LBB167_1876:
	s_mov_b64 s[16:17], -1
                                        ; implicit-def: $vgpr10
.LBB167_1877:
	s_andn2_b64 vcc, exec, s[16:17]
	s_cbranch_vccnz .LBB167_1879
; %bb.1878:
	global_load_ushort v10, v[20:21], off
.LBB167_1879:
	s_mov_b64 s[16:17], 0
.LBB167_1880:
	s_andn2_b64 vcc, exec, s[16:17]
	s_cbranch_vccnz .LBB167_1886
; %bb.1881:
	global_load_ubyte v1, v[20:21], off
	s_movk_i32 s16, 0x7f
	s_mov_b64 s[18:19], 0
	s_waitcnt vmcnt(0)
	v_cmp_lt_i16_e32 vcc, s16, v1
	s_and_saveexec_b64 s[16:17], vcc
	s_xor_b64 s[16:17], exec, s[16:17]
	s_cbranch_execz .LBB167_1898
; %bb.1882:
	s_movk_i32 s18, 0x80
	v_cmp_ne_u16_e32 vcc, s18, v1
	s_and_b64 s[18:19], vcc, exec
	s_andn2_saveexec_b64 s[16:17], s[16:17]
	s_cbranch_execnz .LBB167_1899
.LBB167_1883:
	s_or_b64 exec, exec, s[16:17]
	v_mov_b32_e32 v10, 0
	s_and_saveexec_b64 s[16:17], s[18:19]
	s_cbranch_execz .LBB167_1885
.LBB167_1884:
	v_lshlrev_b32_e32 v3, 24, v1
	v_and_b32_e32 v1, 0xffff, v1
	v_and_b32_e32 v5, 7, v1
	v_ffbh_u32_e32 v10, v5
	v_min_u32_e32 v10, 32, v10
	v_subrev_u32_e32 v11, 28, v10
	v_bfe_u32 v8, v1, 3, 4
	v_lshlrev_b32_e32 v1, v11, v1
	v_sub_u32_e32 v10, 29, v10
	v_and_b32_e32 v1, 7, v1
	v_cmp_eq_u32_e32 vcc, 0, v8
	v_cndmask_b32_e32 v8, v8, v10, vcc
	v_cndmask_b32_e32 v1, v5, v1, vcc
	v_mov_b32_e32 v5, 0x3b800000
	v_lshlrev_b32_e32 v1, 20, v1
	v_and_b32_e32 v3, 0x80000000, v3
	v_lshl_add_u32 v5, v8, 23, v5
	v_or3_b32 v1, v3, v5, v1
	v_cvt_i32_f32_e32 v10, v1
.LBB167_1885:
	s_or_b64 exec, exec, s[16:17]
.LBB167_1886:
	s_mov_b64 s[16:17], -1
.LBB167_1887:
	s_mov_b64 s[18:19], 0
.LBB167_1888:
	s_and_b64 vcc, exec, s[18:19]
	s_cbranch_vccz .LBB167_1919
; %bb.1889:
	s_cmp_gt_i32 s23, 22
	s_cbranch_scc0 .LBB167_1897
; %bb.1890:
	s_cmp_lt_i32 s23, 24
	s_cbranch_scc1 .LBB167_1900
; %bb.1891:
	s_cmp_gt_i32 s23, 24
	s_cbranch_scc0 .LBB167_1901
; %bb.1892:
	global_load_ubyte v1, v[20:21], off
	s_movk_i32 s6, 0x7f
	s_mov_b64 s[16:17], 0
	s_waitcnt vmcnt(0)
	v_cmp_lt_i16_e32 vcc, s6, v1
	s_and_saveexec_b64 s[6:7], vcc
	s_xor_b64 s[6:7], exec, s[6:7]
	s_cbranch_execz .LBB167_1913
; %bb.1893:
	s_movk_i32 s16, 0x80
	v_cmp_ne_u16_e32 vcc, s16, v1
	s_and_b64 s[16:17], vcc, exec
	s_andn2_saveexec_b64 s[6:7], s[6:7]
	s_cbranch_execnz .LBB167_1914
.LBB167_1894:
	s_or_b64 exec, exec, s[6:7]
	v_mov_b32_e32 v10, 0
	s_and_saveexec_b64 s[6:7], s[16:17]
	s_cbranch_execz .LBB167_1896
.LBB167_1895:
	v_lshlrev_b32_e32 v3, 24, v1
	v_and_b32_e32 v1, 0xffff, v1
	v_and_b32_e32 v5, 3, v1
	v_ffbh_u32_e32 v10, v5
	v_min_u32_e32 v10, 32, v10
	v_subrev_u32_e32 v11, 29, v10
	v_bfe_u32 v8, v1, 2, 5
	v_lshlrev_b32_e32 v1, v11, v1
	v_sub_u32_e32 v10, 30, v10
	v_and_b32_e32 v1, 3, v1
	v_cmp_eq_u32_e32 vcc, 0, v8
	v_cndmask_b32_e32 v8, v8, v10, vcc
	v_cndmask_b32_e32 v1, v5, v1, vcc
	v_mov_b32_e32 v5, 0x37800000
	v_lshlrev_b32_e32 v1, 21, v1
	v_and_b32_e32 v3, 0x80000000, v3
	v_lshl_add_u32 v5, v8, 23, v5
	v_or3_b32 v1, v3, v5, v1
	v_cvt_i32_f32_e32 v10, v1
.LBB167_1896:
	s_or_b64 exec, exec, s[6:7]
	s_mov_b64 s[6:7], 0
	s_branch .LBB167_1902
.LBB167_1897:
	s_mov_b64 s[6:7], -1
                                        ; implicit-def: $vgpr10
	s_branch .LBB167_1908
.LBB167_1898:
	s_andn2_saveexec_b64 s[16:17], s[16:17]
	s_cbranch_execz .LBB167_1883
.LBB167_1899:
	v_cmp_ne_u16_e32 vcc, 0, v1
	s_andn2_b64 s[18:19], s[18:19], exec
	s_and_b64 s[24:25], vcc, exec
	s_or_b64 s[18:19], s[18:19], s[24:25]
	s_or_b64 exec, exec, s[16:17]
	v_mov_b32_e32 v10, 0
	s_and_saveexec_b64 s[16:17], s[18:19]
	s_cbranch_execnz .LBB167_1884
	s_branch .LBB167_1885
.LBB167_1900:
	s_mov_b64 s[6:7], -1
                                        ; implicit-def: $vgpr10
	s_branch .LBB167_1905
.LBB167_1901:
	s_mov_b64 s[6:7], -1
                                        ; implicit-def: $vgpr10
.LBB167_1902:
	s_and_b64 vcc, exec, s[6:7]
	s_cbranch_vccz .LBB167_1904
; %bb.1903:
	global_load_ubyte v1, v[20:21], off
	s_mov_b32 s6, 0x7f800000
	s_waitcnt vmcnt(0)
	v_lshlrev_b32_e32 v1, 24, v1
	v_and_b32_e32 v3, 0x7f000000, v1
	v_ffbh_u32_e32 v5, v3
	v_min_u32_e32 v5, 32, v5
	v_sub_u32_e64 v5, v5, 4 clamp
	v_lshlrev_b32_e32 v10, v5, v3
	v_lshlrev_b32_e32 v5, 23, v5
	v_lshrrev_b32_e32 v10, 4, v10
	v_add_u32_e32 v8, 0x1000000, v3
	v_sub_u32_e32 v5, v10, v5
	v_ashrrev_i32_e32 v8, 8, v8
	v_add_u32_e32 v5, 0x3c000000, v5
	v_and_or_b32 v5, v8, s6, v5
	v_cmp_ne_u32_e32 vcc, 0, v3
	v_cndmask_b32_e32 v3, 0, v5, vcc
	s_brev_b32 s6, 1
	v_and_or_b32 v1, v1, s6, v3
	v_cvt_i32_f32_e32 v10, v1
.LBB167_1904:
	s_mov_b64 s[6:7], 0
.LBB167_1905:
	s_andn2_b64 vcc, exec, s[6:7]
	s_cbranch_vccnz .LBB167_1907
; %bb.1906:
	global_load_ubyte v1, v[20:21], off
	s_movk_i32 s6, 0x7f00
	s_brev_b32 s7, 16
	s_waitcnt vmcnt(0)
	v_lshlrev_b16_e32 v3, 8, v1
	v_lshlrev_b32_e32 v1, 25, v1
	v_lshrrev_b32_e32 v5, 4, v1
	v_and_or_b32 v8, v3, s6, 0.5
	v_or_b32_e32 v5, 0x70000000, v5
	v_add_f32_e32 v8, -0.5, v8
	v_mul_f32_e32 v5, 0x7800000, v5
	v_cmp_gt_u32_e32 vcc, s7, v1
	v_bfe_i32 v3, v3, 0, 16
	v_cndmask_b32_e32 v1, v5, v8, vcc
	s_brev_b32 s6, 1
	v_and_or_b32 v1, v3, s6, v1
	v_cvt_i32_f32_e32 v10, v1
.LBB167_1907:
	s_mov_b64 s[6:7], 0
	s_mov_b64 s[16:17], -1
.LBB167_1908:
	s_andn2_b64 vcc, exec, s[6:7]
	s_mov_b64 s[6:7], 0
	s_cbranch_vccnz .LBB167_1919
; %bb.1909:
	s_cmp_gt_i32 s23, 14
	s_cbranch_scc0 .LBB167_1912
; %bb.1910:
	s_cmp_eq_u32 s23, 15
	s_cbranch_scc0 .LBB167_1915
; %bb.1911:
	global_load_ushort v1, v[20:21], off
	s_mov_b64 s[2:3], 0
	s_mov_b64 s[16:17], -1
	s_waitcnt vmcnt(0)
	v_lshlrev_b32_e32 v1, 16, v1
	v_cvt_i32_f32_e32 v10, v1
	s_branch .LBB167_1916
.LBB167_1912:
	s_mov_b64 s[18:19], -1
                                        ; implicit-def: $vgpr10
	s_branch .LBB167_1917
.LBB167_1913:
	s_andn2_saveexec_b64 s[6:7], s[6:7]
	s_cbranch_execz .LBB167_1894
.LBB167_1914:
	v_cmp_ne_u16_e32 vcc, 0, v1
	s_andn2_b64 s[16:17], s[16:17], exec
	s_and_b64 s[18:19], vcc, exec
	s_or_b64 s[16:17], s[16:17], s[18:19]
	s_or_b64 exec, exec, s[6:7]
	v_mov_b32_e32 v10, 0
	s_and_saveexec_b64 s[6:7], s[16:17]
	s_cbranch_execnz .LBB167_1895
	s_branch .LBB167_1896
.LBB167_1915:
	s_mov_b64 s[2:3], -1
                                        ; implicit-def: $vgpr10
.LBB167_1916:
	s_mov_b64 s[18:19], 0
.LBB167_1917:
	s_and_b64 vcc, exec, s[18:19]
	s_cbranch_vccz .LBB167_1919
; %bb.1918:
	s_cmp_lg_u32 s23, 11
	s_mov_b64 s[6:7], -1
	s_cselect_b64 s[2:3], -1, 0
.LBB167_1919:
	s_and_b64 vcc, exec, s[2:3]
	s_cbranch_vccnz .LBB167_1982
; %bb.1920:
	s_andn2_b64 vcc, exec, s[6:7]
	s_cbranch_vccnz .LBB167_1922
.LBB167_1921:
	global_load_ubyte v1, v[20:21], off
	s_mov_b64 s[16:17], -1
	s_waitcnt vmcnt(0)
	v_cmp_ne_u16_e32 vcc, 0, v1
	v_cndmask_b32_e64 v10, 0, 1, vcc
.LBB167_1922:
	s_branch .LBB167_1854
.LBB167_1923:
	s_and_b32 s6, 0xffff, s22
	s_cmp_lt_i32 s6, 5
	s_cbranch_scc1 .LBB167_1928
; %bb.1924:
	s_cmp_lt_i32 s6, 8
	s_cbranch_scc1 .LBB167_1929
; %bb.1925:
	;; [unrolled: 3-line block ×3, first 2 shown]
	s_cmp_gt_i32 s6, 9
	s_cbranch_scc0 .LBB167_1931
; %bb.1927:
	global_load_dwordx2 v[10:11], v[20:21], off
	s_mov_b64 s[2:3], 0
	s_waitcnt vmcnt(0)
	v_cvt_i32_f64_e32 v10, v[10:11]
	s_branch .LBB167_1932
.LBB167_1928:
	s_mov_b64 s[2:3], -1
                                        ; implicit-def: $vgpr10
	s_branch .LBB167_1950
.LBB167_1929:
	s_mov_b64 s[2:3], -1
                                        ; implicit-def: $vgpr10
	s_branch .LBB167_1938
.LBB167_1930:
	s_mov_b64 s[2:3], -1
                                        ; implicit-def: $vgpr10
	s_branch .LBB167_1935
.LBB167_1931:
	s_mov_b64 s[2:3], -1
                                        ; implicit-def: $vgpr10
.LBB167_1932:
	s_andn2_b64 vcc, exec, s[2:3]
	s_cbranch_vccnz .LBB167_1934
; %bb.1933:
	global_load_dword v1, v[20:21], off
	s_waitcnt vmcnt(0)
	v_cvt_i32_f32_e32 v10, v1
.LBB167_1934:
	s_mov_b64 s[2:3], 0
.LBB167_1935:
	s_andn2_b64 vcc, exec, s[2:3]
	s_cbranch_vccnz .LBB167_1937
; %bb.1936:
	global_load_dword v1, v[20:21], off
	s_waitcnt vmcnt(0)
	v_cvt_i16_f16_e32 v10, v1
.LBB167_1937:
	s_mov_b64 s[2:3], 0
.LBB167_1938:
	s_andn2_b64 vcc, exec, s[2:3]
	s_cbranch_vccnz .LBB167_1949
; %bb.1939:
	s_cmp_lt_i32 s6, 6
	s_cbranch_scc1 .LBB167_1942
; %bb.1940:
	s_cmp_gt_i32 s6, 6
	s_cbranch_scc0 .LBB167_1943
; %bb.1941:
	global_load_dwordx2 v[10:11], v[20:21], off
	s_mov_b64 s[2:3], 0
	s_waitcnt vmcnt(0)
	v_cvt_i32_f64_e32 v10, v[10:11]
	s_branch .LBB167_1944
.LBB167_1942:
	s_mov_b64 s[2:3], -1
                                        ; implicit-def: $vgpr10
	s_branch .LBB167_1947
.LBB167_1943:
	s_mov_b64 s[2:3], -1
                                        ; implicit-def: $vgpr10
.LBB167_1944:
	s_andn2_b64 vcc, exec, s[2:3]
	s_cbranch_vccnz .LBB167_1946
; %bb.1945:
	global_load_dword v1, v[20:21], off
	s_waitcnt vmcnt(0)
	v_cvt_i32_f32_e32 v10, v1
.LBB167_1946:
	s_mov_b64 s[2:3], 0
.LBB167_1947:
	s_andn2_b64 vcc, exec, s[2:3]
	s_cbranch_vccnz .LBB167_1949
; %bb.1948:
	global_load_ushort v1, v[20:21], off
	s_waitcnt vmcnt(0)
	v_cvt_i16_f16_e32 v10, v1
.LBB167_1949:
	s_mov_b64 s[2:3], 0
.LBB167_1950:
	s_andn2_b64 vcc, exec, s[2:3]
	s_cbranch_vccnz .LBB167_1970
; %bb.1951:
	s_cmp_lt_i32 s6, 2
	s_cbranch_scc1 .LBB167_1955
; %bb.1952:
	s_cmp_lt_i32 s6, 3
	s_cbranch_scc1 .LBB167_1956
; %bb.1953:
	s_cmp_gt_i32 s6, 3
	s_cbranch_scc0 .LBB167_1957
; %bb.1954:
	global_load_dwordx2 v[10:11], v[20:21], off
	s_mov_b64 s[2:3], 0
	s_branch .LBB167_1958
.LBB167_1955:
	s_mov_b64 s[2:3], -1
                                        ; implicit-def: $vgpr10
	s_branch .LBB167_1964
.LBB167_1956:
	s_mov_b64 s[2:3], -1
                                        ; implicit-def: $vgpr10
	s_branch .LBB167_1961
.LBB167_1957:
	s_mov_b64 s[2:3], -1
                                        ; implicit-def: $vgpr10
.LBB167_1958:
	s_andn2_b64 vcc, exec, s[2:3]
	s_cbranch_vccnz .LBB167_1960
; %bb.1959:
	global_load_dword v10, v[20:21], off
.LBB167_1960:
	s_mov_b64 s[2:3], 0
.LBB167_1961:
	s_andn2_b64 vcc, exec, s[2:3]
	s_cbranch_vccnz .LBB167_1963
; %bb.1962:
	global_load_ushort v10, v[20:21], off
.LBB167_1963:
	s_mov_b64 s[2:3], 0
.LBB167_1964:
	s_andn2_b64 vcc, exec, s[2:3]
	s_cbranch_vccnz .LBB167_1970
; %bb.1965:
	s_cmp_gt_i32 s6, 0
	s_cbranch_scc0 .LBB167_1967
; %bb.1966:
	global_load_ubyte v10, v[20:21], off
	s_mov_b64 s[2:3], 0
	s_branch .LBB167_1968
.LBB167_1967:
	s_mov_b64 s[2:3], -1
                                        ; implicit-def: $vgpr10
.LBB167_1968:
	s_andn2_b64 vcc, exec, s[2:3]
	s_cbranch_vccnz .LBB167_1970
; %bb.1969:
	global_load_ubyte v10, v[20:21], off
.LBB167_1970:
.LBB167_1971:
	v_mov_b32_e32 v1, s1
	s_and_b32 s21, 0xffff, s21
	v_add_co_u32_e32 v20, vcc, s0, v18
	s_cmp_lt_i32 s21, 11
	v_addc_co_u32_e32 v21, vcc, 0, v1, vcc
	s_cbranch_scc1 .LBB167_1978
; %bb.1972:
	s_cmp_gt_i32 s21, 25
	s_mov_b64 s[6:7], 0
	s_cbranch_scc0 .LBB167_1979
; %bb.1973:
	s_cmp_gt_i32 s21, 28
	s_cbranch_scc0 .LBB167_1980
; %bb.1974:
	s_cmp_gt_i32 s21, 43
	;; [unrolled: 3-line block ×3, first 2 shown]
	s_cbranch_scc0 .LBB167_1983
; %bb.1976:
	s_cmp_eq_u32 s21, 46
	s_mov_b64 s[18:19], 0
	s_cbranch_scc0 .LBB167_1984
; %bb.1977:
	global_load_dword v1, v[20:21], off
	s_mov_b64 s[2:3], 0
	s_mov_b64 s[16:17], -1
	s_waitcnt vmcnt(0)
	v_lshlrev_b32_e32 v1, 16, v1
	v_cvt_i32_f32_e32 v17, v1
	s_branch .LBB167_1985
.LBB167_1978:
	s_mov_b64 s[2:3], -1
	s_mov_b64 s[16:17], 0
                                        ; implicit-def: $vgpr17
	s_branch .LBB167_2047
.LBB167_1979:
	s_mov_b64 s[18:19], -1
	s_mov_b64 s[16:17], 0
	s_mov_b64 s[2:3], 0
                                        ; implicit-def: $vgpr17
	s_branch .LBB167_2012
.LBB167_1980:
	s_mov_b64 s[18:19], -1
	s_mov_b64 s[16:17], 0
	s_mov_b64 s[2:3], 0
                                        ; implicit-def: $vgpr17
	s_branch .LBB167_1995
.LBB167_1981:
	s_mov_b64 s[18:19], -1
	s_mov_b64 s[16:17], 0
	s_mov_b64 s[2:3], 0
                                        ; implicit-def: $vgpr17
	s_branch .LBB167_1990
.LBB167_1982:
	s_trap 2
	s_or_b64 s[4:5], s[4:5], exec
	s_cbranch_execz .LBB167_1921
	s_branch .LBB167_1922
.LBB167_1983:
	s_mov_b64 s[18:19], -1
	s_mov_b64 s[16:17], 0
	s_mov_b64 s[2:3], 0
                                        ; implicit-def: $vgpr17
	s_branch .LBB167_1985
.LBB167_1984:
	s_mov_b64 s[2:3], -1
                                        ; implicit-def: $vgpr17
	s_mov_b64 s[16:17], 0
.LBB167_1985:
	s_and_b64 vcc, exec, s[18:19]
	s_cbranch_vccz .LBB167_1989
; %bb.1986:
	s_cmp_eq_u32 s21, 44
	s_cbranch_scc0 .LBB167_1988
; %bb.1987:
	global_load_ubyte v1, v[20:21], off
	s_mov_b64 s[2:3], 0
	s_mov_b64 s[16:17], -1
	s_waitcnt vmcnt(0)
	v_lshlrev_b32_e32 v3, 23, v1
	v_cvt_i32_f32_e32 v3, v3
	v_cmp_ne_u32_e32 vcc, 0, v1
	v_cndmask_b32_e32 v17, 0, v3, vcc
	s_branch .LBB167_1989
.LBB167_1988:
	s_mov_b64 s[2:3], -1
                                        ; implicit-def: $vgpr17
.LBB167_1989:
	s_mov_b64 s[18:19], 0
.LBB167_1990:
	s_and_b64 vcc, exec, s[18:19]
	s_cbranch_vccz .LBB167_1994
; %bb.1991:
	s_cmp_eq_u32 s21, 29
	s_cbranch_scc0 .LBB167_1993
; %bb.1992:
	global_load_dwordx2 v[17:18], v[20:21], off
	s_mov_b64 s[2:3], 0
	s_mov_b64 s[16:17], -1
	s_branch .LBB167_1994
.LBB167_1993:
	s_mov_b64 s[2:3], -1
                                        ; implicit-def: $vgpr17
.LBB167_1994:
	s_mov_b64 s[18:19], 0
.LBB167_1995:
	s_and_b64 vcc, exec, s[18:19]
	s_cbranch_vccz .LBB167_2011
; %bb.1996:
	s_cmp_lt_i32 s21, 27
	s_cbranch_scc1 .LBB167_1999
; %bb.1997:
	s_cmp_gt_i32 s21, 27
	s_cbranch_scc0 .LBB167_2000
; %bb.1998:
	global_load_dword v17, v[20:21], off
	s_mov_b64 s[16:17], 0
	s_branch .LBB167_2001
.LBB167_1999:
	s_mov_b64 s[16:17], -1
                                        ; implicit-def: $vgpr17
	s_branch .LBB167_2004
.LBB167_2000:
	s_mov_b64 s[16:17], -1
                                        ; implicit-def: $vgpr17
.LBB167_2001:
	s_andn2_b64 vcc, exec, s[16:17]
	s_cbranch_vccnz .LBB167_2003
; %bb.2002:
	global_load_ushort v17, v[20:21], off
.LBB167_2003:
	s_mov_b64 s[16:17], 0
.LBB167_2004:
	s_andn2_b64 vcc, exec, s[16:17]
	s_cbranch_vccnz .LBB167_2010
; %bb.2005:
	global_load_ubyte v1, v[20:21], off
	s_movk_i32 s16, 0x7f
	s_mov_b64 s[18:19], 0
	s_waitcnt vmcnt(0)
	v_cmp_lt_i16_e32 vcc, s16, v1
	s_and_saveexec_b64 s[16:17], vcc
	s_xor_b64 s[16:17], exec, s[16:17]
	s_cbranch_execz .LBB167_2022
; %bb.2006:
	s_movk_i32 s18, 0x80
	v_cmp_ne_u16_e32 vcc, s18, v1
	s_and_b64 s[18:19], vcc, exec
	s_andn2_saveexec_b64 s[16:17], s[16:17]
	s_cbranch_execnz .LBB167_2023
.LBB167_2007:
	s_or_b64 exec, exec, s[16:17]
	v_mov_b32_e32 v17, 0
	s_and_saveexec_b64 s[16:17], s[18:19]
	s_cbranch_execz .LBB167_2009
.LBB167_2008:
	v_lshlrev_b32_e32 v3, 24, v1
	v_and_b32_e32 v1, 0xffff, v1
	v_and_b32_e32 v5, 7, v1
	v_ffbh_u32_e32 v11, v5
	v_min_u32_e32 v11, 32, v11
	v_subrev_u32_e32 v13, 28, v11
	v_bfe_u32 v8, v1, 3, 4
	v_lshlrev_b32_e32 v1, v13, v1
	v_sub_u32_e32 v11, 29, v11
	v_and_b32_e32 v1, 7, v1
	v_cmp_eq_u32_e32 vcc, 0, v8
	v_cndmask_b32_e32 v8, v8, v11, vcc
	v_cndmask_b32_e32 v1, v5, v1, vcc
	v_mov_b32_e32 v5, 0x3b800000
	v_lshlrev_b32_e32 v1, 20, v1
	v_and_b32_e32 v3, 0x80000000, v3
	v_lshl_add_u32 v5, v8, 23, v5
	v_or3_b32 v1, v3, v5, v1
	v_cvt_i32_f32_e32 v17, v1
.LBB167_2009:
	s_or_b64 exec, exec, s[16:17]
.LBB167_2010:
	s_mov_b64 s[16:17], -1
.LBB167_2011:
	s_mov_b64 s[18:19], 0
.LBB167_2012:
	s_and_b64 vcc, exec, s[18:19]
	s_cbranch_vccz .LBB167_2043
; %bb.2013:
	s_cmp_gt_i32 s21, 22
	s_cbranch_scc0 .LBB167_2021
; %bb.2014:
	s_cmp_lt_i32 s21, 24
	s_cbranch_scc1 .LBB167_2024
; %bb.2015:
	s_cmp_gt_i32 s21, 24
	s_cbranch_scc0 .LBB167_2025
; %bb.2016:
	global_load_ubyte v1, v[20:21], off
	s_movk_i32 s6, 0x7f
	s_mov_b64 s[16:17], 0
	s_waitcnt vmcnt(0)
	v_cmp_lt_i16_e32 vcc, s6, v1
	s_and_saveexec_b64 s[6:7], vcc
	s_xor_b64 s[6:7], exec, s[6:7]
	s_cbranch_execz .LBB167_2037
; %bb.2017:
	s_movk_i32 s16, 0x80
	v_cmp_ne_u16_e32 vcc, s16, v1
	s_and_b64 s[16:17], vcc, exec
	s_andn2_saveexec_b64 s[6:7], s[6:7]
	s_cbranch_execnz .LBB167_2038
.LBB167_2018:
	s_or_b64 exec, exec, s[6:7]
	v_mov_b32_e32 v17, 0
	s_and_saveexec_b64 s[6:7], s[16:17]
	s_cbranch_execz .LBB167_2020
.LBB167_2019:
	v_lshlrev_b32_e32 v3, 24, v1
	v_and_b32_e32 v1, 0xffff, v1
	v_and_b32_e32 v5, 3, v1
	v_ffbh_u32_e32 v11, v5
	v_min_u32_e32 v11, 32, v11
	v_subrev_u32_e32 v13, 29, v11
	v_bfe_u32 v8, v1, 2, 5
	v_lshlrev_b32_e32 v1, v13, v1
	v_sub_u32_e32 v11, 30, v11
	v_and_b32_e32 v1, 3, v1
	v_cmp_eq_u32_e32 vcc, 0, v8
	v_cndmask_b32_e32 v8, v8, v11, vcc
	v_cndmask_b32_e32 v1, v5, v1, vcc
	v_mov_b32_e32 v5, 0x37800000
	v_lshlrev_b32_e32 v1, 21, v1
	v_and_b32_e32 v3, 0x80000000, v3
	v_lshl_add_u32 v5, v8, 23, v5
	v_or3_b32 v1, v3, v5, v1
	v_cvt_i32_f32_e32 v17, v1
.LBB167_2020:
	s_or_b64 exec, exec, s[6:7]
	s_mov_b64 s[6:7], 0
	s_branch .LBB167_2026
.LBB167_2021:
	s_mov_b64 s[6:7], -1
                                        ; implicit-def: $vgpr17
	s_branch .LBB167_2032
.LBB167_2022:
	s_andn2_saveexec_b64 s[16:17], s[16:17]
	s_cbranch_execz .LBB167_2007
.LBB167_2023:
	v_cmp_ne_u16_e32 vcc, 0, v1
	s_andn2_b64 s[18:19], s[18:19], exec
	s_and_b64 s[24:25], vcc, exec
	s_or_b64 s[18:19], s[18:19], s[24:25]
	s_or_b64 exec, exec, s[16:17]
	v_mov_b32_e32 v17, 0
	s_and_saveexec_b64 s[16:17], s[18:19]
	s_cbranch_execnz .LBB167_2008
	s_branch .LBB167_2009
.LBB167_2024:
	s_mov_b64 s[6:7], -1
                                        ; implicit-def: $vgpr17
	s_branch .LBB167_2029
.LBB167_2025:
	s_mov_b64 s[6:7], -1
                                        ; implicit-def: $vgpr17
.LBB167_2026:
	s_and_b64 vcc, exec, s[6:7]
	s_cbranch_vccz .LBB167_2028
; %bb.2027:
	global_load_ubyte v1, v[20:21], off
	s_mov_b32 s6, 0x7f800000
	s_waitcnt vmcnt(0)
	v_lshlrev_b32_e32 v1, 24, v1
	v_and_b32_e32 v3, 0x7f000000, v1
	v_ffbh_u32_e32 v5, v3
	v_min_u32_e32 v5, 32, v5
	v_sub_u32_e64 v5, v5, 4 clamp
	v_lshlrev_b32_e32 v11, v5, v3
	v_lshlrev_b32_e32 v5, 23, v5
	v_lshrrev_b32_e32 v11, 4, v11
	v_add_u32_e32 v8, 0x1000000, v3
	v_sub_u32_e32 v5, v11, v5
	v_ashrrev_i32_e32 v8, 8, v8
	v_add_u32_e32 v5, 0x3c000000, v5
	v_and_or_b32 v5, v8, s6, v5
	v_cmp_ne_u32_e32 vcc, 0, v3
	v_cndmask_b32_e32 v3, 0, v5, vcc
	s_brev_b32 s6, 1
	v_and_or_b32 v1, v1, s6, v3
	v_cvt_i32_f32_e32 v17, v1
.LBB167_2028:
	s_mov_b64 s[6:7], 0
.LBB167_2029:
	s_andn2_b64 vcc, exec, s[6:7]
	s_cbranch_vccnz .LBB167_2031
; %bb.2030:
	global_load_ubyte v1, v[20:21], off
	s_movk_i32 s6, 0x7f00
	s_brev_b32 s7, 16
	s_waitcnt vmcnt(0)
	v_lshlrev_b16_e32 v3, 8, v1
	v_lshlrev_b32_e32 v1, 25, v1
	v_lshrrev_b32_e32 v5, 4, v1
	v_and_or_b32 v8, v3, s6, 0.5
	v_or_b32_e32 v5, 0x70000000, v5
	v_add_f32_e32 v8, -0.5, v8
	v_mul_f32_e32 v5, 0x7800000, v5
	v_cmp_gt_u32_e32 vcc, s7, v1
	v_bfe_i32 v3, v3, 0, 16
	v_cndmask_b32_e32 v1, v5, v8, vcc
	s_brev_b32 s6, 1
	v_and_or_b32 v1, v3, s6, v1
	v_cvt_i32_f32_e32 v17, v1
.LBB167_2031:
	s_mov_b64 s[6:7], 0
	s_mov_b64 s[16:17], -1
.LBB167_2032:
	s_andn2_b64 vcc, exec, s[6:7]
	s_mov_b64 s[6:7], 0
	s_cbranch_vccnz .LBB167_2043
; %bb.2033:
	s_cmp_gt_i32 s21, 14
	s_cbranch_scc0 .LBB167_2036
; %bb.2034:
	s_cmp_eq_u32 s21, 15
	s_cbranch_scc0 .LBB167_2039
; %bb.2035:
	global_load_ushort v1, v[20:21], off
	s_mov_b64 s[2:3], 0
	s_mov_b64 s[16:17], -1
	s_waitcnt vmcnt(0)
	v_lshlrev_b32_e32 v1, 16, v1
	v_cvt_i32_f32_e32 v17, v1
	s_branch .LBB167_2040
.LBB167_2036:
	s_mov_b64 s[18:19], -1
                                        ; implicit-def: $vgpr17
	s_branch .LBB167_2041
.LBB167_2037:
	s_andn2_saveexec_b64 s[6:7], s[6:7]
	s_cbranch_execz .LBB167_2018
.LBB167_2038:
	v_cmp_ne_u16_e32 vcc, 0, v1
	s_andn2_b64 s[16:17], s[16:17], exec
	s_and_b64 s[18:19], vcc, exec
	s_or_b64 s[16:17], s[16:17], s[18:19]
	s_or_b64 exec, exec, s[6:7]
	v_mov_b32_e32 v17, 0
	s_and_saveexec_b64 s[6:7], s[16:17]
	s_cbranch_execnz .LBB167_2019
	s_branch .LBB167_2020
.LBB167_2039:
	s_mov_b64 s[2:3], -1
                                        ; implicit-def: $vgpr17
.LBB167_2040:
	s_mov_b64 s[18:19], 0
.LBB167_2041:
	s_and_b64 vcc, exec, s[18:19]
	s_cbranch_vccz .LBB167_2043
; %bb.2042:
	s_cmp_lg_u32 s21, 11
	s_mov_b64 s[6:7], -1
	s_cselect_b64 s[2:3], -1, 0
.LBB167_2043:
	s_and_b64 vcc, exec, s[2:3]
	s_cbranch_vccnz .LBB167_2108
; %bb.2044:
	s_andn2_b64 vcc, exec, s[6:7]
	s_cbranch_vccnz .LBB167_2046
.LBB167_2045:
	global_load_ubyte v1, v[20:21], off
	s_mov_b64 s[16:17], -1
	s_waitcnt vmcnt(0)
	v_cmp_ne_u16_e32 vcc, 0, v1
	v_cndmask_b32_e64 v17, 0, 1, vcc
.LBB167_2046:
	s_mov_b64 s[2:3], 0
.LBB167_2047:
	s_and_b64 vcc, exec, s[2:3]
	s_cbranch_vccz .LBB167_2096
; %bb.2048:
	s_cmp_lt_i32 s21, 5
	s_cbranch_scc1 .LBB167_2053
; %bb.2049:
	s_cmp_lt_i32 s21, 8
	s_cbranch_scc1 .LBB167_2054
	;; [unrolled: 3-line block ×3, first 2 shown]
; %bb.2051:
	s_cmp_gt_i32 s21, 9
	s_cbranch_scc0 .LBB167_2056
; %bb.2052:
	global_load_dwordx2 v[17:18], v[20:21], off
	s_mov_b64 s[2:3], 0
	s_waitcnt vmcnt(0)
	v_cvt_i32_f64_e32 v17, v[17:18]
	s_branch .LBB167_2057
.LBB167_2053:
	s_mov_b64 s[2:3], -1
                                        ; implicit-def: $vgpr17
	s_branch .LBB167_2075
.LBB167_2054:
	s_mov_b64 s[2:3], -1
                                        ; implicit-def: $vgpr17
	s_branch .LBB167_2063
.LBB167_2055:
	s_mov_b64 s[2:3], -1
                                        ; implicit-def: $vgpr17
	s_branch .LBB167_2060
.LBB167_2056:
	s_mov_b64 s[2:3], -1
                                        ; implicit-def: $vgpr17
.LBB167_2057:
	s_andn2_b64 vcc, exec, s[2:3]
	s_cbranch_vccnz .LBB167_2059
; %bb.2058:
	global_load_dword v1, v[20:21], off
	s_waitcnt vmcnt(0)
	v_cvt_i32_f32_e32 v17, v1
.LBB167_2059:
	s_mov_b64 s[2:3], 0
.LBB167_2060:
	s_andn2_b64 vcc, exec, s[2:3]
	s_cbranch_vccnz .LBB167_2062
; %bb.2061:
	global_load_dword v1, v[20:21], off
	s_waitcnt vmcnt(0)
	v_cvt_i16_f16_e32 v17, v1
.LBB167_2062:
	s_mov_b64 s[2:3], 0
.LBB167_2063:
	s_andn2_b64 vcc, exec, s[2:3]
	s_cbranch_vccnz .LBB167_2074
; %bb.2064:
	s_cmp_lt_i32 s21, 6
	s_cbranch_scc1 .LBB167_2067
; %bb.2065:
	s_cmp_gt_i32 s21, 6
	s_cbranch_scc0 .LBB167_2068
; %bb.2066:
	global_load_dwordx2 v[17:18], v[20:21], off
	s_mov_b64 s[2:3], 0
	s_waitcnt vmcnt(0)
	v_cvt_i32_f64_e32 v17, v[17:18]
	s_branch .LBB167_2069
.LBB167_2067:
	s_mov_b64 s[2:3], -1
                                        ; implicit-def: $vgpr17
	s_branch .LBB167_2072
.LBB167_2068:
	s_mov_b64 s[2:3], -1
                                        ; implicit-def: $vgpr17
.LBB167_2069:
	s_andn2_b64 vcc, exec, s[2:3]
	s_cbranch_vccnz .LBB167_2071
; %bb.2070:
	global_load_dword v1, v[20:21], off
	s_waitcnt vmcnt(0)
	v_cvt_i32_f32_e32 v17, v1
.LBB167_2071:
	s_mov_b64 s[2:3], 0
.LBB167_2072:
	s_andn2_b64 vcc, exec, s[2:3]
	s_cbranch_vccnz .LBB167_2074
; %bb.2073:
	global_load_ushort v1, v[20:21], off
	s_waitcnt vmcnt(0)
	v_cvt_i16_f16_e32 v17, v1
.LBB167_2074:
	s_mov_b64 s[2:3], 0
.LBB167_2075:
	s_andn2_b64 vcc, exec, s[2:3]
	s_cbranch_vccnz .LBB167_2095
; %bb.2076:
	s_cmp_lt_i32 s21, 2
	s_cbranch_scc1 .LBB167_2080
; %bb.2077:
	s_cmp_lt_i32 s21, 3
	s_cbranch_scc1 .LBB167_2081
; %bb.2078:
	s_cmp_gt_i32 s21, 3
	s_cbranch_scc0 .LBB167_2082
; %bb.2079:
	global_load_dwordx2 v[17:18], v[20:21], off
	s_mov_b64 s[2:3], 0
	s_branch .LBB167_2083
.LBB167_2080:
	s_mov_b64 s[2:3], -1
                                        ; implicit-def: $vgpr17
	s_branch .LBB167_2089
.LBB167_2081:
	s_mov_b64 s[2:3], -1
                                        ; implicit-def: $vgpr17
	s_branch .LBB167_2086
.LBB167_2082:
	s_mov_b64 s[2:3], -1
                                        ; implicit-def: $vgpr17
.LBB167_2083:
	s_andn2_b64 vcc, exec, s[2:3]
	s_cbranch_vccnz .LBB167_2085
; %bb.2084:
	global_load_dword v17, v[20:21], off
.LBB167_2085:
	s_mov_b64 s[2:3], 0
.LBB167_2086:
	s_andn2_b64 vcc, exec, s[2:3]
	s_cbranch_vccnz .LBB167_2088
; %bb.2087:
	global_load_ushort v17, v[20:21], off
.LBB167_2088:
	s_mov_b64 s[2:3], 0
.LBB167_2089:
	s_andn2_b64 vcc, exec, s[2:3]
	s_cbranch_vccnz .LBB167_2095
; %bb.2090:
	s_cmp_gt_i32 s21, 0
	s_cbranch_scc0 .LBB167_2092
; %bb.2091:
	global_load_ubyte v17, v[20:21], off
	s_mov_b64 s[2:3], 0
	s_branch .LBB167_2093
.LBB167_2092:
	s_mov_b64 s[2:3], -1
                                        ; implicit-def: $vgpr17
.LBB167_2093:
	s_andn2_b64 vcc, exec, s[2:3]
	s_cbranch_vccnz .LBB167_2095
; %bb.2094:
	global_load_ubyte v17, v[20:21], off
.LBB167_2095:
	s_mov_b64 s[16:17], -1
.LBB167_2096:
	s_andn2_b64 vcc, exec, s[16:17]
	s_cbranch_vccnz .LBB167_3036
; %bb.2097:
	v_mov_b32_e32 v1, s11
	v_add_co_u32_e32 v20, vcc, s10, v16
	s_cmp_lt_i32 s22, 11
	v_addc_co_u32_e32 v21, vcc, 0, v1, vcc
	s_cbranch_scc1 .LBB167_2104
; %bb.2098:
	s_and_b32 s23, 0xffff, s22
	s_cmp_gt_i32 s23, 25
	s_mov_b64 s[6:7], 0
	s_cbranch_scc0 .LBB167_2105
; %bb.2099:
	s_cmp_gt_i32 s23, 28
	s_cbranch_scc0 .LBB167_2106
; %bb.2100:
	s_cmp_gt_i32 s23, 43
	;; [unrolled: 3-line block ×3, first 2 shown]
	s_cbranch_scc0 .LBB167_2109
; %bb.2102:
	s_cmp_eq_u32 s23, 46
	s_mov_b64 s[18:19], 0
	s_cbranch_scc0 .LBB167_2110
; %bb.2103:
	global_load_dword v1, v[20:21], off
	s_mov_b64 s[2:3], 0
	s_mov_b64 s[16:17], -1
	s_waitcnt vmcnt(0)
	v_lshlrev_b32_e32 v1, 16, v1
	v_cvt_i32_f32_e32 v15, v1
	s_branch .LBB167_2111
.LBB167_2104:
	s_mov_b64 s[2:3], -1
	s_mov_b64 s[16:17], 0
                                        ; implicit-def: $vgpr15
	s_branch .LBB167_2173
.LBB167_2105:
	s_mov_b64 s[18:19], -1
	s_mov_b64 s[16:17], 0
	s_mov_b64 s[2:3], 0
                                        ; implicit-def: $vgpr15
	s_branch .LBB167_2138
.LBB167_2106:
	s_mov_b64 s[18:19], -1
	s_mov_b64 s[16:17], 0
	s_mov_b64 s[2:3], 0
                                        ; implicit-def: $vgpr15
	s_branch .LBB167_2121
.LBB167_2107:
	s_mov_b64 s[18:19], -1
	s_mov_b64 s[16:17], 0
	s_mov_b64 s[2:3], 0
                                        ; implicit-def: $vgpr15
	s_branch .LBB167_2116
.LBB167_2108:
	s_trap 2
	s_or_b64 s[4:5], s[4:5], exec
	s_cbranch_execz .LBB167_2045
	s_branch .LBB167_2046
.LBB167_2109:
	s_mov_b64 s[18:19], -1
	s_mov_b64 s[16:17], 0
	s_mov_b64 s[2:3], 0
                                        ; implicit-def: $vgpr15
	s_branch .LBB167_2111
.LBB167_2110:
	s_mov_b64 s[2:3], -1
                                        ; implicit-def: $vgpr15
	s_mov_b64 s[16:17], 0
.LBB167_2111:
	s_and_b64 vcc, exec, s[18:19]
	s_cbranch_vccz .LBB167_2115
; %bb.2112:
	s_cmp_eq_u32 s23, 44
	s_cbranch_scc0 .LBB167_2114
; %bb.2113:
	global_load_ubyte v1, v[20:21], off
	s_mov_b64 s[2:3], 0
	s_mov_b64 s[16:17], -1
	s_waitcnt vmcnt(0)
	v_lshlrev_b32_e32 v3, 23, v1
	v_cvt_i32_f32_e32 v3, v3
	v_cmp_ne_u32_e32 vcc, 0, v1
	v_cndmask_b32_e32 v15, 0, v3, vcc
	s_branch .LBB167_2115
.LBB167_2114:
	s_mov_b64 s[2:3], -1
                                        ; implicit-def: $vgpr15
.LBB167_2115:
	s_mov_b64 s[18:19], 0
.LBB167_2116:
	s_and_b64 vcc, exec, s[18:19]
	s_cbranch_vccz .LBB167_2120
; %bb.2117:
	s_cmp_eq_u32 s23, 29
	s_cbranch_scc0 .LBB167_2119
; %bb.2118:
	global_load_dwordx2 v[15:16], v[20:21], off
	s_mov_b64 s[2:3], 0
	s_mov_b64 s[16:17], -1
	s_branch .LBB167_2120
.LBB167_2119:
	s_mov_b64 s[2:3], -1
                                        ; implicit-def: $vgpr15
.LBB167_2120:
	s_mov_b64 s[18:19], 0
.LBB167_2121:
	s_and_b64 vcc, exec, s[18:19]
	s_cbranch_vccz .LBB167_2137
; %bb.2122:
	s_cmp_lt_i32 s23, 27
	s_cbranch_scc1 .LBB167_2125
; %bb.2123:
	s_cmp_gt_i32 s23, 27
	s_cbranch_scc0 .LBB167_2126
; %bb.2124:
	global_load_dword v15, v[20:21], off
	s_mov_b64 s[16:17], 0
	s_branch .LBB167_2127
.LBB167_2125:
	s_mov_b64 s[16:17], -1
                                        ; implicit-def: $vgpr15
	s_branch .LBB167_2130
.LBB167_2126:
	s_mov_b64 s[16:17], -1
                                        ; implicit-def: $vgpr15
.LBB167_2127:
	s_andn2_b64 vcc, exec, s[16:17]
	s_cbranch_vccnz .LBB167_2129
; %bb.2128:
	global_load_ushort v15, v[20:21], off
.LBB167_2129:
	s_mov_b64 s[16:17], 0
.LBB167_2130:
	s_andn2_b64 vcc, exec, s[16:17]
	s_cbranch_vccnz .LBB167_2136
; %bb.2131:
	global_load_ubyte v1, v[20:21], off
	s_movk_i32 s16, 0x7f
	s_mov_b64 s[18:19], 0
	s_waitcnt vmcnt(0)
	v_cmp_lt_i16_e32 vcc, s16, v1
	s_and_saveexec_b64 s[16:17], vcc
	s_xor_b64 s[16:17], exec, s[16:17]
	s_cbranch_execz .LBB167_2148
; %bb.2132:
	s_movk_i32 s18, 0x80
	v_cmp_ne_u16_e32 vcc, s18, v1
	s_and_b64 s[18:19], vcc, exec
	s_andn2_saveexec_b64 s[16:17], s[16:17]
	s_cbranch_execnz .LBB167_2149
.LBB167_2133:
	s_or_b64 exec, exec, s[16:17]
	v_mov_b32_e32 v15, 0
	s_and_saveexec_b64 s[16:17], s[18:19]
	s_cbranch_execz .LBB167_2135
.LBB167_2134:
	v_lshlrev_b32_e32 v3, 24, v1
	v_and_b32_e32 v1, 0xffff, v1
	v_and_b32_e32 v5, 7, v1
	v_ffbh_u32_e32 v11, v5
	v_min_u32_e32 v11, 32, v11
	v_subrev_u32_e32 v13, 28, v11
	v_bfe_u32 v8, v1, 3, 4
	v_lshlrev_b32_e32 v1, v13, v1
	v_sub_u32_e32 v11, 29, v11
	v_and_b32_e32 v1, 7, v1
	v_cmp_eq_u32_e32 vcc, 0, v8
	v_cndmask_b32_e32 v8, v8, v11, vcc
	v_cndmask_b32_e32 v1, v5, v1, vcc
	v_mov_b32_e32 v5, 0x3b800000
	v_lshlrev_b32_e32 v1, 20, v1
	v_and_b32_e32 v3, 0x80000000, v3
	v_lshl_add_u32 v5, v8, 23, v5
	v_or3_b32 v1, v3, v5, v1
	v_cvt_i32_f32_e32 v15, v1
.LBB167_2135:
	s_or_b64 exec, exec, s[16:17]
.LBB167_2136:
	s_mov_b64 s[16:17], -1
.LBB167_2137:
	s_mov_b64 s[18:19], 0
.LBB167_2138:
	s_and_b64 vcc, exec, s[18:19]
	s_cbranch_vccz .LBB167_2169
; %bb.2139:
	s_cmp_gt_i32 s23, 22
	s_cbranch_scc0 .LBB167_2147
; %bb.2140:
	s_cmp_lt_i32 s23, 24
	s_cbranch_scc1 .LBB167_2150
; %bb.2141:
	s_cmp_gt_i32 s23, 24
	s_cbranch_scc0 .LBB167_2151
; %bb.2142:
	global_load_ubyte v1, v[20:21], off
	s_movk_i32 s6, 0x7f
	s_mov_b64 s[16:17], 0
	s_waitcnt vmcnt(0)
	v_cmp_lt_i16_e32 vcc, s6, v1
	s_and_saveexec_b64 s[6:7], vcc
	s_xor_b64 s[6:7], exec, s[6:7]
	s_cbranch_execz .LBB167_2163
; %bb.2143:
	s_movk_i32 s16, 0x80
	v_cmp_ne_u16_e32 vcc, s16, v1
	s_and_b64 s[16:17], vcc, exec
	s_andn2_saveexec_b64 s[6:7], s[6:7]
	s_cbranch_execnz .LBB167_2164
.LBB167_2144:
	s_or_b64 exec, exec, s[6:7]
	v_mov_b32_e32 v15, 0
	s_and_saveexec_b64 s[6:7], s[16:17]
	s_cbranch_execz .LBB167_2146
.LBB167_2145:
	v_lshlrev_b32_e32 v3, 24, v1
	v_and_b32_e32 v1, 0xffff, v1
	v_and_b32_e32 v5, 3, v1
	v_ffbh_u32_e32 v11, v5
	v_min_u32_e32 v11, 32, v11
	v_subrev_u32_e32 v13, 29, v11
	v_bfe_u32 v8, v1, 2, 5
	v_lshlrev_b32_e32 v1, v13, v1
	v_sub_u32_e32 v11, 30, v11
	v_and_b32_e32 v1, 3, v1
	v_cmp_eq_u32_e32 vcc, 0, v8
	v_cndmask_b32_e32 v8, v8, v11, vcc
	v_cndmask_b32_e32 v1, v5, v1, vcc
	v_mov_b32_e32 v5, 0x37800000
	v_lshlrev_b32_e32 v1, 21, v1
	v_and_b32_e32 v3, 0x80000000, v3
	v_lshl_add_u32 v5, v8, 23, v5
	v_or3_b32 v1, v3, v5, v1
	v_cvt_i32_f32_e32 v15, v1
.LBB167_2146:
	s_or_b64 exec, exec, s[6:7]
	s_mov_b64 s[6:7], 0
	s_branch .LBB167_2152
.LBB167_2147:
	s_mov_b64 s[6:7], -1
                                        ; implicit-def: $vgpr15
	s_branch .LBB167_2158
.LBB167_2148:
	s_andn2_saveexec_b64 s[16:17], s[16:17]
	s_cbranch_execz .LBB167_2133
.LBB167_2149:
	v_cmp_ne_u16_e32 vcc, 0, v1
	s_andn2_b64 s[18:19], s[18:19], exec
	s_and_b64 s[24:25], vcc, exec
	s_or_b64 s[18:19], s[18:19], s[24:25]
	s_or_b64 exec, exec, s[16:17]
	v_mov_b32_e32 v15, 0
	s_and_saveexec_b64 s[16:17], s[18:19]
	s_cbranch_execnz .LBB167_2134
	s_branch .LBB167_2135
.LBB167_2150:
	s_mov_b64 s[6:7], -1
                                        ; implicit-def: $vgpr15
	s_branch .LBB167_2155
.LBB167_2151:
	s_mov_b64 s[6:7], -1
                                        ; implicit-def: $vgpr15
.LBB167_2152:
	s_and_b64 vcc, exec, s[6:7]
	s_cbranch_vccz .LBB167_2154
; %bb.2153:
	global_load_ubyte v1, v[20:21], off
	s_mov_b32 s6, 0x7f800000
	s_waitcnt vmcnt(0)
	v_lshlrev_b32_e32 v1, 24, v1
	v_and_b32_e32 v3, 0x7f000000, v1
	v_ffbh_u32_e32 v5, v3
	v_min_u32_e32 v5, 32, v5
	v_sub_u32_e64 v5, v5, 4 clamp
	v_lshlrev_b32_e32 v11, v5, v3
	v_lshlrev_b32_e32 v5, 23, v5
	v_lshrrev_b32_e32 v11, 4, v11
	v_add_u32_e32 v8, 0x1000000, v3
	v_sub_u32_e32 v5, v11, v5
	v_ashrrev_i32_e32 v8, 8, v8
	v_add_u32_e32 v5, 0x3c000000, v5
	v_and_or_b32 v5, v8, s6, v5
	v_cmp_ne_u32_e32 vcc, 0, v3
	v_cndmask_b32_e32 v3, 0, v5, vcc
	s_brev_b32 s6, 1
	v_and_or_b32 v1, v1, s6, v3
	v_cvt_i32_f32_e32 v15, v1
.LBB167_2154:
	s_mov_b64 s[6:7], 0
.LBB167_2155:
	s_andn2_b64 vcc, exec, s[6:7]
	s_cbranch_vccnz .LBB167_2157
; %bb.2156:
	global_load_ubyte v1, v[20:21], off
	s_movk_i32 s6, 0x7f00
	s_brev_b32 s7, 16
	s_waitcnt vmcnt(0)
	v_lshlrev_b16_e32 v3, 8, v1
	v_lshlrev_b32_e32 v1, 25, v1
	v_lshrrev_b32_e32 v5, 4, v1
	v_and_or_b32 v8, v3, s6, 0.5
	v_or_b32_e32 v5, 0x70000000, v5
	v_add_f32_e32 v8, -0.5, v8
	v_mul_f32_e32 v5, 0x7800000, v5
	v_cmp_gt_u32_e32 vcc, s7, v1
	v_bfe_i32 v3, v3, 0, 16
	v_cndmask_b32_e32 v1, v5, v8, vcc
	s_brev_b32 s6, 1
	v_and_or_b32 v1, v3, s6, v1
	v_cvt_i32_f32_e32 v15, v1
.LBB167_2157:
	s_mov_b64 s[6:7], 0
	s_mov_b64 s[16:17], -1
.LBB167_2158:
	s_andn2_b64 vcc, exec, s[6:7]
	s_mov_b64 s[6:7], 0
	s_cbranch_vccnz .LBB167_2169
; %bb.2159:
	s_cmp_gt_i32 s23, 14
	s_cbranch_scc0 .LBB167_2162
; %bb.2160:
	s_cmp_eq_u32 s23, 15
	s_cbranch_scc0 .LBB167_2165
; %bb.2161:
	global_load_ushort v1, v[20:21], off
	s_mov_b64 s[2:3], 0
	s_mov_b64 s[16:17], -1
	s_waitcnt vmcnt(0)
	v_lshlrev_b32_e32 v1, 16, v1
	v_cvt_i32_f32_e32 v15, v1
	s_branch .LBB167_2166
.LBB167_2162:
	s_mov_b64 s[18:19], -1
                                        ; implicit-def: $vgpr15
	s_branch .LBB167_2167
.LBB167_2163:
	s_andn2_saveexec_b64 s[6:7], s[6:7]
	s_cbranch_execz .LBB167_2144
.LBB167_2164:
	v_cmp_ne_u16_e32 vcc, 0, v1
	s_andn2_b64 s[16:17], s[16:17], exec
	s_and_b64 s[18:19], vcc, exec
	s_or_b64 s[16:17], s[16:17], s[18:19]
	s_or_b64 exec, exec, s[6:7]
	v_mov_b32_e32 v15, 0
	s_and_saveexec_b64 s[6:7], s[16:17]
	s_cbranch_execnz .LBB167_2145
	s_branch .LBB167_2146
.LBB167_2165:
	s_mov_b64 s[2:3], -1
                                        ; implicit-def: $vgpr15
.LBB167_2166:
	s_mov_b64 s[18:19], 0
.LBB167_2167:
	s_and_b64 vcc, exec, s[18:19]
	s_cbranch_vccz .LBB167_2169
; %bb.2168:
	s_cmp_lg_u32 s23, 11
	s_mov_b64 s[6:7], -1
	s_cselect_b64 s[2:3], -1, 0
.LBB167_2169:
	s_and_b64 vcc, exec, s[2:3]
	s_cbranch_vccnz .LBB167_2234
; %bb.2170:
	s_andn2_b64 vcc, exec, s[6:7]
	s_cbranch_vccnz .LBB167_2172
.LBB167_2171:
	global_load_ubyte v1, v[20:21], off
	s_mov_b64 s[16:17], -1
	s_waitcnt vmcnt(0)
	v_cmp_ne_u16_e32 vcc, 0, v1
	v_cndmask_b32_e64 v15, 0, 1, vcc
.LBB167_2172:
	s_mov_b64 s[2:3], 0
.LBB167_2173:
	s_and_b64 vcc, exec, s[2:3]
	s_cbranch_vccz .LBB167_2222
; %bb.2174:
	s_and_b32 s6, 0xffff, s22
	s_cmp_lt_i32 s6, 5
	s_cbranch_scc1 .LBB167_2179
; %bb.2175:
	s_cmp_lt_i32 s6, 8
	s_cbranch_scc1 .LBB167_2180
; %bb.2176:
	;; [unrolled: 3-line block ×3, first 2 shown]
	s_cmp_gt_i32 s6, 9
	s_cbranch_scc0 .LBB167_2182
; %bb.2178:
	global_load_dwordx2 v[15:16], v[20:21], off
	s_mov_b64 s[2:3], 0
	s_waitcnt vmcnt(0)
	v_cvt_i32_f64_e32 v15, v[15:16]
	s_branch .LBB167_2183
.LBB167_2179:
	s_mov_b64 s[2:3], -1
                                        ; implicit-def: $vgpr15
	s_branch .LBB167_2201
.LBB167_2180:
	s_mov_b64 s[2:3], -1
                                        ; implicit-def: $vgpr15
	s_branch .LBB167_2189
.LBB167_2181:
	s_mov_b64 s[2:3], -1
                                        ; implicit-def: $vgpr15
	s_branch .LBB167_2186
.LBB167_2182:
	s_mov_b64 s[2:3], -1
                                        ; implicit-def: $vgpr15
.LBB167_2183:
	s_andn2_b64 vcc, exec, s[2:3]
	s_cbranch_vccnz .LBB167_2185
; %bb.2184:
	global_load_dword v1, v[20:21], off
	s_waitcnt vmcnt(0)
	v_cvt_i32_f32_e32 v15, v1
.LBB167_2185:
	s_mov_b64 s[2:3], 0
.LBB167_2186:
	s_andn2_b64 vcc, exec, s[2:3]
	s_cbranch_vccnz .LBB167_2188
; %bb.2187:
	global_load_dword v1, v[20:21], off
	s_waitcnt vmcnt(0)
	v_cvt_i16_f16_e32 v15, v1
.LBB167_2188:
	s_mov_b64 s[2:3], 0
.LBB167_2189:
	s_andn2_b64 vcc, exec, s[2:3]
	s_cbranch_vccnz .LBB167_2200
; %bb.2190:
	s_cmp_lt_i32 s6, 6
	s_cbranch_scc1 .LBB167_2193
; %bb.2191:
	s_cmp_gt_i32 s6, 6
	s_cbranch_scc0 .LBB167_2194
; %bb.2192:
	global_load_dwordx2 v[15:16], v[20:21], off
	s_mov_b64 s[2:3], 0
	s_waitcnt vmcnt(0)
	v_cvt_i32_f64_e32 v15, v[15:16]
	s_branch .LBB167_2195
.LBB167_2193:
	s_mov_b64 s[2:3], -1
                                        ; implicit-def: $vgpr15
	s_branch .LBB167_2198
.LBB167_2194:
	s_mov_b64 s[2:3], -1
                                        ; implicit-def: $vgpr15
.LBB167_2195:
	s_andn2_b64 vcc, exec, s[2:3]
	s_cbranch_vccnz .LBB167_2197
; %bb.2196:
	global_load_dword v1, v[20:21], off
	s_waitcnt vmcnt(0)
	v_cvt_i32_f32_e32 v15, v1
.LBB167_2197:
	s_mov_b64 s[2:3], 0
.LBB167_2198:
	s_andn2_b64 vcc, exec, s[2:3]
	s_cbranch_vccnz .LBB167_2200
; %bb.2199:
	global_load_ushort v1, v[20:21], off
	s_waitcnt vmcnt(0)
	v_cvt_i16_f16_e32 v15, v1
.LBB167_2200:
	s_mov_b64 s[2:3], 0
.LBB167_2201:
	s_andn2_b64 vcc, exec, s[2:3]
	s_cbranch_vccnz .LBB167_2221
; %bb.2202:
	s_cmp_lt_i32 s6, 2
	s_cbranch_scc1 .LBB167_2206
; %bb.2203:
	s_cmp_lt_i32 s6, 3
	s_cbranch_scc1 .LBB167_2207
; %bb.2204:
	s_cmp_gt_i32 s6, 3
	s_cbranch_scc0 .LBB167_2208
; %bb.2205:
	global_load_dwordx2 v[15:16], v[20:21], off
	s_mov_b64 s[2:3], 0
	s_branch .LBB167_2209
.LBB167_2206:
	s_mov_b64 s[2:3], -1
                                        ; implicit-def: $vgpr15
	s_branch .LBB167_2215
.LBB167_2207:
	s_mov_b64 s[2:3], -1
                                        ; implicit-def: $vgpr15
	s_branch .LBB167_2212
.LBB167_2208:
	s_mov_b64 s[2:3], -1
                                        ; implicit-def: $vgpr15
.LBB167_2209:
	s_andn2_b64 vcc, exec, s[2:3]
	s_cbranch_vccnz .LBB167_2211
; %bb.2210:
	global_load_dword v15, v[20:21], off
.LBB167_2211:
	s_mov_b64 s[2:3], 0
.LBB167_2212:
	s_andn2_b64 vcc, exec, s[2:3]
	s_cbranch_vccnz .LBB167_2214
; %bb.2213:
	global_load_ushort v15, v[20:21], off
.LBB167_2214:
	s_mov_b64 s[2:3], 0
.LBB167_2215:
	s_andn2_b64 vcc, exec, s[2:3]
	s_cbranch_vccnz .LBB167_2221
; %bb.2216:
	s_cmp_gt_i32 s6, 0
	s_cbranch_scc0 .LBB167_2218
; %bb.2217:
	global_load_ubyte v15, v[20:21], off
	s_mov_b64 s[2:3], 0
	s_branch .LBB167_2219
.LBB167_2218:
	s_mov_b64 s[2:3], -1
                                        ; implicit-def: $vgpr15
.LBB167_2219:
	s_andn2_b64 vcc, exec, s[2:3]
	s_cbranch_vccnz .LBB167_2221
; %bb.2220:
	global_load_ubyte v15, v[20:21], off
.LBB167_2221:
	s_mov_b64 s[16:17], -1
.LBB167_2222:
	s_andn2_b64 vcc, exec, s[16:17]
	s_cbranch_vccnz .LBB167_3036
; %bb.2223:
	v_mov_b32_e32 v1, s1
	v_add_co_u32_e32 v20, vcc, s0, v19
	s_cmp_lt_i32 s21, 11
	v_addc_co_u32_e32 v21, vcc, 0, v1, vcc
	s_cbranch_scc1 .LBB167_2230
; %bb.2224:
	s_cmp_gt_i32 s21, 25
	s_mov_b64 s[6:7], 0
	s_cbranch_scc0 .LBB167_2231
; %bb.2225:
	s_cmp_gt_i32 s21, 28
	s_cbranch_scc0 .LBB167_2232
; %bb.2226:
	s_cmp_gt_i32 s21, 43
	;; [unrolled: 3-line block ×3, first 2 shown]
	s_cbranch_scc0 .LBB167_2235
; %bb.2228:
	s_cmp_eq_u32 s21, 46
	s_mov_b64 s[18:19], 0
	s_cbranch_scc0 .LBB167_2238
; %bb.2229:
	global_load_dword v1, v[20:21], off
	s_mov_b64 s[2:3], 0
	s_mov_b64 s[16:17], -1
	s_waitcnt vmcnt(0)
	v_lshlrev_b32_e32 v1, 16, v1
	v_cvt_i32_f32_e32 v18, v1
	s_branch .LBB167_2239
.LBB167_2230:
	s_mov_b64 s[2:3], -1
	s_mov_b64 s[16:17], 0
                                        ; implicit-def: $vgpr18
	s_branch .LBB167_2301
.LBB167_2231:
	s_mov_b64 s[18:19], -1
	s_mov_b64 s[16:17], 0
	s_mov_b64 s[2:3], 0
                                        ; implicit-def: $vgpr18
	s_branch .LBB167_2266
.LBB167_2232:
	s_mov_b64 s[18:19], -1
	s_mov_b64 s[16:17], 0
	s_mov_b64 s[2:3], 0
                                        ; implicit-def: $vgpr18
	s_branch .LBB167_2249
.LBB167_2233:
	s_mov_b64 s[18:19], -1
	s_mov_b64 s[16:17], 0
	s_mov_b64 s[2:3], 0
                                        ; implicit-def: $vgpr18
	s_branch .LBB167_2244
.LBB167_2234:
	s_trap 2
	s_or_b64 s[4:5], s[4:5], exec
	s_cbranch_execz .LBB167_2171
	s_branch .LBB167_2172
.LBB167_2235:
	s_mov_b64 s[18:19], -1
	s_mov_b64 s[16:17], 0
	s_mov_b64 s[2:3], 0
                                        ; implicit-def: $vgpr18
	s_branch .LBB167_2239
.LBB167_2236:
	s_andn2_saveexec_b64 s[62:63], s[62:63]
	s_cbranch_execz .LBB167_1095
.LBB167_2237:
	s_mov_b32 s67, 0x42800000
	v_add_f32_e64 v4, |v3|, s67
	v_and_b32_e32 v4, 0xff, v4
	v_cmp_ne_u32_e32 vcc, 0, v4
	s_andn2_b64 s[60:61], s[60:61], exec
	s_and_b64 s[74:75], vcc, exec
	s_or_b64 s[60:61], s[60:61], s[74:75]
	s_or_b64 exec, exec, s[62:63]
	v_mov_b32_e32 v5, 0
	s_and_saveexec_b64 s[62:63], s[60:61]
	s_cbranch_execnz .LBB167_1096
	s_branch .LBB167_1097
.LBB167_2238:
	s_mov_b64 s[2:3], -1
                                        ; implicit-def: $vgpr18
	s_mov_b64 s[16:17], 0
.LBB167_2239:
	s_and_b64 vcc, exec, s[18:19]
	s_cbranch_vccz .LBB167_2243
; %bb.2240:
	s_cmp_eq_u32 s21, 44
	s_cbranch_scc0 .LBB167_2242
; %bb.2241:
	global_load_ubyte v1, v[20:21], off
	s_mov_b64 s[2:3], 0
	s_mov_b64 s[16:17], -1
	s_waitcnt vmcnt(0)
	v_lshlrev_b32_e32 v3, 23, v1
	v_cvt_i32_f32_e32 v3, v3
	v_cmp_ne_u32_e32 vcc, 0, v1
	v_cndmask_b32_e32 v18, 0, v3, vcc
	s_branch .LBB167_2243
.LBB167_2242:
	s_mov_b64 s[2:3], -1
                                        ; implicit-def: $vgpr18
.LBB167_2243:
	s_mov_b64 s[18:19], 0
.LBB167_2244:
	s_and_b64 vcc, exec, s[18:19]
	s_cbranch_vccz .LBB167_2248
; %bb.2245:
	s_cmp_eq_u32 s21, 29
	s_cbranch_scc0 .LBB167_2247
; %bb.2246:
	global_load_dwordx2 v[18:19], v[20:21], off
	s_mov_b64 s[2:3], 0
	s_mov_b64 s[16:17], -1
	s_branch .LBB167_2248
.LBB167_2247:
	s_mov_b64 s[2:3], -1
                                        ; implicit-def: $vgpr18
.LBB167_2248:
	s_mov_b64 s[18:19], 0
.LBB167_2249:
	s_and_b64 vcc, exec, s[18:19]
	s_cbranch_vccz .LBB167_2265
; %bb.2250:
	s_cmp_lt_i32 s21, 27
	s_cbranch_scc1 .LBB167_2253
; %bb.2251:
	s_cmp_gt_i32 s21, 27
	s_cbranch_scc0 .LBB167_2254
; %bb.2252:
	global_load_dword v18, v[20:21], off
	s_mov_b64 s[16:17], 0
	s_branch .LBB167_2255
.LBB167_2253:
	s_mov_b64 s[16:17], -1
                                        ; implicit-def: $vgpr18
	s_branch .LBB167_2258
.LBB167_2254:
	s_mov_b64 s[16:17], -1
                                        ; implicit-def: $vgpr18
.LBB167_2255:
	s_andn2_b64 vcc, exec, s[16:17]
	s_cbranch_vccnz .LBB167_2257
; %bb.2256:
	global_load_ushort v18, v[20:21], off
.LBB167_2257:
	s_mov_b64 s[16:17], 0
.LBB167_2258:
	s_andn2_b64 vcc, exec, s[16:17]
	s_cbranch_vccnz .LBB167_2264
; %bb.2259:
	global_load_ubyte v1, v[20:21], off
	s_movk_i32 s16, 0x7f
	s_mov_b64 s[18:19], 0
	s_waitcnt vmcnt(0)
	v_cmp_lt_i16_e32 vcc, s16, v1
	s_and_saveexec_b64 s[16:17], vcc
	s_xor_b64 s[16:17], exec, s[16:17]
	s_cbranch_execz .LBB167_2276
; %bb.2260:
	s_movk_i32 s18, 0x80
	v_cmp_ne_u16_e32 vcc, s18, v1
	s_and_b64 s[18:19], vcc, exec
	s_andn2_saveexec_b64 s[16:17], s[16:17]
	s_cbranch_execnz .LBB167_2277
.LBB167_2261:
	s_or_b64 exec, exec, s[16:17]
	v_mov_b32_e32 v18, 0
	s_and_saveexec_b64 s[16:17], s[18:19]
	s_cbranch_execz .LBB167_2263
.LBB167_2262:
	v_lshlrev_b32_e32 v3, 24, v1
	v_and_b32_e32 v1, 0xffff, v1
	v_and_b32_e32 v5, 7, v1
	v_ffbh_u32_e32 v11, v5
	v_min_u32_e32 v11, 32, v11
	v_subrev_u32_e32 v13, 28, v11
	v_bfe_u32 v8, v1, 3, 4
	v_lshlrev_b32_e32 v1, v13, v1
	v_sub_u32_e32 v11, 29, v11
	v_and_b32_e32 v1, 7, v1
	v_cmp_eq_u32_e32 vcc, 0, v8
	v_cndmask_b32_e32 v8, v8, v11, vcc
	v_cndmask_b32_e32 v1, v5, v1, vcc
	v_mov_b32_e32 v5, 0x3b800000
	v_lshlrev_b32_e32 v1, 20, v1
	v_and_b32_e32 v3, 0x80000000, v3
	v_lshl_add_u32 v5, v8, 23, v5
	v_or3_b32 v1, v3, v5, v1
	v_cvt_i32_f32_e32 v18, v1
.LBB167_2263:
	s_or_b64 exec, exec, s[16:17]
.LBB167_2264:
	s_mov_b64 s[16:17], -1
.LBB167_2265:
	s_mov_b64 s[18:19], 0
.LBB167_2266:
	s_and_b64 vcc, exec, s[18:19]
	s_cbranch_vccz .LBB167_2297
; %bb.2267:
	s_cmp_gt_i32 s21, 22
	s_cbranch_scc0 .LBB167_2275
; %bb.2268:
	s_cmp_lt_i32 s21, 24
	s_cbranch_scc1 .LBB167_2278
; %bb.2269:
	s_cmp_gt_i32 s21, 24
	s_cbranch_scc0 .LBB167_2279
; %bb.2270:
	global_load_ubyte v1, v[20:21], off
	s_movk_i32 s6, 0x7f
	s_mov_b64 s[16:17], 0
	s_waitcnt vmcnt(0)
	v_cmp_lt_i16_e32 vcc, s6, v1
	s_and_saveexec_b64 s[6:7], vcc
	s_xor_b64 s[6:7], exec, s[6:7]
	s_cbranch_execz .LBB167_2291
; %bb.2271:
	s_movk_i32 s16, 0x80
	v_cmp_ne_u16_e32 vcc, s16, v1
	s_and_b64 s[16:17], vcc, exec
	s_andn2_saveexec_b64 s[6:7], s[6:7]
	s_cbranch_execnz .LBB167_2292
.LBB167_2272:
	s_or_b64 exec, exec, s[6:7]
	v_mov_b32_e32 v18, 0
	s_and_saveexec_b64 s[6:7], s[16:17]
	s_cbranch_execz .LBB167_2274
.LBB167_2273:
	v_lshlrev_b32_e32 v3, 24, v1
	v_and_b32_e32 v1, 0xffff, v1
	v_and_b32_e32 v5, 3, v1
	v_ffbh_u32_e32 v11, v5
	v_min_u32_e32 v11, 32, v11
	v_subrev_u32_e32 v13, 29, v11
	v_bfe_u32 v8, v1, 2, 5
	v_lshlrev_b32_e32 v1, v13, v1
	v_sub_u32_e32 v11, 30, v11
	v_and_b32_e32 v1, 3, v1
	v_cmp_eq_u32_e32 vcc, 0, v8
	v_cndmask_b32_e32 v8, v8, v11, vcc
	v_cndmask_b32_e32 v1, v5, v1, vcc
	v_mov_b32_e32 v5, 0x37800000
	v_lshlrev_b32_e32 v1, 21, v1
	v_and_b32_e32 v3, 0x80000000, v3
	v_lshl_add_u32 v5, v8, 23, v5
	v_or3_b32 v1, v3, v5, v1
	v_cvt_i32_f32_e32 v18, v1
.LBB167_2274:
	s_or_b64 exec, exec, s[6:7]
	s_mov_b64 s[6:7], 0
	s_branch .LBB167_2280
.LBB167_2275:
	s_mov_b64 s[6:7], -1
                                        ; implicit-def: $vgpr18
	s_branch .LBB167_2286
.LBB167_2276:
	s_andn2_saveexec_b64 s[16:17], s[16:17]
	s_cbranch_execz .LBB167_2261
.LBB167_2277:
	v_cmp_ne_u16_e32 vcc, 0, v1
	s_andn2_b64 s[18:19], s[18:19], exec
	s_and_b64 s[24:25], vcc, exec
	s_or_b64 s[18:19], s[18:19], s[24:25]
	s_or_b64 exec, exec, s[16:17]
	v_mov_b32_e32 v18, 0
	s_and_saveexec_b64 s[16:17], s[18:19]
	s_cbranch_execnz .LBB167_2262
	s_branch .LBB167_2263
.LBB167_2278:
	s_mov_b64 s[6:7], -1
                                        ; implicit-def: $vgpr18
	s_branch .LBB167_2283
.LBB167_2279:
	s_mov_b64 s[6:7], -1
                                        ; implicit-def: $vgpr18
.LBB167_2280:
	s_and_b64 vcc, exec, s[6:7]
	s_cbranch_vccz .LBB167_2282
; %bb.2281:
	global_load_ubyte v1, v[20:21], off
	s_mov_b32 s6, 0x7f800000
	s_waitcnt vmcnt(0)
	v_lshlrev_b32_e32 v1, 24, v1
	v_and_b32_e32 v3, 0x7f000000, v1
	v_ffbh_u32_e32 v5, v3
	v_min_u32_e32 v5, 32, v5
	v_sub_u32_e64 v5, v5, 4 clamp
	v_lshlrev_b32_e32 v11, v5, v3
	v_lshlrev_b32_e32 v5, 23, v5
	v_lshrrev_b32_e32 v11, 4, v11
	v_add_u32_e32 v8, 0x1000000, v3
	v_sub_u32_e32 v5, v11, v5
	v_ashrrev_i32_e32 v8, 8, v8
	v_add_u32_e32 v5, 0x3c000000, v5
	v_and_or_b32 v5, v8, s6, v5
	v_cmp_ne_u32_e32 vcc, 0, v3
	v_cndmask_b32_e32 v3, 0, v5, vcc
	s_brev_b32 s6, 1
	v_and_or_b32 v1, v1, s6, v3
	v_cvt_i32_f32_e32 v18, v1
.LBB167_2282:
	s_mov_b64 s[6:7], 0
.LBB167_2283:
	s_andn2_b64 vcc, exec, s[6:7]
	s_cbranch_vccnz .LBB167_2285
; %bb.2284:
	global_load_ubyte v1, v[20:21], off
	s_movk_i32 s6, 0x7f00
	s_brev_b32 s7, 16
	s_waitcnt vmcnt(0)
	v_lshlrev_b16_e32 v3, 8, v1
	v_lshlrev_b32_e32 v1, 25, v1
	v_lshrrev_b32_e32 v5, 4, v1
	v_and_or_b32 v8, v3, s6, 0.5
	v_or_b32_e32 v5, 0x70000000, v5
	v_add_f32_e32 v8, -0.5, v8
	v_mul_f32_e32 v5, 0x7800000, v5
	v_cmp_gt_u32_e32 vcc, s7, v1
	v_bfe_i32 v3, v3, 0, 16
	v_cndmask_b32_e32 v1, v5, v8, vcc
	s_brev_b32 s6, 1
	v_and_or_b32 v1, v3, s6, v1
	v_cvt_i32_f32_e32 v18, v1
.LBB167_2285:
	s_mov_b64 s[6:7], 0
	s_mov_b64 s[16:17], -1
.LBB167_2286:
	s_andn2_b64 vcc, exec, s[6:7]
	s_mov_b64 s[6:7], 0
	s_cbranch_vccnz .LBB167_2297
; %bb.2287:
	s_cmp_gt_i32 s21, 14
	s_cbranch_scc0 .LBB167_2290
; %bb.2288:
	s_cmp_eq_u32 s21, 15
	s_cbranch_scc0 .LBB167_2293
; %bb.2289:
	global_load_ushort v1, v[20:21], off
	s_mov_b64 s[2:3], 0
	s_mov_b64 s[16:17], -1
	s_waitcnt vmcnt(0)
	v_lshlrev_b32_e32 v1, 16, v1
	v_cvt_i32_f32_e32 v18, v1
	s_branch .LBB167_2294
.LBB167_2290:
	s_mov_b64 s[18:19], -1
                                        ; implicit-def: $vgpr18
	s_branch .LBB167_2295
.LBB167_2291:
	s_andn2_saveexec_b64 s[6:7], s[6:7]
	s_cbranch_execz .LBB167_2272
.LBB167_2292:
	v_cmp_ne_u16_e32 vcc, 0, v1
	s_andn2_b64 s[16:17], s[16:17], exec
	s_and_b64 s[18:19], vcc, exec
	s_or_b64 s[16:17], s[16:17], s[18:19]
	s_or_b64 exec, exec, s[6:7]
	v_mov_b32_e32 v18, 0
	s_and_saveexec_b64 s[6:7], s[16:17]
	s_cbranch_execnz .LBB167_2273
	s_branch .LBB167_2274
.LBB167_2293:
	s_mov_b64 s[2:3], -1
                                        ; implicit-def: $vgpr18
.LBB167_2294:
	s_mov_b64 s[18:19], 0
.LBB167_2295:
	s_and_b64 vcc, exec, s[18:19]
	s_cbranch_vccz .LBB167_2297
; %bb.2296:
	s_cmp_lg_u32 s21, 11
	s_mov_b64 s[6:7], -1
	s_cselect_b64 s[2:3], -1, 0
.LBB167_2297:
	s_and_b64 vcc, exec, s[2:3]
	s_cbranch_vccnz .LBB167_2362
; %bb.2298:
	s_andn2_b64 vcc, exec, s[6:7]
	s_cbranch_vccnz .LBB167_2300
.LBB167_2299:
	global_load_ubyte v1, v[20:21], off
	s_mov_b64 s[16:17], -1
	s_waitcnt vmcnt(0)
	v_cmp_ne_u16_e32 vcc, 0, v1
	v_cndmask_b32_e64 v18, 0, 1, vcc
.LBB167_2300:
	s_mov_b64 s[2:3], 0
.LBB167_2301:
	s_and_b64 vcc, exec, s[2:3]
	s_cbranch_vccz .LBB167_2350
; %bb.2302:
	s_cmp_lt_i32 s21, 5
	s_cbranch_scc1 .LBB167_2307
; %bb.2303:
	s_cmp_lt_i32 s21, 8
	s_cbranch_scc1 .LBB167_2308
	;; [unrolled: 3-line block ×3, first 2 shown]
; %bb.2305:
	s_cmp_gt_i32 s21, 9
	s_cbranch_scc0 .LBB167_2310
; %bb.2306:
	global_load_dwordx2 v[18:19], v[20:21], off
	s_mov_b64 s[2:3], 0
	s_waitcnt vmcnt(0)
	v_cvt_i32_f64_e32 v18, v[18:19]
	s_branch .LBB167_2311
.LBB167_2307:
	s_mov_b64 s[2:3], -1
                                        ; implicit-def: $vgpr18
	s_branch .LBB167_2329
.LBB167_2308:
	s_mov_b64 s[2:3], -1
                                        ; implicit-def: $vgpr18
	s_branch .LBB167_2317
.LBB167_2309:
	s_mov_b64 s[2:3], -1
                                        ; implicit-def: $vgpr18
	s_branch .LBB167_2314
.LBB167_2310:
	s_mov_b64 s[2:3], -1
                                        ; implicit-def: $vgpr18
.LBB167_2311:
	s_andn2_b64 vcc, exec, s[2:3]
	s_cbranch_vccnz .LBB167_2313
; %bb.2312:
	global_load_dword v1, v[20:21], off
	s_waitcnt vmcnt(0)
	v_cvt_i32_f32_e32 v18, v1
.LBB167_2313:
	s_mov_b64 s[2:3], 0
.LBB167_2314:
	s_andn2_b64 vcc, exec, s[2:3]
	s_cbranch_vccnz .LBB167_2316
; %bb.2315:
	global_load_dword v1, v[20:21], off
	s_waitcnt vmcnt(0)
	v_cvt_i16_f16_e32 v18, v1
.LBB167_2316:
	s_mov_b64 s[2:3], 0
.LBB167_2317:
	s_andn2_b64 vcc, exec, s[2:3]
	s_cbranch_vccnz .LBB167_2328
; %bb.2318:
	s_cmp_lt_i32 s21, 6
	s_cbranch_scc1 .LBB167_2321
; %bb.2319:
	s_cmp_gt_i32 s21, 6
	s_cbranch_scc0 .LBB167_2322
; %bb.2320:
	global_load_dwordx2 v[18:19], v[20:21], off
	s_mov_b64 s[2:3], 0
	s_waitcnt vmcnt(0)
	v_cvt_i32_f64_e32 v18, v[18:19]
	s_branch .LBB167_2323
.LBB167_2321:
	s_mov_b64 s[2:3], -1
                                        ; implicit-def: $vgpr18
	s_branch .LBB167_2326
.LBB167_2322:
	s_mov_b64 s[2:3], -1
                                        ; implicit-def: $vgpr18
.LBB167_2323:
	s_andn2_b64 vcc, exec, s[2:3]
	s_cbranch_vccnz .LBB167_2325
; %bb.2324:
	global_load_dword v1, v[20:21], off
	s_waitcnt vmcnt(0)
	v_cvt_i32_f32_e32 v18, v1
.LBB167_2325:
	s_mov_b64 s[2:3], 0
.LBB167_2326:
	s_andn2_b64 vcc, exec, s[2:3]
	s_cbranch_vccnz .LBB167_2328
; %bb.2327:
	global_load_ushort v1, v[20:21], off
	s_waitcnt vmcnt(0)
	v_cvt_i16_f16_e32 v18, v1
.LBB167_2328:
	s_mov_b64 s[2:3], 0
.LBB167_2329:
	s_andn2_b64 vcc, exec, s[2:3]
	s_cbranch_vccnz .LBB167_2349
; %bb.2330:
	s_cmp_lt_i32 s21, 2
	s_cbranch_scc1 .LBB167_2334
; %bb.2331:
	s_cmp_lt_i32 s21, 3
	s_cbranch_scc1 .LBB167_2335
; %bb.2332:
	s_cmp_gt_i32 s21, 3
	s_cbranch_scc0 .LBB167_2336
; %bb.2333:
	global_load_dwordx2 v[18:19], v[20:21], off
	s_mov_b64 s[2:3], 0
	s_branch .LBB167_2337
.LBB167_2334:
	s_mov_b64 s[2:3], -1
                                        ; implicit-def: $vgpr18
	s_branch .LBB167_2343
.LBB167_2335:
	s_mov_b64 s[2:3], -1
                                        ; implicit-def: $vgpr18
	s_branch .LBB167_2340
.LBB167_2336:
	s_mov_b64 s[2:3], -1
                                        ; implicit-def: $vgpr18
.LBB167_2337:
	s_andn2_b64 vcc, exec, s[2:3]
	s_cbranch_vccnz .LBB167_2339
; %bb.2338:
	global_load_dword v18, v[20:21], off
.LBB167_2339:
	s_mov_b64 s[2:3], 0
.LBB167_2340:
	s_andn2_b64 vcc, exec, s[2:3]
	s_cbranch_vccnz .LBB167_2342
; %bb.2341:
	global_load_ushort v18, v[20:21], off
.LBB167_2342:
	s_mov_b64 s[2:3], 0
.LBB167_2343:
	s_andn2_b64 vcc, exec, s[2:3]
	s_cbranch_vccnz .LBB167_2349
; %bb.2344:
	s_cmp_gt_i32 s21, 0
	s_cbranch_scc0 .LBB167_2346
; %bb.2345:
	global_load_ubyte v18, v[20:21], off
	s_mov_b64 s[2:3], 0
	s_branch .LBB167_2347
.LBB167_2346:
	s_mov_b64 s[2:3], -1
                                        ; implicit-def: $vgpr18
.LBB167_2347:
	s_andn2_b64 vcc, exec, s[2:3]
	s_cbranch_vccnz .LBB167_2349
; %bb.2348:
	global_load_ubyte v18, v[20:21], off
.LBB167_2349:
	s_mov_b64 s[16:17], -1
.LBB167_2350:
	s_andn2_b64 vcc, exec, s[16:17]
	s_cbranch_vccnz .LBB167_3036
; %bb.2351:
	v_mov_b32_e32 v1, s11
	s_waitcnt vmcnt(0)
	v_add_co_u32_e32 v19, vcc, s10, v14
	s_cmp_lt_i32 s22, 11
	v_addc_co_u32_e32 v20, vcc, 0, v1, vcc
	s_cbranch_scc1 .LBB167_2358
; %bb.2352:
	s_and_b32 s18, 0xffff, s22
	s_cmp_gt_i32 s18, 25
	s_mov_b64 s[6:7], 0
	s_cbranch_scc0 .LBB167_2359
; %bb.2353:
	s_cmp_gt_i32 s18, 28
	s_cbranch_scc0 .LBB167_2360
; %bb.2354:
	s_cmp_gt_i32 s18, 43
	;; [unrolled: 3-line block ×3, first 2 shown]
	s_cbranch_scc0 .LBB167_2363
; %bb.2356:
	s_cmp_eq_u32 s18, 46
	s_mov_b64 s[16:17], 0
	s_cbranch_scc0 .LBB167_2364
; %bb.2357:
	global_load_dword v1, v[19:20], off
	s_mov_b64 s[2:3], 0
	s_mov_b64 s[10:11], -1
	s_waitcnt vmcnt(0)
	v_lshlrev_b32_e32 v1, 16, v1
	v_cvt_i32_f32_e32 v13, v1
	s_branch .LBB167_2365
.LBB167_2358:
	s_mov_b64 s[2:3], -1
	s_mov_b64 s[10:11], 0
                                        ; implicit-def: $vgpr13
	s_branch .LBB167_2427
.LBB167_2359:
	s_mov_b64 s[16:17], -1
	s_mov_b64 s[10:11], 0
	s_mov_b64 s[2:3], 0
                                        ; implicit-def: $vgpr13
	s_branch .LBB167_2392
.LBB167_2360:
	s_mov_b64 s[16:17], -1
	s_mov_b64 s[10:11], 0
	s_mov_b64 s[2:3], 0
                                        ; implicit-def: $vgpr13
	s_branch .LBB167_2375
.LBB167_2361:
	s_mov_b64 s[16:17], -1
	s_mov_b64 s[10:11], 0
	s_mov_b64 s[2:3], 0
                                        ; implicit-def: $vgpr13
	s_branch .LBB167_2370
.LBB167_2362:
	s_trap 2
	s_or_b64 s[4:5], s[4:5], exec
	s_cbranch_execz .LBB167_2299
	s_branch .LBB167_2300
.LBB167_2363:
	s_mov_b64 s[16:17], -1
	s_mov_b64 s[10:11], 0
	s_mov_b64 s[2:3], 0
                                        ; implicit-def: $vgpr13
	s_branch .LBB167_2365
.LBB167_2364:
	s_mov_b64 s[2:3], -1
                                        ; implicit-def: $vgpr13
	s_mov_b64 s[10:11], 0
.LBB167_2365:
	s_and_b64 vcc, exec, s[16:17]
	s_cbranch_vccz .LBB167_2369
; %bb.2366:
	s_cmp_eq_u32 s18, 44
	s_cbranch_scc0 .LBB167_2368
; %bb.2367:
	global_load_ubyte v1, v[19:20], off
	s_mov_b64 s[2:3], 0
	s_mov_b64 s[10:11], -1
	s_waitcnt vmcnt(0)
	v_lshlrev_b32_e32 v3, 23, v1
	v_cvt_i32_f32_e32 v3, v3
	v_cmp_ne_u32_e32 vcc, 0, v1
	v_cndmask_b32_e32 v13, 0, v3, vcc
	s_branch .LBB167_2369
.LBB167_2368:
	s_mov_b64 s[2:3], -1
                                        ; implicit-def: $vgpr13
.LBB167_2369:
	s_mov_b64 s[16:17], 0
.LBB167_2370:
	s_and_b64 vcc, exec, s[16:17]
	s_cbranch_vccz .LBB167_2374
; %bb.2371:
	s_cmp_eq_u32 s18, 29
	s_cbranch_scc0 .LBB167_2373
; %bb.2372:
	global_load_dwordx2 v[13:14], v[19:20], off
	s_mov_b64 s[2:3], 0
	s_mov_b64 s[10:11], -1
	s_branch .LBB167_2374
.LBB167_2373:
	s_mov_b64 s[2:3], -1
                                        ; implicit-def: $vgpr13
.LBB167_2374:
	s_mov_b64 s[16:17], 0
.LBB167_2375:
	s_and_b64 vcc, exec, s[16:17]
	s_cbranch_vccz .LBB167_2391
; %bb.2376:
	s_cmp_lt_i32 s18, 27
	s_cbranch_scc1 .LBB167_2379
; %bb.2377:
	s_cmp_gt_i32 s18, 27
	s_cbranch_scc0 .LBB167_2380
; %bb.2378:
	global_load_dword v13, v[19:20], off
	s_mov_b64 s[10:11], 0
	s_branch .LBB167_2381
.LBB167_2379:
	s_mov_b64 s[10:11], -1
                                        ; implicit-def: $vgpr13
	s_branch .LBB167_2384
.LBB167_2380:
	s_mov_b64 s[10:11], -1
                                        ; implicit-def: $vgpr13
.LBB167_2381:
	s_andn2_b64 vcc, exec, s[10:11]
	s_cbranch_vccnz .LBB167_2383
; %bb.2382:
	global_load_ushort v13, v[19:20], off
.LBB167_2383:
	s_mov_b64 s[10:11], 0
.LBB167_2384:
	s_andn2_b64 vcc, exec, s[10:11]
	s_cbranch_vccnz .LBB167_2390
; %bb.2385:
	global_load_ubyte v1, v[19:20], off
	s_movk_i32 s10, 0x7f
	s_mov_b64 s[16:17], 0
	s_waitcnt vmcnt(0)
	v_cmp_lt_i16_e32 vcc, s10, v1
	s_and_saveexec_b64 s[10:11], vcc
	s_xor_b64 s[10:11], exec, s[10:11]
	s_cbranch_execz .LBB167_2402
; %bb.2386:
	s_movk_i32 s16, 0x80
	v_cmp_ne_u16_e32 vcc, s16, v1
	s_and_b64 s[16:17], vcc, exec
	s_andn2_saveexec_b64 s[10:11], s[10:11]
	s_cbranch_execnz .LBB167_2403
.LBB167_2387:
	s_or_b64 exec, exec, s[10:11]
	v_mov_b32_e32 v13, 0
	s_and_saveexec_b64 s[10:11], s[16:17]
	s_cbranch_execz .LBB167_2389
.LBB167_2388:
	v_lshlrev_b32_e32 v3, 24, v1
	v_and_b32_e32 v1, 0xffff, v1
	v_and_b32_e32 v5, 7, v1
	v_ffbh_u32_e32 v11, v5
	v_min_u32_e32 v11, 32, v11
	v_subrev_u32_e32 v13, 28, v11
	v_bfe_u32 v8, v1, 3, 4
	v_lshlrev_b32_e32 v1, v13, v1
	v_sub_u32_e32 v11, 29, v11
	v_and_b32_e32 v1, 7, v1
	v_cmp_eq_u32_e32 vcc, 0, v8
	v_cndmask_b32_e32 v8, v8, v11, vcc
	v_cndmask_b32_e32 v1, v5, v1, vcc
	v_mov_b32_e32 v5, 0x3b800000
	v_lshlrev_b32_e32 v1, 20, v1
	v_and_b32_e32 v3, 0x80000000, v3
	v_lshl_add_u32 v5, v8, 23, v5
	v_or3_b32 v1, v3, v5, v1
	v_cvt_i32_f32_e32 v13, v1
.LBB167_2389:
	s_or_b64 exec, exec, s[10:11]
.LBB167_2390:
	s_mov_b64 s[10:11], -1
.LBB167_2391:
	s_mov_b64 s[16:17], 0
.LBB167_2392:
	s_and_b64 vcc, exec, s[16:17]
	s_cbranch_vccz .LBB167_2423
; %bb.2393:
	s_cmp_gt_i32 s18, 22
	s_cbranch_scc0 .LBB167_2401
; %bb.2394:
	s_cmp_lt_i32 s18, 24
	s_cbranch_scc1 .LBB167_2404
; %bb.2395:
	s_cmp_gt_i32 s18, 24
	s_cbranch_scc0 .LBB167_2405
; %bb.2396:
	global_load_ubyte v1, v[19:20], off
	s_movk_i32 s6, 0x7f
	s_mov_b64 s[10:11], 0
	s_waitcnt vmcnt(0)
	v_cmp_lt_i16_e32 vcc, s6, v1
	s_and_saveexec_b64 s[6:7], vcc
	s_xor_b64 s[6:7], exec, s[6:7]
	s_cbranch_execz .LBB167_2417
; %bb.2397:
	s_movk_i32 s10, 0x80
	v_cmp_ne_u16_e32 vcc, s10, v1
	s_and_b64 s[10:11], vcc, exec
	s_andn2_saveexec_b64 s[6:7], s[6:7]
	s_cbranch_execnz .LBB167_2418
.LBB167_2398:
	s_or_b64 exec, exec, s[6:7]
	v_mov_b32_e32 v13, 0
	s_and_saveexec_b64 s[6:7], s[10:11]
	s_cbranch_execz .LBB167_2400
.LBB167_2399:
	v_lshlrev_b32_e32 v3, 24, v1
	v_and_b32_e32 v1, 0xffff, v1
	v_and_b32_e32 v5, 3, v1
	v_ffbh_u32_e32 v11, v5
	v_min_u32_e32 v11, 32, v11
	v_subrev_u32_e32 v13, 29, v11
	v_bfe_u32 v8, v1, 2, 5
	v_lshlrev_b32_e32 v1, v13, v1
	v_sub_u32_e32 v11, 30, v11
	v_and_b32_e32 v1, 3, v1
	v_cmp_eq_u32_e32 vcc, 0, v8
	v_cndmask_b32_e32 v8, v8, v11, vcc
	v_cndmask_b32_e32 v1, v5, v1, vcc
	v_mov_b32_e32 v5, 0x37800000
	v_lshlrev_b32_e32 v1, 21, v1
	v_and_b32_e32 v3, 0x80000000, v3
	v_lshl_add_u32 v5, v8, 23, v5
	v_or3_b32 v1, v3, v5, v1
	v_cvt_i32_f32_e32 v13, v1
.LBB167_2400:
	s_or_b64 exec, exec, s[6:7]
	s_mov_b64 s[6:7], 0
	s_branch .LBB167_2406
.LBB167_2401:
	s_mov_b64 s[6:7], -1
                                        ; implicit-def: $vgpr13
	s_branch .LBB167_2412
.LBB167_2402:
	s_andn2_saveexec_b64 s[10:11], s[10:11]
	s_cbranch_execz .LBB167_2387
.LBB167_2403:
	v_cmp_ne_u16_e32 vcc, 0, v1
	s_andn2_b64 s[16:17], s[16:17], exec
	s_and_b64 s[24:25], vcc, exec
	s_or_b64 s[16:17], s[16:17], s[24:25]
	s_or_b64 exec, exec, s[10:11]
	v_mov_b32_e32 v13, 0
	s_and_saveexec_b64 s[10:11], s[16:17]
	s_cbranch_execnz .LBB167_2388
	s_branch .LBB167_2389
.LBB167_2404:
	s_mov_b64 s[6:7], -1
                                        ; implicit-def: $vgpr13
	s_branch .LBB167_2409
.LBB167_2405:
	s_mov_b64 s[6:7], -1
                                        ; implicit-def: $vgpr13
.LBB167_2406:
	s_and_b64 vcc, exec, s[6:7]
	s_cbranch_vccz .LBB167_2408
; %bb.2407:
	global_load_ubyte v1, v[19:20], off
	s_mov_b32 s6, 0x7f800000
	s_waitcnt vmcnt(0)
	v_lshlrev_b32_e32 v1, 24, v1
	v_and_b32_e32 v3, 0x7f000000, v1
	v_ffbh_u32_e32 v5, v3
	v_min_u32_e32 v5, 32, v5
	v_sub_u32_e64 v5, v5, 4 clamp
	v_lshlrev_b32_e32 v11, v5, v3
	v_lshlrev_b32_e32 v5, 23, v5
	v_lshrrev_b32_e32 v11, 4, v11
	v_add_u32_e32 v8, 0x1000000, v3
	v_sub_u32_e32 v5, v11, v5
	v_ashrrev_i32_e32 v8, 8, v8
	v_add_u32_e32 v5, 0x3c000000, v5
	v_and_or_b32 v5, v8, s6, v5
	v_cmp_ne_u32_e32 vcc, 0, v3
	v_cndmask_b32_e32 v3, 0, v5, vcc
	s_brev_b32 s6, 1
	v_and_or_b32 v1, v1, s6, v3
	v_cvt_i32_f32_e32 v13, v1
.LBB167_2408:
	s_mov_b64 s[6:7], 0
.LBB167_2409:
	s_andn2_b64 vcc, exec, s[6:7]
	s_cbranch_vccnz .LBB167_2411
; %bb.2410:
	global_load_ubyte v1, v[19:20], off
	s_movk_i32 s6, 0x7f00
	s_brev_b32 s7, 16
	s_waitcnt vmcnt(0)
	v_lshlrev_b16_e32 v3, 8, v1
	v_lshlrev_b32_e32 v1, 25, v1
	v_lshrrev_b32_e32 v5, 4, v1
	v_and_or_b32 v8, v3, s6, 0.5
	v_or_b32_e32 v5, 0x70000000, v5
	v_add_f32_e32 v8, -0.5, v8
	v_mul_f32_e32 v5, 0x7800000, v5
	v_cmp_gt_u32_e32 vcc, s7, v1
	v_bfe_i32 v3, v3, 0, 16
	v_cndmask_b32_e32 v1, v5, v8, vcc
	s_brev_b32 s6, 1
	v_and_or_b32 v1, v3, s6, v1
	v_cvt_i32_f32_e32 v13, v1
.LBB167_2411:
	s_mov_b64 s[6:7], 0
	s_mov_b64 s[10:11], -1
.LBB167_2412:
	s_andn2_b64 vcc, exec, s[6:7]
	s_mov_b64 s[6:7], 0
	s_cbranch_vccnz .LBB167_2423
; %bb.2413:
	s_cmp_gt_i32 s18, 14
	s_cbranch_scc0 .LBB167_2416
; %bb.2414:
	s_cmp_eq_u32 s18, 15
	s_cbranch_scc0 .LBB167_2419
; %bb.2415:
	global_load_ushort v1, v[19:20], off
	s_mov_b64 s[2:3], 0
	s_mov_b64 s[10:11], -1
	s_waitcnt vmcnt(0)
	v_lshlrev_b32_e32 v1, 16, v1
	v_cvt_i32_f32_e32 v13, v1
	s_branch .LBB167_2420
.LBB167_2416:
	s_mov_b64 s[16:17], -1
                                        ; implicit-def: $vgpr13
	s_branch .LBB167_2421
.LBB167_2417:
	s_andn2_saveexec_b64 s[6:7], s[6:7]
	s_cbranch_execz .LBB167_2398
.LBB167_2418:
	v_cmp_ne_u16_e32 vcc, 0, v1
	s_andn2_b64 s[10:11], s[10:11], exec
	s_and_b64 s[16:17], vcc, exec
	s_or_b64 s[10:11], s[10:11], s[16:17]
	s_or_b64 exec, exec, s[6:7]
	v_mov_b32_e32 v13, 0
	s_and_saveexec_b64 s[6:7], s[10:11]
	s_cbranch_execnz .LBB167_2399
	s_branch .LBB167_2400
.LBB167_2419:
	s_mov_b64 s[2:3], -1
                                        ; implicit-def: $vgpr13
.LBB167_2420:
	s_mov_b64 s[16:17], 0
.LBB167_2421:
	s_and_b64 vcc, exec, s[16:17]
	s_cbranch_vccz .LBB167_2423
; %bb.2422:
	s_cmp_lg_u32 s18, 11
	s_mov_b64 s[6:7], -1
	s_cselect_b64 s[2:3], -1, 0
.LBB167_2423:
	s_and_b64 vcc, exec, s[2:3]
	s_cbranch_vccnz .LBB167_2488
; %bb.2424:
	s_andn2_b64 vcc, exec, s[6:7]
	s_cbranch_vccnz .LBB167_2426
.LBB167_2425:
	global_load_ubyte v1, v[19:20], off
	s_mov_b64 s[10:11], -1
	s_waitcnt vmcnt(0)
	v_cmp_ne_u16_e32 vcc, 0, v1
	v_cndmask_b32_e64 v13, 0, 1, vcc
.LBB167_2426:
	s_mov_b64 s[2:3], 0
.LBB167_2427:
	s_and_b64 vcc, exec, s[2:3]
	s_cbranch_vccz .LBB167_2476
; %bb.2428:
	s_and_b32 s6, 0xffff, s22
	s_cmp_lt_i32 s6, 5
	s_cbranch_scc1 .LBB167_2433
; %bb.2429:
	s_cmp_lt_i32 s6, 8
	s_cbranch_scc1 .LBB167_2434
; %bb.2430:
	;; [unrolled: 3-line block ×3, first 2 shown]
	s_cmp_gt_i32 s6, 9
	s_cbranch_scc0 .LBB167_2436
; %bb.2432:
	global_load_dwordx2 v[13:14], v[19:20], off
	s_mov_b64 s[2:3], 0
	s_waitcnt vmcnt(0)
	v_cvt_i32_f64_e32 v13, v[13:14]
	s_branch .LBB167_2437
.LBB167_2433:
	s_mov_b64 s[2:3], -1
                                        ; implicit-def: $vgpr13
	s_branch .LBB167_2455
.LBB167_2434:
	s_mov_b64 s[2:3], -1
                                        ; implicit-def: $vgpr13
	s_branch .LBB167_2443
.LBB167_2435:
	s_mov_b64 s[2:3], -1
                                        ; implicit-def: $vgpr13
	s_branch .LBB167_2440
.LBB167_2436:
	s_mov_b64 s[2:3], -1
                                        ; implicit-def: $vgpr13
.LBB167_2437:
	s_andn2_b64 vcc, exec, s[2:3]
	s_cbranch_vccnz .LBB167_2439
; %bb.2438:
	global_load_dword v1, v[19:20], off
	s_waitcnt vmcnt(0)
	v_cvt_i32_f32_e32 v13, v1
.LBB167_2439:
	s_mov_b64 s[2:3], 0
.LBB167_2440:
	s_andn2_b64 vcc, exec, s[2:3]
	s_cbranch_vccnz .LBB167_2442
; %bb.2441:
	global_load_dword v1, v[19:20], off
	s_waitcnt vmcnt(0)
	v_cvt_i16_f16_e32 v13, v1
.LBB167_2442:
	s_mov_b64 s[2:3], 0
.LBB167_2443:
	s_andn2_b64 vcc, exec, s[2:3]
	s_cbranch_vccnz .LBB167_2454
; %bb.2444:
	s_cmp_lt_i32 s6, 6
	s_cbranch_scc1 .LBB167_2447
; %bb.2445:
	s_cmp_gt_i32 s6, 6
	s_cbranch_scc0 .LBB167_2448
; %bb.2446:
	global_load_dwordx2 v[13:14], v[19:20], off
	s_mov_b64 s[2:3], 0
	s_waitcnt vmcnt(0)
	v_cvt_i32_f64_e32 v13, v[13:14]
	s_branch .LBB167_2449
.LBB167_2447:
	s_mov_b64 s[2:3], -1
                                        ; implicit-def: $vgpr13
	s_branch .LBB167_2452
.LBB167_2448:
	s_mov_b64 s[2:3], -1
                                        ; implicit-def: $vgpr13
.LBB167_2449:
	s_andn2_b64 vcc, exec, s[2:3]
	s_cbranch_vccnz .LBB167_2451
; %bb.2450:
	global_load_dword v1, v[19:20], off
	s_waitcnt vmcnt(0)
	v_cvt_i32_f32_e32 v13, v1
.LBB167_2451:
	s_mov_b64 s[2:3], 0
.LBB167_2452:
	s_andn2_b64 vcc, exec, s[2:3]
	s_cbranch_vccnz .LBB167_2454
; %bb.2453:
	global_load_ushort v1, v[19:20], off
	s_waitcnt vmcnt(0)
	v_cvt_i16_f16_e32 v13, v1
.LBB167_2454:
	s_mov_b64 s[2:3], 0
.LBB167_2455:
	s_andn2_b64 vcc, exec, s[2:3]
	s_cbranch_vccnz .LBB167_2475
; %bb.2456:
	s_cmp_lt_i32 s6, 2
	s_cbranch_scc1 .LBB167_2460
; %bb.2457:
	s_cmp_lt_i32 s6, 3
	s_cbranch_scc1 .LBB167_2461
; %bb.2458:
	s_cmp_gt_i32 s6, 3
	s_cbranch_scc0 .LBB167_2462
; %bb.2459:
	global_load_dwordx2 v[13:14], v[19:20], off
	s_mov_b64 s[2:3], 0
	s_branch .LBB167_2463
.LBB167_2460:
	s_mov_b64 s[2:3], -1
                                        ; implicit-def: $vgpr13
	s_branch .LBB167_2469
.LBB167_2461:
	s_mov_b64 s[2:3], -1
                                        ; implicit-def: $vgpr13
	s_branch .LBB167_2466
.LBB167_2462:
	s_mov_b64 s[2:3], -1
                                        ; implicit-def: $vgpr13
.LBB167_2463:
	s_andn2_b64 vcc, exec, s[2:3]
	s_cbranch_vccnz .LBB167_2465
; %bb.2464:
	global_load_dword v13, v[19:20], off
.LBB167_2465:
	s_mov_b64 s[2:3], 0
.LBB167_2466:
	s_andn2_b64 vcc, exec, s[2:3]
	s_cbranch_vccnz .LBB167_2468
; %bb.2467:
	global_load_ushort v13, v[19:20], off
.LBB167_2468:
	s_mov_b64 s[2:3], 0
.LBB167_2469:
	s_andn2_b64 vcc, exec, s[2:3]
	s_cbranch_vccnz .LBB167_2475
; %bb.2470:
	s_cmp_gt_i32 s6, 0
	s_cbranch_scc0 .LBB167_2472
; %bb.2471:
	global_load_ubyte v13, v[19:20], off
	s_mov_b64 s[2:3], 0
	s_branch .LBB167_2473
.LBB167_2472:
	s_mov_b64 s[2:3], -1
                                        ; implicit-def: $vgpr13
.LBB167_2473:
	s_andn2_b64 vcc, exec, s[2:3]
	s_cbranch_vccnz .LBB167_2475
; %bb.2474:
	global_load_ubyte v13, v[19:20], off
.LBB167_2475:
	s_mov_b64 s[10:11], -1
.LBB167_2476:
	s_andn2_b64 vcc, exec, s[10:11]
	s_cbranch_vccnz .LBB167_3036
; %bb.2477:
	v_mov_b32_e32 v1, s1
	v_add_co_u32_e32 v19, vcc, s0, v9
	s_cmp_lt_i32 s21, 11
	v_addc_co_u32_e32 v20, vcc, 0, v1, vcc
	s_cbranch_scc1 .LBB167_2484
; %bb.2478:
	s_cmp_gt_i32 s21, 25
	s_mov_b64 s[2:3], 0
	s_cbranch_scc0 .LBB167_2485
; %bb.2479:
	s_cmp_gt_i32 s21, 28
	s_cbranch_scc0 .LBB167_2486
; %bb.2480:
	s_cmp_gt_i32 s21, 43
	;; [unrolled: 3-line block ×3, first 2 shown]
	s_cbranch_scc0 .LBB167_2489
; %bb.2482:
	s_cmp_eq_u32 s21, 46
	s_mov_b64 s[10:11], 0
	s_cbranch_scc0 .LBB167_2490
; %bb.2483:
	global_load_dword v1, v[19:20], off
	s_mov_b64 s[0:1], 0
	s_mov_b64 s[6:7], -1
	s_waitcnt vmcnt(0)
	v_lshlrev_b32_e32 v1, 16, v1
	v_cvt_i32_f32_e32 v8, v1
	s_branch .LBB167_2491
.LBB167_2484:
	s_mov_b64 s[0:1], -1
	s_mov_b64 s[6:7], 0
                                        ; implicit-def: $vgpr8
	s_branch .LBB167_2553
.LBB167_2485:
	s_mov_b64 s[10:11], -1
	s_mov_b64 s[6:7], 0
	s_mov_b64 s[0:1], 0
                                        ; implicit-def: $vgpr8
	s_branch .LBB167_2518
.LBB167_2486:
	s_mov_b64 s[10:11], -1
	s_mov_b64 s[6:7], 0
	s_mov_b64 s[0:1], 0
                                        ; implicit-def: $vgpr8
	s_branch .LBB167_2501
.LBB167_2487:
	s_mov_b64 s[10:11], -1
	s_mov_b64 s[6:7], 0
	s_mov_b64 s[0:1], 0
                                        ; implicit-def: $vgpr8
	s_branch .LBB167_2496
.LBB167_2488:
	s_trap 2
	s_or_b64 s[4:5], s[4:5], exec
	s_cbranch_execz .LBB167_2425
	s_branch .LBB167_2426
.LBB167_2489:
	s_mov_b64 s[10:11], -1
	s_mov_b64 s[6:7], 0
	s_mov_b64 s[0:1], 0
                                        ; implicit-def: $vgpr8
	s_branch .LBB167_2491
.LBB167_2490:
	s_mov_b64 s[0:1], -1
                                        ; implicit-def: $vgpr8
	s_mov_b64 s[6:7], 0
.LBB167_2491:
	s_and_b64 vcc, exec, s[10:11]
	s_cbranch_vccz .LBB167_2495
; %bb.2492:
	s_cmp_eq_u32 s21, 44
	s_cbranch_scc0 .LBB167_2494
; %bb.2493:
	global_load_ubyte v1, v[19:20], off
	s_mov_b64 s[0:1], 0
	s_mov_b64 s[6:7], -1
	s_waitcnt vmcnt(0)
	v_lshlrev_b32_e32 v3, 23, v1
	v_cvt_i32_f32_e32 v3, v3
	v_cmp_ne_u32_e32 vcc, 0, v1
	v_cndmask_b32_e32 v8, 0, v3, vcc
	s_branch .LBB167_2495
.LBB167_2494:
	s_mov_b64 s[0:1], -1
                                        ; implicit-def: $vgpr8
.LBB167_2495:
	s_mov_b64 s[10:11], 0
.LBB167_2496:
	s_and_b64 vcc, exec, s[10:11]
	s_cbranch_vccz .LBB167_2500
; %bb.2497:
	s_cmp_eq_u32 s21, 29
	s_cbranch_scc0 .LBB167_2499
; %bb.2498:
	global_load_dwordx2 v[8:9], v[19:20], off
	s_mov_b64 s[0:1], 0
	s_mov_b64 s[6:7], -1
	s_branch .LBB167_2500
.LBB167_2499:
	s_mov_b64 s[0:1], -1
                                        ; implicit-def: $vgpr8
.LBB167_2500:
	s_mov_b64 s[10:11], 0
.LBB167_2501:
	s_and_b64 vcc, exec, s[10:11]
	s_cbranch_vccz .LBB167_2517
; %bb.2502:
	s_cmp_lt_i32 s21, 27
	s_cbranch_scc1 .LBB167_2505
; %bb.2503:
	s_cmp_gt_i32 s21, 27
	s_cbranch_scc0 .LBB167_2506
; %bb.2504:
	global_load_dword v8, v[19:20], off
	s_mov_b64 s[6:7], 0
	s_branch .LBB167_2507
.LBB167_2505:
	s_mov_b64 s[6:7], -1
                                        ; implicit-def: $vgpr8
	s_branch .LBB167_2510
.LBB167_2506:
	s_mov_b64 s[6:7], -1
                                        ; implicit-def: $vgpr8
.LBB167_2507:
	s_andn2_b64 vcc, exec, s[6:7]
	s_cbranch_vccnz .LBB167_2509
; %bb.2508:
	global_load_ushort v8, v[19:20], off
.LBB167_2509:
	s_mov_b64 s[6:7], 0
.LBB167_2510:
	s_andn2_b64 vcc, exec, s[6:7]
	s_cbranch_vccnz .LBB167_2516
; %bb.2511:
	global_load_ubyte v1, v[19:20], off
	s_movk_i32 s6, 0x7f
	s_mov_b64 s[10:11], 0
	s_waitcnt vmcnt(0)
	v_cmp_lt_i16_e32 vcc, s6, v1
	s_and_saveexec_b64 s[6:7], vcc
	s_xor_b64 s[6:7], exec, s[6:7]
	s_cbranch_execz .LBB167_2528
; %bb.2512:
	s_movk_i32 s10, 0x80
	v_cmp_ne_u16_e32 vcc, s10, v1
	s_and_b64 s[10:11], vcc, exec
	s_andn2_saveexec_b64 s[6:7], s[6:7]
	s_cbranch_execnz .LBB167_2529
.LBB167_2513:
	s_or_b64 exec, exec, s[6:7]
	v_mov_b32_e32 v8, 0
	s_and_saveexec_b64 s[6:7], s[10:11]
	s_cbranch_execz .LBB167_2515
.LBB167_2514:
	v_lshlrev_b32_e32 v3, 24, v1
	v_and_b32_e32 v1, 0xffff, v1
	v_and_b32_e32 v5, 7, v1
	v_ffbh_u32_e32 v9, v5
	v_min_u32_e32 v9, 32, v9
	v_subrev_u32_e32 v11, 28, v9
	v_bfe_u32 v8, v1, 3, 4
	v_lshlrev_b32_e32 v1, v11, v1
	v_sub_u32_e32 v9, 29, v9
	v_and_b32_e32 v1, 7, v1
	v_cmp_eq_u32_e32 vcc, 0, v8
	v_cndmask_b32_e32 v8, v8, v9, vcc
	v_cndmask_b32_e32 v1, v5, v1, vcc
	v_mov_b32_e32 v5, 0x3b800000
	v_lshlrev_b32_e32 v1, 20, v1
	v_and_b32_e32 v3, 0x80000000, v3
	v_lshl_add_u32 v5, v8, 23, v5
	v_or3_b32 v1, v3, v5, v1
	v_cvt_i32_f32_e32 v8, v1
.LBB167_2515:
	s_or_b64 exec, exec, s[6:7]
.LBB167_2516:
	s_mov_b64 s[6:7], -1
.LBB167_2517:
	s_mov_b64 s[10:11], 0
.LBB167_2518:
	s_and_b64 vcc, exec, s[10:11]
	s_cbranch_vccz .LBB167_2549
; %bb.2519:
	s_cmp_gt_i32 s21, 22
	s_cbranch_scc0 .LBB167_2527
; %bb.2520:
	s_cmp_lt_i32 s21, 24
	s_cbranch_scc1 .LBB167_2530
; %bb.2521:
	s_cmp_gt_i32 s21, 24
	s_cbranch_scc0 .LBB167_2531
; %bb.2522:
	global_load_ubyte v1, v[19:20], off
	s_movk_i32 s2, 0x7f
	s_mov_b64 s[6:7], 0
	s_waitcnt vmcnt(0)
	v_cmp_lt_i16_e32 vcc, s2, v1
	s_and_saveexec_b64 s[2:3], vcc
	s_xor_b64 s[2:3], exec, s[2:3]
	s_cbranch_execz .LBB167_2543
; %bb.2523:
	s_movk_i32 s6, 0x80
	v_cmp_ne_u16_e32 vcc, s6, v1
	s_and_b64 s[6:7], vcc, exec
	s_andn2_saveexec_b64 s[2:3], s[2:3]
	s_cbranch_execnz .LBB167_2544
.LBB167_2524:
	s_or_b64 exec, exec, s[2:3]
	v_mov_b32_e32 v8, 0
	s_and_saveexec_b64 s[2:3], s[6:7]
	s_cbranch_execz .LBB167_2526
.LBB167_2525:
	v_lshlrev_b32_e32 v3, 24, v1
	v_and_b32_e32 v1, 0xffff, v1
	v_and_b32_e32 v5, 3, v1
	v_ffbh_u32_e32 v9, v5
	v_min_u32_e32 v9, 32, v9
	v_subrev_u32_e32 v11, 29, v9
	v_bfe_u32 v8, v1, 2, 5
	v_lshlrev_b32_e32 v1, v11, v1
	v_sub_u32_e32 v9, 30, v9
	v_and_b32_e32 v1, 3, v1
	v_cmp_eq_u32_e32 vcc, 0, v8
	v_cndmask_b32_e32 v8, v8, v9, vcc
	v_cndmask_b32_e32 v1, v5, v1, vcc
	v_mov_b32_e32 v5, 0x37800000
	v_lshlrev_b32_e32 v1, 21, v1
	v_and_b32_e32 v3, 0x80000000, v3
	v_lshl_add_u32 v5, v8, 23, v5
	v_or3_b32 v1, v3, v5, v1
	v_cvt_i32_f32_e32 v8, v1
.LBB167_2526:
	s_or_b64 exec, exec, s[2:3]
	s_mov_b64 s[2:3], 0
	s_branch .LBB167_2532
.LBB167_2527:
	s_mov_b64 s[2:3], -1
                                        ; implicit-def: $vgpr8
	s_branch .LBB167_2538
.LBB167_2528:
	s_andn2_saveexec_b64 s[6:7], s[6:7]
	s_cbranch_execz .LBB167_2513
.LBB167_2529:
	v_cmp_ne_u16_e32 vcc, 0, v1
	s_andn2_b64 s[10:11], s[10:11], exec
	s_and_b64 s[16:17], vcc, exec
	s_or_b64 s[10:11], s[10:11], s[16:17]
	s_or_b64 exec, exec, s[6:7]
	v_mov_b32_e32 v8, 0
	s_and_saveexec_b64 s[6:7], s[10:11]
	s_cbranch_execnz .LBB167_2514
	s_branch .LBB167_2515
.LBB167_2530:
	s_mov_b64 s[2:3], -1
                                        ; implicit-def: $vgpr8
	s_branch .LBB167_2535
.LBB167_2531:
	s_mov_b64 s[2:3], -1
                                        ; implicit-def: $vgpr8
.LBB167_2532:
	s_and_b64 vcc, exec, s[2:3]
	s_cbranch_vccz .LBB167_2534
; %bb.2533:
	global_load_ubyte v1, v[19:20], off
	s_mov_b32 s2, 0x7f800000
	s_waitcnt vmcnt(0)
	v_lshlrev_b32_e32 v1, 24, v1
	v_and_b32_e32 v3, 0x7f000000, v1
	v_ffbh_u32_e32 v5, v3
	v_min_u32_e32 v5, 32, v5
	v_sub_u32_e64 v5, v5, 4 clamp
	v_lshlrev_b32_e32 v9, v5, v3
	v_lshlrev_b32_e32 v5, 23, v5
	v_lshrrev_b32_e32 v9, 4, v9
	v_add_u32_e32 v8, 0x1000000, v3
	v_sub_u32_e32 v5, v9, v5
	v_ashrrev_i32_e32 v8, 8, v8
	v_add_u32_e32 v5, 0x3c000000, v5
	v_and_or_b32 v5, v8, s2, v5
	v_cmp_ne_u32_e32 vcc, 0, v3
	v_cndmask_b32_e32 v3, 0, v5, vcc
	s_brev_b32 s2, 1
	v_and_or_b32 v1, v1, s2, v3
	v_cvt_i32_f32_e32 v8, v1
.LBB167_2534:
	s_mov_b64 s[2:3], 0
.LBB167_2535:
	s_andn2_b64 vcc, exec, s[2:3]
	s_cbranch_vccnz .LBB167_2537
; %bb.2536:
	global_load_ubyte v1, v[19:20], off
	s_movk_i32 s2, 0x7f00
	s_brev_b32 s3, 16
	s_waitcnt vmcnt(0)
	v_lshlrev_b16_e32 v3, 8, v1
	v_lshlrev_b32_e32 v1, 25, v1
	v_lshrrev_b32_e32 v5, 4, v1
	v_and_or_b32 v8, v3, s2, 0.5
	v_or_b32_e32 v5, 0x70000000, v5
	v_add_f32_e32 v8, -0.5, v8
	v_mul_f32_e32 v5, 0x7800000, v5
	v_cmp_gt_u32_e32 vcc, s3, v1
	v_bfe_i32 v3, v3, 0, 16
	v_cndmask_b32_e32 v1, v5, v8, vcc
	s_brev_b32 s2, 1
	v_and_or_b32 v1, v3, s2, v1
	v_cvt_i32_f32_e32 v8, v1
.LBB167_2537:
	s_mov_b64 s[2:3], 0
	s_mov_b64 s[6:7], -1
.LBB167_2538:
	s_andn2_b64 vcc, exec, s[2:3]
	s_mov_b64 s[2:3], 0
	s_cbranch_vccnz .LBB167_2549
; %bb.2539:
	s_cmp_gt_i32 s21, 14
	s_cbranch_scc0 .LBB167_2542
; %bb.2540:
	s_cmp_eq_u32 s21, 15
	s_cbranch_scc0 .LBB167_2545
; %bb.2541:
	global_load_ushort v1, v[19:20], off
	s_mov_b64 s[0:1], 0
	s_mov_b64 s[6:7], -1
	s_waitcnt vmcnt(0)
	v_lshlrev_b32_e32 v1, 16, v1
	v_cvt_i32_f32_e32 v8, v1
	s_branch .LBB167_2546
.LBB167_2542:
	s_mov_b64 s[10:11], -1
                                        ; implicit-def: $vgpr8
	s_branch .LBB167_2547
.LBB167_2543:
	s_andn2_saveexec_b64 s[2:3], s[2:3]
	s_cbranch_execz .LBB167_2524
.LBB167_2544:
	v_cmp_ne_u16_e32 vcc, 0, v1
	s_andn2_b64 s[6:7], s[6:7], exec
	s_and_b64 s[10:11], vcc, exec
	s_or_b64 s[6:7], s[6:7], s[10:11]
	s_or_b64 exec, exec, s[2:3]
	v_mov_b32_e32 v8, 0
	s_and_saveexec_b64 s[2:3], s[6:7]
	s_cbranch_execnz .LBB167_2525
	s_branch .LBB167_2526
.LBB167_2545:
	s_mov_b64 s[0:1], -1
                                        ; implicit-def: $vgpr8
.LBB167_2546:
	s_mov_b64 s[10:11], 0
.LBB167_2547:
	s_and_b64 vcc, exec, s[10:11]
	s_cbranch_vccz .LBB167_2549
; %bb.2548:
	s_cmp_lg_u32 s21, 11
	s_mov_b64 s[2:3], -1
	s_cselect_b64 s[0:1], -1, 0
.LBB167_2549:
	s_and_b64 vcc, exec, s[0:1]
	s_cbranch_vccnz .LBB167_3082
; %bb.2550:
	s_andn2_b64 vcc, exec, s[2:3]
	s_cbranch_vccnz .LBB167_2552
.LBB167_2551:
	global_load_ubyte v1, v[19:20], off
	s_mov_b64 s[6:7], -1
	s_waitcnt vmcnt(0)
	v_cmp_ne_u16_e32 vcc, 0, v1
	v_cndmask_b32_e64 v8, 0, 1, vcc
.LBB167_2552:
	s_mov_b64 s[0:1], 0
.LBB167_2553:
	s_and_b64 vcc, exec, s[0:1]
	s_cbranch_vccz .LBB167_2602
; %bb.2554:
	s_cmp_lt_i32 s21, 5
	s_cbranch_scc1 .LBB167_2559
; %bb.2555:
	s_cmp_lt_i32 s21, 8
	s_cbranch_scc1 .LBB167_2560
	;; [unrolled: 3-line block ×3, first 2 shown]
; %bb.2557:
	s_cmp_gt_i32 s21, 9
	s_cbranch_scc0 .LBB167_2562
; %bb.2558:
	global_load_dwordx2 v[8:9], v[19:20], off
	s_mov_b64 s[0:1], 0
	s_waitcnt vmcnt(0)
	v_cvt_i32_f64_e32 v8, v[8:9]
	s_branch .LBB167_2563
.LBB167_2559:
	s_mov_b64 s[0:1], -1
                                        ; implicit-def: $vgpr8
	s_branch .LBB167_2581
.LBB167_2560:
	s_mov_b64 s[0:1], -1
                                        ; implicit-def: $vgpr8
	s_branch .LBB167_2569
.LBB167_2561:
	s_mov_b64 s[0:1], -1
                                        ; implicit-def: $vgpr8
	s_branch .LBB167_2566
.LBB167_2562:
	s_mov_b64 s[0:1], -1
                                        ; implicit-def: $vgpr8
.LBB167_2563:
	s_andn2_b64 vcc, exec, s[0:1]
	s_cbranch_vccnz .LBB167_2565
; %bb.2564:
	global_load_dword v1, v[19:20], off
	s_waitcnt vmcnt(0)
	v_cvt_i32_f32_e32 v8, v1
.LBB167_2565:
	s_mov_b64 s[0:1], 0
.LBB167_2566:
	s_andn2_b64 vcc, exec, s[0:1]
	s_cbranch_vccnz .LBB167_2568
; %bb.2567:
	global_load_dword v1, v[19:20], off
	s_waitcnt vmcnt(0)
	v_cvt_i16_f16_e32 v8, v1
.LBB167_2568:
	s_mov_b64 s[0:1], 0
.LBB167_2569:
	s_andn2_b64 vcc, exec, s[0:1]
	s_cbranch_vccnz .LBB167_2580
; %bb.2570:
	s_cmp_lt_i32 s21, 6
	s_cbranch_scc1 .LBB167_2573
; %bb.2571:
	s_cmp_gt_i32 s21, 6
	s_cbranch_scc0 .LBB167_2574
; %bb.2572:
	global_load_dwordx2 v[8:9], v[19:20], off
	s_mov_b64 s[0:1], 0
	s_waitcnt vmcnt(0)
	v_cvt_i32_f64_e32 v8, v[8:9]
	s_branch .LBB167_2575
.LBB167_2573:
	s_mov_b64 s[0:1], -1
                                        ; implicit-def: $vgpr8
	s_branch .LBB167_2578
.LBB167_2574:
	s_mov_b64 s[0:1], -1
                                        ; implicit-def: $vgpr8
.LBB167_2575:
	s_andn2_b64 vcc, exec, s[0:1]
	s_cbranch_vccnz .LBB167_2577
; %bb.2576:
	global_load_dword v1, v[19:20], off
	s_waitcnt vmcnt(0)
	v_cvt_i32_f32_e32 v8, v1
.LBB167_2577:
	s_mov_b64 s[0:1], 0
.LBB167_2578:
	s_andn2_b64 vcc, exec, s[0:1]
	s_cbranch_vccnz .LBB167_2580
; %bb.2579:
	global_load_ushort v1, v[19:20], off
	s_waitcnt vmcnt(0)
	v_cvt_i16_f16_e32 v8, v1
.LBB167_2580:
	s_mov_b64 s[0:1], 0
.LBB167_2581:
	s_andn2_b64 vcc, exec, s[0:1]
	s_cbranch_vccnz .LBB167_2601
; %bb.2582:
	s_cmp_lt_i32 s21, 2
	s_cbranch_scc1 .LBB167_2586
; %bb.2583:
	s_cmp_lt_i32 s21, 3
	s_cbranch_scc1 .LBB167_2587
; %bb.2584:
	s_cmp_gt_i32 s21, 3
	s_cbranch_scc0 .LBB167_2588
; %bb.2585:
	global_load_dwordx2 v[8:9], v[19:20], off
	s_mov_b64 s[0:1], 0
	s_branch .LBB167_2589
.LBB167_2586:
	s_mov_b64 s[0:1], -1
                                        ; implicit-def: $vgpr8
	s_branch .LBB167_2595
.LBB167_2587:
	s_mov_b64 s[0:1], -1
                                        ; implicit-def: $vgpr8
	s_branch .LBB167_2592
.LBB167_2588:
	s_mov_b64 s[0:1], -1
                                        ; implicit-def: $vgpr8
.LBB167_2589:
	s_andn2_b64 vcc, exec, s[0:1]
	s_cbranch_vccnz .LBB167_2591
; %bb.2590:
	global_load_dword v8, v[19:20], off
.LBB167_2591:
	s_mov_b64 s[0:1], 0
.LBB167_2592:
	s_andn2_b64 vcc, exec, s[0:1]
	s_cbranch_vccnz .LBB167_2594
; %bb.2593:
	global_load_ushort v8, v[19:20], off
.LBB167_2594:
	s_mov_b64 s[0:1], 0
.LBB167_2595:
	s_andn2_b64 vcc, exec, s[0:1]
	s_cbranch_vccnz .LBB167_2601
; %bb.2596:
	s_cmp_gt_i32 s21, 0
	s_cbranch_scc0 .LBB167_2598
; %bb.2597:
	global_load_ubyte v8, v[19:20], off
	s_mov_b64 s[0:1], 0
	s_branch .LBB167_2599
.LBB167_2598:
	s_mov_b64 s[0:1], -1
                                        ; implicit-def: $vgpr8
.LBB167_2599:
	s_andn2_b64 vcc, exec, s[0:1]
	s_cbranch_vccnz .LBB167_2601
; %bb.2600:
	global_load_ubyte v8, v[19:20], off
.LBB167_2601:
	s_mov_b64 s[6:7], -1
.LBB167_2602:
	s_andn2_b64 vcc, exec, s[6:7]
	s_cbranch_vccnz .LBB167_3036
; %bb.2603:
	v_mov_b32_e32 v1, 6
	v_mov_b32_e32 v3, 7
	v_ashrrev_i16_sdwa v3, v3, sext(v7) dst_sel:DWORD dst_unused:UNUSED_PAD src0_sel:DWORD src1_sel:BYTE_0
	v_ashrrev_i32_sdwa v5, v12, sext(v7) dst_sel:DWORD dst_unused:UNUSED_PAD src0_sel:DWORD src1_sel:BYTE_0
	v_cmp_gt_u16_sdwa vcc, v12, v1 src0_sel:BYTE_0 src1_sel:DWORD
	s_bfe_u32 s18, s20, 0x80008
	v_cndmask_b32_e32 v1, v5, v3, vcc
	v_mov_b32_e32 v3, s9
	v_add_co_u32_e32 v5, vcc, s8, v6
	s_cmp_lt_i32 s18, 11
	v_addc_co_u32_e32 v6, vcc, 0, v3, vcc
	s_cbranch_scc1 .LBB167_2681
; %bb.2604:
	s_and_b32 s19, 0xffff, s18
	s_mov_b64 s[10:11], -1
	s_mov_b64 s[2:3], 0
	s_cmp_gt_i32 s19, 25
	s_mov_b64 s[6:7], 0
	s_mov_b64 s[0:1], 0
	s_cbranch_scc0 .LBB167_2637
; %bb.2605:
	s_cmp_gt_i32 s19, 28
	s_cbranch_scc0 .LBB167_2620
; %bb.2606:
	s_cmp_gt_i32 s19, 43
	;; [unrolled: 3-line block ×3, first 2 shown]
	s_cbranch_scc0 .LBB167_2610
; %bb.2608:
	s_mov_b64 s[0:1], -1
	s_mov_b64 s[10:11], 0
	s_cmp_eq_u32 s19, 46
	s_cbranch_scc0 .LBB167_2610
; %bb.2609:
	v_cvt_f32_i32_sdwa v3, sext(v1) dst_sel:DWORD dst_unused:UNUSED_PAD src0_sel:WORD_0
	s_movk_i32 s6, 0x7fff
	s_mov_b64 s[0:1], 0
	v_bfe_u32 v7, v3, 16, 1
	v_add3_u32 v3, v3, v7, s6
	v_lshrrev_b32_e32 v3, 16, v3
	global_store_dword v[5:6], v3, off
	s_mov_b64 s[6:7], -1
.LBB167_2610:
	s_and_b64 vcc, exec, s[10:11]
	s_cbranch_vccz .LBB167_2615
; %bb.2611:
	s_cmp_eq_u32 s19, 44
	s_mov_b64 s[0:1], -1
	s_cbranch_scc0 .LBB167_2615
; %bb.2612:
	v_cvt_f32_i32_sdwa v3, sext(v1) dst_sel:DWORD dst_unused:UNUSED_PAD src0_sel:WORD_0
	s_movk_i32 s0, 0xff
	s_waitcnt vmcnt(0)
	v_mov_b32_e32 v9, 0xff
	v_bfe_u32 v7, v3, 23, 8
	v_cmp_ne_u32_e32 vcc, s0, v7
	s_and_saveexec_b64 s[6:7], vcc
; %bb.2613:
	s_mov_b32 s0, 0x3fffff
	v_lshrrev_b32_e32 v9, 23, v3
	v_and_b32_e32 v11, 0x400000, v3
	v_and_or_b32 v3, v3, s0, v7
	v_cmp_ne_u32_e32 vcc, 0, v11
	v_cmp_ne_u32_e64 s[0:1], 0, v3
	s_and_b64 s[0:1], vcc, s[0:1]
	v_cndmask_b32_e64 v3, 0, 1, s[0:1]
	v_add_u32_e32 v9, v9, v3
; %bb.2614:
	s_or_b64 exec, exec, s[6:7]
	s_mov_b64 s[0:1], 0
	s_mov_b64 s[6:7], -1
	global_store_byte v[5:6], v9, off
.LBB167_2615:
	s_mov_b64 s[10:11], 0
.LBB167_2616:
	s_and_b64 vcc, exec, s[10:11]
	s_cbranch_vccz .LBB167_2619
; %bb.2617:
	s_cmp_eq_u32 s19, 29
	s_mov_b64 s[0:1], -1
	s_cbranch_scc0 .LBB167_2619
; %bb.2618:
	v_bfe_i32 v11, v1, 0, 16
	v_ashrrev_i32_e32 v12, 31, v11
	global_store_dwordx2 v[5:6], v[11:12], off
	s_mov_b64 s[0:1], 0
	s_mov_b64 s[6:7], -1
.LBB167_2619:
	s_mov_b64 s[10:11], 0
.LBB167_2620:
	s_and_b64 vcc, exec, s[10:11]
	s_cbranch_vccz .LBB167_2636
; %bb.2621:
	s_cmp_lt_i32 s19, 27
	s_mov_b64 s[6:7], -1
	s_cbranch_scc1 .LBB167_2627
; %bb.2622:
	s_cmp_gt_i32 s19, 27
	s_cbranch_scc0 .LBB167_2624
; %bb.2623:
	v_bfe_i32 v3, v1, 0, 16
	s_mov_b64 s[6:7], 0
	global_store_dword v[5:6], v3, off
.LBB167_2624:
	s_andn2_b64 vcc, exec, s[6:7]
	s_cbranch_vccnz .LBB167_2626
; %bb.2625:
	global_store_short v[5:6], v1, off
.LBB167_2626:
	s_mov_b64 s[6:7], 0
.LBB167_2627:
	s_andn2_b64 vcc, exec, s[6:7]
	s_cbranch_vccnz .LBB167_2635
; %bb.2628:
	v_cvt_f32_i32_sdwa v3, sext(v1) dst_sel:DWORD dst_unused:UNUSED_PAD src0_sel:WORD_0
	s_mov_b32 s6, 0x43800000
	s_waitcnt vmcnt(0)
	v_mov_b32_e32 v9, 0x80
	v_and_b32_e32 v7, 0x7fffffff, v3
	v_cmp_gt_u32_e32 vcc, s6, v7
	s_and_saveexec_b64 s[6:7], vcc
	s_cbranch_execz .LBB167_2634
; %bb.2629:
	s_mov_b32 s10, 0x3bffffff
	v_cmp_lt_u32_e32 vcc, s10, v7
	s_mov_b64 s[10:11], 0
                                        ; implicit-def: $vgpr7
	s_and_saveexec_b64 s[16:17], vcc
	s_xor_b64 s[16:17], exec, s[16:17]
	s_cbranch_execz .LBB167_3083
; %bb.2630:
	v_bfe_u32 v7, v3, 20, 1
	s_mov_b32 s21, 0x487ffff
	v_add3_u32 v7, v3, v7, s21
	s_mov_b64 s[10:11], exec
	v_lshrrev_b32_e32 v7, 20, v7
	s_andn2_saveexec_b64 s[16:17], s[16:17]
	s_cbranch_execnz .LBB167_3084
.LBB167_2631:
	s_or_b64 exec, exec, s[16:17]
	v_mov_b32_e32 v9, 0
	s_and_saveexec_b64 s[16:17], s[10:11]
.LBB167_2632:
	v_lshrrev_b32_e32 v3, 24, v3
	s_movk_i32 s10, 0x80
	v_and_or_b32 v9, v3, s10, v7
.LBB167_2633:
	s_or_b64 exec, exec, s[16:17]
.LBB167_2634:
	s_or_b64 exec, exec, s[6:7]
	global_store_byte v[5:6], v9, off
.LBB167_2635:
	s_mov_b64 s[6:7], -1
.LBB167_2636:
	s_mov_b64 s[10:11], 0
.LBB167_2637:
	s_and_b64 vcc, exec, s[10:11]
	s_cbranch_vccz .LBB167_2677
; %bb.2638:
	s_cmp_gt_i32 s19, 22
	s_mov_b64 s[2:3], -1
	s_cbranch_scc0 .LBB167_2670
; %bb.2639:
	s_cmp_lt_i32 s19, 24
	s_cbranch_scc1 .LBB167_2659
; %bb.2640:
	s_cmp_gt_i32 s19, 24
	s_cbranch_scc0 .LBB167_2648
; %bb.2641:
	v_cvt_f32_i32_sdwa v3, sext(v1) dst_sel:DWORD dst_unused:UNUSED_PAD src0_sel:WORD_0
	s_mov_b32 s2, 0x47800000
	s_waitcnt vmcnt(0)
	v_mov_b32_e32 v9, 0x80
	v_and_b32_e32 v7, 0x7fffffff, v3
	v_cmp_gt_u32_e32 vcc, s2, v7
	s_and_saveexec_b64 s[2:3], vcc
	s_cbranch_execz .LBB167_2647
; %bb.2642:
	s_mov_b32 s6, 0x37ffffff
	v_cmp_lt_u32_e32 vcc, s6, v7
	s_mov_b64 s[6:7], 0
                                        ; implicit-def: $vgpr7
	s_and_saveexec_b64 s[10:11], vcc
	s_xor_b64 s[10:11], exec, s[10:11]
	s_cbranch_execz .LBB167_3086
; %bb.2643:
	v_bfe_u32 v7, v3, 21, 1
	s_mov_b32 s16, 0x88fffff
	v_add3_u32 v7, v3, v7, s16
	s_mov_b64 s[6:7], exec
	v_lshrrev_b32_e32 v7, 21, v7
	s_andn2_saveexec_b64 s[10:11], s[10:11]
	s_cbranch_execnz .LBB167_3087
.LBB167_2644:
	s_or_b64 exec, exec, s[10:11]
	v_mov_b32_e32 v9, 0
	s_and_saveexec_b64 s[10:11], s[6:7]
.LBB167_2645:
	v_lshrrev_b32_e32 v3, 24, v3
	s_movk_i32 s6, 0x80
	v_and_or_b32 v9, v3, s6, v7
.LBB167_2646:
	s_or_b64 exec, exec, s[10:11]
.LBB167_2647:
	s_or_b64 exec, exec, s[2:3]
	s_mov_b64 s[2:3], 0
	global_store_byte v[5:6], v9, off
.LBB167_2648:
	s_and_b64 vcc, exec, s[2:3]
	s_cbranch_vccz .LBB167_2658
; %bb.2649:
	v_cvt_f32_i32_sdwa v3, sext(v1) dst_sel:DWORD dst_unused:UNUSED_PAD src0_sel:WORD_0
	s_mov_b32 s2, 0x43f00000
                                        ; implicit-def: $vgpr7
	s_waitcnt vmcnt(0)
	v_and_b32_e32 v9, 0x7fffffff, v3
	v_cmp_gt_u32_e32 vcc, s2, v9
	s_and_saveexec_b64 s[2:3], vcc
	s_xor_b64 s[2:3], exec, s[2:3]
	s_cbranch_execz .LBB167_2655
; %bb.2650:
	s_mov_b32 s6, 0x3c7fffff
	v_cmp_lt_u32_e32 vcc, s6, v9
                                        ; implicit-def: $vgpr7
	s_and_saveexec_b64 s[6:7], vcc
	s_xor_b64 s[6:7], exec, s[6:7]
; %bb.2651:
	v_bfe_u32 v7, v3, 20, 1
	s_mov_b32 s10, 0x407ffff
	v_add3_u32 v7, v3, v7, s10
	v_lshrrev_b32_e32 v9, 20, v7
	v_and_b32_e32 v7, 0xff00000, v7
	s_mov_b32 s10, 0x7f00000
	v_mov_b32_e32 v11, 0x7e
	v_cmp_ne_u32_e32 vcc, s10, v7
	v_cndmask_b32_e32 v7, v11, v9, vcc
; %bb.2652:
	s_andn2_saveexec_b64 s[6:7], s[6:7]
; %bb.2653:
	s_mov_b32 s10, 0x46800000
	v_add_f32_e64 v7, |v3|, s10
; %bb.2654:
	s_or_b64 exec, exec, s[6:7]
                                        ; implicit-def: $vgpr9
.LBB167_2655:
	s_andn2_saveexec_b64 s[2:3], s[2:3]
; %bb.2656:
	s_mov_b32 s6, 0x7f800000
	v_mov_b32_e32 v7, 0x7e
	v_mov_b32_e32 v11, 0x7f
	v_cmp_lt_u32_e32 vcc, s6, v9
	v_cndmask_b32_e32 v7, v7, v11, vcc
; %bb.2657:
	s_or_b64 exec, exec, s[2:3]
	v_lshrrev_b32_e32 v3, 24, v3
	s_movk_i32 s2, 0x80
	v_and_or_b32 v3, v3, s2, v7
	global_store_byte v[5:6], v3, off
.LBB167_2658:
	s_mov_b64 s[2:3], 0
.LBB167_2659:
	s_andn2_b64 vcc, exec, s[2:3]
	s_cbranch_vccnz .LBB167_2669
; %bb.2660:
	v_cvt_f32_i32_sdwa v3, sext(v1) dst_sel:DWORD dst_unused:UNUSED_PAD src0_sel:WORD_0
	s_mov_b32 s2, 0x47800000
                                        ; implicit-def: $vgpr7
	s_waitcnt vmcnt(0)
	v_and_b32_e32 v9, 0x7fffffff, v3
	v_cmp_gt_u32_e32 vcc, s2, v9
	s_and_saveexec_b64 s[2:3], vcc
	s_xor_b64 s[2:3], exec, s[2:3]
	s_cbranch_execz .LBB167_2666
; %bb.2661:
	s_mov_b32 s6, 0x387fffff
	v_cmp_lt_u32_e32 vcc, s6, v9
                                        ; implicit-def: $vgpr7
	s_and_saveexec_b64 s[6:7], vcc
	s_xor_b64 s[6:7], exec, s[6:7]
; %bb.2662:
	v_bfe_u32 v7, v3, 21, 1
	s_mov_b32 s10, 0x80fffff
	v_add3_u32 v7, v3, v7, s10
	v_lshrrev_b32_e32 v7, 21, v7
; %bb.2663:
	s_andn2_saveexec_b64 s[6:7], s[6:7]
; %bb.2664:
	s_mov_b32 s10, 0x43000000
	v_add_f32_e64 v7, |v3|, s10
; %bb.2665:
	s_or_b64 exec, exec, s[6:7]
                                        ; implicit-def: $vgpr9
.LBB167_2666:
	s_andn2_saveexec_b64 s[2:3], s[2:3]
; %bb.2667:
	s_mov_b32 s6, 0x7f800000
	v_mov_b32_e32 v7, 0x7c
	v_mov_b32_e32 v11, 0x7f
	v_cmp_lt_u32_e32 vcc, s6, v9
	v_cndmask_b32_e32 v7, v7, v11, vcc
; %bb.2668:
	s_or_b64 exec, exec, s[2:3]
	v_lshrrev_b32_e32 v3, 24, v3
	s_movk_i32 s2, 0x80
	v_and_or_b32 v3, v3, s2, v7
	global_store_byte v[5:6], v3, off
.LBB167_2669:
	s_mov_b64 s[2:3], 0
	s_mov_b64 s[6:7], -1
.LBB167_2670:
	s_andn2_b64 vcc, exec, s[2:3]
	s_mov_b64 s[2:3], 0
	s_cbranch_vccnz .LBB167_2677
; %bb.2671:
	s_cmp_gt_i32 s19, 14
	s_mov_b64 s[10:11], -1
	s_cbranch_scc0 .LBB167_2675
; %bb.2672:
	s_cmp_eq_u32 s19, 15
	s_mov_b64 s[0:1], -1
	s_cbranch_scc0 .LBB167_2674
; %bb.2673:
	v_cvt_f32_i32_sdwa v3, sext(v1) dst_sel:DWORD dst_unused:UNUSED_PAD src0_sel:WORD_0
	s_movk_i32 s2, 0x7fff
	s_mov_b64 s[0:1], 0
	s_mov_b64 s[6:7], -1
	v_bfe_u32 v7, v3, 16, 1
	v_add3_u32 v3, v3, v7, s2
	global_store_short_d16_hi v[5:6], v3, off
.LBB167_2674:
	s_mov_b64 s[10:11], 0
.LBB167_2675:
	s_mov_b64 s[2:3], 0
	s_and_b64 vcc, exec, s[10:11]
	s_cbranch_vccz .LBB167_2677
; %bb.2676:
	s_cmp_lg_u32 s19, 11
	s_mov_b64 s[2:3], -1
	s_cselect_b64 s[0:1], -1, 0
.LBB167_2677:
	s_and_b64 vcc, exec, s[0:1]
	s_cbranch_vccnz .LBB167_3085
; %bb.2678:
	s_andn2_b64 vcc, exec, s[2:3]
	s_cbranch_vccnz .LBB167_2680
.LBB167_2679:
	v_cmp_ne_u16_e32 vcc, 0, v1
	v_cndmask_b32_e64 v3, 0, 1, vcc
	s_mov_b64 s[6:7], -1
	global_store_byte v[5:6], v3, off
.LBB167_2680:
	s_mov_b64 s[0:1], 0
	s_branch .LBB167_2682
.LBB167_2681:
	s_mov_b64 s[0:1], -1
	s_mov_b64 s[6:7], 0
.LBB167_2682:
	s_and_b64 vcc, exec, s[0:1]
	s_cbranch_vccz .LBB167_2721
; %bb.2683:
	s_and_b32 s2, 0xffff, s18
	s_cmp_lt_i32 s2, 5
	s_mov_b64 s[0:1], -1
	s_cbranch_scc1 .LBB167_2704
; %bb.2684:
	s_cmp_lt_i32 s2, 8
	s_cbranch_scc1 .LBB167_2694
; %bb.2685:
	s_cmp_lt_i32 s2, 9
	s_cbranch_scc1 .LBB167_2691
; %bb.2686:
	s_cmp_gt_i32 s2, 9
	s_cbranch_scc0 .LBB167_2688
; %bb.2687:
	v_bfe_i32 v3, v1, 0, 16
	v_cvt_f64_i32_e32 v[19:20], v3
	v_mov_b32_e32 v21, 0
	v_mov_b32_e32 v22, v21
	s_mov_b64 s[0:1], 0
	global_store_dwordx4 v[5:6], v[19:22], off
.LBB167_2688:
	s_andn2_b64 vcc, exec, s[0:1]
	s_cbranch_vccnz .LBB167_2690
; %bb.2689:
	v_cvt_f32_i32_sdwa v11, sext(v1) dst_sel:DWORD dst_unused:UNUSED_PAD src0_sel:WORD_0
	v_mov_b32_e32 v12, 0
	global_store_dwordx2 v[5:6], v[11:12], off
.LBB167_2690:
	s_mov_b64 s[0:1], 0
.LBB167_2691:
	s_andn2_b64 vcc, exec, s[0:1]
	s_cbranch_vccnz .LBB167_2693
; %bb.2692:
	v_cvt_f16_i16_e32 v3, v1
	global_store_dword v[5:6], v3, off
.LBB167_2693:
	s_mov_b64 s[0:1], 0
.LBB167_2694:
	s_andn2_b64 vcc, exec, s[0:1]
	s_cbranch_vccnz .LBB167_2703
; %bb.2695:
	s_cmp_lt_i32 s2, 6
	s_mov_b64 s[0:1], -1
	s_cbranch_scc1 .LBB167_2701
; %bb.2696:
	s_cmp_gt_i32 s2, 6
	s_cbranch_scc0 .LBB167_2698
; %bb.2697:
	v_bfe_i32 v3, v1, 0, 16
	v_cvt_f64_i32_e32 v[11:12], v3
	s_mov_b64 s[0:1], 0
	global_store_dwordx2 v[5:6], v[11:12], off
.LBB167_2698:
	s_andn2_b64 vcc, exec, s[0:1]
	s_cbranch_vccnz .LBB167_2700
; %bb.2699:
	v_cvt_f32_i32_sdwa v3, sext(v1) dst_sel:DWORD dst_unused:UNUSED_PAD src0_sel:WORD_0
	global_store_dword v[5:6], v3, off
.LBB167_2700:
	s_mov_b64 s[0:1], 0
.LBB167_2701:
	s_andn2_b64 vcc, exec, s[0:1]
	s_cbranch_vccnz .LBB167_2703
; %bb.2702:
	v_cvt_f16_i16_e32 v3, v1
	global_store_short v[5:6], v3, off
.LBB167_2703:
	s_mov_b64 s[0:1], 0
.LBB167_2704:
	s_andn2_b64 vcc, exec, s[0:1]
	s_cbranch_vccnz .LBB167_2720
; %bb.2705:
	s_cmp_lt_i32 s2, 2
	s_mov_b64 s[0:1], -1
	s_cbranch_scc1 .LBB167_2715
; %bb.2706:
	s_cmp_lt_i32 s2, 3
	s_cbranch_scc1 .LBB167_2712
; %bb.2707:
	s_cmp_gt_i32 s2, 3
	v_bfe_i32 v11, v1, 0, 16
	s_cbranch_scc0 .LBB167_2709
; %bb.2708:
	v_ashrrev_i32_e32 v12, 31, v11
	global_store_dwordx2 v[5:6], v[11:12], off
	s_mov_b64 s[0:1], 0
.LBB167_2709:
	s_andn2_b64 vcc, exec, s[0:1]
	s_cbranch_vccnz .LBB167_2711
; %bb.2710:
	global_store_dword v[5:6], v11, off
.LBB167_2711:
	s_mov_b64 s[0:1], 0
.LBB167_2712:
	s_andn2_b64 vcc, exec, s[0:1]
	s_cbranch_vccnz .LBB167_2714
; %bb.2713:
	global_store_short v[5:6], v1, off
.LBB167_2714:
	s_mov_b64 s[0:1], 0
.LBB167_2715:
	s_andn2_b64 vcc, exec, s[0:1]
	s_cbranch_vccnz .LBB167_2720
; %bb.2716:
	s_cmp_gt_i32 s2, 0
	s_mov_b64 s[0:1], -1
	s_cbranch_scc0 .LBB167_2718
; %bb.2717:
	global_store_byte v[5:6], v1, off
	s_mov_b64 s[0:1], 0
.LBB167_2718:
	s_andn2_b64 vcc, exec, s[0:1]
	s_cbranch_vccnz .LBB167_2720
; %bb.2719:
	global_store_byte v[5:6], v1, off
.LBB167_2720:
	s_mov_b64 s[6:7], -1
.LBB167_2721:
	s_andn2_b64 vcc, exec, s[6:7]
	s_cbranch_vccnz .LBB167_3036
; %bb.2722:
	v_mov_b32_e32 v1, 6
	v_mov_b32_e32 v3, 7
	s_lshr_b32 s0, s20, 8
	v_ashrrev_i16_sdwa v3, v3, sext(v10) dst_sel:DWORD dst_unused:UNUSED_PAD src0_sel:DWORD src1_sel:BYTE_0
	v_ashrrev_i32_sdwa v5, v17, sext(v10) dst_sel:DWORD dst_unused:UNUSED_PAD src0_sel:DWORD src1_sel:BYTE_0
	v_cmp_gt_u16_sdwa vcc, v17, v1 src0_sel:BYTE_0 src1_sel:DWORD
	s_and_b32 s18, s0, 0xff
	v_cndmask_b32_e32 v1, v5, v3, vcc
	v_mov_b32_e32 v5, s9
	v_add_co_u32_e32 v3, vcc, s8, v4
	s_cmp_lt_i32 s18, 11
	v_addc_co_u32_e32 v4, vcc, 0, v5, vcc
	s_cbranch_scc1 .LBB167_2800
; %bb.2723:
	s_and_b32 s19, 0xffff, s18
	s_mov_b64 s[10:11], -1
	s_mov_b64 s[2:3], 0
	s_cmp_gt_i32 s19, 25
	s_mov_b64 s[6:7], 0
	s_mov_b64 s[0:1], 0
	s_cbranch_scc0 .LBB167_2756
; %bb.2724:
	s_cmp_gt_i32 s19, 28
	s_cbranch_scc0 .LBB167_2739
; %bb.2725:
	s_cmp_gt_i32 s19, 43
	;; [unrolled: 3-line block ×3, first 2 shown]
	s_cbranch_scc0 .LBB167_2729
; %bb.2727:
	s_mov_b64 s[0:1], -1
	s_mov_b64 s[10:11], 0
	s_cmp_eq_u32 s19, 46
	s_cbranch_scc0 .LBB167_2729
; %bb.2728:
	v_cvt_f32_i32_sdwa v5, sext(v1) dst_sel:DWORD dst_unused:UNUSED_PAD src0_sel:WORD_0
	s_movk_i32 s6, 0x7fff
	s_mov_b64 s[0:1], 0
	v_bfe_u32 v6, v5, 16, 1
	v_add3_u32 v5, v5, v6, s6
	v_lshrrev_b32_e32 v5, 16, v5
	global_store_dword v[3:4], v5, off
	s_mov_b64 s[6:7], -1
.LBB167_2729:
	s_and_b64 vcc, exec, s[10:11]
	s_cbranch_vccz .LBB167_2734
; %bb.2730:
	s_cmp_eq_u32 s19, 44
	s_mov_b64 s[0:1], -1
	s_cbranch_scc0 .LBB167_2734
; %bb.2731:
	v_cvt_f32_i32_sdwa v5, sext(v1) dst_sel:DWORD dst_unused:UNUSED_PAD src0_sel:WORD_0
	s_movk_i32 s0, 0xff
	v_mov_b32_e32 v7, 0xff
	v_bfe_u32 v6, v5, 23, 8
	v_cmp_ne_u32_e32 vcc, s0, v6
	s_and_saveexec_b64 s[6:7], vcc
	s_cbranch_execz .LBB167_2733
; %bb.2732:
	s_mov_b32 s0, 0x3fffff
	v_lshrrev_b32_e32 v7, 23, v5
	s_waitcnt vmcnt(0)
	v_and_b32_e32 v9, 0x400000, v5
	v_and_or_b32 v5, v5, s0, v6
	v_cmp_ne_u32_e32 vcc, 0, v9
	v_cmp_ne_u32_e64 s[0:1], 0, v5
	s_and_b64 s[0:1], vcc, s[0:1]
	v_cndmask_b32_e64 v5, 0, 1, s[0:1]
	v_add_u32_e32 v7, v7, v5
.LBB167_2733:
	s_or_b64 exec, exec, s[6:7]
	s_mov_b64 s[0:1], 0
	s_mov_b64 s[6:7], -1
	global_store_byte v[3:4], v7, off
.LBB167_2734:
	s_mov_b64 s[10:11], 0
.LBB167_2735:
	s_and_b64 vcc, exec, s[10:11]
	s_cbranch_vccz .LBB167_2738
; %bb.2736:
	s_cmp_eq_u32 s19, 29
	s_mov_b64 s[0:1], -1
	s_cbranch_scc0 .LBB167_2738
; %bb.2737:
	v_bfe_i32 v5, v1, 0, 16
	v_ashrrev_i32_e32 v6, 31, v5
	global_store_dwordx2 v[3:4], v[5:6], off
	s_mov_b64 s[0:1], 0
	s_mov_b64 s[6:7], -1
.LBB167_2738:
	s_mov_b64 s[10:11], 0
.LBB167_2739:
	s_and_b64 vcc, exec, s[10:11]
	s_cbranch_vccz .LBB167_2755
; %bb.2740:
	s_cmp_lt_i32 s19, 27
	s_mov_b64 s[6:7], -1
	s_cbranch_scc1 .LBB167_2746
; %bb.2741:
	s_cmp_gt_i32 s19, 27
	s_cbranch_scc0 .LBB167_2743
; %bb.2742:
	v_bfe_i32 v5, v1, 0, 16
	s_mov_b64 s[6:7], 0
	global_store_dword v[3:4], v5, off
.LBB167_2743:
	s_andn2_b64 vcc, exec, s[6:7]
	s_cbranch_vccnz .LBB167_2745
; %bb.2744:
	global_store_short v[3:4], v1, off
.LBB167_2745:
	s_mov_b64 s[6:7], 0
.LBB167_2746:
	s_andn2_b64 vcc, exec, s[6:7]
	s_cbranch_vccnz .LBB167_2754
; %bb.2747:
	v_cvt_f32_i32_sdwa v5, sext(v1) dst_sel:DWORD dst_unused:UNUSED_PAD src0_sel:WORD_0
	s_mov_b32 s6, 0x43800000
	v_mov_b32_e32 v7, 0x80
	v_and_b32_e32 v6, 0x7fffffff, v5
	v_cmp_gt_u32_e32 vcc, s6, v6
	s_and_saveexec_b64 s[6:7], vcc
	s_cbranch_execz .LBB167_2753
; %bb.2748:
	s_mov_b32 s10, 0x3bffffff
	v_cmp_lt_u32_e32 vcc, s10, v6
	s_mov_b64 s[10:11], 0
                                        ; implicit-def: $vgpr6
	s_and_saveexec_b64 s[16:17], vcc
	s_xor_b64 s[16:17], exec, s[16:17]
	s_cbranch_execz .LBB167_3088
; %bb.2749:
	v_bfe_u32 v6, v5, 20, 1
	s_mov_b32 s20, 0x487ffff
	v_add3_u32 v6, v5, v6, s20
	s_mov_b64 s[10:11], exec
	v_lshrrev_b32_e32 v6, 20, v6
	s_andn2_saveexec_b64 s[16:17], s[16:17]
	s_cbranch_execnz .LBB167_3089
.LBB167_2750:
	s_or_b64 exec, exec, s[16:17]
	v_mov_b32_e32 v7, 0
	s_and_saveexec_b64 s[16:17], s[10:11]
.LBB167_2751:
	v_lshrrev_b32_e32 v5, 24, v5
	s_movk_i32 s10, 0x80
	v_and_or_b32 v7, v5, s10, v6
.LBB167_2752:
	s_or_b64 exec, exec, s[16:17]
.LBB167_2753:
	s_or_b64 exec, exec, s[6:7]
	global_store_byte v[3:4], v7, off
.LBB167_2754:
	s_mov_b64 s[6:7], -1
.LBB167_2755:
	s_mov_b64 s[10:11], 0
.LBB167_2756:
	s_and_b64 vcc, exec, s[10:11]
	s_cbranch_vccz .LBB167_2796
; %bb.2757:
	s_cmp_gt_i32 s19, 22
	s_mov_b64 s[2:3], -1
	s_cbranch_scc0 .LBB167_2789
; %bb.2758:
	s_cmp_lt_i32 s19, 24
	s_cbranch_scc1 .LBB167_2778
; %bb.2759:
	s_cmp_gt_i32 s19, 24
	s_cbranch_scc0 .LBB167_2767
; %bb.2760:
	v_cvt_f32_i32_sdwa v5, sext(v1) dst_sel:DWORD dst_unused:UNUSED_PAD src0_sel:WORD_0
	s_mov_b32 s2, 0x47800000
	v_mov_b32_e32 v7, 0x80
	v_and_b32_e32 v6, 0x7fffffff, v5
	v_cmp_gt_u32_e32 vcc, s2, v6
	s_and_saveexec_b64 s[2:3], vcc
	s_cbranch_execz .LBB167_2766
; %bb.2761:
	s_mov_b32 s6, 0x37ffffff
	v_cmp_lt_u32_e32 vcc, s6, v6
	s_mov_b64 s[6:7], 0
                                        ; implicit-def: $vgpr6
	s_and_saveexec_b64 s[10:11], vcc
	s_xor_b64 s[10:11], exec, s[10:11]
	s_cbranch_execz .LBB167_3091
; %bb.2762:
	v_bfe_u32 v6, v5, 21, 1
	s_mov_b32 s16, 0x88fffff
	v_add3_u32 v6, v5, v6, s16
	s_mov_b64 s[6:7], exec
	v_lshrrev_b32_e32 v6, 21, v6
	s_andn2_saveexec_b64 s[10:11], s[10:11]
	s_cbranch_execnz .LBB167_3092
.LBB167_2763:
	s_or_b64 exec, exec, s[10:11]
	v_mov_b32_e32 v7, 0
	s_and_saveexec_b64 s[10:11], s[6:7]
.LBB167_2764:
	v_lshrrev_b32_e32 v5, 24, v5
	s_movk_i32 s6, 0x80
	v_and_or_b32 v7, v5, s6, v6
.LBB167_2765:
	s_or_b64 exec, exec, s[10:11]
.LBB167_2766:
	s_or_b64 exec, exec, s[2:3]
	s_mov_b64 s[2:3], 0
	global_store_byte v[3:4], v7, off
.LBB167_2767:
	s_and_b64 vcc, exec, s[2:3]
	s_cbranch_vccz .LBB167_2777
; %bb.2768:
	v_cvt_f32_i32_sdwa v5, sext(v1) dst_sel:DWORD dst_unused:UNUSED_PAD src0_sel:WORD_0
	s_mov_b32 s2, 0x43f00000
                                        ; implicit-def: $vgpr6
	v_and_b32_e32 v7, 0x7fffffff, v5
	v_cmp_gt_u32_e32 vcc, s2, v7
	s_and_saveexec_b64 s[2:3], vcc
	s_xor_b64 s[2:3], exec, s[2:3]
	s_cbranch_execz .LBB167_2774
; %bb.2769:
	s_mov_b32 s6, 0x3c7fffff
	v_cmp_lt_u32_e32 vcc, s6, v7
                                        ; implicit-def: $vgpr6
	s_and_saveexec_b64 s[6:7], vcc
	s_xor_b64 s[6:7], exec, s[6:7]
	s_cbranch_execz .LBB167_2771
; %bb.2770:
	v_bfe_u32 v6, v5, 20, 1
	s_mov_b32 s10, 0x407ffff
	v_add3_u32 v6, v5, v6, s10
	v_lshrrev_b32_e32 v7, 20, v6
	v_and_b32_e32 v6, 0xff00000, v6
	s_mov_b32 s10, 0x7f00000
	s_waitcnt vmcnt(0)
	v_mov_b32_e32 v9, 0x7e
	v_cmp_ne_u32_e32 vcc, s10, v6
	v_cndmask_b32_e32 v6, v9, v7, vcc
.LBB167_2771:
	s_andn2_saveexec_b64 s[6:7], s[6:7]
; %bb.2772:
	s_mov_b32 s10, 0x46800000
	v_add_f32_e64 v6, |v5|, s10
; %bb.2773:
	s_or_b64 exec, exec, s[6:7]
                                        ; implicit-def: $vgpr7
.LBB167_2774:
	s_andn2_saveexec_b64 s[2:3], s[2:3]
	s_cbranch_execz .LBB167_2776
; %bb.2775:
	s_mov_b32 s6, 0x7f800000
	v_mov_b32_e32 v6, 0x7e
	s_waitcnt vmcnt(0)
	v_mov_b32_e32 v9, 0x7f
	v_cmp_lt_u32_e32 vcc, s6, v7
	v_cndmask_b32_e32 v6, v6, v9, vcc
.LBB167_2776:
	s_or_b64 exec, exec, s[2:3]
	v_lshrrev_b32_e32 v5, 24, v5
	s_movk_i32 s2, 0x80
	v_and_or_b32 v5, v5, s2, v6
	global_store_byte v[3:4], v5, off
.LBB167_2777:
	s_mov_b64 s[2:3], 0
.LBB167_2778:
	s_andn2_b64 vcc, exec, s[2:3]
	s_cbranch_vccnz .LBB167_2788
; %bb.2779:
	v_cvt_f32_i32_sdwa v5, sext(v1) dst_sel:DWORD dst_unused:UNUSED_PAD src0_sel:WORD_0
	s_mov_b32 s2, 0x47800000
                                        ; implicit-def: $vgpr6
	v_and_b32_e32 v7, 0x7fffffff, v5
	v_cmp_gt_u32_e32 vcc, s2, v7
	s_and_saveexec_b64 s[2:3], vcc
	s_xor_b64 s[2:3], exec, s[2:3]
	s_cbranch_execz .LBB167_2785
; %bb.2780:
	s_mov_b32 s6, 0x387fffff
	v_cmp_lt_u32_e32 vcc, s6, v7
                                        ; implicit-def: $vgpr6
	s_and_saveexec_b64 s[6:7], vcc
	s_xor_b64 s[6:7], exec, s[6:7]
; %bb.2781:
	v_bfe_u32 v6, v5, 21, 1
	s_mov_b32 s10, 0x80fffff
	v_add3_u32 v6, v5, v6, s10
	v_lshrrev_b32_e32 v6, 21, v6
; %bb.2782:
	s_andn2_saveexec_b64 s[6:7], s[6:7]
; %bb.2783:
	s_mov_b32 s10, 0x43000000
	v_add_f32_e64 v6, |v5|, s10
; %bb.2784:
	s_or_b64 exec, exec, s[6:7]
                                        ; implicit-def: $vgpr7
.LBB167_2785:
	s_andn2_saveexec_b64 s[2:3], s[2:3]
	s_cbranch_execz .LBB167_2787
; %bb.2786:
	s_mov_b32 s6, 0x7f800000
	v_mov_b32_e32 v6, 0x7c
	s_waitcnt vmcnt(0)
	v_mov_b32_e32 v9, 0x7f
	v_cmp_lt_u32_e32 vcc, s6, v7
	v_cndmask_b32_e32 v6, v6, v9, vcc
.LBB167_2787:
	s_or_b64 exec, exec, s[2:3]
	v_lshrrev_b32_e32 v5, 24, v5
	s_movk_i32 s2, 0x80
	v_and_or_b32 v5, v5, s2, v6
	global_store_byte v[3:4], v5, off
.LBB167_2788:
	s_mov_b64 s[2:3], 0
	s_mov_b64 s[6:7], -1
.LBB167_2789:
	s_andn2_b64 vcc, exec, s[2:3]
	s_mov_b64 s[2:3], 0
	s_cbranch_vccnz .LBB167_2796
; %bb.2790:
	s_cmp_gt_i32 s19, 14
	s_mov_b64 s[10:11], -1
	s_cbranch_scc0 .LBB167_2794
; %bb.2791:
	s_cmp_eq_u32 s19, 15
	s_mov_b64 s[0:1], -1
	s_cbranch_scc0 .LBB167_2793
; %bb.2792:
	v_cvt_f32_i32_sdwa v5, sext(v1) dst_sel:DWORD dst_unused:UNUSED_PAD src0_sel:WORD_0
	s_movk_i32 s2, 0x7fff
	s_mov_b64 s[0:1], 0
	s_mov_b64 s[6:7], -1
	v_bfe_u32 v6, v5, 16, 1
	v_add3_u32 v5, v5, v6, s2
	global_store_short_d16_hi v[3:4], v5, off
.LBB167_2793:
	s_mov_b64 s[10:11], 0
.LBB167_2794:
	s_mov_b64 s[2:3], 0
	s_and_b64 vcc, exec, s[10:11]
	s_cbranch_vccz .LBB167_2796
; %bb.2795:
	s_cmp_lg_u32 s19, 11
	s_mov_b64 s[2:3], -1
	s_cselect_b64 s[0:1], -1, 0
.LBB167_2796:
	s_and_b64 vcc, exec, s[0:1]
	s_cbranch_vccnz .LBB167_3090
; %bb.2797:
	s_andn2_b64 vcc, exec, s[2:3]
	s_cbranch_vccnz .LBB167_2799
.LBB167_2798:
	v_cmp_ne_u16_e32 vcc, 0, v1
	v_cndmask_b32_e64 v5, 0, 1, vcc
	s_mov_b64 s[6:7], -1
	global_store_byte v[3:4], v5, off
.LBB167_2799:
	s_mov_b64 s[0:1], 0
	s_branch .LBB167_2801
.LBB167_2800:
	s_mov_b64 s[0:1], -1
	s_mov_b64 s[6:7], 0
.LBB167_2801:
	s_and_b64 vcc, exec, s[0:1]
	s_cbranch_vccz .LBB167_2840
; %bb.2802:
	s_and_b32 s2, 0xffff, s18
	s_cmp_lt_i32 s2, 5
	s_mov_b64 s[0:1], -1
	s_cbranch_scc1 .LBB167_2823
; %bb.2803:
	s_cmp_lt_i32 s2, 8
	s_cbranch_scc1 .LBB167_2813
; %bb.2804:
	s_cmp_lt_i32 s2, 9
	s_cbranch_scc1 .LBB167_2810
; %bb.2805:
	s_cmp_gt_i32 s2, 9
	s_cbranch_scc0 .LBB167_2807
; %bb.2806:
	v_bfe_i32 v5, v1, 0, 16
	s_waitcnt vmcnt(0)
	v_cvt_f64_i32_e32 v[9:10], v5
	v_mov_b32_e32 v11, 0
	v_mov_b32_e32 v12, v11
	s_mov_b64 s[0:1], 0
	global_store_dwordx4 v[3:4], v[9:12], off
.LBB167_2807:
	s_andn2_b64 vcc, exec, s[0:1]
	s_cbranch_vccnz .LBB167_2809
; %bb.2808:
	v_cvt_f32_i32_sdwa v5, sext(v1) dst_sel:DWORD dst_unused:UNUSED_PAD src0_sel:WORD_0
	v_mov_b32_e32 v6, 0
	global_store_dwordx2 v[3:4], v[5:6], off
.LBB167_2809:
	s_mov_b64 s[0:1], 0
.LBB167_2810:
	s_andn2_b64 vcc, exec, s[0:1]
	s_cbranch_vccnz .LBB167_2812
; %bb.2811:
	v_cvt_f16_i16_e32 v5, v1
	global_store_dword v[3:4], v5, off
.LBB167_2812:
	s_mov_b64 s[0:1], 0
.LBB167_2813:
	s_andn2_b64 vcc, exec, s[0:1]
	s_cbranch_vccnz .LBB167_2822
; %bb.2814:
	s_cmp_lt_i32 s2, 6
	s_mov_b64 s[0:1], -1
	s_cbranch_scc1 .LBB167_2820
; %bb.2815:
	s_cmp_gt_i32 s2, 6
	s_cbranch_scc0 .LBB167_2817
; %bb.2816:
	v_bfe_i32 v5, v1, 0, 16
	v_cvt_f64_i32_e32 v[5:6], v5
	s_mov_b64 s[0:1], 0
	global_store_dwordx2 v[3:4], v[5:6], off
.LBB167_2817:
	s_andn2_b64 vcc, exec, s[0:1]
	s_cbranch_vccnz .LBB167_2819
; %bb.2818:
	v_cvt_f32_i32_sdwa v5, sext(v1) dst_sel:DWORD dst_unused:UNUSED_PAD src0_sel:WORD_0
	global_store_dword v[3:4], v5, off
.LBB167_2819:
	s_mov_b64 s[0:1], 0
.LBB167_2820:
	s_andn2_b64 vcc, exec, s[0:1]
	s_cbranch_vccnz .LBB167_2822
; %bb.2821:
	v_cvt_f16_i16_e32 v5, v1
	global_store_short v[3:4], v5, off
.LBB167_2822:
	s_mov_b64 s[0:1], 0
.LBB167_2823:
	s_andn2_b64 vcc, exec, s[0:1]
	s_cbranch_vccnz .LBB167_2839
; %bb.2824:
	s_cmp_lt_i32 s2, 2
	s_mov_b64 s[0:1], -1
	s_cbranch_scc1 .LBB167_2834
; %bb.2825:
	s_cmp_lt_i32 s2, 3
	s_cbranch_scc1 .LBB167_2831
; %bb.2826:
	s_cmp_gt_i32 s2, 3
	s_cbranch_scc0 .LBB167_2828
; %bb.2827:
	v_bfe_i32 v5, v1, 0, 16
	v_ashrrev_i32_e32 v6, 31, v5
	global_store_dwordx2 v[3:4], v[5:6], off
	s_mov_b64 s[0:1], 0
.LBB167_2828:
	s_andn2_b64 vcc, exec, s[0:1]
	s_cbranch_vccnz .LBB167_2830
; %bb.2829:
	v_bfe_i32 v5, v1, 0, 16
	global_store_dword v[3:4], v5, off
.LBB167_2830:
	s_mov_b64 s[0:1], 0
.LBB167_2831:
	s_andn2_b64 vcc, exec, s[0:1]
	s_cbranch_vccnz .LBB167_2833
; %bb.2832:
	global_store_short v[3:4], v1, off
.LBB167_2833:
	s_mov_b64 s[0:1], 0
.LBB167_2834:
	s_andn2_b64 vcc, exec, s[0:1]
	s_cbranch_vccnz .LBB167_2839
; %bb.2835:
	s_cmp_gt_i32 s2, 0
	s_mov_b64 s[0:1], -1
	s_cbranch_scc0 .LBB167_2837
; %bb.2836:
	global_store_byte v[3:4], v1, off
	s_mov_b64 s[0:1], 0
.LBB167_2837:
	s_andn2_b64 vcc, exec, s[0:1]
	s_cbranch_vccnz .LBB167_2839
; %bb.2838:
	global_store_byte v[3:4], v1, off
.LBB167_2839:
	s_mov_b64 s[6:7], -1
.LBB167_2840:
	s_andn2_b64 vcc, exec, s[6:7]
	s_cbranch_vccnz .LBB167_3036
; %bb.2841:
	v_mov_b32_e32 v1, 6
	v_mov_b32_e32 v3, 7
	v_ashrrev_i16_sdwa v3, v3, sext(v15) dst_sel:DWORD dst_unused:UNUSED_PAD src0_sel:DWORD src1_sel:BYTE_0
	v_ashrrev_i32_sdwa v4, v18, sext(v15) dst_sel:DWORD dst_unused:UNUSED_PAD src0_sel:DWORD src1_sel:BYTE_0
	v_cmp_gt_u16_sdwa vcc, v18, v1 src0_sel:BYTE_0 src1_sel:DWORD
	v_cndmask_b32_e32 v3, v4, v3, vcc
	v_mov_b32_e32 v4, s9
	v_add_co_u32_e32 v1, vcc, s8, v2
	s_cmp_lt_i32 s18, 11
	v_addc_co_u32_e32 v2, vcc, 0, v4, vcc
	s_cbranch_scc1 .LBB167_2919
; %bb.2842:
	s_and_b32 s19, 0xffff, s18
	s_mov_b64 s[10:11], -1
	s_mov_b64 s[2:3], 0
	s_cmp_gt_i32 s19, 25
	s_mov_b64 s[6:7], 0
	s_mov_b64 s[0:1], 0
	s_cbranch_scc0 .LBB167_2875
; %bb.2843:
	s_cmp_gt_i32 s19, 28
	s_cbranch_scc0 .LBB167_2858
; %bb.2844:
	s_cmp_gt_i32 s19, 43
	;; [unrolled: 3-line block ×3, first 2 shown]
	s_cbranch_scc0 .LBB167_2848
; %bb.2846:
	s_mov_b64 s[0:1], -1
	s_mov_b64 s[10:11], 0
	s_cmp_eq_u32 s19, 46
	s_cbranch_scc0 .LBB167_2848
; %bb.2847:
	v_cvt_f32_i32_sdwa v4, sext(v3) dst_sel:DWORD dst_unused:UNUSED_PAD src0_sel:WORD_0
	s_movk_i32 s6, 0x7fff
	s_mov_b64 s[0:1], 0
	v_bfe_u32 v5, v4, 16, 1
	v_add3_u32 v4, v4, v5, s6
	v_lshrrev_b32_e32 v4, 16, v4
	global_store_dword v[1:2], v4, off
	s_mov_b64 s[6:7], -1
.LBB167_2848:
	s_and_b64 vcc, exec, s[10:11]
	s_cbranch_vccz .LBB167_2853
; %bb.2849:
	s_cmp_eq_u32 s19, 44
	s_mov_b64 s[0:1], -1
	s_cbranch_scc0 .LBB167_2853
; %bb.2850:
	v_cvt_f32_i32_sdwa v4, sext(v3) dst_sel:DWORD dst_unused:UNUSED_PAD src0_sel:WORD_0
	s_movk_i32 s0, 0xff
	v_mov_b32_e32 v6, 0xff
	v_bfe_u32 v5, v4, 23, 8
	v_cmp_ne_u32_e32 vcc, s0, v5
	s_and_saveexec_b64 s[6:7], vcc
; %bb.2851:
	s_mov_b32 s0, 0x3fffff
	v_lshrrev_b32_e32 v6, 23, v4
	v_and_b32_e32 v7, 0x400000, v4
	v_and_or_b32 v4, v4, s0, v5
	v_cmp_ne_u32_e32 vcc, 0, v7
	v_cmp_ne_u32_e64 s[0:1], 0, v4
	s_and_b64 s[0:1], vcc, s[0:1]
	v_cndmask_b32_e64 v4, 0, 1, s[0:1]
	v_add_u32_e32 v6, v6, v4
; %bb.2852:
	s_or_b64 exec, exec, s[6:7]
	s_mov_b64 s[0:1], 0
	s_mov_b64 s[6:7], -1
	global_store_byte v[1:2], v6, off
.LBB167_2853:
	s_mov_b64 s[10:11], 0
.LBB167_2854:
	s_and_b64 vcc, exec, s[10:11]
	s_cbranch_vccz .LBB167_2857
; %bb.2855:
	s_cmp_eq_u32 s19, 29
	s_mov_b64 s[0:1], -1
	s_cbranch_scc0 .LBB167_2857
; %bb.2856:
	v_bfe_i32 v4, v3, 0, 16
	v_ashrrev_i32_e32 v5, 31, v4
	global_store_dwordx2 v[1:2], v[4:5], off
	s_mov_b64 s[0:1], 0
	s_mov_b64 s[6:7], -1
.LBB167_2857:
	s_mov_b64 s[10:11], 0
.LBB167_2858:
	s_and_b64 vcc, exec, s[10:11]
	s_cbranch_vccz .LBB167_2874
; %bb.2859:
	s_cmp_lt_i32 s19, 27
	s_mov_b64 s[6:7], -1
	s_cbranch_scc1 .LBB167_2865
; %bb.2860:
	s_cmp_gt_i32 s19, 27
	s_cbranch_scc0 .LBB167_2862
; %bb.2861:
	v_bfe_i32 v4, v3, 0, 16
	s_mov_b64 s[6:7], 0
	global_store_dword v[1:2], v4, off
.LBB167_2862:
	s_andn2_b64 vcc, exec, s[6:7]
	s_cbranch_vccnz .LBB167_2864
; %bb.2863:
	global_store_short v[1:2], v3, off
.LBB167_2864:
	s_mov_b64 s[6:7], 0
.LBB167_2865:
	s_andn2_b64 vcc, exec, s[6:7]
	s_cbranch_vccnz .LBB167_2873
; %bb.2866:
	v_cvt_f32_i32_sdwa v4, sext(v3) dst_sel:DWORD dst_unused:UNUSED_PAD src0_sel:WORD_0
	s_mov_b32 s6, 0x43800000
	v_mov_b32_e32 v6, 0x80
	v_and_b32_e32 v5, 0x7fffffff, v4
	v_cmp_gt_u32_e32 vcc, s6, v5
	s_and_saveexec_b64 s[6:7], vcc
	s_cbranch_execz .LBB167_2872
; %bb.2867:
	s_mov_b32 s10, 0x3bffffff
	v_cmp_lt_u32_e32 vcc, s10, v5
	s_mov_b64 s[10:11], 0
                                        ; implicit-def: $vgpr5
	s_and_saveexec_b64 s[16:17], vcc
	s_xor_b64 s[16:17], exec, s[16:17]
	s_cbranch_execz .LBB167_3093
; %bb.2868:
	v_bfe_u32 v5, v4, 20, 1
	s_mov_b32 s20, 0x487ffff
	v_add3_u32 v5, v4, v5, s20
	s_mov_b64 s[10:11], exec
	v_lshrrev_b32_e32 v5, 20, v5
	s_andn2_saveexec_b64 s[16:17], s[16:17]
	s_cbranch_execnz .LBB167_3094
.LBB167_2869:
	s_or_b64 exec, exec, s[16:17]
	v_mov_b32_e32 v6, 0
	s_and_saveexec_b64 s[16:17], s[10:11]
.LBB167_2870:
	v_lshrrev_b32_e32 v4, 24, v4
	s_movk_i32 s10, 0x80
	v_and_or_b32 v6, v4, s10, v5
.LBB167_2871:
	s_or_b64 exec, exec, s[16:17]
.LBB167_2872:
	s_or_b64 exec, exec, s[6:7]
	global_store_byte v[1:2], v6, off
.LBB167_2873:
	s_mov_b64 s[6:7], -1
.LBB167_2874:
	s_mov_b64 s[10:11], 0
.LBB167_2875:
	s_and_b64 vcc, exec, s[10:11]
	s_cbranch_vccz .LBB167_2915
; %bb.2876:
	s_cmp_gt_i32 s19, 22
	s_mov_b64 s[2:3], -1
	s_cbranch_scc0 .LBB167_2908
; %bb.2877:
	s_cmp_lt_i32 s19, 24
	s_cbranch_scc1 .LBB167_2897
; %bb.2878:
	s_cmp_gt_i32 s19, 24
	s_cbranch_scc0 .LBB167_2886
; %bb.2879:
	v_cvt_f32_i32_sdwa v4, sext(v3) dst_sel:DWORD dst_unused:UNUSED_PAD src0_sel:WORD_0
	s_mov_b32 s2, 0x47800000
	v_mov_b32_e32 v6, 0x80
	v_and_b32_e32 v5, 0x7fffffff, v4
	v_cmp_gt_u32_e32 vcc, s2, v5
	s_and_saveexec_b64 s[2:3], vcc
	s_cbranch_execz .LBB167_2885
; %bb.2880:
	s_mov_b32 s6, 0x37ffffff
	v_cmp_lt_u32_e32 vcc, s6, v5
	s_mov_b64 s[6:7], 0
                                        ; implicit-def: $vgpr5
	s_and_saveexec_b64 s[10:11], vcc
	s_xor_b64 s[10:11], exec, s[10:11]
	s_cbranch_execz .LBB167_3096
; %bb.2881:
	v_bfe_u32 v5, v4, 21, 1
	s_mov_b32 s16, 0x88fffff
	v_add3_u32 v5, v4, v5, s16
	s_mov_b64 s[6:7], exec
	v_lshrrev_b32_e32 v5, 21, v5
	s_andn2_saveexec_b64 s[10:11], s[10:11]
	s_cbranch_execnz .LBB167_3097
.LBB167_2882:
	s_or_b64 exec, exec, s[10:11]
	v_mov_b32_e32 v6, 0
	s_and_saveexec_b64 s[10:11], s[6:7]
.LBB167_2883:
	v_lshrrev_b32_e32 v4, 24, v4
	s_movk_i32 s6, 0x80
	v_and_or_b32 v6, v4, s6, v5
.LBB167_2884:
	s_or_b64 exec, exec, s[10:11]
.LBB167_2885:
	s_or_b64 exec, exec, s[2:3]
	s_mov_b64 s[2:3], 0
	global_store_byte v[1:2], v6, off
.LBB167_2886:
	s_and_b64 vcc, exec, s[2:3]
	s_cbranch_vccz .LBB167_2896
; %bb.2887:
	v_cvt_f32_i32_sdwa v4, sext(v3) dst_sel:DWORD dst_unused:UNUSED_PAD src0_sel:WORD_0
	s_mov_b32 s2, 0x43f00000
                                        ; implicit-def: $vgpr5
	v_and_b32_e32 v6, 0x7fffffff, v4
	v_cmp_gt_u32_e32 vcc, s2, v6
	s_and_saveexec_b64 s[2:3], vcc
	s_xor_b64 s[2:3], exec, s[2:3]
	s_cbranch_execz .LBB167_2893
; %bb.2888:
	s_mov_b32 s6, 0x3c7fffff
	v_cmp_lt_u32_e32 vcc, s6, v6
                                        ; implicit-def: $vgpr5
	s_and_saveexec_b64 s[6:7], vcc
	s_xor_b64 s[6:7], exec, s[6:7]
; %bb.2889:
	v_bfe_u32 v5, v4, 20, 1
	s_mov_b32 s10, 0x407ffff
	v_add3_u32 v5, v4, v5, s10
	v_lshrrev_b32_e32 v6, 20, v5
	v_and_b32_e32 v5, 0xff00000, v5
	s_mov_b32 s10, 0x7f00000
	v_mov_b32_e32 v7, 0x7e
	v_cmp_ne_u32_e32 vcc, s10, v5
	v_cndmask_b32_e32 v5, v7, v6, vcc
; %bb.2890:
	s_andn2_saveexec_b64 s[6:7], s[6:7]
; %bb.2891:
	s_mov_b32 s10, 0x46800000
	v_add_f32_e64 v5, |v4|, s10
; %bb.2892:
	s_or_b64 exec, exec, s[6:7]
                                        ; implicit-def: $vgpr6
.LBB167_2893:
	s_andn2_saveexec_b64 s[2:3], s[2:3]
; %bb.2894:
	s_mov_b32 s6, 0x7f800000
	v_mov_b32_e32 v5, 0x7e
	v_mov_b32_e32 v7, 0x7f
	v_cmp_lt_u32_e32 vcc, s6, v6
	v_cndmask_b32_e32 v5, v5, v7, vcc
; %bb.2895:
	s_or_b64 exec, exec, s[2:3]
	v_lshrrev_b32_e32 v4, 24, v4
	s_movk_i32 s2, 0x80
	v_and_or_b32 v4, v4, s2, v5
	global_store_byte v[1:2], v4, off
.LBB167_2896:
	s_mov_b64 s[2:3], 0
.LBB167_2897:
	s_andn2_b64 vcc, exec, s[2:3]
	s_cbranch_vccnz .LBB167_2907
; %bb.2898:
	v_cvt_f32_i32_sdwa v4, sext(v3) dst_sel:DWORD dst_unused:UNUSED_PAD src0_sel:WORD_0
	s_mov_b32 s2, 0x47800000
                                        ; implicit-def: $vgpr5
	v_and_b32_e32 v6, 0x7fffffff, v4
	v_cmp_gt_u32_e32 vcc, s2, v6
	s_and_saveexec_b64 s[2:3], vcc
	s_xor_b64 s[2:3], exec, s[2:3]
	s_cbranch_execz .LBB167_2904
; %bb.2899:
	s_mov_b32 s6, 0x387fffff
	v_cmp_lt_u32_e32 vcc, s6, v6
                                        ; implicit-def: $vgpr5
	s_and_saveexec_b64 s[6:7], vcc
	s_xor_b64 s[6:7], exec, s[6:7]
; %bb.2900:
	v_bfe_u32 v5, v4, 21, 1
	s_mov_b32 s10, 0x80fffff
	v_add3_u32 v5, v4, v5, s10
	v_lshrrev_b32_e32 v5, 21, v5
; %bb.2901:
	s_andn2_saveexec_b64 s[6:7], s[6:7]
; %bb.2902:
	s_mov_b32 s10, 0x43000000
	v_add_f32_e64 v5, |v4|, s10
; %bb.2903:
	s_or_b64 exec, exec, s[6:7]
                                        ; implicit-def: $vgpr6
.LBB167_2904:
	s_andn2_saveexec_b64 s[2:3], s[2:3]
; %bb.2905:
	s_mov_b32 s6, 0x7f800000
	v_mov_b32_e32 v5, 0x7c
	v_mov_b32_e32 v7, 0x7f
	v_cmp_lt_u32_e32 vcc, s6, v6
	v_cndmask_b32_e32 v5, v5, v7, vcc
; %bb.2906:
	s_or_b64 exec, exec, s[2:3]
	v_lshrrev_b32_e32 v4, 24, v4
	s_movk_i32 s2, 0x80
	v_and_or_b32 v4, v4, s2, v5
	global_store_byte v[1:2], v4, off
.LBB167_2907:
	s_mov_b64 s[2:3], 0
	s_mov_b64 s[6:7], -1
.LBB167_2908:
	s_andn2_b64 vcc, exec, s[2:3]
	s_mov_b64 s[2:3], 0
	s_cbranch_vccnz .LBB167_2915
; %bb.2909:
	s_cmp_gt_i32 s19, 14
	s_mov_b64 s[10:11], -1
	s_cbranch_scc0 .LBB167_2913
; %bb.2910:
	s_cmp_eq_u32 s19, 15
	s_mov_b64 s[0:1], -1
	s_cbranch_scc0 .LBB167_2912
; %bb.2911:
	v_cvt_f32_i32_sdwa v4, sext(v3) dst_sel:DWORD dst_unused:UNUSED_PAD src0_sel:WORD_0
	s_movk_i32 s2, 0x7fff
	s_mov_b64 s[0:1], 0
	s_mov_b64 s[6:7], -1
	v_bfe_u32 v5, v4, 16, 1
	v_add3_u32 v4, v4, v5, s2
	global_store_short_d16_hi v[1:2], v4, off
.LBB167_2912:
	s_mov_b64 s[10:11], 0
.LBB167_2913:
	s_mov_b64 s[2:3], 0
	s_and_b64 vcc, exec, s[10:11]
	s_cbranch_vccz .LBB167_2915
; %bb.2914:
	s_cmp_lg_u32 s19, 11
	s_mov_b64 s[2:3], -1
	s_cselect_b64 s[0:1], -1, 0
.LBB167_2915:
	s_and_b64 vcc, exec, s[0:1]
	s_cbranch_vccnz .LBB167_3095
; %bb.2916:
	s_andn2_b64 vcc, exec, s[2:3]
	s_cbranch_vccnz .LBB167_2918
.LBB167_2917:
	v_cmp_ne_u16_e32 vcc, 0, v3
	v_cndmask_b32_e64 v4, 0, 1, vcc
	s_mov_b64 s[6:7], -1
	global_store_byte v[1:2], v4, off
.LBB167_2918:
	s_mov_b64 s[0:1], 0
	s_branch .LBB167_2920
.LBB167_2919:
	s_mov_b64 s[0:1], -1
	s_mov_b64 s[6:7], 0
.LBB167_2920:
	s_and_b64 vcc, exec, s[0:1]
	s_cbranch_vccz .LBB167_2959
; %bb.2921:
	s_and_b32 s2, 0xffff, s18
	s_cmp_lt_i32 s2, 5
	s_mov_b64 s[0:1], -1
	s_cbranch_scc1 .LBB167_2942
; %bb.2922:
	s_cmp_lt_i32 s2, 8
	s_cbranch_scc1 .LBB167_2932
; %bb.2923:
	s_cmp_lt_i32 s2, 9
	s_cbranch_scc1 .LBB167_2929
; %bb.2924:
	s_cmp_gt_i32 s2, 9
	s_cbranch_scc0 .LBB167_2926
; %bb.2925:
	v_bfe_i32 v4, v3, 0, 16
	v_cvt_f64_i32_e32 v[4:5], v4
	v_mov_b32_e32 v6, 0
	v_mov_b32_e32 v7, v6
	s_mov_b64 s[0:1], 0
	global_store_dwordx4 v[1:2], v[4:7], off
.LBB167_2926:
	s_andn2_b64 vcc, exec, s[0:1]
	s_cbranch_vccnz .LBB167_2928
; %bb.2927:
	v_cvt_f32_i32_sdwa v4, sext(v3) dst_sel:DWORD dst_unused:UNUSED_PAD src0_sel:WORD_0
	v_mov_b32_e32 v5, 0
	global_store_dwordx2 v[1:2], v[4:5], off
.LBB167_2928:
	s_mov_b64 s[0:1], 0
.LBB167_2929:
	s_andn2_b64 vcc, exec, s[0:1]
	s_cbranch_vccnz .LBB167_2931
; %bb.2930:
	v_cvt_f16_i16_e32 v4, v3
	global_store_dword v[1:2], v4, off
.LBB167_2931:
	s_mov_b64 s[0:1], 0
.LBB167_2932:
	s_andn2_b64 vcc, exec, s[0:1]
	s_cbranch_vccnz .LBB167_2941
; %bb.2933:
	s_cmp_lt_i32 s2, 6
	s_mov_b64 s[0:1], -1
	s_cbranch_scc1 .LBB167_2939
; %bb.2934:
	s_cmp_gt_i32 s2, 6
	s_cbranch_scc0 .LBB167_2936
; %bb.2935:
	v_bfe_i32 v4, v3, 0, 16
	v_cvt_f64_i32_e32 v[4:5], v4
	s_mov_b64 s[0:1], 0
	global_store_dwordx2 v[1:2], v[4:5], off
.LBB167_2936:
	s_andn2_b64 vcc, exec, s[0:1]
	s_cbranch_vccnz .LBB167_2938
; %bb.2937:
	v_cvt_f32_i32_sdwa v4, sext(v3) dst_sel:DWORD dst_unused:UNUSED_PAD src0_sel:WORD_0
	global_store_dword v[1:2], v4, off
.LBB167_2938:
	s_mov_b64 s[0:1], 0
.LBB167_2939:
	s_andn2_b64 vcc, exec, s[0:1]
	s_cbranch_vccnz .LBB167_2941
; %bb.2940:
	v_cvt_f16_i16_e32 v4, v3
	global_store_short v[1:2], v4, off
.LBB167_2941:
	s_mov_b64 s[0:1], 0
.LBB167_2942:
	s_andn2_b64 vcc, exec, s[0:1]
	s_cbranch_vccnz .LBB167_2958
; %bb.2943:
	s_cmp_lt_i32 s2, 2
	s_mov_b64 s[0:1], -1
	s_cbranch_scc1 .LBB167_2953
; %bb.2944:
	s_cmp_lt_i32 s2, 3
	s_cbranch_scc1 .LBB167_2950
; %bb.2945:
	s_cmp_gt_i32 s2, 3
	s_cbranch_scc0 .LBB167_2947
; %bb.2946:
	v_bfe_i32 v4, v3, 0, 16
	v_ashrrev_i32_e32 v5, 31, v4
	global_store_dwordx2 v[1:2], v[4:5], off
	s_mov_b64 s[0:1], 0
.LBB167_2947:
	s_andn2_b64 vcc, exec, s[0:1]
	s_cbranch_vccnz .LBB167_2949
; %bb.2948:
	v_bfe_i32 v4, v3, 0, 16
	global_store_dword v[1:2], v4, off
.LBB167_2949:
	s_mov_b64 s[0:1], 0
.LBB167_2950:
	s_andn2_b64 vcc, exec, s[0:1]
	s_cbranch_vccnz .LBB167_2952
; %bb.2951:
	global_store_short v[1:2], v3, off
.LBB167_2952:
	s_mov_b64 s[0:1], 0
.LBB167_2953:
	s_andn2_b64 vcc, exec, s[0:1]
	s_cbranch_vccnz .LBB167_2958
; %bb.2954:
	s_cmp_gt_i32 s2, 0
	s_mov_b64 s[0:1], -1
	s_cbranch_scc0 .LBB167_2956
; %bb.2955:
	global_store_byte v[1:2], v3, off
	s_mov_b64 s[0:1], 0
.LBB167_2956:
	s_andn2_b64 vcc, exec, s[0:1]
	s_cbranch_vccnz .LBB167_2958
; %bb.2957:
	global_store_byte v[1:2], v3, off
.LBB167_2958:
	s_mov_b64 s[6:7], -1
.LBB167_2959:
	s_andn2_b64 vcc, exec, s[6:7]
	s_cbranch_vccnz .LBB167_3036
; %bb.2960:
	v_mov_b32_e32 v1, 6
	v_mov_b32_e32 v2, 7
	s_waitcnt vmcnt(0)
	v_ashrrev_i16_sdwa v2, v2, sext(v13) dst_sel:DWORD dst_unused:UNUSED_PAD src0_sel:DWORD src1_sel:BYTE_0
	v_ashrrev_i32_sdwa v3, v8, sext(v13) dst_sel:DWORD dst_unused:UNUSED_PAD src0_sel:DWORD src1_sel:BYTE_0
	v_cmp_gt_u16_sdwa vcc, v8, v1 src0_sel:BYTE_0 src1_sel:DWORD
	v_cndmask_b32_e32 v2, v3, v2, vcc
	v_mov_b32_e32 v1, s9
	v_add_co_u32_e32 v0, vcc, s8, v0
	s_cmp_lt_i32 s18, 11
	v_addc_co_u32_e32 v1, vcc, 0, v1, vcc
	s_cbranch_scc1 .LBB167_3081
; %bb.2961:
	s_and_b32 s16, 0xffff, s18
	s_mov_b64 s[6:7], -1
	s_mov_b64 s[2:3], 0
	s_cmp_gt_i32 s16, 25
	s_mov_b64 s[0:1], 0
	s_cbranch_scc0 .LBB167_2994
; %bb.2962:
	s_cmp_gt_i32 s16, 28
	s_cbranch_scc0 .LBB167_2978
; %bb.2963:
	s_cmp_gt_i32 s16, 43
	s_cbranch_scc0 .LBB167_2974
; %bb.2964:
	s_cmp_gt_i32 s16, 45
	s_cbranch_scc0 .LBB167_2968
; %bb.2965:
	s_cmp_eq_u32 s16, 46
	s_mov_b64 s[0:1], -1
	s_cbranch_scc0 .LBB167_2967
; %bb.2966:
	v_cvt_f32_i32_sdwa v3, sext(v2) dst_sel:DWORD dst_unused:UNUSED_PAD src0_sel:WORD_0
	s_movk_i32 s0, 0x7fff
	v_bfe_u32 v4, v3, 16, 1
	v_add3_u32 v3, v3, v4, s0
	v_lshrrev_b32_e32 v3, 16, v3
	global_store_dword v[0:1], v3, off
	s_mov_b64 s[0:1], 0
.LBB167_2967:
	s_mov_b64 s[6:7], 0
.LBB167_2968:
	s_and_b64 vcc, exec, s[6:7]
	s_cbranch_vccz .LBB167_2973
; %bb.2969:
	s_cmp_eq_u32 s16, 44
	s_mov_b64 s[0:1], -1
	s_cbranch_scc0 .LBB167_2973
; %bb.2970:
	v_cvt_f32_i32_sdwa v3, sext(v2) dst_sel:DWORD dst_unused:UNUSED_PAD src0_sel:WORD_0
	s_movk_i32 s0, 0xff
	v_mov_b32_e32 v5, 0xff
	v_bfe_u32 v4, v3, 23, 8
	v_cmp_ne_u32_e32 vcc, s0, v4
	s_and_saveexec_b64 s[6:7], vcc
; %bb.2971:
	s_mov_b32 s0, 0x3fffff
	v_lshrrev_b32_e32 v5, 23, v3
	v_and_b32_e32 v6, 0x400000, v3
	v_and_or_b32 v3, v3, s0, v4
	v_cmp_ne_u32_e32 vcc, 0, v6
	v_cmp_ne_u32_e64 s[0:1], 0, v3
	s_and_b64 s[0:1], vcc, s[0:1]
	v_cndmask_b32_e64 v3, 0, 1, s[0:1]
	v_add_u32_e32 v5, v5, v3
; %bb.2972:
	s_or_b64 exec, exec, s[6:7]
	s_mov_b64 s[0:1], 0
	global_store_byte v[0:1], v5, off
.LBB167_2973:
	s_mov_b64 s[6:7], 0
.LBB167_2974:
	s_and_b64 vcc, exec, s[6:7]
	s_cbranch_vccz .LBB167_2977
; %bb.2975:
	s_cmp_eq_u32 s16, 29
	s_mov_b64 s[0:1], -1
	s_cbranch_scc0 .LBB167_2977
; %bb.2976:
	v_bfe_i32 v3, v2, 0, 16
	v_ashrrev_i32_e32 v4, 31, v3
	global_store_dwordx2 v[0:1], v[3:4], off
	s_mov_b64 s[0:1], 0
.LBB167_2977:
	s_mov_b64 s[6:7], 0
.LBB167_2978:
	s_and_b64 vcc, exec, s[6:7]
	s_cbranch_vccz .LBB167_2993
; %bb.2979:
	s_cmp_lt_i32 s16, 27
	s_mov_b64 s[6:7], -1
	s_cbranch_scc1 .LBB167_2985
; %bb.2980:
	s_cmp_gt_i32 s16, 27
	s_cbranch_scc0 .LBB167_2982
; %bb.2981:
	v_bfe_i32 v3, v2, 0, 16
	global_store_dword v[0:1], v3, off
	s_mov_b64 s[6:7], 0
.LBB167_2982:
	s_andn2_b64 vcc, exec, s[6:7]
	s_cbranch_vccnz .LBB167_2984
; %bb.2983:
	global_store_short v[0:1], v2, off
.LBB167_2984:
	s_mov_b64 s[6:7], 0
.LBB167_2985:
	s_andn2_b64 vcc, exec, s[6:7]
	s_cbranch_vccnz .LBB167_2993
; %bb.2986:
	v_cvt_f32_i32_sdwa v3, sext(v2) dst_sel:DWORD dst_unused:UNUSED_PAD src0_sel:WORD_0
	s_mov_b32 s6, 0x43800000
	v_mov_b32_e32 v5, 0x80
	v_and_b32_e32 v4, 0x7fffffff, v3
	v_cmp_gt_u32_e32 vcc, s6, v4
	s_and_saveexec_b64 s[6:7], vcc
	s_cbranch_execz .LBB167_2992
; %bb.2987:
	s_mov_b32 s8, 0x3bffffff
	v_cmp_lt_u32_e32 vcc, s8, v4
	s_mov_b64 s[8:9], 0
                                        ; implicit-def: $vgpr4
	s_and_saveexec_b64 s[10:11], vcc
	s_xor_b64 s[10:11], exec, s[10:11]
	s_cbranch_execz .LBB167_3098
; %bb.2988:
	v_bfe_u32 v4, v3, 20, 1
	s_mov_b32 s17, 0x487ffff
	v_add3_u32 v4, v3, v4, s17
	s_mov_b64 s[8:9], exec
	v_lshrrev_b32_e32 v4, 20, v4
	s_andn2_saveexec_b64 s[10:11], s[10:11]
	s_cbranch_execnz .LBB167_3099
.LBB167_2989:
	s_or_b64 exec, exec, s[10:11]
	v_mov_b32_e32 v5, 0
	s_and_saveexec_b64 s[10:11], s[8:9]
.LBB167_2990:
	v_lshrrev_b32_e32 v3, 24, v3
	s_movk_i32 s8, 0x80
	v_and_or_b32 v5, v3, s8, v4
.LBB167_2991:
	s_or_b64 exec, exec, s[10:11]
.LBB167_2992:
	s_or_b64 exec, exec, s[6:7]
	global_store_byte v[0:1], v5, off
.LBB167_2993:
	s_mov_b64 s[6:7], 0
.LBB167_2994:
	s_and_b64 vcc, exec, s[6:7]
	s_cbranch_vccz .LBB167_3034
; %bb.2995:
	s_cmp_gt_i32 s16, 22
	s_mov_b64 s[2:3], -1
	s_cbranch_scc0 .LBB167_3027
; %bb.2996:
	s_cmp_lt_i32 s16, 24
	s_cbranch_scc1 .LBB167_3016
; %bb.2997:
	s_cmp_gt_i32 s16, 24
	s_cbranch_scc0 .LBB167_3005
; %bb.2998:
	v_cvt_f32_i32_sdwa v3, sext(v2) dst_sel:DWORD dst_unused:UNUSED_PAD src0_sel:WORD_0
	s_mov_b32 s2, 0x47800000
	v_mov_b32_e32 v5, 0x80
	v_and_b32_e32 v4, 0x7fffffff, v3
	v_cmp_gt_u32_e32 vcc, s2, v4
	s_and_saveexec_b64 s[2:3], vcc
	s_cbranch_execz .LBB167_3004
; %bb.2999:
	s_mov_b32 s6, 0x37ffffff
	v_cmp_lt_u32_e32 vcc, s6, v4
	s_mov_b64 s[6:7], 0
                                        ; implicit-def: $vgpr4
	s_and_saveexec_b64 s[8:9], vcc
	s_xor_b64 s[8:9], exec, s[8:9]
	s_cbranch_execz .LBB167_3101
; %bb.3000:
	v_bfe_u32 v4, v3, 21, 1
	s_mov_b32 s10, 0x88fffff
	v_add3_u32 v4, v3, v4, s10
	s_mov_b64 s[6:7], exec
	v_lshrrev_b32_e32 v4, 21, v4
	s_andn2_saveexec_b64 s[8:9], s[8:9]
	s_cbranch_execnz .LBB167_3102
.LBB167_3001:
	s_or_b64 exec, exec, s[8:9]
	v_mov_b32_e32 v5, 0
	s_and_saveexec_b64 s[8:9], s[6:7]
.LBB167_3002:
	v_lshrrev_b32_e32 v3, 24, v3
	s_movk_i32 s6, 0x80
	v_and_or_b32 v5, v3, s6, v4
.LBB167_3003:
	s_or_b64 exec, exec, s[8:9]
.LBB167_3004:
	s_or_b64 exec, exec, s[2:3]
	s_mov_b64 s[2:3], 0
	global_store_byte v[0:1], v5, off
.LBB167_3005:
	s_and_b64 vcc, exec, s[2:3]
	s_cbranch_vccz .LBB167_3015
; %bb.3006:
	v_cvt_f32_i32_sdwa v3, sext(v2) dst_sel:DWORD dst_unused:UNUSED_PAD src0_sel:WORD_0
	s_mov_b32 s2, 0x43f00000
                                        ; implicit-def: $vgpr4
	v_and_b32_e32 v5, 0x7fffffff, v3
	v_cmp_gt_u32_e32 vcc, s2, v5
	s_and_saveexec_b64 s[2:3], vcc
	s_xor_b64 s[2:3], exec, s[2:3]
	s_cbranch_execz .LBB167_3012
; %bb.3007:
	s_mov_b32 s6, 0x3c7fffff
	v_cmp_lt_u32_e32 vcc, s6, v5
                                        ; implicit-def: $vgpr4
	s_and_saveexec_b64 s[6:7], vcc
	s_xor_b64 s[6:7], exec, s[6:7]
; %bb.3008:
	v_bfe_u32 v4, v3, 20, 1
	s_mov_b32 s8, 0x407ffff
	v_add3_u32 v4, v3, v4, s8
	v_lshrrev_b32_e32 v5, 20, v4
	v_and_b32_e32 v4, 0xff00000, v4
	s_mov_b32 s8, 0x7f00000
	v_mov_b32_e32 v6, 0x7e
	v_cmp_ne_u32_e32 vcc, s8, v4
	v_cndmask_b32_e32 v4, v6, v5, vcc
; %bb.3009:
	s_andn2_saveexec_b64 s[6:7], s[6:7]
; %bb.3010:
	s_mov_b32 s8, 0x46800000
	v_add_f32_e64 v4, |v3|, s8
; %bb.3011:
	s_or_b64 exec, exec, s[6:7]
                                        ; implicit-def: $vgpr5
.LBB167_3012:
	s_andn2_saveexec_b64 s[2:3], s[2:3]
; %bb.3013:
	s_mov_b32 s6, 0x7f800000
	v_mov_b32_e32 v4, 0x7e
	v_mov_b32_e32 v6, 0x7f
	v_cmp_lt_u32_e32 vcc, s6, v5
	v_cndmask_b32_e32 v4, v4, v6, vcc
; %bb.3014:
	s_or_b64 exec, exec, s[2:3]
	v_lshrrev_b32_e32 v3, 24, v3
	s_movk_i32 s2, 0x80
	v_and_or_b32 v3, v3, s2, v4
	global_store_byte v[0:1], v3, off
.LBB167_3015:
	s_mov_b64 s[2:3], 0
.LBB167_3016:
	s_andn2_b64 vcc, exec, s[2:3]
	s_cbranch_vccnz .LBB167_3026
; %bb.3017:
	v_cvt_f32_i32_sdwa v3, sext(v2) dst_sel:DWORD dst_unused:UNUSED_PAD src0_sel:WORD_0
	s_mov_b32 s2, 0x47800000
                                        ; implicit-def: $vgpr4
	v_and_b32_e32 v5, 0x7fffffff, v3
	v_cmp_gt_u32_e32 vcc, s2, v5
	s_and_saveexec_b64 s[2:3], vcc
	s_xor_b64 s[2:3], exec, s[2:3]
	s_cbranch_execz .LBB167_3023
; %bb.3018:
	s_mov_b32 s6, 0x387fffff
	v_cmp_lt_u32_e32 vcc, s6, v5
                                        ; implicit-def: $vgpr4
	s_and_saveexec_b64 s[6:7], vcc
	s_xor_b64 s[6:7], exec, s[6:7]
; %bb.3019:
	v_bfe_u32 v4, v3, 21, 1
	s_mov_b32 s8, 0x80fffff
	v_add3_u32 v4, v3, v4, s8
	v_lshrrev_b32_e32 v4, 21, v4
; %bb.3020:
	s_andn2_saveexec_b64 s[6:7], s[6:7]
; %bb.3021:
	s_mov_b32 s8, 0x43000000
	v_add_f32_e64 v4, |v3|, s8
; %bb.3022:
	s_or_b64 exec, exec, s[6:7]
                                        ; implicit-def: $vgpr5
.LBB167_3023:
	s_andn2_saveexec_b64 s[2:3], s[2:3]
; %bb.3024:
	s_mov_b32 s6, 0x7f800000
	v_mov_b32_e32 v4, 0x7c
	v_mov_b32_e32 v6, 0x7f
	v_cmp_lt_u32_e32 vcc, s6, v5
	v_cndmask_b32_e32 v4, v4, v6, vcc
; %bb.3025:
	s_or_b64 exec, exec, s[2:3]
	v_lshrrev_b32_e32 v3, 24, v3
	s_movk_i32 s2, 0x80
	v_and_or_b32 v3, v3, s2, v4
	global_store_byte v[0:1], v3, off
.LBB167_3026:
	s_mov_b64 s[2:3], 0
.LBB167_3027:
	s_andn2_b64 vcc, exec, s[2:3]
	s_mov_b64 s[2:3], 0
	s_cbranch_vccnz .LBB167_3034
; %bb.3028:
	s_cmp_gt_i32 s16, 14
	s_mov_b64 s[6:7], -1
	s_cbranch_scc0 .LBB167_3032
; %bb.3029:
	s_cmp_eq_u32 s16, 15
	s_mov_b64 s[0:1], -1
	s_cbranch_scc0 .LBB167_3031
; %bb.3030:
	v_cvt_f32_i32_sdwa v3, sext(v2) dst_sel:DWORD dst_unused:UNUSED_PAD src0_sel:WORD_0
	s_movk_i32 s0, 0x7fff
	v_bfe_u32 v4, v3, 16, 1
	v_add3_u32 v3, v3, v4, s0
	global_store_short_d16_hi v[0:1], v3, off
	s_mov_b64 s[0:1], 0
.LBB167_3031:
	s_mov_b64 s[6:7], 0
.LBB167_3032:
	s_and_b64 vcc, exec, s[6:7]
	s_cbranch_vccz .LBB167_3034
; %bb.3033:
	s_cmp_lg_u32 s16, 11
	s_mov_b64 s[2:3], -1
	s_cselect_b64 s[0:1], -1, 0
.LBB167_3034:
	s_and_b64 vcc, exec, s[0:1]
	s_cbranch_vccnz .LBB167_3100
.LBB167_3035:
	s_mov_b64 s[0:1], 0
	s_branch .LBB167_3037
.LBB167_3036:
	s_mov_b64 s[0:1], 0
	s_mov_b64 s[2:3], 0
                                        ; implicit-def: $vgpr0_vgpr1
                                        ; implicit-def: $sgpr18
                                        ; implicit-def: $vgpr2
.LBB167_3037:
	s_and_b64 s[6:7], s[2:3], exec
	s_andn2_b64 s[2:3], s[12:13], exec
	s_and_b64 s[4:5], s[4:5], exec
	s_and_b64 s[0:1], s[0:1], exec
	s_or_b64 s[12:13], s[2:3], s[4:5]
.LBB167_3038:
	s_or_b64 exec, exec, s[14:15]
	s_and_saveexec_b64 s[2:3], s[12:13]
	s_cbranch_execz .LBB167_3041
; %bb.3039:
	; divergent unreachable
	s_or_b64 exec, exec, s[2:3]
	s_and_saveexec_b64 s[2:3], s[6:7]
	s_xor_b64 s[2:3], exec, s[2:3]
	s_cbranch_execnz .LBB167_3042
.LBB167_3040:
	s_or_b64 exec, exec, s[2:3]
	s_and_saveexec_b64 s[2:3], s[0:1]
	s_cbranch_execnz .LBB167_3043
	s_branch .LBB167_3080
.LBB167_3041:
	s_or_b64 exec, exec, s[2:3]
	s_and_saveexec_b64 s[2:3], s[6:7]
	s_xor_b64 s[2:3], exec, s[2:3]
	s_cbranch_execz .LBB167_3040
.LBB167_3042:
	v_mov_b32_e32 v3, 0
	s_waitcnt vmcnt(0)
	v_cmp_ne_u16_sdwa s[4:5], v2, v3 src0_sel:BYTE_0 src1_sel:DWORD
	v_cndmask_b32_e64 v3, 0, 1, s[4:5]
	global_store_byte v[0:1], v3, off
	s_or_b64 exec, exec, s[2:3]
	s_and_saveexec_b64 s[2:3], s[0:1]
	s_cbranch_execz .LBB167_3080
.LBB167_3043:
	s_sext_i32_i16 s2, s18
	s_cmp_lt_i32 s2, 5
	s_mov_b64 s[0:1], -1
	s_cbranch_scc1 .LBB167_3064
; %bb.3044:
	s_cmp_lt_i32 s2, 8
	s_cbranch_scc1 .LBB167_3054
; %bb.3045:
	s_cmp_lt_i32 s2, 9
	s_cbranch_scc1 .LBB167_3051
; %bb.3046:
	s_cmp_gt_i32 s2, 9
	s_cbranch_scc0 .LBB167_3048
; %bb.3047:
	s_waitcnt vmcnt(0)
	v_bfe_i32 v3, v2, 0, 8
	v_bfe_i32 v3, v3, 0, 16
	v_cvt_f64_i32_e32 v[3:4], v3
	v_mov_b32_e32 v5, 0
	v_mov_b32_e32 v6, v5
	s_mov_b64 s[0:1], 0
	global_store_dwordx4 v[0:1], v[3:6], off
.LBB167_3048:
	s_andn2_b64 vcc, exec, s[0:1]
	s_cbranch_vccnz .LBB167_3050
; %bb.3049:
	s_waitcnt vmcnt(0)
	v_bfe_i32 v3, v2, 0, 8
	v_cvt_f32_i32_sdwa v3, sext(v3) dst_sel:DWORD dst_unused:UNUSED_PAD src0_sel:WORD_0
	v_mov_b32_e32 v4, 0
	global_store_dwordx2 v[0:1], v[3:4], off
.LBB167_3050:
	s_mov_b64 s[0:1], 0
.LBB167_3051:
	s_andn2_b64 vcc, exec, s[0:1]
	s_cbranch_vccnz .LBB167_3053
; %bb.3052:
	s_waitcnt vmcnt(0)
	v_cvt_f16_i16_sdwa v3, sext(v2) dst_sel:DWORD dst_unused:UNUSED_PAD src0_sel:BYTE_0
	global_store_dword v[0:1], v3, off
.LBB167_3053:
	s_mov_b64 s[0:1], 0
.LBB167_3054:
	s_andn2_b64 vcc, exec, s[0:1]
	s_cbranch_vccnz .LBB167_3063
; %bb.3055:
	s_sext_i32_i16 s2, s18
	s_cmp_lt_i32 s2, 6
	s_mov_b64 s[0:1], -1
	s_cbranch_scc1 .LBB167_3061
; %bb.3056:
	s_cmp_gt_i32 s2, 6
	s_cbranch_scc0 .LBB167_3058
; %bb.3057:
	s_waitcnt vmcnt(0)
	v_bfe_i32 v3, v2, 0, 8
	v_bfe_i32 v3, v3, 0, 16
	v_cvt_f64_i32_e32 v[3:4], v3
	s_mov_b64 s[0:1], 0
	global_store_dwordx2 v[0:1], v[3:4], off
.LBB167_3058:
	s_andn2_b64 vcc, exec, s[0:1]
	s_cbranch_vccnz .LBB167_3060
; %bb.3059:
	s_waitcnt vmcnt(0)
	v_bfe_i32 v3, v2, 0, 8
	v_cvt_f32_i32_sdwa v3, sext(v3) dst_sel:DWORD dst_unused:UNUSED_PAD src0_sel:WORD_0
	global_store_dword v[0:1], v3, off
.LBB167_3060:
	s_mov_b64 s[0:1], 0
.LBB167_3061:
	s_andn2_b64 vcc, exec, s[0:1]
	s_cbranch_vccnz .LBB167_3063
; %bb.3062:
	s_waitcnt vmcnt(0)
	v_cvt_f16_i16_sdwa v3, sext(v2) dst_sel:DWORD dst_unused:UNUSED_PAD src0_sel:BYTE_0
	global_store_short v[0:1], v3, off
.LBB167_3063:
	s_mov_b64 s[0:1], 0
.LBB167_3064:
	s_andn2_b64 vcc, exec, s[0:1]
	s_cbranch_vccnz .LBB167_3080
; %bb.3065:
	s_sext_i32_i16 s2, s18
	s_cmp_lt_i32 s2, 2
	s_mov_b64 s[0:1], -1
	s_cbranch_scc1 .LBB167_3075
; %bb.3066:
	s_cmp_lt_i32 s2, 3
	s_cbranch_scc1 .LBB167_3072
; %bb.3067:
	s_cmp_gt_i32 s2, 3
	s_cbranch_scc0 .LBB167_3069
; %bb.3068:
	s_waitcnt vmcnt(0)
	v_bfe_i32 v3, v2, 0, 8
	v_ashrrev_i32_e32 v4, 31, v3
	global_store_dwordx2 v[0:1], v[3:4], off
	s_mov_b64 s[0:1], 0
.LBB167_3069:
	s_andn2_b64 vcc, exec, s[0:1]
	s_cbranch_vccnz .LBB167_3071
; %bb.3070:
	s_waitcnt vmcnt(0)
	v_bfe_i32 v3, v2, 0, 8
	global_store_dword v[0:1], v3, off
.LBB167_3071:
	s_mov_b64 s[0:1], 0
.LBB167_3072:
	s_andn2_b64 vcc, exec, s[0:1]
	s_cbranch_vccnz .LBB167_3074
; %bb.3073:
	s_waitcnt vmcnt(0)
	v_bfe_i32 v3, v2, 0, 8
	global_store_short v[0:1], v3, off
.LBB167_3074:
	s_mov_b64 s[0:1], 0
.LBB167_3075:
	s_andn2_b64 vcc, exec, s[0:1]
	s_cbranch_vccnz .LBB167_3080
; %bb.3076:
	s_sext_i32_i16 s0, s18
	s_cmp_gt_i32 s0, 0
	s_mov_b64 s[0:1], -1
	s_cbranch_scc0 .LBB167_3078
; %bb.3077:
	s_waitcnt vmcnt(0)
	global_store_byte v[0:1], v2, off
	s_mov_b64 s[0:1], 0
.LBB167_3078:
	s_andn2_b64 vcc, exec, s[0:1]
	s_cbranch_vccnz .LBB167_3080
; %bb.3079:
	s_waitcnt vmcnt(0)
	global_store_byte v[0:1], v2, off
	s_endpgm
.LBB167_3080:
	s_endpgm
.LBB167_3081:
	s_mov_b64 s[2:3], 0
	s_mov_b64 s[0:1], -1
	s_branch .LBB167_3037
.LBB167_3082:
	s_trap 2
	s_or_b64 s[4:5], s[4:5], exec
	s_cbranch_execz .LBB167_2551
	s_branch .LBB167_2552
.LBB167_3083:
	s_andn2_saveexec_b64 s[16:17], s[16:17]
	s_cbranch_execz .LBB167_2631
.LBB167_3084:
	s_mov_b32 s21, 0x46000000
	v_add_f32_e64 v7, |v3|, s21
	v_and_b32_e32 v7, 0xff, v7
	v_cmp_ne_u32_e32 vcc, 0, v7
	s_andn2_b64 s[10:11], s[10:11], exec
	s_and_b64 s[22:23], vcc, exec
	s_or_b64 s[10:11], s[10:11], s[22:23]
	s_or_b64 exec, exec, s[16:17]
	v_mov_b32_e32 v9, 0
	s_and_saveexec_b64 s[16:17], s[10:11]
	s_cbranch_execnz .LBB167_2632
	s_branch .LBB167_2633
.LBB167_3085:
	s_trap 2
	s_or_b64 s[4:5], s[4:5], exec
	s_cbranch_execz .LBB167_2679
	s_branch .LBB167_2680
.LBB167_3086:
	s_andn2_saveexec_b64 s[10:11], s[10:11]
	s_cbranch_execz .LBB167_2644
.LBB167_3087:
	s_mov_b32 s16, 0x42800000
	v_add_f32_e64 v7, |v3|, s16
	v_and_b32_e32 v7, 0xff, v7
	v_cmp_ne_u32_e32 vcc, 0, v7
	s_andn2_b64 s[6:7], s[6:7], exec
	s_and_b64 s[16:17], vcc, exec
	s_or_b64 s[6:7], s[6:7], s[16:17]
	s_or_b64 exec, exec, s[10:11]
	v_mov_b32_e32 v9, 0
	s_and_saveexec_b64 s[10:11], s[6:7]
	s_cbranch_execnz .LBB167_2645
	s_branch .LBB167_2646
.LBB167_3088:
	s_andn2_saveexec_b64 s[16:17], s[16:17]
	s_cbranch_execz .LBB167_2750
.LBB167_3089:
	s_mov_b32 s20, 0x46000000
	v_add_f32_e64 v6, |v5|, s20
	v_and_b32_e32 v6, 0xff, v6
	v_cmp_ne_u32_e32 vcc, 0, v6
	s_andn2_b64 s[10:11], s[10:11], exec
	s_and_b64 s[20:21], vcc, exec
	s_or_b64 s[10:11], s[10:11], s[20:21]
	s_or_b64 exec, exec, s[16:17]
	v_mov_b32_e32 v7, 0
	s_and_saveexec_b64 s[16:17], s[10:11]
	s_cbranch_execnz .LBB167_2751
	s_branch .LBB167_2752
.LBB167_3090:
	s_trap 2
	s_or_b64 s[4:5], s[4:5], exec
	s_cbranch_execz .LBB167_2798
	s_branch .LBB167_2799
.LBB167_3091:
	s_andn2_saveexec_b64 s[10:11], s[10:11]
	s_cbranch_execz .LBB167_2763
.LBB167_3092:
	s_mov_b32 s16, 0x42800000
	v_add_f32_e64 v6, |v5|, s16
	v_and_b32_e32 v6, 0xff, v6
	v_cmp_ne_u32_e32 vcc, 0, v6
	s_andn2_b64 s[6:7], s[6:7], exec
	s_and_b64 s[16:17], vcc, exec
	s_or_b64 s[6:7], s[6:7], s[16:17]
	s_or_b64 exec, exec, s[10:11]
	v_mov_b32_e32 v7, 0
	s_and_saveexec_b64 s[10:11], s[6:7]
	s_cbranch_execnz .LBB167_2764
	s_branch .LBB167_2765
.LBB167_3093:
	s_andn2_saveexec_b64 s[16:17], s[16:17]
	s_cbranch_execz .LBB167_2869
.LBB167_3094:
	s_mov_b32 s20, 0x46000000
	v_add_f32_e64 v5, |v4|, s20
	v_and_b32_e32 v5, 0xff, v5
	v_cmp_ne_u32_e32 vcc, 0, v5
	s_andn2_b64 s[10:11], s[10:11], exec
	s_and_b64 s[20:21], vcc, exec
	s_or_b64 s[10:11], s[10:11], s[20:21]
	s_or_b64 exec, exec, s[16:17]
	v_mov_b32_e32 v6, 0
	s_and_saveexec_b64 s[16:17], s[10:11]
	s_cbranch_execnz .LBB167_2870
	s_branch .LBB167_2871
.LBB167_3095:
	s_trap 2
	s_or_b64 s[4:5], s[4:5], exec
	s_cbranch_execz .LBB167_2917
	s_branch .LBB167_2918
.LBB167_3096:
	s_andn2_saveexec_b64 s[10:11], s[10:11]
	s_cbranch_execz .LBB167_2882
.LBB167_3097:
	s_mov_b32 s16, 0x42800000
	v_add_f32_e64 v5, |v4|, s16
	v_and_b32_e32 v5, 0xff, v5
	v_cmp_ne_u32_e32 vcc, 0, v5
	s_andn2_b64 s[6:7], s[6:7], exec
	s_and_b64 s[16:17], vcc, exec
	s_or_b64 s[6:7], s[6:7], s[16:17]
	s_or_b64 exec, exec, s[10:11]
	v_mov_b32_e32 v6, 0
	s_and_saveexec_b64 s[10:11], s[6:7]
	s_cbranch_execnz .LBB167_2883
	s_branch .LBB167_2884
.LBB167_3098:
	s_andn2_saveexec_b64 s[10:11], s[10:11]
	s_cbranch_execz .LBB167_2989
.LBB167_3099:
	s_mov_b32 s17, 0x46000000
	v_add_f32_e64 v4, |v3|, s17
	v_and_b32_e32 v4, 0xff, v4
	v_cmp_ne_u32_e32 vcc, 0, v4
	s_andn2_b64 s[8:9], s[8:9], exec
	s_and_b64 s[20:21], vcc, exec
	s_or_b64 s[8:9], s[8:9], s[20:21]
	s_or_b64 exec, exec, s[10:11]
	v_mov_b32_e32 v5, 0
	s_and_saveexec_b64 s[10:11], s[8:9]
	s_cbranch_execnz .LBB167_2990
	s_branch .LBB167_2991
.LBB167_3100:
	s_mov_b64 s[2:3], 0
	s_or_b64 s[4:5], s[4:5], exec
	s_trap 2
	s_branch .LBB167_3035
.LBB167_3101:
	s_andn2_saveexec_b64 s[8:9], s[8:9]
	s_cbranch_execz .LBB167_3001
.LBB167_3102:
	s_mov_b32 s10, 0x42800000
	v_add_f32_e64 v4, |v3|, s10
	v_and_b32_e32 v4, 0xff, v4
	v_cmp_ne_u32_e32 vcc, 0, v4
	s_andn2_b64 s[6:7], s[6:7], exec
	s_and_b64 s[10:11], vcc, exec
	s_or_b64 s[6:7], s[6:7], s[10:11]
	s_or_b64 exec, exec, s[8:9]
	v_mov_b32_e32 v5, 0
	s_and_saveexec_b64 s[8:9], s[6:7]
	s_cbranch_execnz .LBB167_3002
	s_branch .LBB167_3003
	.section	.rodata,"a",@progbits
	.p2align	6, 0x0
	.amdhsa_kernel _ZN2at6native32elementwise_kernel_manual_unrollILi128ELi4EZNS0_15gpu_kernel_implINS0_13BinaryFunctorIaaaZZZNS0_18rshift_kernel_cudaERNS_18TensorIteratorBaseEENKUlvE_clEvENKUlvE0_clEvEUlaaE_EEEEvS5_RKT_EUlibE0_EEviT1_
		.amdhsa_group_segment_fixed_size 0
		.amdhsa_private_segment_fixed_size 0
		.amdhsa_kernarg_size 432
		.amdhsa_user_sgpr_count 6
		.amdhsa_user_sgpr_private_segment_buffer 1
		.amdhsa_user_sgpr_dispatch_ptr 0
		.amdhsa_user_sgpr_queue_ptr 0
		.amdhsa_user_sgpr_kernarg_segment_ptr 1
		.amdhsa_user_sgpr_dispatch_id 0
		.amdhsa_user_sgpr_flat_scratch_init 0
		.amdhsa_user_sgpr_private_segment_size 0
		.amdhsa_uses_dynamic_stack 0
		.amdhsa_system_sgpr_private_segment_wavefront_offset 0
		.amdhsa_system_sgpr_workgroup_id_x 1
		.amdhsa_system_sgpr_workgroup_id_y 0
		.amdhsa_system_sgpr_workgroup_id_z 0
		.amdhsa_system_sgpr_workgroup_info 0
		.amdhsa_system_vgpr_workitem_id 0
		.amdhsa_next_free_vgpr 23
		.amdhsa_next_free_sgpr 80
		.amdhsa_reserve_vcc 1
		.amdhsa_reserve_flat_scratch 0
		.amdhsa_float_round_mode_32 0
		.amdhsa_float_round_mode_16_64 0
		.amdhsa_float_denorm_mode_32 3
		.amdhsa_float_denorm_mode_16_64 3
		.amdhsa_dx10_clamp 1
		.amdhsa_ieee_mode 1
		.amdhsa_fp16_overflow 0
		.amdhsa_exception_fp_ieee_invalid_op 0
		.amdhsa_exception_fp_denorm_src 0
		.amdhsa_exception_fp_ieee_div_zero 0
		.amdhsa_exception_fp_ieee_overflow 0
		.amdhsa_exception_fp_ieee_underflow 0
		.amdhsa_exception_fp_ieee_inexact 0
		.amdhsa_exception_int_div_zero 0
	.end_amdhsa_kernel
	.section	.text._ZN2at6native32elementwise_kernel_manual_unrollILi128ELi4EZNS0_15gpu_kernel_implINS0_13BinaryFunctorIaaaZZZNS0_18rshift_kernel_cudaERNS_18TensorIteratorBaseEENKUlvE_clEvENKUlvE0_clEvEUlaaE_EEEEvS5_RKT_EUlibE0_EEviT1_,"axG",@progbits,_ZN2at6native32elementwise_kernel_manual_unrollILi128ELi4EZNS0_15gpu_kernel_implINS0_13BinaryFunctorIaaaZZZNS0_18rshift_kernel_cudaERNS_18TensorIteratorBaseEENKUlvE_clEvENKUlvE0_clEvEUlaaE_EEEEvS5_RKT_EUlibE0_EEviT1_,comdat
.Lfunc_end167:
	.size	_ZN2at6native32elementwise_kernel_manual_unrollILi128ELi4EZNS0_15gpu_kernel_implINS0_13BinaryFunctorIaaaZZZNS0_18rshift_kernel_cudaERNS_18TensorIteratorBaseEENKUlvE_clEvENKUlvE0_clEvEUlaaE_EEEEvS5_RKT_EUlibE0_EEviT1_, .Lfunc_end167-_ZN2at6native32elementwise_kernel_manual_unrollILi128ELi4EZNS0_15gpu_kernel_implINS0_13BinaryFunctorIaaaZZZNS0_18rshift_kernel_cudaERNS_18TensorIteratorBaseEENKUlvE_clEvENKUlvE0_clEvEUlaaE_EEEEvS5_RKT_EUlibE0_EEviT1_
                                        ; -- End function
	.set _ZN2at6native32elementwise_kernel_manual_unrollILi128ELi4EZNS0_15gpu_kernel_implINS0_13BinaryFunctorIaaaZZZNS0_18rshift_kernel_cudaERNS_18TensorIteratorBaseEENKUlvE_clEvENKUlvE0_clEvEUlaaE_EEEEvS5_RKT_EUlibE0_EEviT1_.num_vgpr, 23
	.set _ZN2at6native32elementwise_kernel_manual_unrollILi128ELi4EZNS0_15gpu_kernel_implINS0_13BinaryFunctorIaaaZZZNS0_18rshift_kernel_cudaERNS_18TensorIteratorBaseEENKUlvE_clEvENKUlvE0_clEvEUlaaE_EEEEvS5_RKT_EUlibE0_EEviT1_.num_agpr, 0
	.set _ZN2at6native32elementwise_kernel_manual_unrollILi128ELi4EZNS0_15gpu_kernel_implINS0_13BinaryFunctorIaaaZZZNS0_18rshift_kernel_cudaERNS_18TensorIteratorBaseEENKUlvE_clEvENKUlvE0_clEvEUlaaE_EEEEvS5_RKT_EUlibE0_EEviT1_.numbered_sgpr, 80
	.set _ZN2at6native32elementwise_kernel_manual_unrollILi128ELi4EZNS0_15gpu_kernel_implINS0_13BinaryFunctorIaaaZZZNS0_18rshift_kernel_cudaERNS_18TensorIteratorBaseEENKUlvE_clEvENKUlvE0_clEvEUlaaE_EEEEvS5_RKT_EUlibE0_EEviT1_.num_named_barrier, 0
	.set _ZN2at6native32elementwise_kernel_manual_unrollILi128ELi4EZNS0_15gpu_kernel_implINS0_13BinaryFunctorIaaaZZZNS0_18rshift_kernel_cudaERNS_18TensorIteratorBaseEENKUlvE_clEvENKUlvE0_clEvEUlaaE_EEEEvS5_RKT_EUlibE0_EEviT1_.private_seg_size, 0
	.set _ZN2at6native32elementwise_kernel_manual_unrollILi128ELi4EZNS0_15gpu_kernel_implINS0_13BinaryFunctorIaaaZZZNS0_18rshift_kernel_cudaERNS_18TensorIteratorBaseEENKUlvE_clEvENKUlvE0_clEvEUlaaE_EEEEvS5_RKT_EUlibE0_EEviT1_.uses_vcc, 1
	.set _ZN2at6native32elementwise_kernel_manual_unrollILi128ELi4EZNS0_15gpu_kernel_implINS0_13BinaryFunctorIaaaZZZNS0_18rshift_kernel_cudaERNS_18TensorIteratorBaseEENKUlvE_clEvENKUlvE0_clEvEUlaaE_EEEEvS5_RKT_EUlibE0_EEviT1_.uses_flat_scratch, 0
	.set _ZN2at6native32elementwise_kernel_manual_unrollILi128ELi4EZNS0_15gpu_kernel_implINS0_13BinaryFunctorIaaaZZZNS0_18rshift_kernel_cudaERNS_18TensorIteratorBaseEENKUlvE_clEvENKUlvE0_clEvEUlaaE_EEEEvS5_RKT_EUlibE0_EEviT1_.has_dyn_sized_stack, 0
	.set _ZN2at6native32elementwise_kernel_manual_unrollILi128ELi4EZNS0_15gpu_kernel_implINS0_13BinaryFunctorIaaaZZZNS0_18rshift_kernel_cudaERNS_18TensorIteratorBaseEENKUlvE_clEvENKUlvE0_clEvEUlaaE_EEEEvS5_RKT_EUlibE0_EEviT1_.has_recursion, 0
	.set _ZN2at6native32elementwise_kernel_manual_unrollILi128ELi4EZNS0_15gpu_kernel_implINS0_13BinaryFunctorIaaaZZZNS0_18rshift_kernel_cudaERNS_18TensorIteratorBaseEENKUlvE_clEvENKUlvE0_clEvEUlaaE_EEEEvS5_RKT_EUlibE0_EEviT1_.has_indirect_call, 0
	.section	.AMDGPU.csdata,"",@progbits
; Kernel info:
; codeLenInByte = 48656
; TotalNumSgprs: 84
; NumVgprs: 23
; ScratchSize: 0
; MemoryBound: 1
; FloatMode: 240
; IeeeMode: 1
; LDSByteSize: 0 bytes/workgroup (compile time only)
; SGPRBlocks: 10
; VGPRBlocks: 5
; NumSGPRsForWavesPerEU: 84
; NumVGPRsForWavesPerEU: 23
; Occupancy: 9
; WaveLimiterHint : 1
; COMPUTE_PGM_RSRC2:SCRATCH_EN: 0
; COMPUTE_PGM_RSRC2:USER_SGPR: 6
; COMPUTE_PGM_RSRC2:TRAP_HANDLER: 0
; COMPUTE_PGM_RSRC2:TGID_X_EN: 1
; COMPUTE_PGM_RSRC2:TGID_Y_EN: 0
; COMPUTE_PGM_RSRC2:TGID_Z_EN: 0
; COMPUTE_PGM_RSRC2:TIDIG_COMP_CNT: 0
	.section	.text._ZN2at6native29vectorized_elementwise_kernelILi16ENS0_13AUnaryFunctorIiiiZZZNS0_18rshift_kernel_cudaERNS_18TensorIteratorBaseEENKUlvE_clEvENKUlvE1_clEvEUliiE_EESt5arrayIPcLm2EEEEviT0_T1_,"axG",@progbits,_ZN2at6native29vectorized_elementwise_kernelILi16ENS0_13AUnaryFunctorIiiiZZZNS0_18rshift_kernel_cudaERNS_18TensorIteratorBaseEENKUlvE_clEvENKUlvE1_clEvEUliiE_EESt5arrayIPcLm2EEEEviT0_T1_,comdat
	.globl	_ZN2at6native29vectorized_elementwise_kernelILi16ENS0_13AUnaryFunctorIiiiZZZNS0_18rshift_kernel_cudaERNS_18TensorIteratorBaseEENKUlvE_clEvENKUlvE1_clEvEUliiE_EESt5arrayIPcLm2EEEEviT0_T1_ ; -- Begin function _ZN2at6native29vectorized_elementwise_kernelILi16ENS0_13AUnaryFunctorIiiiZZZNS0_18rshift_kernel_cudaERNS_18TensorIteratorBaseEENKUlvE_clEvENKUlvE1_clEvEUliiE_EESt5arrayIPcLm2EEEEviT0_T1_
	.p2align	8
	.type	_ZN2at6native29vectorized_elementwise_kernelILi16ENS0_13AUnaryFunctorIiiiZZZNS0_18rshift_kernel_cudaERNS_18TensorIteratorBaseEENKUlvE_clEvENKUlvE1_clEvEUliiE_EESt5arrayIPcLm2EEEEviT0_T1_,@function
_ZN2at6native29vectorized_elementwise_kernelILi16ENS0_13AUnaryFunctorIiiiZZZNS0_18rshift_kernel_cudaERNS_18TensorIteratorBaseEENKUlvE_clEvENKUlvE1_clEvEUliiE_EESt5arrayIPcLm2EEEEviT0_T1_: ; @_ZN2at6native29vectorized_elementwise_kernelILi16ENS0_13AUnaryFunctorIiiiZZZNS0_18rshift_kernel_cudaERNS_18TensorIteratorBaseEENKUlvE_clEvENKUlvE1_clEvEUliiE_EESt5arrayIPcLm2EEEEviT0_T1_
; %bb.0:
	s_load_dword s0, s[4:5], 0x0
	s_load_dword s15, s[4:5], 0x8
	s_load_dwordx4 s[8:11], s[4:5], 0x10
	s_lshl_b32 s2, s6, 10
	s_waitcnt lgkmcnt(0)
	s_sub_i32 s14, s0, s2
	s_cmpk_gt_i32 s14, 0x3ff
	s_mov_b64 s[0:1], -1
	s_cbranch_scc0 .LBB168_2
; %bb.1:
	s_ashr_i32 s3, s2, 31
	s_lshl_b64 s[0:1], s[2:3], 2
	s_add_u32 s4, s10, s0
	s_addc_u32 s5, s11, s1
	v_lshlrev_b32_e32 v5, 4, v0
	global_load_dwordx4 v[1:4], v5, s[4:5]
	s_add_u32 s0, s8, s0
	s_addc_u32 s1, s9, s1
	s_waitcnt vmcnt(0)
	v_min_u32_e32 v1, 31, v1
	v_min_u32_e32 v2, 31, v2
	;; [unrolled: 1-line block ×4, first 2 shown]
	v_ashrrev_i32_e64 v1, v1, s15
	v_ashrrev_i32_e64 v2, v2, s15
	;; [unrolled: 1-line block ×4, first 2 shown]
	global_store_dwordx4 v5, v[1:4], s[0:1]
	s_mov_b64 s[0:1], 0
.LBB168_2:
	s_andn2_b64 vcc, exec, s[0:1]
	s_cbranch_vccnz .LBB168_16
; %bb.3:
	v_cmp_gt_i32_e32 vcc, s14, v0
	v_or_b32_e32 v6, 0x100, v0
	v_mov_b32_e32 v8, 0
	v_or_b32_e32 v1, s2, v0
	v_mov_b32_e32 v3, 0
	v_mov_b32_e32 v2, 0
	;; [unrolled: 1-line block ×3, first 2 shown]
	s_and_saveexec_b64 s[4:5], vcc
	s_cbranch_execz .LBB168_11
; %bb.4:
	v_mov_b32_e32 v2, 0
	v_lshlrev_b64 v[3:4], 2, v[1:2]
	v_mov_b32_e32 v5, s11
	v_add_co_u32_e64 v3, s[0:1], s10, v3
	v_addc_co_u32_e64 v4, s[0:1], v5, v4, s[0:1]
	global_load_dword v7, v[3:4], off
	v_cmp_gt_u32_e64 s[0:1], s14, v6
	v_mov_b32_e32 v3, v2
	v_mov_b32_e32 v8, v2
	s_and_saveexec_b64 s[6:7], s[0:1]
	s_cbranch_execz .LBB168_10
; %bb.5:
	v_add_u32_e32 v2, s2, v0
	v_mov_b32_e32 v3, 0
	v_lshlrev_b64 v[4:5], 2, v[2:3]
	v_mov_b32_e32 v2, s11
	v_add_co_u32_e64 v4, s[0:1], s10, v4
	v_addc_co_u32_e64 v5, s[0:1], v2, v5, s[0:1]
	global_load_dword v2, v[4:5], off offset:1024
	v_or_b32_e32 v8, 0x200, v0
	v_cmp_gt_u32_e64 s[0:1], s14, v8
	v_mov_b32_e32 v8, v3
	s_and_saveexec_b64 s[10:11], s[0:1]
	s_cbranch_execz .LBB168_9
; %bb.6:
	global_load_dword v3, v[4:5], off offset:2048
	v_or_b32_e32 v8, 0x300, v0
	v_cmp_gt_u32_e64 s[0:1], s14, v8
	v_mov_b32_e32 v8, 0
	s_and_saveexec_b64 s[12:13], s[0:1]
	s_cbranch_execz .LBB168_8
; %bb.7:
	global_load_dword v4, v[4:5], off offset:3072
	s_waitcnt vmcnt(0)
	v_min_u32_e32 v8, 31, v4
.LBB168_8:
	s_or_b64 exec, exec, s[12:13]
.LBB168_9:
	s_or_b64 exec, exec, s[10:11]
.LBB168_10:
	s_or_b64 exec, exec, s[6:7]
.LBB168_11:
	s_or_b64 exec, exec, s[4:5]
	s_waitcnt vmcnt(0)
	v_min_u32_e32 v2, 31, v2
	v_ashrrev_i32_e64 v2, v2, s15
	v_cmp_gt_i32_e64 s[0:1], s14, v6
	v_min_u32_e32 v4, 31, v7
	v_cndmask_b32_e64 v5, 0, v2, s[0:1]
	v_or_b32_e32 v2, 0x200, v0
	v_min_u32_e32 v3, 31, v3
	v_ashrrev_i32_e64 v4, v4, s15
	v_ashrrev_i32_e64 v3, v3, s15
	v_cmp_gt_i32_e64 s[0:1], s14, v2
	v_or_b32_e32 v2, 0x300, v0
	v_cndmask_b32_e32 v7, 0, v4, vcc
	v_cndmask_b32_e64 v4, 0, v3, s[0:1]
	v_ashrrev_i32_e64 v3, v8, s15
	v_cmp_gt_i32_e64 s[0:1], s14, v2
	v_cndmask_b32_e64 v3, 0, v3, s[0:1]
	s_and_saveexec_b64 s[0:1], vcc
	s_cbranch_execnz .LBB168_17
; %bb.12:
	s_or_b64 exec, exec, s[0:1]
	v_cmp_gt_i32_e32 vcc, s14, v0
	s_and_saveexec_b64 s[0:1], vcc
	s_cbranch_execnz .LBB168_18
.LBB168_13:
	s_or_b64 exec, exec, s[0:1]
	v_cmp_gt_i32_e32 vcc, s14, v0
	s_and_saveexec_b64 s[0:1], vcc
	s_cbranch_execnz .LBB168_19
.LBB168_14:
	s_or_b64 exec, exec, s[0:1]
	v_cmp_gt_i32_e32 vcc, s14, v0
	s_and_saveexec_b64 s[0:1], vcc
	s_cbranch_execz .LBB168_16
.LBB168_15:
	v_add_u32_e32 v0, s2, v0
	v_mov_b32_e32 v1, 0
	v_lshlrev_b64 v[0:1], 2, v[0:1]
	v_mov_b32_e32 v2, s9
	v_add_co_u32_e32 v0, vcc, s8, v0
	v_addc_co_u32_e32 v1, vcc, v2, v1, vcc
	global_store_dword v[0:1], v3, off
.LBB168_16:
	s_endpgm
.LBB168_17:
	v_mov_b32_e32 v2, 0
	v_lshlrev_b64 v[0:1], 2, v[1:2]
	v_mov_b32_e32 v2, s9
	v_add_co_u32_e32 v0, vcc, s8, v0
	v_addc_co_u32_e32 v1, vcc, v2, v1, vcc
	global_store_dword v[0:1], v7, off
	v_mov_b32_e32 v0, v6
	s_or_b64 exec, exec, s[0:1]
	v_cmp_gt_i32_e32 vcc, s14, v0
	s_and_saveexec_b64 s[0:1], vcc
	s_cbranch_execz .LBB168_13
.LBB168_18:
	v_add_u32_e32 v1, s2, v0
	v_mov_b32_e32 v2, 0
	v_lshlrev_b64 v[1:2], 2, v[1:2]
	v_mov_b32_e32 v6, s9
	v_add_co_u32_e32 v1, vcc, s8, v1
	v_addc_co_u32_e32 v2, vcc, v6, v2, vcc
	v_add_u32_e32 v0, 0x100, v0
	global_store_dword v[1:2], v5, off
	s_or_b64 exec, exec, s[0:1]
	v_cmp_gt_i32_e32 vcc, s14, v0
	s_and_saveexec_b64 s[0:1], vcc
	s_cbranch_execz .LBB168_14
.LBB168_19:
	v_add_u32_e32 v1, s2, v0
	v_mov_b32_e32 v2, 0
	v_lshlrev_b64 v[1:2], 2, v[1:2]
	v_mov_b32_e32 v5, s9
	v_add_co_u32_e32 v1, vcc, s8, v1
	v_addc_co_u32_e32 v2, vcc, v5, v2, vcc
	v_add_u32_e32 v0, 0x100, v0
	global_store_dword v[1:2], v4, off
	s_or_b64 exec, exec, s[0:1]
	v_cmp_gt_i32_e32 vcc, s14, v0
	s_and_saveexec_b64 s[0:1], vcc
	s_cbranch_execnz .LBB168_15
	s_branch .LBB168_16
	.section	.rodata,"a",@progbits
	.p2align	6, 0x0
	.amdhsa_kernel _ZN2at6native29vectorized_elementwise_kernelILi16ENS0_13AUnaryFunctorIiiiZZZNS0_18rshift_kernel_cudaERNS_18TensorIteratorBaseEENKUlvE_clEvENKUlvE1_clEvEUliiE_EESt5arrayIPcLm2EEEEviT0_T1_
		.amdhsa_group_segment_fixed_size 0
		.amdhsa_private_segment_fixed_size 0
		.amdhsa_kernarg_size 32
		.amdhsa_user_sgpr_count 6
		.amdhsa_user_sgpr_private_segment_buffer 1
		.amdhsa_user_sgpr_dispatch_ptr 0
		.amdhsa_user_sgpr_queue_ptr 0
		.amdhsa_user_sgpr_kernarg_segment_ptr 1
		.amdhsa_user_sgpr_dispatch_id 0
		.amdhsa_user_sgpr_flat_scratch_init 0
		.amdhsa_user_sgpr_private_segment_size 0
		.amdhsa_uses_dynamic_stack 0
		.amdhsa_system_sgpr_private_segment_wavefront_offset 0
		.amdhsa_system_sgpr_workgroup_id_x 1
		.amdhsa_system_sgpr_workgroup_id_y 0
		.amdhsa_system_sgpr_workgroup_id_z 0
		.amdhsa_system_sgpr_workgroup_info 0
		.amdhsa_system_vgpr_workitem_id 0
		.amdhsa_next_free_vgpr 9
		.amdhsa_next_free_sgpr 16
		.amdhsa_reserve_vcc 1
		.amdhsa_reserve_flat_scratch 0
		.amdhsa_float_round_mode_32 0
		.amdhsa_float_round_mode_16_64 0
		.amdhsa_float_denorm_mode_32 3
		.amdhsa_float_denorm_mode_16_64 3
		.amdhsa_dx10_clamp 1
		.amdhsa_ieee_mode 1
		.amdhsa_fp16_overflow 0
		.amdhsa_exception_fp_ieee_invalid_op 0
		.amdhsa_exception_fp_denorm_src 0
		.amdhsa_exception_fp_ieee_div_zero 0
		.amdhsa_exception_fp_ieee_overflow 0
		.amdhsa_exception_fp_ieee_underflow 0
		.amdhsa_exception_fp_ieee_inexact 0
		.amdhsa_exception_int_div_zero 0
	.end_amdhsa_kernel
	.section	.text._ZN2at6native29vectorized_elementwise_kernelILi16ENS0_13AUnaryFunctorIiiiZZZNS0_18rshift_kernel_cudaERNS_18TensorIteratorBaseEENKUlvE_clEvENKUlvE1_clEvEUliiE_EESt5arrayIPcLm2EEEEviT0_T1_,"axG",@progbits,_ZN2at6native29vectorized_elementwise_kernelILi16ENS0_13AUnaryFunctorIiiiZZZNS0_18rshift_kernel_cudaERNS_18TensorIteratorBaseEENKUlvE_clEvENKUlvE1_clEvEUliiE_EESt5arrayIPcLm2EEEEviT0_T1_,comdat
.Lfunc_end168:
	.size	_ZN2at6native29vectorized_elementwise_kernelILi16ENS0_13AUnaryFunctorIiiiZZZNS0_18rshift_kernel_cudaERNS_18TensorIteratorBaseEENKUlvE_clEvENKUlvE1_clEvEUliiE_EESt5arrayIPcLm2EEEEviT0_T1_, .Lfunc_end168-_ZN2at6native29vectorized_elementwise_kernelILi16ENS0_13AUnaryFunctorIiiiZZZNS0_18rshift_kernel_cudaERNS_18TensorIteratorBaseEENKUlvE_clEvENKUlvE1_clEvEUliiE_EESt5arrayIPcLm2EEEEviT0_T1_
                                        ; -- End function
	.set _ZN2at6native29vectorized_elementwise_kernelILi16ENS0_13AUnaryFunctorIiiiZZZNS0_18rshift_kernel_cudaERNS_18TensorIteratorBaseEENKUlvE_clEvENKUlvE1_clEvEUliiE_EESt5arrayIPcLm2EEEEviT0_T1_.num_vgpr, 9
	.set _ZN2at6native29vectorized_elementwise_kernelILi16ENS0_13AUnaryFunctorIiiiZZZNS0_18rshift_kernel_cudaERNS_18TensorIteratorBaseEENKUlvE_clEvENKUlvE1_clEvEUliiE_EESt5arrayIPcLm2EEEEviT0_T1_.num_agpr, 0
	.set _ZN2at6native29vectorized_elementwise_kernelILi16ENS0_13AUnaryFunctorIiiiZZZNS0_18rshift_kernel_cudaERNS_18TensorIteratorBaseEENKUlvE_clEvENKUlvE1_clEvEUliiE_EESt5arrayIPcLm2EEEEviT0_T1_.numbered_sgpr, 16
	.set _ZN2at6native29vectorized_elementwise_kernelILi16ENS0_13AUnaryFunctorIiiiZZZNS0_18rshift_kernel_cudaERNS_18TensorIteratorBaseEENKUlvE_clEvENKUlvE1_clEvEUliiE_EESt5arrayIPcLm2EEEEviT0_T1_.num_named_barrier, 0
	.set _ZN2at6native29vectorized_elementwise_kernelILi16ENS0_13AUnaryFunctorIiiiZZZNS0_18rshift_kernel_cudaERNS_18TensorIteratorBaseEENKUlvE_clEvENKUlvE1_clEvEUliiE_EESt5arrayIPcLm2EEEEviT0_T1_.private_seg_size, 0
	.set _ZN2at6native29vectorized_elementwise_kernelILi16ENS0_13AUnaryFunctorIiiiZZZNS0_18rshift_kernel_cudaERNS_18TensorIteratorBaseEENKUlvE_clEvENKUlvE1_clEvEUliiE_EESt5arrayIPcLm2EEEEviT0_T1_.uses_vcc, 1
	.set _ZN2at6native29vectorized_elementwise_kernelILi16ENS0_13AUnaryFunctorIiiiZZZNS0_18rshift_kernel_cudaERNS_18TensorIteratorBaseEENKUlvE_clEvENKUlvE1_clEvEUliiE_EESt5arrayIPcLm2EEEEviT0_T1_.uses_flat_scratch, 0
	.set _ZN2at6native29vectorized_elementwise_kernelILi16ENS0_13AUnaryFunctorIiiiZZZNS0_18rshift_kernel_cudaERNS_18TensorIteratorBaseEENKUlvE_clEvENKUlvE1_clEvEUliiE_EESt5arrayIPcLm2EEEEviT0_T1_.has_dyn_sized_stack, 0
	.set _ZN2at6native29vectorized_elementwise_kernelILi16ENS0_13AUnaryFunctorIiiiZZZNS0_18rshift_kernel_cudaERNS_18TensorIteratorBaseEENKUlvE_clEvENKUlvE1_clEvEUliiE_EESt5arrayIPcLm2EEEEviT0_T1_.has_recursion, 0
	.set _ZN2at6native29vectorized_elementwise_kernelILi16ENS0_13AUnaryFunctorIiiiZZZNS0_18rshift_kernel_cudaERNS_18TensorIteratorBaseEENKUlvE_clEvENKUlvE1_clEvEUliiE_EESt5arrayIPcLm2EEEEviT0_T1_.has_indirect_call, 0
	.section	.AMDGPU.csdata,"",@progbits
; Kernel info:
; codeLenInByte = 788
; TotalNumSgprs: 20
; NumVgprs: 9
; ScratchSize: 0
; MemoryBound: 0
; FloatMode: 240
; IeeeMode: 1
; LDSByteSize: 0 bytes/workgroup (compile time only)
; SGPRBlocks: 2
; VGPRBlocks: 2
; NumSGPRsForWavesPerEU: 20
; NumVGPRsForWavesPerEU: 9
; Occupancy: 10
; WaveLimiterHint : 0
; COMPUTE_PGM_RSRC2:SCRATCH_EN: 0
; COMPUTE_PGM_RSRC2:USER_SGPR: 6
; COMPUTE_PGM_RSRC2:TRAP_HANDLER: 0
; COMPUTE_PGM_RSRC2:TGID_X_EN: 1
; COMPUTE_PGM_RSRC2:TGID_Y_EN: 0
; COMPUTE_PGM_RSRC2:TGID_Z_EN: 0
; COMPUTE_PGM_RSRC2:TIDIG_COMP_CNT: 0
	.section	.text._ZN2at6native29vectorized_elementwise_kernelILi8ENS0_13AUnaryFunctorIiiiZZZNS0_18rshift_kernel_cudaERNS_18TensorIteratorBaseEENKUlvE_clEvENKUlvE1_clEvEUliiE_EESt5arrayIPcLm2EEEEviT0_T1_,"axG",@progbits,_ZN2at6native29vectorized_elementwise_kernelILi8ENS0_13AUnaryFunctorIiiiZZZNS0_18rshift_kernel_cudaERNS_18TensorIteratorBaseEENKUlvE_clEvENKUlvE1_clEvEUliiE_EESt5arrayIPcLm2EEEEviT0_T1_,comdat
	.globl	_ZN2at6native29vectorized_elementwise_kernelILi8ENS0_13AUnaryFunctorIiiiZZZNS0_18rshift_kernel_cudaERNS_18TensorIteratorBaseEENKUlvE_clEvENKUlvE1_clEvEUliiE_EESt5arrayIPcLm2EEEEviT0_T1_ ; -- Begin function _ZN2at6native29vectorized_elementwise_kernelILi8ENS0_13AUnaryFunctorIiiiZZZNS0_18rshift_kernel_cudaERNS_18TensorIteratorBaseEENKUlvE_clEvENKUlvE1_clEvEUliiE_EESt5arrayIPcLm2EEEEviT0_T1_
	.p2align	8
	.type	_ZN2at6native29vectorized_elementwise_kernelILi8ENS0_13AUnaryFunctorIiiiZZZNS0_18rshift_kernel_cudaERNS_18TensorIteratorBaseEENKUlvE_clEvENKUlvE1_clEvEUliiE_EESt5arrayIPcLm2EEEEviT0_T1_,@function
_ZN2at6native29vectorized_elementwise_kernelILi8ENS0_13AUnaryFunctorIiiiZZZNS0_18rshift_kernel_cudaERNS_18TensorIteratorBaseEENKUlvE_clEvENKUlvE1_clEvEUliiE_EESt5arrayIPcLm2EEEEviT0_T1_: ; @_ZN2at6native29vectorized_elementwise_kernelILi8ENS0_13AUnaryFunctorIiiiZZZNS0_18rshift_kernel_cudaERNS_18TensorIteratorBaseEENKUlvE_clEvENKUlvE1_clEvEUliiE_EESt5arrayIPcLm2EEEEviT0_T1_
; %bb.0:
	s_load_dword s0, s[4:5], 0x0
	s_load_dword s15, s[4:5], 0x8
	s_load_dwordx4 s[8:11], s[4:5], 0x10
	s_lshl_b32 s2, s6, 10
	s_waitcnt lgkmcnt(0)
	s_sub_i32 s14, s0, s2
	s_cmpk_gt_i32 s14, 0x3ff
	s_mov_b64 s[0:1], -1
	s_cbranch_scc0 .LBB169_2
; %bb.1:
	s_ashr_i32 s3, s2, 31
	s_lshl_b64 s[0:1], s[2:3], 2
	s_add_u32 s4, s10, s0
	s_addc_u32 s5, s11, s1
	v_lshlrev_b32_e32 v5, 4, v0
	global_load_dwordx4 v[1:4], v5, s[4:5]
	s_add_u32 s0, s8, s0
	s_addc_u32 s1, s9, s1
	s_waitcnt vmcnt(0)
	v_min_u32_e32 v1, 31, v1
	v_min_u32_e32 v2, 31, v2
	;; [unrolled: 1-line block ×4, first 2 shown]
	v_ashrrev_i32_e64 v1, v1, s15
	v_ashrrev_i32_e64 v2, v2, s15
	;; [unrolled: 1-line block ×4, first 2 shown]
	global_store_dwordx4 v5, v[1:4], s[0:1]
	s_mov_b64 s[0:1], 0
.LBB169_2:
	s_andn2_b64 vcc, exec, s[0:1]
	s_cbranch_vccnz .LBB169_16
; %bb.3:
	v_cmp_gt_i32_e32 vcc, s14, v0
	v_or_b32_e32 v6, 0x100, v0
	v_mov_b32_e32 v8, 0
	v_or_b32_e32 v1, s2, v0
	v_mov_b32_e32 v3, 0
	v_mov_b32_e32 v2, 0
	v_mov_b32_e32 v7, 0
	s_and_saveexec_b64 s[4:5], vcc
	s_cbranch_execz .LBB169_11
; %bb.4:
	v_mov_b32_e32 v2, 0
	v_lshlrev_b64 v[3:4], 2, v[1:2]
	v_mov_b32_e32 v5, s11
	v_add_co_u32_e64 v3, s[0:1], s10, v3
	v_addc_co_u32_e64 v4, s[0:1], v5, v4, s[0:1]
	global_load_dword v7, v[3:4], off
	v_cmp_gt_u32_e64 s[0:1], s14, v6
	v_mov_b32_e32 v3, v2
	v_mov_b32_e32 v8, v2
	s_and_saveexec_b64 s[6:7], s[0:1]
	s_cbranch_execz .LBB169_10
; %bb.5:
	v_add_u32_e32 v2, s2, v0
	v_mov_b32_e32 v3, 0
	v_lshlrev_b64 v[4:5], 2, v[2:3]
	v_mov_b32_e32 v2, s11
	v_add_co_u32_e64 v4, s[0:1], s10, v4
	v_addc_co_u32_e64 v5, s[0:1], v2, v5, s[0:1]
	global_load_dword v2, v[4:5], off offset:1024
	v_or_b32_e32 v8, 0x200, v0
	v_cmp_gt_u32_e64 s[0:1], s14, v8
	v_mov_b32_e32 v8, v3
	s_and_saveexec_b64 s[10:11], s[0:1]
	s_cbranch_execz .LBB169_9
; %bb.6:
	global_load_dword v3, v[4:5], off offset:2048
	v_or_b32_e32 v8, 0x300, v0
	v_cmp_gt_u32_e64 s[0:1], s14, v8
	v_mov_b32_e32 v8, 0
	s_and_saveexec_b64 s[12:13], s[0:1]
	s_cbranch_execz .LBB169_8
; %bb.7:
	global_load_dword v4, v[4:5], off offset:3072
	s_waitcnt vmcnt(0)
	v_min_u32_e32 v8, 31, v4
.LBB169_8:
	s_or_b64 exec, exec, s[12:13]
.LBB169_9:
	s_or_b64 exec, exec, s[10:11]
.LBB169_10:
	s_or_b64 exec, exec, s[6:7]
.LBB169_11:
	s_or_b64 exec, exec, s[4:5]
	s_waitcnt vmcnt(0)
	v_min_u32_e32 v2, 31, v2
	v_ashrrev_i32_e64 v2, v2, s15
	v_cmp_gt_i32_e64 s[0:1], s14, v6
	v_min_u32_e32 v4, 31, v7
	v_cndmask_b32_e64 v5, 0, v2, s[0:1]
	v_or_b32_e32 v2, 0x200, v0
	v_min_u32_e32 v3, 31, v3
	v_ashrrev_i32_e64 v4, v4, s15
	v_ashrrev_i32_e64 v3, v3, s15
	v_cmp_gt_i32_e64 s[0:1], s14, v2
	v_or_b32_e32 v2, 0x300, v0
	v_cndmask_b32_e32 v7, 0, v4, vcc
	v_cndmask_b32_e64 v4, 0, v3, s[0:1]
	v_ashrrev_i32_e64 v3, v8, s15
	v_cmp_gt_i32_e64 s[0:1], s14, v2
	v_cndmask_b32_e64 v3, 0, v3, s[0:1]
	s_and_saveexec_b64 s[0:1], vcc
	s_cbranch_execnz .LBB169_17
; %bb.12:
	s_or_b64 exec, exec, s[0:1]
	v_cmp_gt_i32_e32 vcc, s14, v0
	s_and_saveexec_b64 s[0:1], vcc
	s_cbranch_execnz .LBB169_18
.LBB169_13:
	s_or_b64 exec, exec, s[0:1]
	v_cmp_gt_i32_e32 vcc, s14, v0
	s_and_saveexec_b64 s[0:1], vcc
	s_cbranch_execnz .LBB169_19
.LBB169_14:
	s_or_b64 exec, exec, s[0:1]
	v_cmp_gt_i32_e32 vcc, s14, v0
	s_and_saveexec_b64 s[0:1], vcc
	s_cbranch_execz .LBB169_16
.LBB169_15:
	v_add_u32_e32 v0, s2, v0
	v_mov_b32_e32 v1, 0
	v_lshlrev_b64 v[0:1], 2, v[0:1]
	v_mov_b32_e32 v2, s9
	v_add_co_u32_e32 v0, vcc, s8, v0
	v_addc_co_u32_e32 v1, vcc, v2, v1, vcc
	global_store_dword v[0:1], v3, off
.LBB169_16:
	s_endpgm
.LBB169_17:
	v_mov_b32_e32 v2, 0
	v_lshlrev_b64 v[0:1], 2, v[1:2]
	v_mov_b32_e32 v2, s9
	v_add_co_u32_e32 v0, vcc, s8, v0
	v_addc_co_u32_e32 v1, vcc, v2, v1, vcc
	global_store_dword v[0:1], v7, off
	v_mov_b32_e32 v0, v6
	s_or_b64 exec, exec, s[0:1]
	v_cmp_gt_i32_e32 vcc, s14, v0
	s_and_saveexec_b64 s[0:1], vcc
	s_cbranch_execz .LBB169_13
.LBB169_18:
	v_add_u32_e32 v1, s2, v0
	v_mov_b32_e32 v2, 0
	v_lshlrev_b64 v[1:2], 2, v[1:2]
	v_mov_b32_e32 v6, s9
	v_add_co_u32_e32 v1, vcc, s8, v1
	v_addc_co_u32_e32 v2, vcc, v6, v2, vcc
	v_add_u32_e32 v0, 0x100, v0
	global_store_dword v[1:2], v5, off
	s_or_b64 exec, exec, s[0:1]
	v_cmp_gt_i32_e32 vcc, s14, v0
	s_and_saveexec_b64 s[0:1], vcc
	s_cbranch_execz .LBB169_14
.LBB169_19:
	v_add_u32_e32 v1, s2, v0
	v_mov_b32_e32 v2, 0
	v_lshlrev_b64 v[1:2], 2, v[1:2]
	v_mov_b32_e32 v5, s9
	v_add_co_u32_e32 v1, vcc, s8, v1
	v_addc_co_u32_e32 v2, vcc, v5, v2, vcc
	v_add_u32_e32 v0, 0x100, v0
	global_store_dword v[1:2], v4, off
	s_or_b64 exec, exec, s[0:1]
	v_cmp_gt_i32_e32 vcc, s14, v0
	s_and_saveexec_b64 s[0:1], vcc
	s_cbranch_execnz .LBB169_15
	s_branch .LBB169_16
	.section	.rodata,"a",@progbits
	.p2align	6, 0x0
	.amdhsa_kernel _ZN2at6native29vectorized_elementwise_kernelILi8ENS0_13AUnaryFunctorIiiiZZZNS0_18rshift_kernel_cudaERNS_18TensorIteratorBaseEENKUlvE_clEvENKUlvE1_clEvEUliiE_EESt5arrayIPcLm2EEEEviT0_T1_
		.amdhsa_group_segment_fixed_size 0
		.amdhsa_private_segment_fixed_size 0
		.amdhsa_kernarg_size 32
		.amdhsa_user_sgpr_count 6
		.amdhsa_user_sgpr_private_segment_buffer 1
		.amdhsa_user_sgpr_dispatch_ptr 0
		.amdhsa_user_sgpr_queue_ptr 0
		.amdhsa_user_sgpr_kernarg_segment_ptr 1
		.amdhsa_user_sgpr_dispatch_id 0
		.amdhsa_user_sgpr_flat_scratch_init 0
		.amdhsa_user_sgpr_private_segment_size 0
		.amdhsa_uses_dynamic_stack 0
		.amdhsa_system_sgpr_private_segment_wavefront_offset 0
		.amdhsa_system_sgpr_workgroup_id_x 1
		.amdhsa_system_sgpr_workgroup_id_y 0
		.amdhsa_system_sgpr_workgroup_id_z 0
		.amdhsa_system_sgpr_workgroup_info 0
		.amdhsa_system_vgpr_workitem_id 0
		.amdhsa_next_free_vgpr 9
		.amdhsa_next_free_sgpr 16
		.amdhsa_reserve_vcc 1
		.amdhsa_reserve_flat_scratch 0
		.amdhsa_float_round_mode_32 0
		.amdhsa_float_round_mode_16_64 0
		.amdhsa_float_denorm_mode_32 3
		.amdhsa_float_denorm_mode_16_64 3
		.amdhsa_dx10_clamp 1
		.amdhsa_ieee_mode 1
		.amdhsa_fp16_overflow 0
		.amdhsa_exception_fp_ieee_invalid_op 0
		.amdhsa_exception_fp_denorm_src 0
		.amdhsa_exception_fp_ieee_div_zero 0
		.amdhsa_exception_fp_ieee_overflow 0
		.amdhsa_exception_fp_ieee_underflow 0
		.amdhsa_exception_fp_ieee_inexact 0
		.amdhsa_exception_int_div_zero 0
	.end_amdhsa_kernel
	.section	.text._ZN2at6native29vectorized_elementwise_kernelILi8ENS0_13AUnaryFunctorIiiiZZZNS0_18rshift_kernel_cudaERNS_18TensorIteratorBaseEENKUlvE_clEvENKUlvE1_clEvEUliiE_EESt5arrayIPcLm2EEEEviT0_T1_,"axG",@progbits,_ZN2at6native29vectorized_elementwise_kernelILi8ENS0_13AUnaryFunctorIiiiZZZNS0_18rshift_kernel_cudaERNS_18TensorIteratorBaseEENKUlvE_clEvENKUlvE1_clEvEUliiE_EESt5arrayIPcLm2EEEEviT0_T1_,comdat
.Lfunc_end169:
	.size	_ZN2at6native29vectorized_elementwise_kernelILi8ENS0_13AUnaryFunctorIiiiZZZNS0_18rshift_kernel_cudaERNS_18TensorIteratorBaseEENKUlvE_clEvENKUlvE1_clEvEUliiE_EESt5arrayIPcLm2EEEEviT0_T1_, .Lfunc_end169-_ZN2at6native29vectorized_elementwise_kernelILi8ENS0_13AUnaryFunctorIiiiZZZNS0_18rshift_kernel_cudaERNS_18TensorIteratorBaseEENKUlvE_clEvENKUlvE1_clEvEUliiE_EESt5arrayIPcLm2EEEEviT0_T1_
                                        ; -- End function
	.set _ZN2at6native29vectorized_elementwise_kernelILi8ENS0_13AUnaryFunctorIiiiZZZNS0_18rshift_kernel_cudaERNS_18TensorIteratorBaseEENKUlvE_clEvENKUlvE1_clEvEUliiE_EESt5arrayIPcLm2EEEEviT0_T1_.num_vgpr, 9
	.set _ZN2at6native29vectorized_elementwise_kernelILi8ENS0_13AUnaryFunctorIiiiZZZNS0_18rshift_kernel_cudaERNS_18TensorIteratorBaseEENKUlvE_clEvENKUlvE1_clEvEUliiE_EESt5arrayIPcLm2EEEEviT0_T1_.num_agpr, 0
	.set _ZN2at6native29vectorized_elementwise_kernelILi8ENS0_13AUnaryFunctorIiiiZZZNS0_18rshift_kernel_cudaERNS_18TensorIteratorBaseEENKUlvE_clEvENKUlvE1_clEvEUliiE_EESt5arrayIPcLm2EEEEviT0_T1_.numbered_sgpr, 16
	.set _ZN2at6native29vectorized_elementwise_kernelILi8ENS0_13AUnaryFunctorIiiiZZZNS0_18rshift_kernel_cudaERNS_18TensorIteratorBaseEENKUlvE_clEvENKUlvE1_clEvEUliiE_EESt5arrayIPcLm2EEEEviT0_T1_.num_named_barrier, 0
	.set _ZN2at6native29vectorized_elementwise_kernelILi8ENS0_13AUnaryFunctorIiiiZZZNS0_18rshift_kernel_cudaERNS_18TensorIteratorBaseEENKUlvE_clEvENKUlvE1_clEvEUliiE_EESt5arrayIPcLm2EEEEviT0_T1_.private_seg_size, 0
	.set _ZN2at6native29vectorized_elementwise_kernelILi8ENS0_13AUnaryFunctorIiiiZZZNS0_18rshift_kernel_cudaERNS_18TensorIteratorBaseEENKUlvE_clEvENKUlvE1_clEvEUliiE_EESt5arrayIPcLm2EEEEviT0_T1_.uses_vcc, 1
	.set _ZN2at6native29vectorized_elementwise_kernelILi8ENS0_13AUnaryFunctorIiiiZZZNS0_18rshift_kernel_cudaERNS_18TensorIteratorBaseEENKUlvE_clEvENKUlvE1_clEvEUliiE_EESt5arrayIPcLm2EEEEviT0_T1_.uses_flat_scratch, 0
	.set _ZN2at6native29vectorized_elementwise_kernelILi8ENS0_13AUnaryFunctorIiiiZZZNS0_18rshift_kernel_cudaERNS_18TensorIteratorBaseEENKUlvE_clEvENKUlvE1_clEvEUliiE_EESt5arrayIPcLm2EEEEviT0_T1_.has_dyn_sized_stack, 0
	.set _ZN2at6native29vectorized_elementwise_kernelILi8ENS0_13AUnaryFunctorIiiiZZZNS0_18rshift_kernel_cudaERNS_18TensorIteratorBaseEENKUlvE_clEvENKUlvE1_clEvEUliiE_EESt5arrayIPcLm2EEEEviT0_T1_.has_recursion, 0
	.set _ZN2at6native29vectorized_elementwise_kernelILi8ENS0_13AUnaryFunctorIiiiZZZNS0_18rshift_kernel_cudaERNS_18TensorIteratorBaseEENKUlvE_clEvENKUlvE1_clEvEUliiE_EESt5arrayIPcLm2EEEEviT0_T1_.has_indirect_call, 0
	.section	.AMDGPU.csdata,"",@progbits
; Kernel info:
; codeLenInByte = 788
; TotalNumSgprs: 20
; NumVgprs: 9
; ScratchSize: 0
; MemoryBound: 0
; FloatMode: 240
; IeeeMode: 1
; LDSByteSize: 0 bytes/workgroup (compile time only)
; SGPRBlocks: 2
; VGPRBlocks: 2
; NumSGPRsForWavesPerEU: 20
; NumVGPRsForWavesPerEU: 9
; Occupancy: 10
; WaveLimiterHint : 0
; COMPUTE_PGM_RSRC2:SCRATCH_EN: 0
; COMPUTE_PGM_RSRC2:USER_SGPR: 6
; COMPUTE_PGM_RSRC2:TRAP_HANDLER: 0
; COMPUTE_PGM_RSRC2:TGID_X_EN: 1
; COMPUTE_PGM_RSRC2:TGID_Y_EN: 0
; COMPUTE_PGM_RSRC2:TGID_Z_EN: 0
; COMPUTE_PGM_RSRC2:TIDIG_COMP_CNT: 0
	.section	.text._ZN2at6native29vectorized_elementwise_kernelILi4ENS0_13AUnaryFunctorIiiiZZZNS0_18rshift_kernel_cudaERNS_18TensorIteratorBaseEENKUlvE_clEvENKUlvE1_clEvEUliiE_EESt5arrayIPcLm2EEEEviT0_T1_,"axG",@progbits,_ZN2at6native29vectorized_elementwise_kernelILi4ENS0_13AUnaryFunctorIiiiZZZNS0_18rshift_kernel_cudaERNS_18TensorIteratorBaseEENKUlvE_clEvENKUlvE1_clEvEUliiE_EESt5arrayIPcLm2EEEEviT0_T1_,comdat
	.globl	_ZN2at6native29vectorized_elementwise_kernelILi4ENS0_13AUnaryFunctorIiiiZZZNS0_18rshift_kernel_cudaERNS_18TensorIteratorBaseEENKUlvE_clEvENKUlvE1_clEvEUliiE_EESt5arrayIPcLm2EEEEviT0_T1_ ; -- Begin function _ZN2at6native29vectorized_elementwise_kernelILi4ENS0_13AUnaryFunctorIiiiZZZNS0_18rshift_kernel_cudaERNS_18TensorIteratorBaseEENKUlvE_clEvENKUlvE1_clEvEUliiE_EESt5arrayIPcLm2EEEEviT0_T1_
	.p2align	8
	.type	_ZN2at6native29vectorized_elementwise_kernelILi4ENS0_13AUnaryFunctorIiiiZZZNS0_18rshift_kernel_cudaERNS_18TensorIteratorBaseEENKUlvE_clEvENKUlvE1_clEvEUliiE_EESt5arrayIPcLm2EEEEviT0_T1_,@function
_ZN2at6native29vectorized_elementwise_kernelILi4ENS0_13AUnaryFunctorIiiiZZZNS0_18rshift_kernel_cudaERNS_18TensorIteratorBaseEENKUlvE_clEvENKUlvE1_clEvEUliiE_EESt5arrayIPcLm2EEEEviT0_T1_: ; @_ZN2at6native29vectorized_elementwise_kernelILi4ENS0_13AUnaryFunctorIiiiZZZNS0_18rshift_kernel_cudaERNS_18TensorIteratorBaseEENKUlvE_clEvENKUlvE1_clEvEUliiE_EESt5arrayIPcLm2EEEEviT0_T1_
; %bb.0:
	s_load_dword s0, s[4:5], 0x0
	s_load_dword s15, s[4:5], 0x8
	s_load_dwordx4 s[8:11], s[4:5], 0x10
	s_lshl_b32 s2, s6, 10
	s_waitcnt lgkmcnt(0)
	s_sub_i32 s14, s0, s2
	s_cmpk_gt_i32 s14, 0x3ff
	s_mov_b64 s[0:1], -1
	s_cbranch_scc0 .LBB170_2
; %bb.1:
	s_ashr_i32 s3, s2, 31
	s_lshl_b64 s[0:1], s[2:3], 2
	s_add_u32 s4, s10, s0
	s_addc_u32 s5, s11, s1
	v_lshlrev_b32_e32 v5, 4, v0
	global_load_dwordx4 v[1:4], v5, s[4:5]
	s_add_u32 s0, s8, s0
	s_addc_u32 s1, s9, s1
	s_waitcnt vmcnt(0)
	v_min_u32_e32 v1, 31, v1
	v_min_u32_e32 v2, 31, v2
	;; [unrolled: 1-line block ×4, first 2 shown]
	v_ashrrev_i32_e64 v1, v1, s15
	v_ashrrev_i32_e64 v2, v2, s15
	;; [unrolled: 1-line block ×4, first 2 shown]
	global_store_dwordx4 v5, v[1:4], s[0:1]
	s_mov_b64 s[0:1], 0
.LBB170_2:
	s_andn2_b64 vcc, exec, s[0:1]
	s_cbranch_vccnz .LBB170_16
; %bb.3:
	v_cmp_gt_i32_e32 vcc, s14, v0
	v_or_b32_e32 v6, 0x100, v0
	v_mov_b32_e32 v8, 0
	v_or_b32_e32 v1, s2, v0
	v_mov_b32_e32 v3, 0
	v_mov_b32_e32 v2, 0
	;; [unrolled: 1-line block ×3, first 2 shown]
	s_and_saveexec_b64 s[4:5], vcc
	s_cbranch_execz .LBB170_11
; %bb.4:
	v_mov_b32_e32 v2, 0
	v_lshlrev_b64 v[3:4], 2, v[1:2]
	v_mov_b32_e32 v5, s11
	v_add_co_u32_e64 v3, s[0:1], s10, v3
	v_addc_co_u32_e64 v4, s[0:1], v5, v4, s[0:1]
	global_load_dword v7, v[3:4], off
	v_cmp_gt_u32_e64 s[0:1], s14, v6
	v_mov_b32_e32 v3, v2
	v_mov_b32_e32 v8, v2
	s_and_saveexec_b64 s[6:7], s[0:1]
	s_cbranch_execz .LBB170_10
; %bb.5:
	v_add_u32_e32 v2, s2, v0
	v_mov_b32_e32 v3, 0
	v_lshlrev_b64 v[4:5], 2, v[2:3]
	v_mov_b32_e32 v2, s11
	v_add_co_u32_e64 v4, s[0:1], s10, v4
	v_addc_co_u32_e64 v5, s[0:1], v2, v5, s[0:1]
	global_load_dword v2, v[4:5], off offset:1024
	v_or_b32_e32 v8, 0x200, v0
	v_cmp_gt_u32_e64 s[0:1], s14, v8
	v_mov_b32_e32 v8, v3
	s_and_saveexec_b64 s[10:11], s[0:1]
	s_cbranch_execz .LBB170_9
; %bb.6:
	global_load_dword v3, v[4:5], off offset:2048
	v_or_b32_e32 v8, 0x300, v0
	v_cmp_gt_u32_e64 s[0:1], s14, v8
	v_mov_b32_e32 v8, 0
	s_and_saveexec_b64 s[12:13], s[0:1]
	s_cbranch_execz .LBB170_8
; %bb.7:
	global_load_dword v4, v[4:5], off offset:3072
	s_waitcnt vmcnt(0)
	v_min_u32_e32 v8, 31, v4
.LBB170_8:
	s_or_b64 exec, exec, s[12:13]
.LBB170_9:
	s_or_b64 exec, exec, s[10:11]
.LBB170_10:
	s_or_b64 exec, exec, s[6:7]
.LBB170_11:
	s_or_b64 exec, exec, s[4:5]
	s_waitcnt vmcnt(0)
	v_min_u32_e32 v2, 31, v2
	v_ashrrev_i32_e64 v2, v2, s15
	v_cmp_gt_i32_e64 s[0:1], s14, v6
	v_min_u32_e32 v4, 31, v7
	v_cndmask_b32_e64 v5, 0, v2, s[0:1]
	v_or_b32_e32 v2, 0x200, v0
	v_min_u32_e32 v3, 31, v3
	v_ashrrev_i32_e64 v4, v4, s15
	v_ashrrev_i32_e64 v3, v3, s15
	v_cmp_gt_i32_e64 s[0:1], s14, v2
	v_or_b32_e32 v2, 0x300, v0
	v_cndmask_b32_e32 v7, 0, v4, vcc
	v_cndmask_b32_e64 v4, 0, v3, s[0:1]
	v_ashrrev_i32_e64 v3, v8, s15
	v_cmp_gt_i32_e64 s[0:1], s14, v2
	v_cndmask_b32_e64 v3, 0, v3, s[0:1]
	s_and_saveexec_b64 s[0:1], vcc
	s_cbranch_execnz .LBB170_17
; %bb.12:
	s_or_b64 exec, exec, s[0:1]
	v_cmp_gt_i32_e32 vcc, s14, v0
	s_and_saveexec_b64 s[0:1], vcc
	s_cbranch_execnz .LBB170_18
.LBB170_13:
	s_or_b64 exec, exec, s[0:1]
	v_cmp_gt_i32_e32 vcc, s14, v0
	s_and_saveexec_b64 s[0:1], vcc
	s_cbranch_execnz .LBB170_19
.LBB170_14:
	s_or_b64 exec, exec, s[0:1]
	v_cmp_gt_i32_e32 vcc, s14, v0
	s_and_saveexec_b64 s[0:1], vcc
	s_cbranch_execz .LBB170_16
.LBB170_15:
	v_add_u32_e32 v0, s2, v0
	v_mov_b32_e32 v1, 0
	v_lshlrev_b64 v[0:1], 2, v[0:1]
	v_mov_b32_e32 v2, s9
	v_add_co_u32_e32 v0, vcc, s8, v0
	v_addc_co_u32_e32 v1, vcc, v2, v1, vcc
	global_store_dword v[0:1], v3, off
.LBB170_16:
	s_endpgm
.LBB170_17:
	v_mov_b32_e32 v2, 0
	v_lshlrev_b64 v[0:1], 2, v[1:2]
	v_mov_b32_e32 v2, s9
	v_add_co_u32_e32 v0, vcc, s8, v0
	v_addc_co_u32_e32 v1, vcc, v2, v1, vcc
	global_store_dword v[0:1], v7, off
	v_mov_b32_e32 v0, v6
	s_or_b64 exec, exec, s[0:1]
	v_cmp_gt_i32_e32 vcc, s14, v0
	s_and_saveexec_b64 s[0:1], vcc
	s_cbranch_execz .LBB170_13
.LBB170_18:
	v_add_u32_e32 v1, s2, v0
	v_mov_b32_e32 v2, 0
	v_lshlrev_b64 v[1:2], 2, v[1:2]
	v_mov_b32_e32 v6, s9
	v_add_co_u32_e32 v1, vcc, s8, v1
	v_addc_co_u32_e32 v2, vcc, v6, v2, vcc
	v_add_u32_e32 v0, 0x100, v0
	global_store_dword v[1:2], v5, off
	s_or_b64 exec, exec, s[0:1]
	v_cmp_gt_i32_e32 vcc, s14, v0
	s_and_saveexec_b64 s[0:1], vcc
	s_cbranch_execz .LBB170_14
.LBB170_19:
	v_add_u32_e32 v1, s2, v0
	v_mov_b32_e32 v2, 0
	v_lshlrev_b64 v[1:2], 2, v[1:2]
	v_mov_b32_e32 v5, s9
	v_add_co_u32_e32 v1, vcc, s8, v1
	v_addc_co_u32_e32 v2, vcc, v5, v2, vcc
	v_add_u32_e32 v0, 0x100, v0
	global_store_dword v[1:2], v4, off
	s_or_b64 exec, exec, s[0:1]
	v_cmp_gt_i32_e32 vcc, s14, v0
	s_and_saveexec_b64 s[0:1], vcc
	s_cbranch_execnz .LBB170_15
	s_branch .LBB170_16
	.section	.rodata,"a",@progbits
	.p2align	6, 0x0
	.amdhsa_kernel _ZN2at6native29vectorized_elementwise_kernelILi4ENS0_13AUnaryFunctorIiiiZZZNS0_18rshift_kernel_cudaERNS_18TensorIteratorBaseEENKUlvE_clEvENKUlvE1_clEvEUliiE_EESt5arrayIPcLm2EEEEviT0_T1_
		.amdhsa_group_segment_fixed_size 0
		.amdhsa_private_segment_fixed_size 0
		.amdhsa_kernarg_size 32
		.amdhsa_user_sgpr_count 6
		.amdhsa_user_sgpr_private_segment_buffer 1
		.amdhsa_user_sgpr_dispatch_ptr 0
		.amdhsa_user_sgpr_queue_ptr 0
		.amdhsa_user_sgpr_kernarg_segment_ptr 1
		.amdhsa_user_sgpr_dispatch_id 0
		.amdhsa_user_sgpr_flat_scratch_init 0
		.amdhsa_user_sgpr_private_segment_size 0
		.amdhsa_uses_dynamic_stack 0
		.amdhsa_system_sgpr_private_segment_wavefront_offset 0
		.amdhsa_system_sgpr_workgroup_id_x 1
		.amdhsa_system_sgpr_workgroup_id_y 0
		.amdhsa_system_sgpr_workgroup_id_z 0
		.amdhsa_system_sgpr_workgroup_info 0
		.amdhsa_system_vgpr_workitem_id 0
		.amdhsa_next_free_vgpr 9
		.amdhsa_next_free_sgpr 16
		.amdhsa_reserve_vcc 1
		.amdhsa_reserve_flat_scratch 0
		.amdhsa_float_round_mode_32 0
		.amdhsa_float_round_mode_16_64 0
		.amdhsa_float_denorm_mode_32 3
		.amdhsa_float_denorm_mode_16_64 3
		.amdhsa_dx10_clamp 1
		.amdhsa_ieee_mode 1
		.amdhsa_fp16_overflow 0
		.amdhsa_exception_fp_ieee_invalid_op 0
		.amdhsa_exception_fp_denorm_src 0
		.amdhsa_exception_fp_ieee_div_zero 0
		.amdhsa_exception_fp_ieee_overflow 0
		.amdhsa_exception_fp_ieee_underflow 0
		.amdhsa_exception_fp_ieee_inexact 0
		.amdhsa_exception_int_div_zero 0
	.end_amdhsa_kernel
	.section	.text._ZN2at6native29vectorized_elementwise_kernelILi4ENS0_13AUnaryFunctorIiiiZZZNS0_18rshift_kernel_cudaERNS_18TensorIteratorBaseEENKUlvE_clEvENKUlvE1_clEvEUliiE_EESt5arrayIPcLm2EEEEviT0_T1_,"axG",@progbits,_ZN2at6native29vectorized_elementwise_kernelILi4ENS0_13AUnaryFunctorIiiiZZZNS0_18rshift_kernel_cudaERNS_18TensorIteratorBaseEENKUlvE_clEvENKUlvE1_clEvEUliiE_EESt5arrayIPcLm2EEEEviT0_T1_,comdat
.Lfunc_end170:
	.size	_ZN2at6native29vectorized_elementwise_kernelILi4ENS0_13AUnaryFunctorIiiiZZZNS0_18rshift_kernel_cudaERNS_18TensorIteratorBaseEENKUlvE_clEvENKUlvE1_clEvEUliiE_EESt5arrayIPcLm2EEEEviT0_T1_, .Lfunc_end170-_ZN2at6native29vectorized_elementwise_kernelILi4ENS0_13AUnaryFunctorIiiiZZZNS0_18rshift_kernel_cudaERNS_18TensorIteratorBaseEENKUlvE_clEvENKUlvE1_clEvEUliiE_EESt5arrayIPcLm2EEEEviT0_T1_
                                        ; -- End function
	.set _ZN2at6native29vectorized_elementwise_kernelILi4ENS0_13AUnaryFunctorIiiiZZZNS0_18rshift_kernel_cudaERNS_18TensorIteratorBaseEENKUlvE_clEvENKUlvE1_clEvEUliiE_EESt5arrayIPcLm2EEEEviT0_T1_.num_vgpr, 9
	.set _ZN2at6native29vectorized_elementwise_kernelILi4ENS0_13AUnaryFunctorIiiiZZZNS0_18rshift_kernel_cudaERNS_18TensorIteratorBaseEENKUlvE_clEvENKUlvE1_clEvEUliiE_EESt5arrayIPcLm2EEEEviT0_T1_.num_agpr, 0
	.set _ZN2at6native29vectorized_elementwise_kernelILi4ENS0_13AUnaryFunctorIiiiZZZNS0_18rshift_kernel_cudaERNS_18TensorIteratorBaseEENKUlvE_clEvENKUlvE1_clEvEUliiE_EESt5arrayIPcLm2EEEEviT0_T1_.numbered_sgpr, 16
	.set _ZN2at6native29vectorized_elementwise_kernelILi4ENS0_13AUnaryFunctorIiiiZZZNS0_18rshift_kernel_cudaERNS_18TensorIteratorBaseEENKUlvE_clEvENKUlvE1_clEvEUliiE_EESt5arrayIPcLm2EEEEviT0_T1_.num_named_barrier, 0
	.set _ZN2at6native29vectorized_elementwise_kernelILi4ENS0_13AUnaryFunctorIiiiZZZNS0_18rshift_kernel_cudaERNS_18TensorIteratorBaseEENKUlvE_clEvENKUlvE1_clEvEUliiE_EESt5arrayIPcLm2EEEEviT0_T1_.private_seg_size, 0
	.set _ZN2at6native29vectorized_elementwise_kernelILi4ENS0_13AUnaryFunctorIiiiZZZNS0_18rshift_kernel_cudaERNS_18TensorIteratorBaseEENKUlvE_clEvENKUlvE1_clEvEUliiE_EESt5arrayIPcLm2EEEEviT0_T1_.uses_vcc, 1
	.set _ZN2at6native29vectorized_elementwise_kernelILi4ENS0_13AUnaryFunctorIiiiZZZNS0_18rshift_kernel_cudaERNS_18TensorIteratorBaseEENKUlvE_clEvENKUlvE1_clEvEUliiE_EESt5arrayIPcLm2EEEEviT0_T1_.uses_flat_scratch, 0
	.set _ZN2at6native29vectorized_elementwise_kernelILi4ENS0_13AUnaryFunctorIiiiZZZNS0_18rshift_kernel_cudaERNS_18TensorIteratorBaseEENKUlvE_clEvENKUlvE1_clEvEUliiE_EESt5arrayIPcLm2EEEEviT0_T1_.has_dyn_sized_stack, 0
	.set _ZN2at6native29vectorized_elementwise_kernelILi4ENS0_13AUnaryFunctorIiiiZZZNS0_18rshift_kernel_cudaERNS_18TensorIteratorBaseEENKUlvE_clEvENKUlvE1_clEvEUliiE_EESt5arrayIPcLm2EEEEviT0_T1_.has_recursion, 0
	.set _ZN2at6native29vectorized_elementwise_kernelILi4ENS0_13AUnaryFunctorIiiiZZZNS0_18rshift_kernel_cudaERNS_18TensorIteratorBaseEENKUlvE_clEvENKUlvE1_clEvEUliiE_EESt5arrayIPcLm2EEEEviT0_T1_.has_indirect_call, 0
	.section	.AMDGPU.csdata,"",@progbits
; Kernel info:
; codeLenInByte = 788
; TotalNumSgprs: 20
; NumVgprs: 9
; ScratchSize: 0
; MemoryBound: 0
; FloatMode: 240
; IeeeMode: 1
; LDSByteSize: 0 bytes/workgroup (compile time only)
; SGPRBlocks: 2
; VGPRBlocks: 2
; NumSGPRsForWavesPerEU: 20
; NumVGPRsForWavesPerEU: 9
; Occupancy: 10
; WaveLimiterHint : 0
; COMPUTE_PGM_RSRC2:SCRATCH_EN: 0
; COMPUTE_PGM_RSRC2:USER_SGPR: 6
; COMPUTE_PGM_RSRC2:TRAP_HANDLER: 0
; COMPUTE_PGM_RSRC2:TGID_X_EN: 1
; COMPUTE_PGM_RSRC2:TGID_Y_EN: 0
; COMPUTE_PGM_RSRC2:TGID_Z_EN: 0
; COMPUTE_PGM_RSRC2:TIDIG_COMP_CNT: 0
	.section	.text._ZN2at6native29vectorized_elementwise_kernelILi2ENS0_13AUnaryFunctorIiiiZZZNS0_18rshift_kernel_cudaERNS_18TensorIteratorBaseEENKUlvE_clEvENKUlvE1_clEvEUliiE_EESt5arrayIPcLm2EEEEviT0_T1_,"axG",@progbits,_ZN2at6native29vectorized_elementwise_kernelILi2ENS0_13AUnaryFunctorIiiiZZZNS0_18rshift_kernel_cudaERNS_18TensorIteratorBaseEENKUlvE_clEvENKUlvE1_clEvEUliiE_EESt5arrayIPcLm2EEEEviT0_T1_,comdat
	.globl	_ZN2at6native29vectorized_elementwise_kernelILi2ENS0_13AUnaryFunctorIiiiZZZNS0_18rshift_kernel_cudaERNS_18TensorIteratorBaseEENKUlvE_clEvENKUlvE1_clEvEUliiE_EESt5arrayIPcLm2EEEEviT0_T1_ ; -- Begin function _ZN2at6native29vectorized_elementwise_kernelILi2ENS0_13AUnaryFunctorIiiiZZZNS0_18rshift_kernel_cudaERNS_18TensorIteratorBaseEENKUlvE_clEvENKUlvE1_clEvEUliiE_EESt5arrayIPcLm2EEEEviT0_T1_
	.p2align	8
	.type	_ZN2at6native29vectorized_elementwise_kernelILi2ENS0_13AUnaryFunctorIiiiZZZNS0_18rshift_kernel_cudaERNS_18TensorIteratorBaseEENKUlvE_clEvENKUlvE1_clEvEUliiE_EESt5arrayIPcLm2EEEEviT0_T1_,@function
_ZN2at6native29vectorized_elementwise_kernelILi2ENS0_13AUnaryFunctorIiiiZZZNS0_18rshift_kernel_cudaERNS_18TensorIteratorBaseEENKUlvE_clEvENKUlvE1_clEvEUliiE_EESt5arrayIPcLm2EEEEviT0_T1_: ; @_ZN2at6native29vectorized_elementwise_kernelILi2ENS0_13AUnaryFunctorIiiiZZZNS0_18rshift_kernel_cudaERNS_18TensorIteratorBaseEENKUlvE_clEvENKUlvE1_clEvEUliiE_EESt5arrayIPcLm2EEEEviT0_T1_
; %bb.0:
	s_load_dword s0, s[4:5], 0x0
	s_load_dword s15, s[4:5], 0x8
	s_load_dwordx4 s[8:11], s[4:5], 0x10
	s_lshl_b32 s2, s6, 10
	s_waitcnt lgkmcnt(0)
	s_sub_i32 s14, s0, s2
	s_cmpk_gt_i32 s14, 0x3ff
	s_mov_b64 s[0:1], -1
	s_cbranch_scc0 .LBB171_2
; %bb.1:
	s_ashr_i32 s3, s2, 31
	s_lshl_b64 s[0:1], s[2:3], 2
	s_add_u32 s4, s10, s0
	s_addc_u32 s5, s11, s1
	v_lshlrev_b32_e32 v5, 3, v0
	global_load_dwordx2 v[1:2], v5, s[4:5]
	global_load_dwordx2 v[3:4], v5, s[4:5] offset:2048
	s_add_u32 s0, s8, s0
	s_addc_u32 s1, s9, s1
	s_waitcnt vmcnt(1)
	v_min_u32_e32 v1, 31, v1
	v_min_u32_e32 v2, 31, v2
	s_waitcnt vmcnt(0)
	v_min_u32_e32 v3, 31, v3
	v_min_u32_e32 v4, 31, v4
	v_ashrrev_i32_e64 v1, v1, s15
	v_ashrrev_i32_e64 v2, v2, s15
	;; [unrolled: 1-line block ×4, first 2 shown]
	global_store_dwordx2 v5, v[1:2], s[0:1]
	global_store_dwordx2 v5, v[3:4], s[0:1] offset:2048
	s_mov_b64 s[0:1], 0
.LBB171_2:
	s_andn2_b64 vcc, exec, s[0:1]
	s_cbranch_vccnz .LBB171_16
; %bb.3:
	v_cmp_gt_i32_e32 vcc, s14, v0
	v_or_b32_e32 v6, 0x100, v0
	v_mov_b32_e32 v8, 0
	v_or_b32_e32 v1, s2, v0
	v_mov_b32_e32 v3, 0
	v_mov_b32_e32 v2, 0
	;; [unrolled: 1-line block ×3, first 2 shown]
	s_and_saveexec_b64 s[4:5], vcc
	s_cbranch_execz .LBB171_11
; %bb.4:
	v_mov_b32_e32 v2, 0
	v_lshlrev_b64 v[3:4], 2, v[1:2]
	v_mov_b32_e32 v5, s11
	v_add_co_u32_e64 v3, s[0:1], s10, v3
	v_addc_co_u32_e64 v4, s[0:1], v5, v4, s[0:1]
	global_load_dword v7, v[3:4], off
	v_cmp_gt_u32_e64 s[0:1], s14, v6
	v_mov_b32_e32 v3, v2
	v_mov_b32_e32 v8, v2
	s_and_saveexec_b64 s[6:7], s[0:1]
	s_cbranch_execz .LBB171_10
; %bb.5:
	v_add_u32_e32 v2, s2, v0
	v_mov_b32_e32 v3, 0
	v_lshlrev_b64 v[4:5], 2, v[2:3]
	v_mov_b32_e32 v2, s11
	v_add_co_u32_e64 v4, s[0:1], s10, v4
	v_addc_co_u32_e64 v5, s[0:1], v2, v5, s[0:1]
	global_load_dword v2, v[4:5], off offset:1024
	v_or_b32_e32 v8, 0x200, v0
	v_cmp_gt_u32_e64 s[0:1], s14, v8
	v_mov_b32_e32 v8, v3
	s_and_saveexec_b64 s[10:11], s[0:1]
	s_cbranch_execz .LBB171_9
; %bb.6:
	global_load_dword v3, v[4:5], off offset:2048
	v_or_b32_e32 v8, 0x300, v0
	v_cmp_gt_u32_e64 s[0:1], s14, v8
	v_mov_b32_e32 v8, 0
	s_and_saveexec_b64 s[12:13], s[0:1]
	s_cbranch_execz .LBB171_8
; %bb.7:
	global_load_dword v4, v[4:5], off offset:3072
	s_waitcnt vmcnt(0)
	v_min_u32_e32 v8, 31, v4
.LBB171_8:
	s_or_b64 exec, exec, s[12:13]
.LBB171_9:
	s_or_b64 exec, exec, s[10:11]
.LBB171_10:
	s_or_b64 exec, exec, s[6:7]
.LBB171_11:
	s_or_b64 exec, exec, s[4:5]
	s_waitcnt vmcnt(0)
	v_min_u32_e32 v2, 31, v2
	v_ashrrev_i32_e64 v2, v2, s15
	v_cmp_gt_i32_e64 s[0:1], s14, v6
	v_min_u32_e32 v4, 31, v7
	v_cndmask_b32_e64 v5, 0, v2, s[0:1]
	v_or_b32_e32 v2, 0x200, v0
	v_min_u32_e32 v3, 31, v3
	v_ashrrev_i32_e64 v4, v4, s15
	v_ashrrev_i32_e64 v3, v3, s15
	v_cmp_gt_i32_e64 s[0:1], s14, v2
	v_or_b32_e32 v2, 0x300, v0
	v_cndmask_b32_e32 v7, 0, v4, vcc
	v_cndmask_b32_e64 v4, 0, v3, s[0:1]
	v_ashrrev_i32_e64 v3, v8, s15
	v_cmp_gt_i32_e64 s[0:1], s14, v2
	v_cndmask_b32_e64 v3, 0, v3, s[0:1]
	s_and_saveexec_b64 s[0:1], vcc
	s_cbranch_execnz .LBB171_17
; %bb.12:
	s_or_b64 exec, exec, s[0:1]
	v_cmp_gt_i32_e32 vcc, s14, v0
	s_and_saveexec_b64 s[0:1], vcc
	s_cbranch_execnz .LBB171_18
.LBB171_13:
	s_or_b64 exec, exec, s[0:1]
	v_cmp_gt_i32_e32 vcc, s14, v0
	s_and_saveexec_b64 s[0:1], vcc
	s_cbranch_execnz .LBB171_19
.LBB171_14:
	s_or_b64 exec, exec, s[0:1]
	v_cmp_gt_i32_e32 vcc, s14, v0
	s_and_saveexec_b64 s[0:1], vcc
	s_cbranch_execz .LBB171_16
.LBB171_15:
	v_add_u32_e32 v0, s2, v0
	v_mov_b32_e32 v1, 0
	v_lshlrev_b64 v[0:1], 2, v[0:1]
	v_mov_b32_e32 v2, s9
	v_add_co_u32_e32 v0, vcc, s8, v0
	v_addc_co_u32_e32 v1, vcc, v2, v1, vcc
	global_store_dword v[0:1], v3, off
.LBB171_16:
	s_endpgm
.LBB171_17:
	v_mov_b32_e32 v2, 0
	v_lshlrev_b64 v[0:1], 2, v[1:2]
	v_mov_b32_e32 v2, s9
	v_add_co_u32_e32 v0, vcc, s8, v0
	v_addc_co_u32_e32 v1, vcc, v2, v1, vcc
	global_store_dword v[0:1], v7, off
	v_mov_b32_e32 v0, v6
	s_or_b64 exec, exec, s[0:1]
	v_cmp_gt_i32_e32 vcc, s14, v0
	s_and_saveexec_b64 s[0:1], vcc
	s_cbranch_execz .LBB171_13
.LBB171_18:
	v_add_u32_e32 v1, s2, v0
	v_mov_b32_e32 v2, 0
	v_lshlrev_b64 v[1:2], 2, v[1:2]
	v_mov_b32_e32 v6, s9
	v_add_co_u32_e32 v1, vcc, s8, v1
	v_addc_co_u32_e32 v2, vcc, v6, v2, vcc
	v_add_u32_e32 v0, 0x100, v0
	global_store_dword v[1:2], v5, off
	s_or_b64 exec, exec, s[0:1]
	v_cmp_gt_i32_e32 vcc, s14, v0
	s_and_saveexec_b64 s[0:1], vcc
	s_cbranch_execz .LBB171_14
.LBB171_19:
	v_add_u32_e32 v1, s2, v0
	v_mov_b32_e32 v2, 0
	v_lshlrev_b64 v[1:2], 2, v[1:2]
	v_mov_b32_e32 v5, s9
	v_add_co_u32_e32 v1, vcc, s8, v1
	v_addc_co_u32_e32 v2, vcc, v5, v2, vcc
	v_add_u32_e32 v0, 0x100, v0
	global_store_dword v[1:2], v4, off
	s_or_b64 exec, exec, s[0:1]
	v_cmp_gt_i32_e32 vcc, s14, v0
	s_and_saveexec_b64 s[0:1], vcc
	s_cbranch_execnz .LBB171_15
	s_branch .LBB171_16
	.section	.rodata,"a",@progbits
	.p2align	6, 0x0
	.amdhsa_kernel _ZN2at6native29vectorized_elementwise_kernelILi2ENS0_13AUnaryFunctorIiiiZZZNS0_18rshift_kernel_cudaERNS_18TensorIteratorBaseEENKUlvE_clEvENKUlvE1_clEvEUliiE_EESt5arrayIPcLm2EEEEviT0_T1_
		.amdhsa_group_segment_fixed_size 0
		.amdhsa_private_segment_fixed_size 0
		.amdhsa_kernarg_size 32
		.amdhsa_user_sgpr_count 6
		.amdhsa_user_sgpr_private_segment_buffer 1
		.amdhsa_user_sgpr_dispatch_ptr 0
		.amdhsa_user_sgpr_queue_ptr 0
		.amdhsa_user_sgpr_kernarg_segment_ptr 1
		.amdhsa_user_sgpr_dispatch_id 0
		.amdhsa_user_sgpr_flat_scratch_init 0
		.amdhsa_user_sgpr_private_segment_size 0
		.amdhsa_uses_dynamic_stack 0
		.amdhsa_system_sgpr_private_segment_wavefront_offset 0
		.amdhsa_system_sgpr_workgroup_id_x 1
		.amdhsa_system_sgpr_workgroup_id_y 0
		.amdhsa_system_sgpr_workgroup_id_z 0
		.amdhsa_system_sgpr_workgroup_info 0
		.amdhsa_system_vgpr_workitem_id 0
		.amdhsa_next_free_vgpr 9
		.amdhsa_next_free_sgpr 16
		.amdhsa_reserve_vcc 1
		.amdhsa_reserve_flat_scratch 0
		.amdhsa_float_round_mode_32 0
		.amdhsa_float_round_mode_16_64 0
		.amdhsa_float_denorm_mode_32 3
		.amdhsa_float_denorm_mode_16_64 3
		.amdhsa_dx10_clamp 1
		.amdhsa_ieee_mode 1
		.amdhsa_fp16_overflow 0
		.amdhsa_exception_fp_ieee_invalid_op 0
		.amdhsa_exception_fp_denorm_src 0
		.amdhsa_exception_fp_ieee_div_zero 0
		.amdhsa_exception_fp_ieee_overflow 0
		.amdhsa_exception_fp_ieee_underflow 0
		.amdhsa_exception_fp_ieee_inexact 0
		.amdhsa_exception_int_div_zero 0
	.end_amdhsa_kernel
	.section	.text._ZN2at6native29vectorized_elementwise_kernelILi2ENS0_13AUnaryFunctorIiiiZZZNS0_18rshift_kernel_cudaERNS_18TensorIteratorBaseEENKUlvE_clEvENKUlvE1_clEvEUliiE_EESt5arrayIPcLm2EEEEviT0_T1_,"axG",@progbits,_ZN2at6native29vectorized_elementwise_kernelILi2ENS0_13AUnaryFunctorIiiiZZZNS0_18rshift_kernel_cudaERNS_18TensorIteratorBaseEENKUlvE_clEvENKUlvE1_clEvEUliiE_EESt5arrayIPcLm2EEEEviT0_T1_,comdat
.Lfunc_end171:
	.size	_ZN2at6native29vectorized_elementwise_kernelILi2ENS0_13AUnaryFunctorIiiiZZZNS0_18rshift_kernel_cudaERNS_18TensorIteratorBaseEENKUlvE_clEvENKUlvE1_clEvEUliiE_EESt5arrayIPcLm2EEEEviT0_T1_, .Lfunc_end171-_ZN2at6native29vectorized_elementwise_kernelILi2ENS0_13AUnaryFunctorIiiiZZZNS0_18rshift_kernel_cudaERNS_18TensorIteratorBaseEENKUlvE_clEvENKUlvE1_clEvEUliiE_EESt5arrayIPcLm2EEEEviT0_T1_
                                        ; -- End function
	.set _ZN2at6native29vectorized_elementwise_kernelILi2ENS0_13AUnaryFunctorIiiiZZZNS0_18rshift_kernel_cudaERNS_18TensorIteratorBaseEENKUlvE_clEvENKUlvE1_clEvEUliiE_EESt5arrayIPcLm2EEEEviT0_T1_.num_vgpr, 9
	.set _ZN2at6native29vectorized_elementwise_kernelILi2ENS0_13AUnaryFunctorIiiiZZZNS0_18rshift_kernel_cudaERNS_18TensorIteratorBaseEENKUlvE_clEvENKUlvE1_clEvEUliiE_EESt5arrayIPcLm2EEEEviT0_T1_.num_agpr, 0
	.set _ZN2at6native29vectorized_elementwise_kernelILi2ENS0_13AUnaryFunctorIiiiZZZNS0_18rshift_kernel_cudaERNS_18TensorIteratorBaseEENKUlvE_clEvENKUlvE1_clEvEUliiE_EESt5arrayIPcLm2EEEEviT0_T1_.numbered_sgpr, 16
	.set _ZN2at6native29vectorized_elementwise_kernelILi2ENS0_13AUnaryFunctorIiiiZZZNS0_18rshift_kernel_cudaERNS_18TensorIteratorBaseEENKUlvE_clEvENKUlvE1_clEvEUliiE_EESt5arrayIPcLm2EEEEviT0_T1_.num_named_barrier, 0
	.set _ZN2at6native29vectorized_elementwise_kernelILi2ENS0_13AUnaryFunctorIiiiZZZNS0_18rshift_kernel_cudaERNS_18TensorIteratorBaseEENKUlvE_clEvENKUlvE1_clEvEUliiE_EESt5arrayIPcLm2EEEEviT0_T1_.private_seg_size, 0
	.set _ZN2at6native29vectorized_elementwise_kernelILi2ENS0_13AUnaryFunctorIiiiZZZNS0_18rshift_kernel_cudaERNS_18TensorIteratorBaseEENKUlvE_clEvENKUlvE1_clEvEUliiE_EESt5arrayIPcLm2EEEEviT0_T1_.uses_vcc, 1
	.set _ZN2at6native29vectorized_elementwise_kernelILi2ENS0_13AUnaryFunctorIiiiZZZNS0_18rshift_kernel_cudaERNS_18TensorIteratorBaseEENKUlvE_clEvENKUlvE1_clEvEUliiE_EESt5arrayIPcLm2EEEEviT0_T1_.uses_flat_scratch, 0
	.set _ZN2at6native29vectorized_elementwise_kernelILi2ENS0_13AUnaryFunctorIiiiZZZNS0_18rshift_kernel_cudaERNS_18TensorIteratorBaseEENKUlvE_clEvENKUlvE1_clEvEUliiE_EESt5arrayIPcLm2EEEEviT0_T1_.has_dyn_sized_stack, 0
	.set _ZN2at6native29vectorized_elementwise_kernelILi2ENS0_13AUnaryFunctorIiiiZZZNS0_18rshift_kernel_cudaERNS_18TensorIteratorBaseEENKUlvE_clEvENKUlvE1_clEvEUliiE_EESt5arrayIPcLm2EEEEviT0_T1_.has_recursion, 0
	.set _ZN2at6native29vectorized_elementwise_kernelILi2ENS0_13AUnaryFunctorIiiiZZZNS0_18rshift_kernel_cudaERNS_18TensorIteratorBaseEENKUlvE_clEvENKUlvE1_clEvEUliiE_EESt5arrayIPcLm2EEEEviT0_T1_.has_indirect_call, 0
	.section	.AMDGPU.csdata,"",@progbits
; Kernel info:
; codeLenInByte = 808
; TotalNumSgprs: 20
; NumVgprs: 9
; ScratchSize: 0
; MemoryBound: 0
; FloatMode: 240
; IeeeMode: 1
; LDSByteSize: 0 bytes/workgroup (compile time only)
; SGPRBlocks: 2
; VGPRBlocks: 2
; NumSGPRsForWavesPerEU: 20
; NumVGPRsForWavesPerEU: 9
; Occupancy: 10
; WaveLimiterHint : 1
; COMPUTE_PGM_RSRC2:SCRATCH_EN: 0
; COMPUTE_PGM_RSRC2:USER_SGPR: 6
; COMPUTE_PGM_RSRC2:TRAP_HANDLER: 0
; COMPUTE_PGM_RSRC2:TGID_X_EN: 1
; COMPUTE_PGM_RSRC2:TGID_Y_EN: 0
; COMPUTE_PGM_RSRC2:TGID_Z_EN: 0
; COMPUTE_PGM_RSRC2:TIDIG_COMP_CNT: 0
	.section	.text._ZN2at6native27unrolled_elementwise_kernelINS0_13AUnaryFunctorIiiiZZZNS0_18rshift_kernel_cudaERNS_18TensorIteratorBaseEENKUlvE_clEvENKUlvE1_clEvEUliiE_EESt5arrayIPcLm2EELi4E23TrivialOffsetCalculatorILi1EjESD_NS0_6memory15LoadWithoutCastENSE_16StoreWithoutCastEEEviT_T0_T2_T3_T4_T5_,"axG",@progbits,_ZN2at6native27unrolled_elementwise_kernelINS0_13AUnaryFunctorIiiiZZZNS0_18rshift_kernel_cudaERNS_18TensorIteratorBaseEENKUlvE_clEvENKUlvE1_clEvEUliiE_EESt5arrayIPcLm2EELi4E23TrivialOffsetCalculatorILi1EjESD_NS0_6memory15LoadWithoutCastENSE_16StoreWithoutCastEEEviT_T0_T2_T3_T4_T5_,comdat
	.globl	_ZN2at6native27unrolled_elementwise_kernelINS0_13AUnaryFunctorIiiiZZZNS0_18rshift_kernel_cudaERNS_18TensorIteratorBaseEENKUlvE_clEvENKUlvE1_clEvEUliiE_EESt5arrayIPcLm2EELi4E23TrivialOffsetCalculatorILi1EjESD_NS0_6memory15LoadWithoutCastENSE_16StoreWithoutCastEEEviT_T0_T2_T3_T4_T5_ ; -- Begin function _ZN2at6native27unrolled_elementwise_kernelINS0_13AUnaryFunctorIiiiZZZNS0_18rshift_kernel_cudaERNS_18TensorIteratorBaseEENKUlvE_clEvENKUlvE1_clEvEUliiE_EESt5arrayIPcLm2EELi4E23TrivialOffsetCalculatorILi1EjESD_NS0_6memory15LoadWithoutCastENSE_16StoreWithoutCastEEEviT_T0_T2_T3_T4_T5_
	.p2align	8
	.type	_ZN2at6native27unrolled_elementwise_kernelINS0_13AUnaryFunctorIiiiZZZNS0_18rshift_kernel_cudaERNS_18TensorIteratorBaseEENKUlvE_clEvENKUlvE1_clEvEUliiE_EESt5arrayIPcLm2EELi4E23TrivialOffsetCalculatorILi1EjESD_NS0_6memory15LoadWithoutCastENSE_16StoreWithoutCastEEEviT_T0_T2_T3_T4_T5_,@function
_ZN2at6native27unrolled_elementwise_kernelINS0_13AUnaryFunctorIiiiZZZNS0_18rshift_kernel_cudaERNS_18TensorIteratorBaseEENKUlvE_clEvENKUlvE1_clEvEUliiE_EESt5arrayIPcLm2EELi4E23TrivialOffsetCalculatorILi1EjESD_NS0_6memory15LoadWithoutCastENSE_16StoreWithoutCastEEEviT_T0_T2_T3_T4_T5_: ; @_ZN2at6native27unrolled_elementwise_kernelINS0_13AUnaryFunctorIiiiZZZNS0_18rshift_kernel_cudaERNS_18TensorIteratorBaseEENKUlvE_clEvENKUlvE1_clEvEUliiE_EESt5arrayIPcLm2EELi4E23TrivialOffsetCalculatorILi1EjESD_NS0_6memory15LoadWithoutCastENSE_16StoreWithoutCastEEEviT_T0_T2_T3_T4_T5_
; %bb.0:
	s_load_dword s0, s[4:5], 0x0
	s_load_dword s16, s[4:5], 0x8
	s_load_dwordx4 s[8:11], s[4:5], 0x10
	s_lshl_b32 s14, s6, 10
	v_mov_b32_e32 v4, 0
	s_waitcnt lgkmcnt(0)
	s_sub_i32 s15, s0, s14
	v_cmp_gt_i32_e32 vcc, s15, v0
	v_or_b32_e32 v5, 0x100, v0
	v_or_b32_e32 v1, s14, v0
	v_mov_b32_e32 v3, 0
	v_mov_b32_e32 v2, v4
	;; [unrolled: 1-line block ×3, first 2 shown]
	s_and_saveexec_b64 s[2:3], vcc
	s_cbranch_execz .LBB172_8
; %bb.1:
	v_mov_b32_e32 v2, 0
	v_lshlrev_b64 v[3:4], 2, v[1:2]
	v_mov_b32_e32 v6, s11
	v_add_co_u32_e64 v3, s[0:1], s10, v3
	v_addc_co_u32_e64 v4, s[0:1], v6, v4, s[0:1]
	global_load_dword v6, v[3:4], off
	v_cmp_gt_u32_e64 s[0:1], s15, v5
	v_mov_b32_e32 v3, v2
	v_mov_b32_e32 v4, v2
	s_and_saveexec_b64 s[4:5], s[0:1]
	s_cbranch_execz .LBB172_7
; %bb.2:
	v_add_u32_e32 v2, s14, v5
	v_mov_b32_e32 v3, 0
	v_lshlrev_b64 v[7:8], 2, v[2:3]
	v_mov_b32_e32 v2, s11
	v_add_co_u32_e64 v7, s[0:1], s10, v7
	v_addc_co_u32_e64 v8, s[0:1], v2, v8, s[0:1]
	global_load_dword v2, v[7:8], off
	v_or_b32_e32 v7, 0x200, v0
	v_cmp_gt_u32_e64 s[0:1], s15, v7
	v_mov_b32_e32 v4, v3
	s_and_saveexec_b64 s[6:7], s[0:1]
	s_cbranch_execz .LBB172_6
; %bb.3:
	v_add_u32_e32 v3, s14, v7
	v_mov_b32_e32 v4, 0
	v_lshlrev_b64 v[7:8], 2, v[3:4]
	v_mov_b32_e32 v3, s11
	v_add_co_u32_e64 v7, s[0:1], s10, v7
	v_addc_co_u32_e64 v8, s[0:1], v3, v8, s[0:1]
	global_load_dword v3, v[7:8], off
	v_or_b32_e32 v7, 0x300, v0
	v_cmp_gt_u32_e64 s[0:1], s15, v7
	s_and_saveexec_b64 s[12:13], s[0:1]
	s_cbranch_execz .LBB172_5
; %bb.4:
	v_add_u32_e32 v7, s14, v7
	v_mov_b32_e32 v8, 0
	v_lshlrev_b64 v[7:8], 2, v[7:8]
	v_mov_b32_e32 v4, s11
	v_add_co_u32_e64 v7, s[0:1], s10, v7
	v_addc_co_u32_e64 v8, s[0:1], v4, v8, s[0:1]
	global_load_dword v4, v[7:8], off
	s_waitcnt vmcnt(0)
	v_min_u32_e32 v4, 31, v4
.LBB172_5:
	s_or_b64 exec, exec, s[12:13]
.LBB172_6:
	s_or_b64 exec, exec, s[6:7]
.LBB172_7:
	s_or_b64 exec, exec, s[4:5]
.LBB172_8:
	s_or_b64 exec, exec, s[2:3]
	s_waitcnt vmcnt(0)
	v_min_u32_e32 v2, 31, v2
	v_ashrrev_i32_e64 v2, v2, s16
	v_cmp_gt_i32_e64 s[0:1], s15, v5
	v_min_u32_e32 v6, 31, v6
	v_cndmask_b32_e64 v7, 0, v2, s[0:1]
	v_or_b32_e32 v2, 0x200, v0
	v_min_u32_e32 v3, 31, v3
	v_ashrrev_i32_e64 v6, v6, s16
	v_ashrrev_i32_e64 v3, v3, s16
	v_cmp_gt_i32_e64 s[0:1], s15, v2
	v_or_b32_e32 v2, 0x300, v0
	v_cndmask_b32_e32 v8, 0, v6, vcc
	v_cndmask_b32_e64 v6, 0, v3, s[0:1]
	v_ashrrev_i32_e64 v3, v4, s16
	v_cmp_gt_i32_e64 s[0:1], s15, v2
	v_cndmask_b32_e64 v3, 0, v3, s[0:1]
	s_and_saveexec_b64 s[0:1], vcc
	s_cbranch_execnz .LBB172_13
; %bb.9:
	s_or_b64 exec, exec, s[0:1]
	v_cmp_gt_i32_e32 vcc, s15, v0
	s_and_saveexec_b64 s[0:1], vcc
	s_cbranch_execnz .LBB172_14
.LBB172_10:
	s_or_b64 exec, exec, s[0:1]
	v_cmp_gt_i32_e32 vcc, s15, v0
	s_and_saveexec_b64 s[0:1], vcc
	s_cbranch_execnz .LBB172_15
.LBB172_11:
	s_or_b64 exec, exec, s[0:1]
	v_cmp_gt_i32_e32 vcc, s15, v0
	s_and_saveexec_b64 s[0:1], vcc
	s_cbranch_execnz .LBB172_16
.LBB172_12:
	s_endpgm
.LBB172_13:
	v_mov_b32_e32 v2, 0
	v_lshlrev_b64 v[0:1], 2, v[1:2]
	v_mov_b32_e32 v2, s9
	v_add_co_u32_e32 v0, vcc, s8, v0
	v_addc_co_u32_e32 v1, vcc, v2, v1, vcc
	global_store_dword v[0:1], v8, off
	v_mov_b32_e32 v0, v5
	s_or_b64 exec, exec, s[0:1]
	v_cmp_gt_i32_e32 vcc, s15, v0
	s_and_saveexec_b64 s[0:1], vcc
	s_cbranch_execz .LBB172_10
.LBB172_14:
	v_add_u32_e32 v2, 0x100, v0
	v_add_u32_e32 v0, s14, v0
	v_mov_b32_e32 v1, 0
	v_lshlrev_b64 v[0:1], 2, v[0:1]
	v_mov_b32_e32 v4, s9
	v_add_co_u32_e32 v0, vcc, s8, v0
	v_addc_co_u32_e32 v1, vcc, v4, v1, vcc
	global_store_dword v[0:1], v7, off
	v_mov_b32_e32 v0, v2
	s_or_b64 exec, exec, s[0:1]
	v_cmp_gt_i32_e32 vcc, s15, v0
	s_and_saveexec_b64 s[0:1], vcc
	s_cbranch_execz .LBB172_11
.LBB172_15:
	v_add_u32_e32 v2, 0x100, v0
	v_add_u32_e32 v0, s14, v0
	v_mov_b32_e32 v1, 0
	v_lshlrev_b64 v[0:1], 2, v[0:1]
	v_mov_b32_e32 v4, s9
	v_add_co_u32_e32 v0, vcc, s8, v0
	v_addc_co_u32_e32 v1, vcc, v4, v1, vcc
	global_store_dword v[0:1], v6, off
	v_mov_b32_e32 v0, v2
	s_or_b64 exec, exec, s[0:1]
	v_cmp_gt_i32_e32 vcc, s15, v0
	s_and_saveexec_b64 s[0:1], vcc
	s_cbranch_execz .LBB172_12
.LBB172_16:
	v_add_u32_e32 v0, s14, v0
	v_mov_b32_e32 v1, 0
	v_lshlrev_b64 v[0:1], 2, v[0:1]
	v_mov_b32_e32 v2, s9
	v_add_co_u32_e32 v0, vcc, s8, v0
	v_addc_co_u32_e32 v1, vcc, v2, v1, vcc
	global_store_dword v[0:1], v3, off
	s_endpgm
	.section	.rodata,"a",@progbits
	.p2align	6, 0x0
	.amdhsa_kernel _ZN2at6native27unrolled_elementwise_kernelINS0_13AUnaryFunctorIiiiZZZNS0_18rshift_kernel_cudaERNS_18TensorIteratorBaseEENKUlvE_clEvENKUlvE1_clEvEUliiE_EESt5arrayIPcLm2EELi4E23TrivialOffsetCalculatorILi1EjESD_NS0_6memory15LoadWithoutCastENSE_16StoreWithoutCastEEEviT_T0_T2_T3_T4_T5_
		.amdhsa_group_segment_fixed_size 0
		.amdhsa_private_segment_fixed_size 0
		.amdhsa_kernarg_size 36
		.amdhsa_user_sgpr_count 6
		.amdhsa_user_sgpr_private_segment_buffer 1
		.amdhsa_user_sgpr_dispatch_ptr 0
		.amdhsa_user_sgpr_queue_ptr 0
		.amdhsa_user_sgpr_kernarg_segment_ptr 1
		.amdhsa_user_sgpr_dispatch_id 0
		.amdhsa_user_sgpr_flat_scratch_init 0
		.amdhsa_user_sgpr_private_segment_size 0
		.amdhsa_uses_dynamic_stack 0
		.amdhsa_system_sgpr_private_segment_wavefront_offset 0
		.amdhsa_system_sgpr_workgroup_id_x 1
		.amdhsa_system_sgpr_workgroup_id_y 0
		.amdhsa_system_sgpr_workgroup_id_z 0
		.amdhsa_system_sgpr_workgroup_info 0
		.amdhsa_system_vgpr_workitem_id 0
		.amdhsa_next_free_vgpr 9
		.amdhsa_next_free_sgpr 17
		.amdhsa_reserve_vcc 1
		.amdhsa_reserve_flat_scratch 0
		.amdhsa_float_round_mode_32 0
		.amdhsa_float_round_mode_16_64 0
		.amdhsa_float_denorm_mode_32 3
		.amdhsa_float_denorm_mode_16_64 3
		.amdhsa_dx10_clamp 1
		.amdhsa_ieee_mode 1
		.amdhsa_fp16_overflow 0
		.amdhsa_exception_fp_ieee_invalid_op 0
		.amdhsa_exception_fp_denorm_src 0
		.amdhsa_exception_fp_ieee_div_zero 0
		.amdhsa_exception_fp_ieee_overflow 0
		.amdhsa_exception_fp_ieee_underflow 0
		.amdhsa_exception_fp_ieee_inexact 0
		.amdhsa_exception_int_div_zero 0
	.end_amdhsa_kernel
	.section	.text._ZN2at6native27unrolled_elementwise_kernelINS0_13AUnaryFunctorIiiiZZZNS0_18rshift_kernel_cudaERNS_18TensorIteratorBaseEENKUlvE_clEvENKUlvE1_clEvEUliiE_EESt5arrayIPcLm2EELi4E23TrivialOffsetCalculatorILi1EjESD_NS0_6memory15LoadWithoutCastENSE_16StoreWithoutCastEEEviT_T0_T2_T3_T4_T5_,"axG",@progbits,_ZN2at6native27unrolled_elementwise_kernelINS0_13AUnaryFunctorIiiiZZZNS0_18rshift_kernel_cudaERNS_18TensorIteratorBaseEENKUlvE_clEvENKUlvE1_clEvEUliiE_EESt5arrayIPcLm2EELi4E23TrivialOffsetCalculatorILi1EjESD_NS0_6memory15LoadWithoutCastENSE_16StoreWithoutCastEEEviT_T0_T2_T3_T4_T5_,comdat
.Lfunc_end172:
	.size	_ZN2at6native27unrolled_elementwise_kernelINS0_13AUnaryFunctorIiiiZZZNS0_18rshift_kernel_cudaERNS_18TensorIteratorBaseEENKUlvE_clEvENKUlvE1_clEvEUliiE_EESt5arrayIPcLm2EELi4E23TrivialOffsetCalculatorILi1EjESD_NS0_6memory15LoadWithoutCastENSE_16StoreWithoutCastEEEviT_T0_T2_T3_T4_T5_, .Lfunc_end172-_ZN2at6native27unrolled_elementwise_kernelINS0_13AUnaryFunctorIiiiZZZNS0_18rshift_kernel_cudaERNS_18TensorIteratorBaseEENKUlvE_clEvENKUlvE1_clEvEUliiE_EESt5arrayIPcLm2EELi4E23TrivialOffsetCalculatorILi1EjESD_NS0_6memory15LoadWithoutCastENSE_16StoreWithoutCastEEEviT_T0_T2_T3_T4_T5_
                                        ; -- End function
	.set _ZN2at6native27unrolled_elementwise_kernelINS0_13AUnaryFunctorIiiiZZZNS0_18rshift_kernel_cudaERNS_18TensorIteratorBaseEENKUlvE_clEvENKUlvE1_clEvEUliiE_EESt5arrayIPcLm2EELi4E23TrivialOffsetCalculatorILi1EjESD_NS0_6memory15LoadWithoutCastENSE_16StoreWithoutCastEEEviT_T0_T2_T3_T4_T5_.num_vgpr, 9
	.set _ZN2at6native27unrolled_elementwise_kernelINS0_13AUnaryFunctorIiiiZZZNS0_18rshift_kernel_cudaERNS_18TensorIteratorBaseEENKUlvE_clEvENKUlvE1_clEvEUliiE_EESt5arrayIPcLm2EELi4E23TrivialOffsetCalculatorILi1EjESD_NS0_6memory15LoadWithoutCastENSE_16StoreWithoutCastEEEviT_T0_T2_T3_T4_T5_.num_agpr, 0
	.set _ZN2at6native27unrolled_elementwise_kernelINS0_13AUnaryFunctorIiiiZZZNS0_18rshift_kernel_cudaERNS_18TensorIteratorBaseEENKUlvE_clEvENKUlvE1_clEvEUliiE_EESt5arrayIPcLm2EELi4E23TrivialOffsetCalculatorILi1EjESD_NS0_6memory15LoadWithoutCastENSE_16StoreWithoutCastEEEviT_T0_T2_T3_T4_T5_.numbered_sgpr, 17
	.set _ZN2at6native27unrolled_elementwise_kernelINS0_13AUnaryFunctorIiiiZZZNS0_18rshift_kernel_cudaERNS_18TensorIteratorBaseEENKUlvE_clEvENKUlvE1_clEvEUliiE_EESt5arrayIPcLm2EELi4E23TrivialOffsetCalculatorILi1EjESD_NS0_6memory15LoadWithoutCastENSE_16StoreWithoutCastEEEviT_T0_T2_T3_T4_T5_.num_named_barrier, 0
	.set _ZN2at6native27unrolled_elementwise_kernelINS0_13AUnaryFunctorIiiiZZZNS0_18rshift_kernel_cudaERNS_18TensorIteratorBaseEENKUlvE_clEvENKUlvE1_clEvEUliiE_EESt5arrayIPcLm2EELi4E23TrivialOffsetCalculatorILi1EjESD_NS0_6memory15LoadWithoutCastENSE_16StoreWithoutCastEEEviT_T0_T2_T3_T4_T5_.private_seg_size, 0
	.set _ZN2at6native27unrolled_elementwise_kernelINS0_13AUnaryFunctorIiiiZZZNS0_18rshift_kernel_cudaERNS_18TensorIteratorBaseEENKUlvE_clEvENKUlvE1_clEvEUliiE_EESt5arrayIPcLm2EELi4E23TrivialOffsetCalculatorILi1EjESD_NS0_6memory15LoadWithoutCastENSE_16StoreWithoutCastEEEviT_T0_T2_T3_T4_T5_.uses_vcc, 1
	.set _ZN2at6native27unrolled_elementwise_kernelINS0_13AUnaryFunctorIiiiZZZNS0_18rshift_kernel_cudaERNS_18TensorIteratorBaseEENKUlvE_clEvENKUlvE1_clEvEUliiE_EESt5arrayIPcLm2EELi4E23TrivialOffsetCalculatorILi1EjESD_NS0_6memory15LoadWithoutCastENSE_16StoreWithoutCastEEEviT_T0_T2_T3_T4_T5_.uses_flat_scratch, 0
	.set _ZN2at6native27unrolled_elementwise_kernelINS0_13AUnaryFunctorIiiiZZZNS0_18rshift_kernel_cudaERNS_18TensorIteratorBaseEENKUlvE_clEvENKUlvE1_clEvEUliiE_EESt5arrayIPcLm2EELi4E23TrivialOffsetCalculatorILi1EjESD_NS0_6memory15LoadWithoutCastENSE_16StoreWithoutCastEEEviT_T0_T2_T3_T4_T5_.has_dyn_sized_stack, 0
	.set _ZN2at6native27unrolled_elementwise_kernelINS0_13AUnaryFunctorIiiiZZZNS0_18rshift_kernel_cudaERNS_18TensorIteratorBaseEENKUlvE_clEvENKUlvE1_clEvEUliiE_EESt5arrayIPcLm2EELi4E23TrivialOffsetCalculatorILi1EjESD_NS0_6memory15LoadWithoutCastENSE_16StoreWithoutCastEEEviT_T0_T2_T3_T4_T5_.has_recursion, 0
	.set _ZN2at6native27unrolled_elementwise_kernelINS0_13AUnaryFunctorIiiiZZZNS0_18rshift_kernel_cudaERNS_18TensorIteratorBaseEENKUlvE_clEvENKUlvE1_clEvEUliiE_EESt5arrayIPcLm2EELi4E23TrivialOffsetCalculatorILi1EjESD_NS0_6memory15LoadWithoutCastENSE_16StoreWithoutCastEEEviT_T0_T2_T3_T4_T5_.has_indirect_call, 0
	.section	.AMDGPU.csdata,"",@progbits
; Kernel info:
; codeLenInByte = 744
; TotalNumSgprs: 21
; NumVgprs: 9
; ScratchSize: 0
; MemoryBound: 0
; FloatMode: 240
; IeeeMode: 1
; LDSByteSize: 0 bytes/workgroup (compile time only)
; SGPRBlocks: 2
; VGPRBlocks: 2
; NumSGPRsForWavesPerEU: 21
; NumVGPRsForWavesPerEU: 9
; Occupancy: 10
; WaveLimiterHint : 0
; COMPUTE_PGM_RSRC2:SCRATCH_EN: 0
; COMPUTE_PGM_RSRC2:USER_SGPR: 6
; COMPUTE_PGM_RSRC2:TRAP_HANDLER: 0
; COMPUTE_PGM_RSRC2:TGID_X_EN: 1
; COMPUTE_PGM_RSRC2:TGID_Y_EN: 0
; COMPUTE_PGM_RSRC2:TGID_Z_EN: 0
; COMPUTE_PGM_RSRC2:TIDIG_COMP_CNT: 0
	.section	.text._ZN2at6native32elementwise_kernel_manual_unrollILi128ELi4EZNS0_22gpu_kernel_impl_nocastINS0_13AUnaryFunctorIiiiZZZNS0_18rshift_kernel_cudaERNS_18TensorIteratorBaseEENKUlvE_clEvENKUlvE1_clEvEUliiE_EEEEvS5_RKT_EUlibE_EEviT1_,"axG",@progbits,_ZN2at6native32elementwise_kernel_manual_unrollILi128ELi4EZNS0_22gpu_kernel_impl_nocastINS0_13AUnaryFunctorIiiiZZZNS0_18rshift_kernel_cudaERNS_18TensorIteratorBaseEENKUlvE_clEvENKUlvE1_clEvEUliiE_EEEEvS5_RKT_EUlibE_EEviT1_,comdat
	.globl	_ZN2at6native32elementwise_kernel_manual_unrollILi128ELi4EZNS0_22gpu_kernel_impl_nocastINS0_13AUnaryFunctorIiiiZZZNS0_18rshift_kernel_cudaERNS_18TensorIteratorBaseEENKUlvE_clEvENKUlvE1_clEvEUliiE_EEEEvS5_RKT_EUlibE_EEviT1_ ; -- Begin function _ZN2at6native32elementwise_kernel_manual_unrollILi128ELi4EZNS0_22gpu_kernel_impl_nocastINS0_13AUnaryFunctorIiiiZZZNS0_18rshift_kernel_cudaERNS_18TensorIteratorBaseEENKUlvE_clEvENKUlvE1_clEvEUliiE_EEEEvS5_RKT_EUlibE_EEviT1_
	.p2align	8
	.type	_ZN2at6native32elementwise_kernel_manual_unrollILi128ELi4EZNS0_22gpu_kernel_impl_nocastINS0_13AUnaryFunctorIiiiZZZNS0_18rshift_kernel_cudaERNS_18TensorIteratorBaseEENKUlvE_clEvENKUlvE1_clEvEUliiE_EEEEvS5_RKT_EUlibE_EEviT1_,@function
_ZN2at6native32elementwise_kernel_manual_unrollILi128ELi4EZNS0_22gpu_kernel_impl_nocastINS0_13AUnaryFunctorIiiiZZZNS0_18rshift_kernel_cudaERNS_18TensorIteratorBaseEENKUlvE_clEvENKUlvE1_clEvEUliiE_EEEEvS5_RKT_EUlibE_EEviT1_: ; @_ZN2at6native32elementwise_kernel_manual_unrollILi128ELi4EZNS0_22gpu_kernel_impl_nocastINS0_13AUnaryFunctorIiiiZZZNS0_18rshift_kernel_cudaERNS_18TensorIteratorBaseEENKUlvE_clEvENKUlvE1_clEvEUliiE_EEEEvS5_RKT_EUlibE_EEviT1_
; %bb.0:
	s_load_dword s56, s[4:5], 0x0
	s_load_dword s33, s[4:5], 0x8
	s_add_u32 s34, s4, 8
	s_addc_u32 s35, s5, 0
	v_lshl_or_b32 v7, s6, 9, v0
	v_or_b32_e32 v13, 0x180, v7
	s_waitcnt lgkmcnt(0)
	s_add_i32 s54, s33, -1
	s_cmp_gt_u32 s54, 1
	v_cmp_le_i32_e32 vcc, s56, v13
	s_cselect_b64 s[36:37], -1, 0
	s_and_saveexec_b64 s[0:1], vcc
	s_xor_b64 s[38:39], exec, s[0:1]
	s_cbranch_execz .LBB173_7
; %bb.1:
	s_load_dwordx4 s[24:27], s[34:35], 0x4
	s_load_dwordx2 s[40:41], s[34:35], 0x14
	s_load_dwordx4 s[20:23], s[34:35], 0xc4
	s_load_dwordx4 s[16:19], s[34:35], 0x148
	s_load_dword s55, s[34:35], 0x15c
	s_cmp_lg_u32 s33, 0
	s_cselect_b64 s[46:47], -1, 0
	s_add_u32 s44, s34, 0xc4
	s_addc_u32 s45, s35, 0
	s_min_u32 s57, s54, 15
	s_cmp_gt_u32 s33, 1
	s_cselect_b64 s[42:43], -1, 0
	v_cmp_gt_i32_e32 vcc, s56, v7
	s_and_saveexec_b64 s[48:49], vcc
	s_cbranch_execz .LBB173_14
; %bb.2:
	s_andn2_b64 vcc, exec, s[36:37]
	s_cbranch_vccnz .LBB173_21
; %bb.3:
	s_andn2_b64 vcc, exec, s[46:47]
	s_cbranch_vccnz .LBB173_73
; %bb.4:
	s_add_i32 s59, s57, 1
	s_cmp_eq_u32 s54, 2
	s_cbranch_scc1 .LBB173_75
; %bb.5:
	s_and_b32 s58, s59, 28
	v_mov_b32_e32 v2, 0
	s_mov_b32 s60, 0
	s_mov_b64 s[50:51], s[34:35]
	s_mov_b64 s[52:53], s[44:45]
	v_mov_b32_e32 v0, 0
	v_mov_b32_e32 v1, v7
.LBB173_6:                              ; =>This Inner Loop Header: Depth=1
	s_load_dwordx8 s[8:15], s[50:51], 0x4
	s_load_dwordx4 s[28:31], s[50:51], 0x24
	s_load_dwordx8 s[0:7], s[52:53], 0x0
	s_add_u32 s50, s50, 48
	s_addc_u32 s51, s51, 0
	s_waitcnt lgkmcnt(0)
	v_mul_hi_u32 v3, s9, v1
	s_add_i32 s60, s60, 4
	s_add_u32 s52, s52, 32
	s_addc_u32 s53, s53, 0
	v_add_u32_e32 v3, v1, v3
	v_lshrrev_b32_e32 v3, s10, v3
	v_mul_lo_u32 v4, v3, s8
	v_mul_hi_u32 v5, s12, v3
	s_cmp_lg_u32 s58, s60
	v_sub_u32_e32 v1, v1, v4
	v_add_u32_e32 v4, v3, v5
	v_mul_lo_u32 v5, v1, s0
	v_mul_lo_u32 v6, v1, s1
	v_lshrrev_b32_e32 v1, s13, v4
	v_mul_lo_u32 v4, v1, s11
	v_mul_hi_u32 v8, s15, v1
	v_sub_u32_e32 v3, v3, v4
	v_add_u32_e32 v4, v1, v8
	v_lshrrev_b32_e32 v4, s28, v4
	v_mul_hi_u32 v9, s30, v4
	v_mul_lo_u32 v10, v4, s14
	v_mul_lo_u32 v8, v3, s2
	;; [unrolled: 1-line block ×3, first 2 shown]
	v_sub_u32_e32 v10, v1, v10
	v_add_u32_e32 v1, v4, v9
	v_lshrrev_b32_e32 v1, s31, v1
	v_mul_lo_u32 v9, v1, s29
	v_mul_lo_u32 v11, v10, s4
	v_mul_lo_u32 v10, v10, s5
	v_add3_u32 v0, v5, v0, v8
	v_sub_u32_e32 v4, v4, v9
	v_mul_lo_u32 v9, v4, s6
	v_mul_lo_u32 v4, v4, s7
	v_add3_u32 v2, v6, v2, v3
	v_add3_u32 v0, v11, v0, v9
	;; [unrolled: 1-line block ×3, first 2 shown]
	s_cbranch_scc1 .LBB173_6
	s_branch .LBB173_76
.LBB173_7:
	s_andn2_saveexec_b64 s[0:1], s[38:39]
	s_cbranch_execz .LBB173_101
.LBB173_8:
	v_cndmask_b32_e64 v0, 0, 1, s[36:37]
	v_cmp_ne_u32_e64 s[0:1], 1, v0
	s_andn2_b64 vcc, exec, s[36:37]
	s_cbranch_vccnz .LBB173_20
; %bb.9:
	s_cmp_lg_u32 s33, 0
	s_waitcnt lgkmcnt(0)
	s_mov_b32 s26, 0
	s_cbranch_scc0 .LBB173_23
; %bb.10:
	s_min_u32 s27, s54, 15
	s_add_i32 s27, s27, 1
	s_cmp_eq_u32 s54, 2
	s_cbranch_scc1 .LBB173_24
; %bb.11:
	s_and_b32 s26, s27, 28
	s_add_u32 s2, s34, 0xc4
	s_addc_u32 s3, s35, 0
	v_mov_b32_e32 v2, 0
	s_mov_b32 s28, 0
	s_mov_b64 s[24:25], s[34:35]
	v_mov_b32_e32 v0, 0
	v_mov_b32_e32 v1, v7
.LBB173_12:                             ; =>This Inner Loop Header: Depth=1
	s_load_dwordx8 s[12:19], s[24:25], 0x4
	s_load_dwordx4 s[20:23], s[24:25], 0x24
	s_load_dwordx8 s[4:11], s[2:3], 0x0
	s_add_u32 s24, s24, 48
	s_addc_u32 s25, s25, 0
	s_waitcnt lgkmcnt(0)
	v_mul_hi_u32 v3, s13, v1
	s_add_i32 s28, s28, 4
	s_add_u32 s2, s2, 32
	s_addc_u32 s3, s3, 0
	v_add_u32_e32 v3, v1, v3
	v_lshrrev_b32_e32 v3, s14, v3
	v_mul_lo_u32 v4, v3, s12
	v_mul_hi_u32 v5, s16, v3
	s_cmp_lg_u32 s26, s28
	v_sub_u32_e32 v1, v1, v4
	v_add_u32_e32 v4, v3, v5
	v_mul_lo_u32 v5, v1, s4
	v_mul_lo_u32 v6, v1, s5
	v_lshrrev_b32_e32 v1, s17, v4
	v_mul_lo_u32 v4, v1, s15
	v_mul_hi_u32 v8, s19, v1
	v_sub_u32_e32 v3, v3, v4
	v_add_u32_e32 v4, v1, v8
	v_lshrrev_b32_e32 v4, s20, v4
	v_mul_hi_u32 v9, s22, v4
	v_mul_lo_u32 v10, v4, s18
	v_mul_lo_u32 v8, v3, s6
	;; [unrolled: 1-line block ×3, first 2 shown]
	v_sub_u32_e32 v10, v1, v10
	v_add_u32_e32 v1, v4, v9
	v_lshrrev_b32_e32 v1, s23, v1
	v_mul_lo_u32 v9, v1, s21
	v_mul_lo_u32 v11, v10, s8
	v_mul_lo_u32 v10, v10, s9
	v_add3_u32 v0, v5, v0, v8
	v_sub_u32_e32 v4, v4, v9
	v_mul_lo_u32 v9, v4, s10
	v_mul_lo_u32 v4, v4, s11
	v_add3_u32 v2, v6, v2, v3
	v_add3_u32 v0, v11, v0, v9
	;; [unrolled: 1-line block ×3, first 2 shown]
	s_cbranch_scc1 .LBB173_12
; %bb.13:
	s_and_b32 s6, s27, 3
	s_cmp_eq_u32 s6, 0
	s_cbranch_scc0 .LBB173_25
	s_branch .LBB173_27
.LBB173_14:
	s_or_b64 exec, exec, s[48:49]
	v_cmp_gt_i32_e32 vcc, s56, v7
	s_and_saveexec_b64 s[48:49], vcc
	s_cbranch_execz .LBB173_83
.LBB173_15:
	s_andn2_b64 vcc, exec, s[36:37]
	s_cbranch_vccnz .LBB173_22
; %bb.16:
	s_andn2_b64 vcc, exec, s[46:47]
	s_cbranch_vccnz .LBB173_74
; %bb.17:
	s_add_i32 s59, s57, 1
	s_cmp_eq_u32 s54, 2
	s_cbranch_scc1 .LBB173_91
; %bb.18:
	s_and_b32 s58, s59, 28
	v_mov_b32_e32 v2, 0
	s_mov_b32 s60, 0
	s_mov_b64 s[50:51], s[34:35]
	s_mov_b64 s[52:53], s[44:45]
	v_mov_b32_e32 v0, 0
	v_mov_b32_e32 v1, v7
.LBB173_19:                             ; =>This Inner Loop Header: Depth=1
	s_load_dwordx8 s[8:15], s[50:51], 0x4
	s_load_dwordx4 s[28:31], s[50:51], 0x24
	s_load_dwordx8 s[0:7], s[52:53], 0x0
	s_add_u32 s50, s50, 48
	s_addc_u32 s51, s51, 0
	s_waitcnt lgkmcnt(0)
	v_mul_hi_u32 v3, s9, v1
	s_add_i32 s60, s60, 4
	s_add_u32 s52, s52, 32
	s_addc_u32 s53, s53, 0
	v_add_u32_e32 v3, v1, v3
	v_lshrrev_b32_e32 v3, s10, v3
	v_mul_lo_u32 v4, v3, s8
	v_mul_hi_u32 v5, s12, v3
	s_cmp_eq_u32 s58, s60
	v_sub_u32_e32 v1, v1, v4
	v_add_u32_e32 v4, v3, v5
	v_mul_lo_u32 v5, v1, s0
	v_mul_lo_u32 v6, v1, s1
	v_lshrrev_b32_e32 v1, s13, v4
	v_mul_lo_u32 v4, v1, s11
	v_mul_hi_u32 v8, s15, v1
	v_sub_u32_e32 v3, v3, v4
	v_add_u32_e32 v4, v1, v8
	v_lshrrev_b32_e32 v4, s28, v4
	v_mul_hi_u32 v9, s30, v4
	v_mul_lo_u32 v10, v4, s14
	v_mul_lo_u32 v8, v3, s2
	;; [unrolled: 1-line block ×3, first 2 shown]
	v_sub_u32_e32 v10, v1, v10
	v_add_u32_e32 v1, v4, v9
	v_lshrrev_b32_e32 v1, s31, v1
	v_mul_lo_u32 v9, v1, s29
	v_mul_lo_u32 v11, v10, s4
	;; [unrolled: 1-line block ×3, first 2 shown]
	v_add3_u32 v0, v5, v0, v8
	v_sub_u32_e32 v4, v4, v9
	v_mul_lo_u32 v9, v4, s6
	v_mul_lo_u32 v4, v4, s7
	v_add3_u32 v2, v6, v2, v3
	v_add3_u32 v0, v11, v0, v9
	;; [unrolled: 1-line block ×3, first 2 shown]
	s_cbranch_scc0 .LBB173_19
	s_branch .LBB173_92
.LBB173_20:
                                        ; implicit-def: $vgpr0
                                        ; implicit-def: $vgpr2
	s_branch .LBB173_28
.LBB173_21:
                                        ; implicit-def: $vgpr0
                                        ; implicit-def: $vgpr2
	s_branch .LBB173_80
.LBB173_22:
                                        ; implicit-def: $vgpr0
                                        ; implicit-def: $vgpr2
	s_branch .LBB173_96
.LBB173_23:
	v_mov_b32_e32 v0, 0
	v_mov_b32_e32 v2, 0
	s_branch .LBB173_27
.LBB173_24:
	v_mov_b32_e32 v0, 0
	v_mov_b32_e32 v2, 0
	;; [unrolled: 1-line block ×3, first 2 shown]
	s_and_b32 s6, s27, 3
	s_cmp_eq_u32 s6, 0
	s_cbranch_scc1 .LBB173_27
.LBB173_25:
	s_lshl_b32 s2, s26, 3
	s_add_u32 s2, s34, s2
	s_addc_u32 s3, s35, 0
	s_add_u32 s2, s2, 0xc4
	s_addc_u32 s3, s3, 0
	s_mul_i32 s4, s26, 12
	s_add_u32 s4, s34, s4
	s_addc_u32 s5, s35, 0
.LBB173_26:                             ; =>This Inner Loop Header: Depth=1
	s_load_dwordx2 s[8:9], s[4:5], 0x4
	s_load_dword s7, s[4:5], 0xc
	s_load_dwordx2 s[10:11], s[2:3], 0x0
	s_add_u32 s4, s4, 12
	s_addc_u32 s5, s5, 0
	s_waitcnt lgkmcnt(0)
	v_mul_hi_u32 v4, s9, v1
	s_add_u32 s2, s2, 8
	s_addc_u32 s3, s3, 0
	s_add_i32 s6, s6, -1
	v_add_u32_e32 v4, v1, v4
	v_lshrrev_b32_e32 v4, s7, v4
	v_mul_lo_u32 v5, v4, s8
	s_cmp_lg_u32 s6, 0
	v_sub_u32_e32 v5, v1, v5
	v_mad_u64_u32 v[0:1], s[8:9], v5, s10, v[0:1]
	v_mad_u64_u32 v[2:3], s[8:9], v5, s11, v[2:3]
	v_mov_b32_e32 v1, v4
	s_cbranch_scc1 .LBB173_26
.LBB173_27:
	s_cbranch_execnz .LBB173_30
.LBB173_28:
	s_load_dwordx4 s[4:7], s[34:35], 0x4
	s_load_dwordx2 s[2:3], s[34:35], 0xc4
	s_cmp_lt_u32 s33, 2
	s_waitcnt lgkmcnt(0)
	v_mul_hi_u32 v0, s5, v7
	v_add_u32_e32 v0, v7, v0
	v_lshrrev_b32_e32 v1, s6, v0
	v_mul_lo_u32 v0, v1, s4
	v_sub_u32_e32 v2, v7, v0
	v_mul_lo_u32 v0, v2, s2
	v_mul_lo_u32 v2, v2, s3
	s_cbranch_scc1 .LBB173_30
; %bb.29:
	s_load_dwordx4 s[4:7], s[34:35], 0x10
	s_load_dwordx2 s[2:3], s[34:35], 0xcc
	s_waitcnt lgkmcnt(0)
	v_mul_hi_u32 v3, s5, v1
	v_add_u32_e32 v3, v1, v3
	v_lshrrev_b32_e32 v3, s6, v3
	v_mul_lo_u32 v3, v3, s4
	v_sub_u32_e32 v3, v1, v3
	v_mad_u64_u32 v[0:1], s[4:5], v3, s2, v[0:1]
	v_mad_u64_u32 v[2:3], s[2:3], v3, s3, v[2:3]
.LBB173_30:
	s_and_b64 vcc, exec, s[0:1]
	v_add_u32_e32 v1, 0x80, v7
	s_cbranch_vccnz .LBB173_36
; %bb.31:
	s_cmp_lg_u32 s33, 0
	s_waitcnt lgkmcnt(0)
	s_mov_b32 s26, 0
	s_cbranch_scc0 .LBB173_37
; %bb.32:
	s_min_u32 s27, s54, 15
	s_add_i32 s27, s27, 1
	s_cmp_eq_u32 s54, 2
	s_cbranch_scc1 .LBB173_38
; %bb.33:
	s_and_b32 s26, s27, 28
	s_add_u32 s2, s34, 0xc4
	s_addc_u32 s3, s35, 0
	v_mov_b32_e32 v5, 0
	s_mov_b32 s28, 0
	s_mov_b64 s[24:25], s[34:35]
	v_mov_b32_e32 v3, 0
	v_mov_b32_e32 v4, v1
.LBB173_34:                             ; =>This Inner Loop Header: Depth=1
	s_load_dwordx8 s[12:19], s[24:25], 0x4
	s_load_dwordx4 s[20:23], s[24:25], 0x24
	s_load_dwordx8 s[4:11], s[2:3], 0x0
	s_add_u32 s24, s24, 48
	s_addc_u32 s25, s25, 0
	s_waitcnt lgkmcnt(0)
	v_mul_hi_u32 v6, s13, v4
	s_add_i32 s28, s28, 4
	s_add_u32 s2, s2, 32
	s_addc_u32 s3, s3, 0
	v_add_u32_e32 v6, v4, v6
	v_lshrrev_b32_e32 v6, s14, v6
	v_mul_lo_u32 v8, v6, s12
	v_mul_hi_u32 v9, s16, v6
	s_cmp_lg_u32 s26, s28
	v_sub_u32_e32 v4, v4, v8
	v_add_u32_e32 v8, v6, v9
	v_mul_lo_u32 v9, v4, s4
	v_mul_lo_u32 v10, v4, s5
	v_lshrrev_b32_e32 v4, s17, v8
	v_mul_lo_u32 v8, v4, s15
	v_mul_hi_u32 v11, s19, v4
	v_sub_u32_e32 v6, v6, v8
	v_add_u32_e32 v8, v4, v11
	v_lshrrev_b32_e32 v8, s20, v8
	v_mul_hi_u32 v12, s22, v8
	v_mul_lo_u32 v14, v8, s18
	v_mul_lo_u32 v11, v6, s6
	;; [unrolled: 1-line block ×3, first 2 shown]
	v_sub_u32_e32 v14, v4, v14
	v_add_u32_e32 v4, v8, v12
	v_lshrrev_b32_e32 v4, s23, v4
	v_mul_lo_u32 v12, v4, s21
	v_mul_lo_u32 v15, v14, s8
	v_mul_lo_u32 v14, v14, s9
	v_add3_u32 v3, v9, v3, v11
	v_sub_u32_e32 v8, v8, v12
	v_mul_lo_u32 v12, v8, s10
	v_mul_lo_u32 v8, v8, s11
	v_add3_u32 v5, v10, v5, v6
	v_add3_u32 v3, v15, v3, v12
	;; [unrolled: 1-line block ×3, first 2 shown]
	s_cbranch_scc1 .LBB173_34
; %bb.35:
	s_and_b32 s6, s27, 3
	s_cmp_eq_u32 s6, 0
	s_cbranch_scc0 .LBB173_39
	s_branch .LBB173_41
.LBB173_36:
                                        ; implicit-def: $vgpr3
                                        ; implicit-def: $vgpr5
	s_branch .LBB173_42
.LBB173_37:
	v_mov_b32_e32 v3, 0
	v_mov_b32_e32 v5, 0
	s_branch .LBB173_41
.LBB173_38:
	v_mov_b32_e32 v3, 0
	v_mov_b32_e32 v5, 0
	;; [unrolled: 1-line block ×3, first 2 shown]
	s_and_b32 s6, s27, 3
	s_cmp_eq_u32 s6, 0
	s_cbranch_scc1 .LBB173_41
.LBB173_39:
	s_lshl_b32 s2, s26, 3
	s_add_u32 s2, s34, s2
	s_addc_u32 s3, s35, 0
	s_add_u32 s2, s2, 0xc4
	s_addc_u32 s3, s3, 0
	s_mul_i32 s4, s26, 12
	s_add_u32 s4, s34, s4
	s_addc_u32 s5, s35, 0
.LBB173_40:                             ; =>This Inner Loop Header: Depth=1
	s_load_dwordx2 s[8:9], s[4:5], 0x4
	s_load_dword s7, s[4:5], 0xc
	s_load_dwordx2 s[10:11], s[2:3], 0x0
	s_add_u32 s4, s4, 12
	s_addc_u32 s5, s5, 0
	s_waitcnt lgkmcnt(0)
	v_mul_hi_u32 v8, s9, v4
	s_add_u32 s2, s2, 8
	s_addc_u32 s3, s3, 0
	s_add_i32 s6, s6, -1
	v_add_u32_e32 v8, v4, v8
	v_lshrrev_b32_e32 v8, s7, v8
	v_mul_lo_u32 v9, v8, s8
	s_cmp_lg_u32 s6, 0
	v_sub_u32_e32 v9, v4, v9
	v_mad_u64_u32 v[3:4], s[8:9], v9, s10, v[3:4]
	v_mad_u64_u32 v[5:6], s[8:9], v9, s11, v[5:6]
	v_mov_b32_e32 v4, v8
	s_cbranch_scc1 .LBB173_40
.LBB173_41:
	s_cbranch_execnz .LBB173_44
.LBB173_42:
	s_load_dwordx4 s[4:7], s[34:35], 0x4
	s_load_dwordx2 s[2:3], s[34:35], 0xc4
	s_cmp_lt_u32 s33, 2
	s_waitcnt lgkmcnt(0)
	v_mul_hi_u32 v3, s5, v1
	v_add_u32_e32 v3, v1, v3
	v_lshrrev_b32_e32 v4, s6, v3
	v_mul_lo_u32 v3, v4, s4
	v_sub_u32_e32 v1, v1, v3
	v_mul_lo_u32 v3, v1, s2
	v_mul_lo_u32 v5, v1, s3
	s_cbranch_scc1 .LBB173_44
; %bb.43:
	s_load_dwordx4 s[4:7], s[34:35], 0x10
	s_load_dwordx2 s[2:3], s[34:35], 0xcc
	s_waitcnt lgkmcnt(0)
	v_mul_hi_u32 v1, s5, v4
	v_add_u32_e32 v1, v4, v1
	v_lshrrev_b32_e32 v1, s6, v1
	v_mul_lo_u32 v1, v1, s4
	v_sub_u32_e32 v1, v4, v1
	v_mad_u64_u32 v[3:4], s[4:5], v1, s2, v[3:4]
	v_mad_u64_u32 v[5:6], s[2:3], v1, s3, v[5:6]
.LBB173_44:
	s_and_b64 vcc, exec, s[0:1]
	v_add_u32_e32 v1, 0x100, v7
	s_cbranch_vccnz .LBB173_50
; %bb.45:
	s_cmp_lg_u32 s33, 0
	s_waitcnt lgkmcnt(0)
	s_mov_b32 s26, 0
	s_cbranch_scc0 .LBB173_51
; %bb.46:
	s_min_u32 s27, s54, 15
	s_add_i32 s27, s27, 1
	s_cmp_eq_u32 s54, 2
	s_cbranch_scc1 .LBB173_52
; %bb.47:
	s_and_b32 s26, s27, 28
	s_add_u32 s2, s34, 0xc4
	s_addc_u32 s3, s35, 0
	v_mov_b32_e32 v8, 0
	s_mov_b32 s28, 0
	s_mov_b64 s[24:25], s[34:35]
	v_mov_b32_e32 v6, 0
	v_mov_b32_e32 v4, v1
.LBB173_48:                             ; =>This Inner Loop Header: Depth=1
	s_load_dwordx8 s[12:19], s[24:25], 0x4
	s_load_dwordx4 s[20:23], s[24:25], 0x24
	s_load_dwordx8 s[4:11], s[2:3], 0x0
	s_add_u32 s24, s24, 48
	s_addc_u32 s25, s25, 0
	s_waitcnt lgkmcnt(0)
	v_mul_hi_u32 v7, s13, v4
	s_add_i32 s28, s28, 4
	s_add_u32 s2, s2, 32
	s_addc_u32 s3, s3, 0
	v_add_u32_e32 v7, v4, v7
	v_lshrrev_b32_e32 v7, s14, v7
	v_mul_lo_u32 v9, v7, s12
	v_mul_hi_u32 v10, s16, v7
	s_cmp_lg_u32 s26, s28
	v_sub_u32_e32 v4, v4, v9
	v_add_u32_e32 v9, v7, v10
	v_mul_lo_u32 v10, v4, s4
	v_mul_lo_u32 v11, v4, s5
	v_lshrrev_b32_e32 v4, s17, v9
	v_mul_lo_u32 v9, v4, s15
	v_mul_hi_u32 v12, s19, v4
	v_sub_u32_e32 v7, v7, v9
	v_add_u32_e32 v9, v4, v12
	v_lshrrev_b32_e32 v9, s20, v9
	v_mul_hi_u32 v14, s22, v9
	v_mul_lo_u32 v15, v9, s18
	v_mul_lo_u32 v12, v7, s6
	;; [unrolled: 1-line block ×3, first 2 shown]
	v_sub_u32_e32 v15, v4, v15
	v_add_u32_e32 v4, v9, v14
	v_lshrrev_b32_e32 v4, s23, v4
	v_mul_lo_u32 v14, v4, s21
	v_mul_lo_u32 v16, v15, s8
	;; [unrolled: 1-line block ×3, first 2 shown]
	v_add3_u32 v6, v10, v6, v12
	v_sub_u32_e32 v9, v9, v14
	v_mul_lo_u32 v14, v9, s10
	v_mul_lo_u32 v9, v9, s11
	v_add3_u32 v7, v11, v8, v7
	v_add3_u32 v6, v16, v6, v14
	;; [unrolled: 1-line block ×3, first 2 shown]
	s_cbranch_scc1 .LBB173_48
; %bb.49:
	s_and_b32 s6, s27, 3
	s_cmp_eq_u32 s6, 0
	s_cbranch_scc0 .LBB173_53
	s_branch .LBB173_55
.LBB173_50:
                                        ; implicit-def: $vgpr6
                                        ; implicit-def: $vgpr8
	s_branch .LBB173_56
.LBB173_51:
	v_mov_b32_e32 v6, 0
	v_mov_b32_e32 v8, 0
	s_branch .LBB173_55
.LBB173_52:
	v_mov_b32_e32 v6, 0
	v_mov_b32_e32 v8, 0
	;; [unrolled: 1-line block ×3, first 2 shown]
	s_and_b32 s6, s27, 3
	s_cmp_eq_u32 s6, 0
	s_cbranch_scc1 .LBB173_55
.LBB173_53:
	s_lshl_b32 s2, s26, 3
	s_add_u32 s2, s34, s2
	s_addc_u32 s3, s35, 0
	s_add_u32 s2, s2, 0xc4
	s_addc_u32 s3, s3, 0
	s_mul_i32 s4, s26, 12
	s_add_u32 s4, s34, s4
	s_addc_u32 s5, s35, 0
.LBB173_54:                             ; =>This Inner Loop Header: Depth=1
	s_load_dwordx2 s[8:9], s[4:5], 0x4
	s_load_dword s7, s[4:5], 0xc
	s_load_dwordx2 s[10:11], s[2:3], 0x0
	s_add_u32 s4, s4, 12
	s_addc_u32 s5, s5, 0
	s_waitcnt lgkmcnt(0)
	v_mul_hi_u32 v7, s9, v4
	s_add_u32 s2, s2, 8
	s_addc_u32 s3, s3, 0
	s_add_i32 s6, s6, -1
	v_add_u32_e32 v7, v4, v7
	v_lshrrev_b32_e32 v10, s7, v7
	v_mul_lo_u32 v7, v10, s8
	s_cmp_lg_u32 s6, 0
	v_sub_u32_e32 v4, v4, v7
	v_mad_u64_u32 v[6:7], s[8:9], v4, s10, v[6:7]
	v_mad_u64_u32 v[8:9], s[8:9], v4, s11, v[8:9]
	v_mov_b32_e32 v4, v10
	s_cbranch_scc1 .LBB173_54
.LBB173_55:
	s_cbranch_execnz .LBB173_58
.LBB173_56:
	s_load_dwordx4 s[4:7], s[34:35], 0x4
	s_load_dwordx2 s[2:3], s[34:35], 0xc4
	s_cmp_lt_u32 s33, 2
	s_waitcnt lgkmcnt(0)
	v_mul_hi_u32 v4, s5, v1
	v_add_u32_e32 v4, v1, v4
	v_lshrrev_b32_e32 v4, s6, v4
	v_mul_lo_u32 v6, v4, s4
	v_sub_u32_e32 v1, v1, v6
	v_mul_lo_u32 v6, v1, s2
	v_mul_lo_u32 v8, v1, s3
	s_cbranch_scc1 .LBB173_58
; %bb.57:
	s_load_dwordx4 s[4:7], s[34:35], 0x10
	s_load_dwordx2 s[2:3], s[34:35], 0xcc
	s_waitcnt lgkmcnt(0)
	v_mul_hi_u32 v1, s5, v4
	v_add_u32_e32 v1, v4, v1
	v_lshrrev_b32_e32 v1, s6, v1
	v_mul_lo_u32 v1, v1, s4
	v_sub_u32_e32 v1, v4, v1
	v_mad_u64_u32 v[6:7], s[4:5], v1, s2, v[6:7]
	v_mad_u64_u32 v[8:9], s[2:3], v1, s3, v[8:9]
.LBB173_58:
	s_and_b64 vcc, exec, s[0:1]
	s_cbranch_vccnz .LBB173_64
; %bb.59:
	s_cmp_lg_u32 s33, 0
	s_waitcnt lgkmcnt(0)
	s_mov_b32 s24, 0
	s_cbranch_scc0 .LBB173_65
; %bb.60:
	s_min_u32 s25, s54, 15
	s_add_i32 s25, s25, 1
	s_cmp_eq_u32 s54, 2
	s_cbranch_scc1 .LBB173_66
; %bb.61:
	s_and_b32 s24, s25, 28
	s_add_u32 s20, s34, 0xc4
	s_addc_u32 s21, s35, 0
	v_mov_b32_e32 v11, 0
	s_mov_b32 s26, 0
	s_mov_b64 s[22:23], s[34:35]
	v_mov_b32_e32 v9, 0
	v_mov_b32_e32 v1, v13
.LBB173_62:                             ; =>This Inner Loop Header: Depth=1
	s_load_dwordx8 s[8:15], s[22:23], 0x4
	s_load_dwordx4 s[16:19], s[22:23], 0x24
	s_load_dwordx8 s[0:7], s[20:21], 0x0
	s_add_u32 s22, s22, 48
	s_addc_u32 s23, s23, 0
	s_waitcnt lgkmcnt(0)
	v_mul_hi_u32 v4, s9, v1
	s_add_i32 s26, s26, 4
	s_add_u32 s20, s20, 32
	s_addc_u32 s21, s21, 0
	v_add_u32_e32 v4, v1, v4
	v_lshrrev_b32_e32 v4, s10, v4
	v_mul_lo_u32 v7, v4, s8
	v_mul_hi_u32 v10, s12, v4
	s_cmp_lg_u32 s24, s26
	v_sub_u32_e32 v1, v1, v7
	v_add_u32_e32 v7, v4, v10
	v_mul_lo_u32 v10, v1, s0
	v_mul_lo_u32 v12, v1, s1
	v_lshrrev_b32_e32 v1, s13, v7
	v_mul_lo_u32 v7, v1, s11
	v_mul_hi_u32 v14, s15, v1
	v_sub_u32_e32 v4, v4, v7
	v_add_u32_e32 v7, v1, v14
	v_lshrrev_b32_e32 v7, s16, v7
	v_mul_hi_u32 v15, s18, v7
	v_mul_lo_u32 v16, v7, s14
	v_mul_lo_u32 v14, v4, s2
	;; [unrolled: 1-line block ×3, first 2 shown]
	v_sub_u32_e32 v16, v1, v16
	v_add_u32_e32 v1, v7, v15
	v_lshrrev_b32_e32 v1, s19, v1
	v_mul_lo_u32 v15, v1, s17
	v_mul_lo_u32 v17, v16, s4
	;; [unrolled: 1-line block ×3, first 2 shown]
	v_add3_u32 v9, v10, v9, v14
	v_sub_u32_e32 v7, v7, v15
	v_mul_lo_u32 v15, v7, s6
	v_mul_lo_u32 v7, v7, s7
	v_add3_u32 v4, v12, v11, v4
	v_add3_u32 v9, v17, v9, v15
	;; [unrolled: 1-line block ×3, first 2 shown]
	s_cbranch_scc1 .LBB173_62
; %bb.63:
	s_and_b32 s4, s25, 3
	s_cmp_eq_u32 s4, 0
	s_cbranch_scc0 .LBB173_67
	s_branch .LBB173_69
.LBB173_64:
                                        ; implicit-def: $vgpr9
                                        ; implicit-def: $vgpr11
	s_branch .LBB173_70
.LBB173_65:
	v_mov_b32_e32 v9, 0
	v_mov_b32_e32 v11, 0
	s_branch .LBB173_69
.LBB173_66:
	v_mov_b32_e32 v9, 0
	v_mov_b32_e32 v11, 0
	;; [unrolled: 1-line block ×3, first 2 shown]
	s_and_b32 s4, s25, 3
	s_cmp_eq_u32 s4, 0
	s_cbranch_scc1 .LBB173_69
.LBB173_67:
	s_lshl_b32 s0, s24, 3
	s_add_u32 s0, s34, s0
	s_addc_u32 s1, s35, 0
	s_add_u32 s0, s0, 0xc4
	s_addc_u32 s1, s1, 0
	s_mul_i32 s2, s24, 12
	s_add_u32 s2, s34, s2
	s_addc_u32 s3, s35, 0
.LBB173_68:                             ; =>This Inner Loop Header: Depth=1
	s_load_dwordx2 s[6:7], s[2:3], 0x4
	s_load_dword s5, s[2:3], 0xc
	s_load_dwordx2 s[8:9], s[0:1], 0x0
	s_add_u32 s2, s2, 12
	s_addc_u32 s3, s3, 0
	s_waitcnt lgkmcnt(0)
	v_mul_hi_u32 v4, s7, v1
	s_add_u32 s0, s0, 8
	s_addc_u32 s1, s1, 0
	s_add_i32 s4, s4, -1
	v_add_u32_e32 v4, v1, v4
	v_lshrrev_b32_e32 v4, s5, v4
	v_mul_lo_u32 v7, v4, s6
	s_cmp_lg_u32 s4, 0
	v_sub_u32_e32 v1, v1, v7
	v_mad_u64_u32 v[9:10], s[6:7], v1, s8, v[9:10]
	v_mad_u64_u32 v[11:12], s[6:7], v1, s9, v[11:12]
	v_mov_b32_e32 v1, v4
	s_cbranch_scc1 .LBB173_68
.LBB173_69:
	s_cbranch_execnz .LBB173_72
.LBB173_70:
	s_load_dwordx4 s[0:3], s[34:35], 0x4
	s_load_dwordx2 s[4:5], s[34:35], 0xc4
	s_cmp_lt_u32 s33, 2
	s_waitcnt lgkmcnt(0)
	v_mul_hi_u32 v1, s1, v13
	v_add_u32_e32 v1, v13, v1
	v_lshrrev_b32_e32 v1, s2, v1
	v_mul_lo_u32 v4, v1, s0
	v_sub_u32_e32 v4, v13, v4
	v_mul_lo_u32 v9, v4, s4
	v_mul_lo_u32 v11, v4, s5
	s_cbranch_scc1 .LBB173_72
; %bb.71:
	s_load_dwordx4 s[0:3], s[34:35], 0x10
	s_load_dwordx2 s[4:5], s[34:35], 0xcc
	s_waitcnt lgkmcnt(0)
	v_mul_hi_u32 v4, s1, v1
	v_add_u32_e32 v4, v1, v4
	v_lshrrev_b32_e32 v4, s2, v4
	v_mul_lo_u32 v4, v4, s0
	v_sub_u32_e32 v1, v1, v4
	v_mad_u64_u32 v[9:10], s[0:1], v1, s4, v[9:10]
	v_mad_u64_u32 v[11:12], s[0:1], v1, s5, v[11:12]
.LBB173_72:
	s_load_dwordx4 s[0:3], s[34:35], 0x148
	s_load_dword s4, s[34:35], 0x15c
	s_waitcnt lgkmcnt(0)
	global_load_dword v1, v2, s[2:3]
	global_load_dword v4, v5, s[2:3]
	;; [unrolled: 1-line block ×4, first 2 shown]
	s_waitcnt vmcnt(3)
	v_min_u32_e32 v1, 31, v1
	s_waitcnt vmcnt(2)
	v_min_u32_e32 v2, 31, v4
	s_waitcnt vmcnt(1)
	v_min_u32_e32 v4, 31, v7
	s_waitcnt vmcnt(0)
	v_min_u32_e32 v5, 31, v10
	v_ashrrev_i32_e64 v1, v1, s4
	v_ashrrev_i32_e64 v2, v2, s4
	v_ashrrev_i32_e64 v4, v4, s4
	v_ashrrev_i32_e64 v5, v5, s4
	global_store_dword v0, v1, s[0:1]
	global_store_dword v3, v2, s[0:1]
	;; [unrolled: 1-line block ×4, first 2 shown]
	s_endpgm
.LBB173_73:
	v_mov_b32_e32 v0, 0
	v_mov_b32_e32 v2, 0
	s_branch .LBB173_79
.LBB173_74:
	v_mov_b32_e32 v0, 0
	v_mov_b32_e32 v2, 0
	s_branch .LBB173_95
.LBB173_75:
	s_mov_b32 s58, 0
	v_mov_b32_e32 v0, 0
	v_mov_b32_e32 v2, 0
	;; [unrolled: 1-line block ×3, first 2 shown]
.LBB173_76:
	s_and_b32 s4, s59, 3
	s_cmp_eq_u32 s4, 0
	s_cbranch_scc1 .LBB173_79
; %bb.77:
	s_lshl_b32 s0, s58, 3
	s_add_u32 s0, s34, s0
	s_addc_u32 s1, s35, 0
	s_add_u32 s0, s0, 0xc4
	s_addc_u32 s1, s1, 0
	s_mul_i32 s2, s58, 12
	s_add_u32 s2, s34, s2
	s_addc_u32 s3, s35, 0
.LBB173_78:                             ; =>This Inner Loop Header: Depth=1
	s_load_dwordx2 s[6:7], s[2:3], 0x4
	s_load_dword s5, s[2:3], 0xc
	s_load_dwordx2 s[8:9], s[0:1], 0x0
	s_add_u32 s2, s2, 12
	s_addc_u32 s3, s3, 0
	s_waitcnt lgkmcnt(0)
	v_mul_hi_u32 v3, s7, v1
	s_add_u32 s0, s0, 8
	s_addc_u32 s1, s1, 0
	s_add_i32 s4, s4, -1
	v_add_u32_e32 v3, v1, v3
	v_lshrrev_b32_e32 v4, s5, v3
	v_mul_lo_u32 v3, v4, s6
	s_cmp_lg_u32 s4, 0
	v_sub_u32_e32 v3, v1, v3
	v_mad_u64_u32 v[0:1], s[6:7], v3, s8, v[0:1]
	v_mad_u64_u32 v[2:3], s[6:7], v3, s9, v[2:3]
	v_mov_b32_e32 v1, v4
	s_cbranch_scc1 .LBB173_78
.LBB173_79:
	s_cbranch_execnz .LBB173_82
.LBB173_80:
	s_waitcnt lgkmcnt(0)
	v_mul_hi_u32 v0, s25, v7
	s_andn2_b64 vcc, exec, s[42:43]
	v_add_u32_e32 v0, v7, v0
	v_lshrrev_b32_e32 v1, s26, v0
	v_mul_lo_u32 v0, v1, s24
	v_sub_u32_e32 v2, v7, v0
	v_mul_lo_u32 v0, v2, s20
	v_mul_lo_u32 v2, v2, s21
	s_cbranch_vccnz .LBB173_82
; %bb.81:
	v_mul_hi_u32 v3, s40, v1
	v_add_u32_e32 v3, v1, v3
	v_lshrrev_b32_e32 v3, s41, v3
	v_mul_lo_u32 v3, v3, s27
	v_sub_u32_e32 v3, v1, v3
	v_mad_u64_u32 v[0:1], s[0:1], v3, s22, v[0:1]
	v_mad_u64_u32 v[2:3], s[0:1], v3, s23, v[2:3]
.LBB173_82:
	s_waitcnt lgkmcnt(0)
	global_load_dword v1, v2, s[18:19]
	v_add_u32_e32 v7, 0x80, v7
	s_waitcnt vmcnt(0)
	v_min_u32_e32 v1, 31, v1
	v_ashrrev_i32_e64 v1, v1, s55
	global_store_dword v0, v1, s[16:17]
	s_or_b64 exec, exec, s[48:49]
	v_cmp_gt_i32_e32 vcc, s56, v7
	s_and_saveexec_b64 s[48:49], vcc
	s_cbranch_execnz .LBB173_15
.LBB173_83:
	s_or_b64 exec, exec, s[48:49]
	v_cmp_gt_i32_e32 vcc, s56, v7
	s_and_saveexec_b64 s[48:49], vcc
	s_cbranch_execz .LBB173_99
.LBB173_84:
	s_andn2_b64 vcc, exec, s[36:37]
	s_cbranch_vccnz .LBB173_89
; %bb.85:
	s_andn2_b64 vcc, exec, s[46:47]
	s_cbranch_vccnz .LBB173_90
; %bb.86:
	s_add_i32 s59, s57, 1
	s_cmp_eq_u32 s54, 2
	s_cbranch_scc1 .LBB173_102
; %bb.87:
	s_and_b32 s58, s59, 28
	v_mov_b32_e32 v2, 0
	s_mov_b32 s60, 0
	s_mov_b64 s[50:51], s[34:35]
	s_mov_b64 s[52:53], s[44:45]
	v_mov_b32_e32 v0, 0
	v_mov_b32_e32 v1, v7
.LBB173_88:                             ; =>This Inner Loop Header: Depth=1
	s_load_dwordx8 s[8:15], s[50:51], 0x4
	s_load_dwordx4 s[28:31], s[50:51], 0x24
	s_load_dwordx8 s[0:7], s[52:53], 0x0
	s_add_u32 s50, s50, 48
	s_addc_u32 s51, s51, 0
	s_waitcnt lgkmcnt(0)
	v_mul_hi_u32 v3, s9, v1
	s_add_i32 s60, s60, 4
	s_add_u32 s52, s52, 32
	s_addc_u32 s53, s53, 0
	v_add_u32_e32 v3, v1, v3
	v_lshrrev_b32_e32 v3, s10, v3
	v_mul_lo_u32 v4, v3, s8
	v_mul_hi_u32 v5, s12, v3
	s_cmp_eq_u32 s58, s60
	v_sub_u32_e32 v1, v1, v4
	v_add_u32_e32 v4, v3, v5
	v_mul_lo_u32 v5, v1, s0
	v_mul_lo_u32 v6, v1, s1
	v_lshrrev_b32_e32 v1, s13, v4
	v_mul_lo_u32 v4, v1, s11
	v_mul_hi_u32 v8, s15, v1
	v_sub_u32_e32 v3, v3, v4
	v_add_u32_e32 v4, v1, v8
	v_lshrrev_b32_e32 v4, s28, v4
	v_mul_hi_u32 v9, s30, v4
	v_mul_lo_u32 v10, v4, s14
	v_mul_lo_u32 v8, v3, s2
	;; [unrolled: 1-line block ×3, first 2 shown]
	v_sub_u32_e32 v10, v1, v10
	v_add_u32_e32 v1, v4, v9
	v_lshrrev_b32_e32 v1, s31, v1
	v_mul_lo_u32 v9, v1, s29
	v_mul_lo_u32 v11, v10, s4
	;; [unrolled: 1-line block ×3, first 2 shown]
	v_add3_u32 v0, v5, v0, v8
	v_sub_u32_e32 v4, v4, v9
	v_mul_lo_u32 v9, v4, s6
	v_mul_lo_u32 v4, v4, s7
	v_add3_u32 v2, v6, v2, v3
	v_add3_u32 v0, v11, v0, v9
	;; [unrolled: 1-line block ×3, first 2 shown]
	s_cbranch_scc0 .LBB173_88
	s_branch .LBB173_103
.LBB173_89:
                                        ; implicit-def: $vgpr0
                                        ; implicit-def: $vgpr2
	s_branch .LBB173_107
.LBB173_90:
	v_mov_b32_e32 v0, 0
	v_mov_b32_e32 v2, 0
	s_branch .LBB173_106
.LBB173_91:
	s_mov_b32 s58, 0
	v_mov_b32_e32 v0, 0
	v_mov_b32_e32 v2, 0
	v_mov_b32_e32 v1, v7
.LBB173_92:
	s_and_b32 s4, s59, 3
	s_cmp_eq_u32 s4, 0
	s_cbranch_scc1 .LBB173_95
; %bb.93:
	s_lshl_b32 s0, s58, 3
	s_add_u32 s0, s34, s0
	s_addc_u32 s1, s35, 0
	s_add_u32 s0, s0, 0xc4
	s_addc_u32 s1, s1, 0
	s_mul_i32 s2, s58, 12
	s_add_u32 s2, s34, s2
	s_addc_u32 s3, s35, 0
.LBB173_94:                             ; =>This Inner Loop Header: Depth=1
	s_load_dwordx2 s[6:7], s[2:3], 0x4
	s_load_dword s5, s[2:3], 0xc
	s_load_dwordx2 s[8:9], s[0:1], 0x0
	s_add_u32 s2, s2, 12
	s_addc_u32 s3, s3, 0
	s_waitcnt lgkmcnt(0)
	v_mul_hi_u32 v3, s7, v1
	s_add_u32 s0, s0, 8
	s_addc_u32 s1, s1, 0
	s_add_i32 s4, s4, -1
	v_add_u32_e32 v3, v1, v3
	v_lshrrev_b32_e32 v4, s5, v3
	v_mul_lo_u32 v3, v4, s6
	s_cmp_lg_u32 s4, 0
	v_sub_u32_e32 v3, v1, v3
	v_mad_u64_u32 v[0:1], s[6:7], v3, s8, v[0:1]
	v_mad_u64_u32 v[2:3], s[6:7], v3, s9, v[2:3]
	v_mov_b32_e32 v1, v4
	s_cbranch_scc1 .LBB173_94
.LBB173_95:
	s_cbranch_execnz .LBB173_98
.LBB173_96:
	s_waitcnt lgkmcnt(0)
	v_mul_hi_u32 v0, s25, v7
	s_andn2_b64 vcc, exec, s[42:43]
	v_add_u32_e32 v0, v7, v0
	v_lshrrev_b32_e32 v1, s26, v0
	v_mul_lo_u32 v0, v1, s24
	v_sub_u32_e32 v2, v7, v0
	v_mul_lo_u32 v0, v2, s20
	v_mul_lo_u32 v2, v2, s21
	s_cbranch_vccnz .LBB173_98
; %bb.97:
	v_mul_hi_u32 v3, s40, v1
	v_add_u32_e32 v3, v1, v3
	v_lshrrev_b32_e32 v3, s41, v3
	v_mul_lo_u32 v3, v3, s27
	v_sub_u32_e32 v3, v1, v3
	v_mad_u64_u32 v[0:1], s[0:1], v3, s22, v[0:1]
	v_mad_u64_u32 v[2:3], s[0:1], v3, s23, v[2:3]
.LBB173_98:
	s_waitcnt lgkmcnt(0)
	global_load_dword v1, v2, s[18:19]
	v_add_u32_e32 v7, 0x80, v7
	s_waitcnt vmcnt(0)
	v_min_u32_e32 v1, 31, v1
	v_ashrrev_i32_e64 v1, v1, s55
	global_store_dword v0, v1, s[16:17]
	s_or_b64 exec, exec, s[48:49]
	v_cmp_gt_i32_e32 vcc, s56, v7
	s_and_saveexec_b64 s[48:49], vcc
	s_cbranch_execnz .LBB173_84
.LBB173_99:
	s_or_b64 exec, exec, s[48:49]
	v_cmp_gt_i32_e32 vcc, s56, v7
	s_and_saveexec_b64 s[48:49], vcc
	s_cbranch_execnz .LBB173_110
.LBB173_100:
	s_or_b64 exec, exec, s[48:49]
                                        ; implicit-def: $vgpr13
                                        ; implicit-def: $vgpr7
	s_andn2_saveexec_b64 s[0:1], s[38:39]
	s_cbranch_execnz .LBB173_8
.LBB173_101:
	s_endpgm
.LBB173_102:
	s_mov_b32 s58, 0
	v_mov_b32_e32 v0, 0
	v_mov_b32_e32 v2, 0
	;; [unrolled: 1-line block ×3, first 2 shown]
.LBB173_103:
	s_and_b32 s4, s59, 3
	s_cmp_eq_u32 s4, 0
	s_cbranch_scc1 .LBB173_106
; %bb.104:
	s_lshl_b32 s0, s58, 3
	s_add_u32 s0, s34, s0
	s_addc_u32 s1, s35, 0
	s_add_u32 s0, s0, 0xc4
	s_addc_u32 s1, s1, 0
	s_mul_i32 s2, s58, 12
	s_add_u32 s2, s34, s2
	s_addc_u32 s3, s35, 0
.LBB173_105:                            ; =>This Inner Loop Header: Depth=1
	s_load_dwordx2 s[6:7], s[2:3], 0x4
	s_load_dword s5, s[2:3], 0xc
	s_load_dwordx2 s[8:9], s[0:1], 0x0
	s_add_u32 s2, s2, 12
	s_addc_u32 s3, s3, 0
	s_waitcnt lgkmcnt(0)
	v_mul_hi_u32 v3, s7, v1
	s_add_u32 s0, s0, 8
	s_addc_u32 s1, s1, 0
	s_add_i32 s4, s4, -1
	v_add_u32_e32 v3, v1, v3
	v_lshrrev_b32_e32 v4, s5, v3
	v_mul_lo_u32 v3, v4, s6
	s_cmp_lg_u32 s4, 0
	v_sub_u32_e32 v3, v1, v3
	v_mad_u64_u32 v[0:1], s[6:7], v3, s8, v[0:1]
	v_mad_u64_u32 v[2:3], s[6:7], v3, s9, v[2:3]
	v_mov_b32_e32 v1, v4
	s_cbranch_scc1 .LBB173_105
.LBB173_106:
	s_cbranch_execnz .LBB173_109
.LBB173_107:
	s_waitcnt lgkmcnt(0)
	v_mul_hi_u32 v0, s25, v7
	s_andn2_b64 vcc, exec, s[42:43]
	v_add_u32_e32 v0, v7, v0
	v_lshrrev_b32_e32 v1, s26, v0
	v_mul_lo_u32 v0, v1, s24
	v_sub_u32_e32 v2, v7, v0
	v_mul_lo_u32 v0, v2, s20
	v_mul_lo_u32 v2, v2, s21
	s_cbranch_vccnz .LBB173_109
; %bb.108:
	v_mul_hi_u32 v3, s40, v1
	v_add_u32_e32 v3, v1, v3
	v_lshrrev_b32_e32 v3, s41, v3
	v_mul_lo_u32 v3, v3, s27
	v_sub_u32_e32 v3, v1, v3
	v_mad_u64_u32 v[0:1], s[0:1], v3, s22, v[0:1]
	v_mad_u64_u32 v[2:3], s[0:1], v3, s23, v[2:3]
.LBB173_109:
	s_waitcnt lgkmcnt(0)
	global_load_dword v1, v2, s[18:19]
	v_add_u32_e32 v7, 0x80, v7
	s_waitcnt vmcnt(0)
	v_min_u32_e32 v1, 31, v1
	v_ashrrev_i32_e64 v1, v1, s55
	global_store_dword v0, v1, s[16:17]
	s_or_b64 exec, exec, s[48:49]
	v_cmp_gt_i32_e32 vcc, s56, v7
	s_and_saveexec_b64 s[48:49], vcc
	s_cbranch_execz .LBB173_100
.LBB173_110:
	s_andn2_b64 vcc, exec, s[36:37]
	s_cbranch_vccnz .LBB173_115
; %bb.111:
	s_andn2_b64 vcc, exec, s[46:47]
	s_cbranch_vccnz .LBB173_116
; %bb.112:
	s_add_i32 s57, s57, 1
	s_cmp_eq_u32 s54, 2
	s_cbranch_scc1 .LBB173_117
; %bb.113:
	s_and_b32 s50, s57, 28
	v_mov_b32_e32 v2, 0
	s_mov_b32 s51, 0
	s_mov_b64 s[46:47], s[34:35]
	v_mov_b32_e32 v0, 0
	v_mov_b32_e32 v1, v7
.LBB173_114:                            ; =>This Inner Loop Header: Depth=1
	s_load_dwordx8 s[8:15], s[46:47], 0x4
	s_load_dwordx4 s[28:31], s[46:47], 0x24
	s_load_dwordx8 s[0:7], s[44:45], 0x0
	s_add_u32 s46, s46, 48
	s_addc_u32 s47, s47, 0
	s_waitcnt lgkmcnt(0)
	v_mul_hi_u32 v3, s9, v1
	s_add_i32 s51, s51, 4
	s_add_u32 s44, s44, 32
	s_addc_u32 s45, s45, 0
	v_add_u32_e32 v3, v1, v3
	v_lshrrev_b32_e32 v3, s10, v3
	v_mul_lo_u32 v4, v3, s8
	v_mul_hi_u32 v5, s12, v3
	s_cmp_eq_u32 s50, s51
	v_sub_u32_e32 v1, v1, v4
	v_add_u32_e32 v4, v3, v5
	v_mul_lo_u32 v5, v1, s0
	v_mul_lo_u32 v6, v1, s1
	v_lshrrev_b32_e32 v1, s13, v4
	v_mul_lo_u32 v4, v1, s11
	v_mul_hi_u32 v8, s15, v1
	v_sub_u32_e32 v3, v3, v4
	v_add_u32_e32 v4, v1, v8
	v_lshrrev_b32_e32 v4, s28, v4
	v_mul_hi_u32 v9, s30, v4
	v_mul_lo_u32 v10, v4, s14
	v_mul_lo_u32 v8, v3, s2
	;; [unrolled: 1-line block ×3, first 2 shown]
	v_sub_u32_e32 v10, v1, v10
	v_add_u32_e32 v1, v4, v9
	v_lshrrev_b32_e32 v1, s31, v1
	v_mul_lo_u32 v9, v1, s29
	v_mul_lo_u32 v11, v10, s4
	;; [unrolled: 1-line block ×3, first 2 shown]
	v_add3_u32 v0, v5, v0, v8
	v_sub_u32_e32 v4, v4, v9
	v_mul_lo_u32 v9, v4, s6
	v_mul_lo_u32 v4, v4, s7
	v_add3_u32 v2, v6, v2, v3
	v_add3_u32 v0, v11, v0, v9
	;; [unrolled: 1-line block ×3, first 2 shown]
	s_cbranch_scc0 .LBB173_114
	s_branch .LBB173_118
.LBB173_115:
                                        ; implicit-def: $vgpr0
                                        ; implicit-def: $vgpr2
	s_branch .LBB173_122
.LBB173_116:
	v_mov_b32_e32 v0, 0
	v_mov_b32_e32 v2, 0
	s_branch .LBB173_121
.LBB173_117:
	s_mov_b32 s50, 0
	v_mov_b32_e32 v0, 0
	v_mov_b32_e32 v2, 0
	;; [unrolled: 1-line block ×3, first 2 shown]
.LBB173_118:
	s_and_b32 s4, s57, 3
	s_cmp_eq_u32 s4, 0
	s_cbranch_scc1 .LBB173_121
; %bb.119:
	s_lshl_b32 s0, s50, 3
	s_add_u32 s0, s34, s0
	s_addc_u32 s1, s35, 0
	s_add_u32 s0, s0, 0xc4
	s_addc_u32 s1, s1, 0
	s_mul_i32 s2, s50, 12
	s_add_u32 s2, s34, s2
	s_addc_u32 s3, s35, 0
.LBB173_120:                            ; =>This Inner Loop Header: Depth=1
	s_load_dwordx2 s[6:7], s[2:3], 0x4
	s_load_dword s5, s[2:3], 0xc
	s_load_dwordx2 s[8:9], s[0:1], 0x0
	s_add_u32 s2, s2, 12
	s_addc_u32 s3, s3, 0
	s_waitcnt lgkmcnt(0)
	v_mul_hi_u32 v3, s7, v1
	s_add_u32 s0, s0, 8
	s_addc_u32 s1, s1, 0
	s_add_i32 s4, s4, -1
	v_add_u32_e32 v3, v1, v3
	v_lshrrev_b32_e32 v4, s5, v3
	v_mul_lo_u32 v3, v4, s6
	s_cmp_lg_u32 s4, 0
	v_sub_u32_e32 v3, v1, v3
	v_mad_u64_u32 v[0:1], s[6:7], v3, s8, v[0:1]
	v_mad_u64_u32 v[2:3], s[6:7], v3, s9, v[2:3]
	v_mov_b32_e32 v1, v4
	s_cbranch_scc1 .LBB173_120
.LBB173_121:
	s_cbranch_execnz .LBB173_124
.LBB173_122:
	s_waitcnt lgkmcnt(0)
	v_mul_hi_u32 v0, s25, v7
	s_andn2_b64 vcc, exec, s[42:43]
	v_add_u32_e32 v0, v7, v0
	v_lshrrev_b32_e32 v1, s26, v0
	v_mul_lo_u32 v0, v1, s24
	v_sub_u32_e32 v2, v7, v0
	v_mul_lo_u32 v0, v2, s20
	v_mul_lo_u32 v2, v2, s21
	s_cbranch_vccnz .LBB173_124
; %bb.123:
	v_mul_hi_u32 v3, s40, v1
	v_add_u32_e32 v3, v1, v3
	v_lshrrev_b32_e32 v3, s41, v3
	v_mul_lo_u32 v3, v3, s27
	v_sub_u32_e32 v3, v1, v3
	v_mad_u64_u32 v[0:1], s[0:1], v3, s22, v[0:1]
	v_mad_u64_u32 v[2:3], s[0:1], v3, s23, v[2:3]
.LBB173_124:
	s_waitcnt lgkmcnt(0)
	global_load_dword v1, v2, s[18:19]
	s_waitcnt vmcnt(0)
	v_min_u32_e32 v1, 31, v1
	v_ashrrev_i32_e64 v1, v1, s55
	global_store_dword v0, v1, s[16:17]
	s_or_b64 exec, exec, s[48:49]
                                        ; implicit-def: $vgpr13
                                        ; implicit-def: $vgpr7
	s_andn2_saveexec_b64 s[0:1], s[38:39]
	s_cbranch_execz .LBB173_101
	s_branch .LBB173_8
	.section	.rodata,"a",@progbits
	.p2align	6, 0x0
	.amdhsa_kernel _ZN2at6native32elementwise_kernel_manual_unrollILi128ELi4EZNS0_22gpu_kernel_impl_nocastINS0_13AUnaryFunctorIiiiZZZNS0_18rshift_kernel_cudaERNS_18TensorIteratorBaseEENKUlvE_clEvENKUlvE1_clEvEUliiE_EEEEvS5_RKT_EUlibE_EEviT1_
		.amdhsa_group_segment_fixed_size 0
		.amdhsa_private_segment_fixed_size 0
		.amdhsa_kernarg_size 360
		.amdhsa_user_sgpr_count 6
		.amdhsa_user_sgpr_private_segment_buffer 1
		.amdhsa_user_sgpr_dispatch_ptr 0
		.amdhsa_user_sgpr_queue_ptr 0
		.amdhsa_user_sgpr_kernarg_segment_ptr 1
		.amdhsa_user_sgpr_dispatch_id 0
		.amdhsa_user_sgpr_flat_scratch_init 0
		.amdhsa_user_sgpr_private_segment_size 0
		.amdhsa_uses_dynamic_stack 0
		.amdhsa_system_sgpr_private_segment_wavefront_offset 0
		.amdhsa_system_sgpr_workgroup_id_x 1
		.amdhsa_system_sgpr_workgroup_id_y 0
		.amdhsa_system_sgpr_workgroup_id_z 0
		.amdhsa_system_sgpr_workgroup_info 0
		.amdhsa_system_vgpr_workitem_id 0
		.amdhsa_next_free_vgpr 18
		.amdhsa_next_free_sgpr 61
		.amdhsa_reserve_vcc 1
		.amdhsa_reserve_flat_scratch 0
		.amdhsa_float_round_mode_32 0
		.amdhsa_float_round_mode_16_64 0
		.amdhsa_float_denorm_mode_32 3
		.amdhsa_float_denorm_mode_16_64 3
		.amdhsa_dx10_clamp 1
		.amdhsa_ieee_mode 1
		.amdhsa_fp16_overflow 0
		.amdhsa_exception_fp_ieee_invalid_op 0
		.amdhsa_exception_fp_denorm_src 0
		.amdhsa_exception_fp_ieee_div_zero 0
		.amdhsa_exception_fp_ieee_overflow 0
		.amdhsa_exception_fp_ieee_underflow 0
		.amdhsa_exception_fp_ieee_inexact 0
		.amdhsa_exception_int_div_zero 0
	.end_amdhsa_kernel
	.section	.text._ZN2at6native32elementwise_kernel_manual_unrollILi128ELi4EZNS0_22gpu_kernel_impl_nocastINS0_13AUnaryFunctorIiiiZZZNS0_18rshift_kernel_cudaERNS_18TensorIteratorBaseEENKUlvE_clEvENKUlvE1_clEvEUliiE_EEEEvS5_RKT_EUlibE_EEviT1_,"axG",@progbits,_ZN2at6native32elementwise_kernel_manual_unrollILi128ELi4EZNS0_22gpu_kernel_impl_nocastINS0_13AUnaryFunctorIiiiZZZNS0_18rshift_kernel_cudaERNS_18TensorIteratorBaseEENKUlvE_clEvENKUlvE1_clEvEUliiE_EEEEvS5_RKT_EUlibE_EEviT1_,comdat
.Lfunc_end173:
	.size	_ZN2at6native32elementwise_kernel_manual_unrollILi128ELi4EZNS0_22gpu_kernel_impl_nocastINS0_13AUnaryFunctorIiiiZZZNS0_18rshift_kernel_cudaERNS_18TensorIteratorBaseEENKUlvE_clEvENKUlvE1_clEvEUliiE_EEEEvS5_RKT_EUlibE_EEviT1_, .Lfunc_end173-_ZN2at6native32elementwise_kernel_manual_unrollILi128ELi4EZNS0_22gpu_kernel_impl_nocastINS0_13AUnaryFunctorIiiiZZZNS0_18rshift_kernel_cudaERNS_18TensorIteratorBaseEENKUlvE_clEvENKUlvE1_clEvEUliiE_EEEEvS5_RKT_EUlibE_EEviT1_
                                        ; -- End function
	.set _ZN2at6native32elementwise_kernel_manual_unrollILi128ELi4EZNS0_22gpu_kernel_impl_nocastINS0_13AUnaryFunctorIiiiZZZNS0_18rshift_kernel_cudaERNS_18TensorIteratorBaseEENKUlvE_clEvENKUlvE1_clEvEUliiE_EEEEvS5_RKT_EUlibE_EEviT1_.num_vgpr, 18
	.set _ZN2at6native32elementwise_kernel_manual_unrollILi128ELi4EZNS0_22gpu_kernel_impl_nocastINS0_13AUnaryFunctorIiiiZZZNS0_18rshift_kernel_cudaERNS_18TensorIteratorBaseEENKUlvE_clEvENKUlvE1_clEvEUliiE_EEEEvS5_RKT_EUlibE_EEviT1_.num_agpr, 0
	.set _ZN2at6native32elementwise_kernel_manual_unrollILi128ELi4EZNS0_22gpu_kernel_impl_nocastINS0_13AUnaryFunctorIiiiZZZNS0_18rshift_kernel_cudaERNS_18TensorIteratorBaseEENKUlvE_clEvENKUlvE1_clEvEUliiE_EEEEvS5_RKT_EUlibE_EEviT1_.numbered_sgpr, 61
	.set _ZN2at6native32elementwise_kernel_manual_unrollILi128ELi4EZNS0_22gpu_kernel_impl_nocastINS0_13AUnaryFunctorIiiiZZZNS0_18rshift_kernel_cudaERNS_18TensorIteratorBaseEENKUlvE_clEvENKUlvE1_clEvEUliiE_EEEEvS5_RKT_EUlibE_EEviT1_.num_named_barrier, 0
	.set _ZN2at6native32elementwise_kernel_manual_unrollILi128ELi4EZNS0_22gpu_kernel_impl_nocastINS0_13AUnaryFunctorIiiiZZZNS0_18rshift_kernel_cudaERNS_18TensorIteratorBaseEENKUlvE_clEvENKUlvE1_clEvEUliiE_EEEEvS5_RKT_EUlibE_EEviT1_.private_seg_size, 0
	.set _ZN2at6native32elementwise_kernel_manual_unrollILi128ELi4EZNS0_22gpu_kernel_impl_nocastINS0_13AUnaryFunctorIiiiZZZNS0_18rshift_kernel_cudaERNS_18TensorIteratorBaseEENKUlvE_clEvENKUlvE1_clEvEUliiE_EEEEvS5_RKT_EUlibE_EEviT1_.uses_vcc, 1
	.set _ZN2at6native32elementwise_kernel_manual_unrollILi128ELi4EZNS0_22gpu_kernel_impl_nocastINS0_13AUnaryFunctorIiiiZZZNS0_18rshift_kernel_cudaERNS_18TensorIteratorBaseEENKUlvE_clEvENKUlvE1_clEvEUliiE_EEEEvS5_RKT_EUlibE_EEviT1_.uses_flat_scratch, 0
	.set _ZN2at6native32elementwise_kernel_manual_unrollILi128ELi4EZNS0_22gpu_kernel_impl_nocastINS0_13AUnaryFunctorIiiiZZZNS0_18rshift_kernel_cudaERNS_18TensorIteratorBaseEENKUlvE_clEvENKUlvE1_clEvEUliiE_EEEEvS5_RKT_EUlibE_EEviT1_.has_dyn_sized_stack, 0
	.set _ZN2at6native32elementwise_kernel_manual_unrollILi128ELi4EZNS0_22gpu_kernel_impl_nocastINS0_13AUnaryFunctorIiiiZZZNS0_18rshift_kernel_cudaERNS_18TensorIteratorBaseEENKUlvE_clEvENKUlvE1_clEvEUliiE_EEEEvS5_RKT_EUlibE_EEviT1_.has_recursion, 0
	.set _ZN2at6native32elementwise_kernel_manual_unrollILi128ELi4EZNS0_22gpu_kernel_impl_nocastINS0_13AUnaryFunctorIiiiZZZNS0_18rshift_kernel_cudaERNS_18TensorIteratorBaseEENKUlvE_clEvENKUlvE1_clEvEUliiE_EEEEvS5_RKT_EUlibE_EEviT1_.has_indirect_call, 0
	.section	.AMDGPU.csdata,"",@progbits
; Kernel info:
; codeLenInByte = 5792
; TotalNumSgprs: 65
; NumVgprs: 18
; ScratchSize: 0
; MemoryBound: 0
; FloatMode: 240
; IeeeMode: 1
; LDSByteSize: 0 bytes/workgroup (compile time only)
; SGPRBlocks: 8
; VGPRBlocks: 4
; NumSGPRsForWavesPerEU: 65
; NumVGPRsForWavesPerEU: 18
; Occupancy: 10
; WaveLimiterHint : 1
; COMPUTE_PGM_RSRC2:SCRATCH_EN: 0
; COMPUTE_PGM_RSRC2:USER_SGPR: 6
; COMPUTE_PGM_RSRC2:TRAP_HANDLER: 0
; COMPUTE_PGM_RSRC2:TGID_X_EN: 1
; COMPUTE_PGM_RSRC2:TGID_Y_EN: 0
; COMPUTE_PGM_RSRC2:TGID_Z_EN: 0
; COMPUTE_PGM_RSRC2:TIDIG_COMP_CNT: 0
	.section	.text._ZN2at6native32elementwise_kernel_manual_unrollILi128ELi4EZNS0_15gpu_kernel_implINS0_13AUnaryFunctorIiiiZZZNS0_18rshift_kernel_cudaERNS_18TensorIteratorBaseEENKUlvE_clEvENKUlvE1_clEvEUliiE_EEEEvS5_RKT_EUlibE_EEviT1_,"axG",@progbits,_ZN2at6native32elementwise_kernel_manual_unrollILi128ELi4EZNS0_15gpu_kernel_implINS0_13AUnaryFunctorIiiiZZZNS0_18rshift_kernel_cudaERNS_18TensorIteratorBaseEENKUlvE_clEvENKUlvE1_clEvEUliiE_EEEEvS5_RKT_EUlibE_EEviT1_,comdat
	.globl	_ZN2at6native32elementwise_kernel_manual_unrollILi128ELi4EZNS0_15gpu_kernel_implINS0_13AUnaryFunctorIiiiZZZNS0_18rshift_kernel_cudaERNS_18TensorIteratorBaseEENKUlvE_clEvENKUlvE1_clEvEUliiE_EEEEvS5_RKT_EUlibE_EEviT1_ ; -- Begin function _ZN2at6native32elementwise_kernel_manual_unrollILi128ELi4EZNS0_15gpu_kernel_implINS0_13AUnaryFunctorIiiiZZZNS0_18rshift_kernel_cudaERNS_18TensorIteratorBaseEENKUlvE_clEvENKUlvE1_clEvEUliiE_EEEEvS5_RKT_EUlibE_EEviT1_
	.p2align	8
	.type	_ZN2at6native32elementwise_kernel_manual_unrollILi128ELi4EZNS0_15gpu_kernel_implINS0_13AUnaryFunctorIiiiZZZNS0_18rshift_kernel_cudaERNS_18TensorIteratorBaseEENKUlvE_clEvENKUlvE1_clEvEUliiE_EEEEvS5_RKT_EUlibE_EEviT1_,@function
_ZN2at6native32elementwise_kernel_manual_unrollILi128ELi4EZNS0_15gpu_kernel_implINS0_13AUnaryFunctorIiiiZZZNS0_18rshift_kernel_cudaERNS_18TensorIteratorBaseEENKUlvE_clEvENKUlvE1_clEvEUliiE_EEEEvS5_RKT_EUlibE_EEviT1_: ; @_ZN2at6native32elementwise_kernel_manual_unrollILi128ELi4EZNS0_15gpu_kernel_implINS0_13AUnaryFunctorIiiiZZZNS0_18rshift_kernel_cudaERNS_18TensorIteratorBaseEENKUlvE_clEvENKUlvE1_clEvEUliiE_EEEEvS5_RKT_EUlibE_EEviT1_
; %bb.0:
	s_load_dwordx2 s[2:3], s[4:5], 0x24
	s_load_dwordx2 s[12:13], s[4:5], 0x18
	s_load_dword s40, s[4:5], 0x0
	s_load_dwordx4 s[8:11], s[4:5], 0x8
	v_lshl_or_b32 v4, s6, 9, v0
	v_or_b32_e32 v0, 0x180, v4
	s_waitcnt lgkmcnt(0)
	s_bfe_u32 s33, s3, 0x80008
	v_cmp_le_i32_e32 vcc, s40, v0
	s_mov_b64 s[4:5], 0
	s_mov_b64 s[14:15], 0
	s_and_saveexec_b64 s[0:1], vcc
	s_xor_b64 s[6:7], exec, s[0:1]
	s_cbranch_execz .LBB174_1011
; %bb.1:
	v_cmp_gt_i32_e32 vcc, s40, v4
	s_mov_b64 s[20:21], -1
	s_mov_b64 s[22:23], 0
	s_mov_b64 s[16:17], 0
	s_and_saveexec_b64 s[18:19], vcc
	s_cbranch_execz .LBB174_248
; %bb.2:
	v_mul_lo_u32 v0, v4, s13
	v_mov_b32_e32 v1, s11
	s_and_b32 s20, 0xffff, s33
	s_cmp_lt_i32 s20, 11
	v_ashrrev_i32_e32 v2, 31, v0
	v_add_co_u32_e32 v0, vcc, s10, v0
	v_addc_co_u32_e32 v1, vcc, v1, v2, vcc
	s_cbranch_scc1 .LBB174_9
; %bb.3:
	s_cmp_gt_i32 s20, 25
	s_cbranch_scc0 .LBB174_18
; %bb.4:
	s_cmp_gt_i32 s20, 28
	s_cbranch_scc0 .LBB174_22
	;; [unrolled: 3-line block ×4, first 2 shown]
; %bb.7:
	s_cmp_eq_u32 s20, 46
	s_cbranch_scc0 .LBB174_28
; %bb.8:
	global_load_dword v2, v[0:1], off
	s_mov_b64 s[0:1], -1
	s_waitcnt vmcnt(0)
	v_lshlrev_b32_e32 v2, 16, v2
	v_cvt_i32_f32_e32 v2, v2
	s_branch .LBB174_30
.LBB174_9:
                                        ; implicit-def: $vgpr2
	s_mov_b64 s[0:1], 0
	s_cbranch_execnz .LBB174_199
.LBB174_10:
	s_andn2_b64 vcc, exec, s[0:1]
	s_cbranch_vccnz .LBB174_246
.LBB174_11:
	v_mul_lo_u32 v1, v4, s12
	s_waitcnt vmcnt(0)
	v_min_u32_e32 v0, 31, v2
	v_mov_b32_e32 v3, s9
	s_and_b32 s26, s3, 0xff
	v_ashrrev_i32_e32 v5, 31, v1
	v_add_co_u32_e32 v2, vcc, s8, v1
	v_ashrrev_i32_e64 v0, v0, s2
	s_cmp_lt_i32 s26, 11
	v_addc_co_u32_e32 v3, vcc, v3, v5, vcc
	s_cbranch_scc1 .LBB174_19
; %bb.12:
	s_and_b32 s27, 0xffff, s26
	s_cmp_gt_i32 s27, 25
	s_cbranch_scc0 .LBB174_23
; %bb.13:
	s_cmp_gt_i32 s27, 28
	s_cbranch_scc0 .LBB174_25
; %bb.14:
	s_cmp_gt_i32 s27, 43
	s_cbranch_scc0 .LBB174_27
; %bb.15:
	s_cmp_gt_i32 s27, 45
	s_cbranch_scc0 .LBB174_33
; %bb.16:
	s_mov_b64 s[20:21], 0
	s_mov_b64 s[0:1], -1
	s_cmp_eq_u32 s27, 46
	s_mov_b64 s[14:15], 0
	s_cbranch_scc0 .LBB174_34
; %bb.17:
	v_cvt_f32_i32_e32 v1, v0
	s_movk_i32 s0, 0x7fff
	s_mov_b64 s[14:15], -1
	v_bfe_u32 v5, v1, 16, 1
	v_add3_u32 v1, v1, v5, s0
	v_lshrrev_b32_e32 v1, 16, v1
	global_store_dword v[2:3], v1, off
	s_mov_b64 s[0:1], 0
	s_branch .LBB174_34
.LBB174_18:
	s_mov_b64 s[0:1], 0
                                        ; implicit-def: $vgpr2
	s_cbranch_execnz .LBB174_166
	s_branch .LBB174_198
.LBB174_19:
	s_mov_b64 s[0:1], 0
	s_mov_b64 s[14:15], 0
	s_cbranch_execnz .LBB174_103
.LBB174_20:
	s_andn2_b64 vcc, exec, s[14:15]
	s_cbranch_vccnz .LBB174_141
.LBB174_21:
	v_add_u32_e32 v4, 0x80, v4
	s_mov_b64 s[20:21], -1
	s_branch .LBB174_247
.LBB174_22:
	s_mov_b64 s[14:15], -1
	s_mov_b64 s[0:1], 0
                                        ; implicit-def: $vgpr2
	s_branch .LBB174_149
.LBB174_23:
	s_mov_b64 s[20:21], -1
	s_mov_b64 s[0:1], 0
	s_mov_b64 s[14:15], 0
	s_branch .LBB174_61
.LBB174_24:
	s_mov_b64 s[14:15], -1
	s_mov_b64 s[0:1], 0
                                        ; implicit-def: $vgpr2
	s_branch .LBB174_144
.LBB174_25:
	s_mov_b64 s[20:21], -1
	s_mov_b64 s[0:1], 0
	s_mov_b64 s[14:15], 0
	s_branch .LBB174_44
.LBB174_26:
	s_mov_b64 s[14:15], -1
	s_branch .LBB174_29
.LBB174_27:
	s_mov_b64 s[20:21], -1
	s_mov_b64 s[0:1], 0
	s_mov_b64 s[14:15], 0
	s_branch .LBB174_40
.LBB174_28:
	s_mov_b64 s[16:17], -1
.LBB174_29:
	s_mov_b64 s[0:1], 0
                                        ; implicit-def: $vgpr2
.LBB174_30:
	s_and_b64 vcc, exec, s[14:15]
	s_cbranch_vccz .LBB174_143
; %bb.31:
	s_cmp_eq_u32 s20, 44
	s_cbranch_scc0 .LBB174_142
; %bb.32:
	global_load_ubyte v2, v[0:1], off
	s_mov_b64 s[0:1], -1
	s_mov_b64 s[16:17], 0
	s_waitcnt vmcnt(0)
	v_lshlrev_b32_e32 v3, 23, v2
	v_cvt_i32_f32_e32 v3, v3
	v_cmp_ne_u32_e32 vcc, 0, v2
	v_cndmask_b32_e32 v2, 0, v3, vcc
	s_branch .LBB174_143
.LBB174_33:
	s_mov_b64 s[20:21], -1
	s_mov_b64 s[0:1], 0
	s_mov_b64 s[14:15], 0
.LBB174_34:
	s_and_b64 vcc, exec, s[20:21]
	s_cbranch_vccz .LBB174_39
; %bb.35:
	s_cmp_eq_u32 s27, 44
	s_mov_b64 s[0:1], -1
	s_cbranch_scc0 .LBB174_39
; %bb.36:
	v_cvt_f32_i32_e32 v1, v0
	s_movk_i32 s0, 0xff
	v_mov_b32_e32 v6, 0xff
	v_bfe_u32 v5, v1, 23, 8
	v_cmp_ne_u32_e32 vcc, s0, v5
	s_and_saveexec_b64 s[14:15], vcc
; %bb.37:
	s_mov_b32 s0, 0x3fffff
	v_lshrrev_b32_e32 v6, 23, v1
	v_and_b32_e32 v7, 0x400000, v1
	v_and_or_b32 v1, v1, s0, v5
	v_cmp_ne_u32_e32 vcc, 0, v7
	v_cmp_ne_u32_e64 s[0:1], 0, v1
	s_and_b64 s[0:1], vcc, s[0:1]
	v_cndmask_b32_e64 v1, 0, 1, s[0:1]
	v_add_u32_e32 v6, v6, v1
; %bb.38:
	s_or_b64 exec, exec, s[14:15]
	s_mov_b64 s[14:15], -1
	s_mov_b64 s[0:1], 0
	global_store_byte v[2:3], v6, off
.LBB174_39:
	s_mov_b64 s[20:21], 0
.LBB174_40:
	s_and_b64 vcc, exec, s[20:21]
	s_cbranch_vccz .LBB174_43
; %bb.41:
	s_cmp_eq_u32 s27, 29
	s_mov_b64 s[0:1], -1
	s_cbranch_scc0 .LBB174_43
; %bb.42:
	v_ashrrev_i32_e32 v1, 31, v0
	global_store_dwordx2 v[2:3], v[0:1], off
	s_mov_b64 s[14:15], -1
	s_mov_b64 s[0:1], 0
.LBB174_43:
	s_mov_b64 s[20:21], 0
.LBB174_44:
	s_and_b64 vcc, exec, s[20:21]
	s_cbranch_vccz .LBB174_60
; %bb.45:
	s_cmp_lt_i32 s27, 27
	s_mov_b64 s[14:15], -1
	s_cbranch_scc1 .LBB174_51
; %bb.46:
	s_cmp_gt_i32 s27, 27
	s_cbranch_scc0 .LBB174_48
; %bb.47:
	s_mov_b64 s[14:15], 0
	global_store_dword v[2:3], v0, off
.LBB174_48:
	s_andn2_b64 vcc, exec, s[14:15]
	s_cbranch_vccnz .LBB174_50
; %bb.49:
	global_store_short v[2:3], v0, off
.LBB174_50:
	s_mov_b64 s[14:15], 0
.LBB174_51:
	s_andn2_b64 vcc, exec, s[14:15]
	s_cbranch_vccnz .LBB174_59
; %bb.52:
	v_cvt_f32_i32_e32 v1, v0
	s_mov_b32 s14, 0x43800000
	v_mov_b32_e32 v6, 0x80
	v_and_b32_e32 v5, 0x7fffffff, v1
	v_cmp_gt_u32_e32 vcc, s14, v5
	s_and_saveexec_b64 s[14:15], vcc
	s_cbranch_execz .LBB174_58
; %bb.53:
	s_mov_b32 s20, 0x3bffffff
	v_cmp_lt_u32_e32 vcc, s20, v5
	s_mov_b64 s[20:21], 0
                                        ; implicit-def: $vgpr5
	s_and_saveexec_b64 s[24:25], vcc
	s_xor_b64 s[24:25], exec, s[24:25]
	s_cbranch_execz .LBB174_275
; %bb.54:
	v_bfe_u32 v5, v1, 20, 1
	s_mov_b32 s28, 0x487ffff
	v_add3_u32 v5, v1, v5, s28
	s_mov_b64 s[20:21], exec
	v_lshrrev_b32_e32 v5, 20, v5
	s_andn2_saveexec_b64 s[24:25], s[24:25]
	s_cbranch_execnz .LBB174_276
.LBB174_55:
	s_or_b64 exec, exec, s[24:25]
	v_mov_b32_e32 v6, 0
	s_and_saveexec_b64 s[24:25], s[20:21]
.LBB174_56:
	v_lshrrev_b32_e32 v1, 24, v1
	s_movk_i32 s20, 0x80
	v_and_or_b32 v6, v1, s20, v5
.LBB174_57:
	s_or_b64 exec, exec, s[24:25]
.LBB174_58:
	s_or_b64 exec, exec, s[14:15]
	global_store_byte v[2:3], v6, off
.LBB174_59:
	s_mov_b64 s[14:15], -1
.LBB174_60:
	s_mov_b64 s[20:21], 0
.LBB174_61:
	s_and_b64 vcc, exec, s[20:21]
	s_cbranch_vccz .LBB174_102
; %bb.62:
	s_cmp_gt_i32 s27, 22
	s_mov_b64 s[20:21], -1
	s_cbranch_scc0 .LBB174_94
; %bb.63:
	s_cmp_lt_i32 s27, 24
	s_mov_b64 s[14:15], -1
	s_cbranch_scc1 .LBB174_83
; %bb.64:
	s_cmp_gt_i32 s27, 24
	s_cbranch_scc0 .LBB174_72
; %bb.65:
	v_cvt_f32_i32_e32 v1, v0
	s_mov_b32 s14, 0x47800000
	v_mov_b32_e32 v6, 0x80
	v_and_b32_e32 v5, 0x7fffffff, v1
	v_cmp_gt_u32_e32 vcc, s14, v5
	s_and_saveexec_b64 s[14:15], vcc
	s_cbranch_execz .LBB174_71
; %bb.66:
	s_mov_b32 s20, 0x37ffffff
	v_cmp_lt_u32_e32 vcc, s20, v5
	s_mov_b64 s[20:21], 0
                                        ; implicit-def: $vgpr5
	s_and_saveexec_b64 s[24:25], vcc
	s_xor_b64 s[24:25], exec, s[24:25]
	s_cbranch_execz .LBB174_279
; %bb.67:
	v_bfe_u32 v5, v1, 21, 1
	s_mov_b32 s28, 0x88fffff
	v_add3_u32 v5, v1, v5, s28
	s_mov_b64 s[20:21], exec
	v_lshrrev_b32_e32 v5, 21, v5
	s_andn2_saveexec_b64 s[24:25], s[24:25]
	s_cbranch_execnz .LBB174_280
.LBB174_68:
	s_or_b64 exec, exec, s[24:25]
	v_mov_b32_e32 v6, 0
	s_and_saveexec_b64 s[24:25], s[20:21]
.LBB174_69:
	v_lshrrev_b32_e32 v1, 24, v1
	s_movk_i32 s20, 0x80
	v_and_or_b32 v6, v1, s20, v5
.LBB174_70:
	s_or_b64 exec, exec, s[24:25]
.LBB174_71:
	s_or_b64 exec, exec, s[14:15]
	s_mov_b64 s[14:15], 0
	global_store_byte v[2:3], v6, off
.LBB174_72:
	s_and_b64 vcc, exec, s[14:15]
	s_cbranch_vccz .LBB174_82
; %bb.73:
	v_cvt_f32_i32_e32 v1, v0
	s_mov_b32 s14, 0x43f00000
                                        ; implicit-def: $vgpr5
	v_and_b32_e32 v6, 0x7fffffff, v1
	v_cmp_gt_u32_e32 vcc, s14, v6
	s_and_saveexec_b64 s[14:15], vcc
	s_xor_b64 s[14:15], exec, s[14:15]
	s_cbranch_execz .LBB174_79
; %bb.74:
	s_mov_b32 s20, 0x3c7fffff
	v_cmp_lt_u32_e32 vcc, s20, v6
                                        ; implicit-def: $vgpr5
	s_and_saveexec_b64 s[20:21], vcc
	s_xor_b64 s[20:21], exec, s[20:21]
; %bb.75:
	v_bfe_u32 v5, v1, 20, 1
	s_mov_b32 s24, 0x407ffff
	v_add3_u32 v5, v1, v5, s24
	v_lshrrev_b32_e32 v6, 20, v5
	v_and_b32_e32 v5, 0xff00000, v5
	s_mov_b32 s24, 0x7f00000
	v_mov_b32_e32 v7, 0x7e
	v_cmp_ne_u32_e32 vcc, s24, v5
	v_cndmask_b32_e32 v5, v7, v6, vcc
; %bb.76:
	s_andn2_saveexec_b64 s[20:21], s[20:21]
; %bb.77:
	s_mov_b32 s24, 0x46800000
	v_add_f32_e64 v5, |v1|, s24
; %bb.78:
	s_or_b64 exec, exec, s[20:21]
                                        ; implicit-def: $vgpr6
.LBB174_79:
	s_andn2_saveexec_b64 s[14:15], s[14:15]
; %bb.80:
	s_mov_b32 s20, 0x7f800000
	v_mov_b32_e32 v5, 0x7e
	v_mov_b32_e32 v7, 0x7f
	v_cmp_lt_u32_e32 vcc, s20, v6
	v_cndmask_b32_e32 v5, v5, v7, vcc
; %bb.81:
	s_or_b64 exec, exec, s[14:15]
	v_lshrrev_b32_e32 v1, 24, v1
	s_movk_i32 s14, 0x80
	v_and_or_b32 v1, v1, s14, v5
	global_store_byte v[2:3], v1, off
.LBB174_82:
	s_mov_b64 s[14:15], 0
.LBB174_83:
	s_andn2_b64 vcc, exec, s[14:15]
	s_cbranch_vccnz .LBB174_93
; %bb.84:
	v_cvt_f32_i32_e32 v1, v0
	s_mov_b32 s14, 0x47800000
                                        ; implicit-def: $vgpr5
	v_and_b32_e32 v6, 0x7fffffff, v1
	v_cmp_gt_u32_e32 vcc, s14, v6
	s_and_saveexec_b64 s[14:15], vcc
	s_xor_b64 s[14:15], exec, s[14:15]
	s_cbranch_execz .LBB174_90
; %bb.85:
	s_mov_b32 s20, 0x387fffff
	v_cmp_lt_u32_e32 vcc, s20, v6
                                        ; implicit-def: $vgpr5
	s_and_saveexec_b64 s[20:21], vcc
	s_xor_b64 s[20:21], exec, s[20:21]
; %bb.86:
	v_bfe_u32 v5, v1, 21, 1
	s_mov_b32 s24, 0x80fffff
	v_add3_u32 v5, v1, v5, s24
	v_lshrrev_b32_e32 v5, 21, v5
; %bb.87:
	s_andn2_saveexec_b64 s[20:21], s[20:21]
; %bb.88:
	s_mov_b32 s24, 0x43000000
	v_add_f32_e64 v5, |v1|, s24
; %bb.89:
	s_or_b64 exec, exec, s[20:21]
                                        ; implicit-def: $vgpr6
.LBB174_90:
	s_andn2_saveexec_b64 s[14:15], s[14:15]
; %bb.91:
	s_mov_b32 s20, 0x7f800000
	v_mov_b32_e32 v5, 0x7c
	v_mov_b32_e32 v7, 0x7f
	v_cmp_lt_u32_e32 vcc, s20, v6
	v_cndmask_b32_e32 v5, v5, v7, vcc
; %bb.92:
	s_or_b64 exec, exec, s[14:15]
	v_lshrrev_b32_e32 v1, 24, v1
	s_movk_i32 s14, 0x80
	v_and_or_b32 v1, v1, s14, v5
	global_store_byte v[2:3], v1, off
.LBB174_93:
	s_mov_b64 s[20:21], 0
	s_mov_b64 s[14:15], -1
.LBB174_94:
	s_andn2_b64 vcc, exec, s[20:21]
	s_cbranch_vccnz .LBB174_102
; %bb.95:
	s_cmp_gt_i32 s27, 14
	s_mov_b64 s[20:21], -1
	s_cbranch_scc0 .LBB174_99
; %bb.96:
	s_cmp_eq_u32 s27, 15
	s_mov_b64 s[0:1], -1
	s_cbranch_scc0 .LBB174_98
; %bb.97:
	v_cvt_f32_i32_e32 v1, v0
	s_movk_i32 s0, 0x7fff
	s_mov_b64 s[14:15], -1
	v_bfe_u32 v5, v1, 16, 1
	v_add3_u32 v1, v1, v5, s0
	global_store_short_d16_hi v[2:3], v1, off
	s_mov_b64 s[0:1], 0
.LBB174_98:
	s_mov_b64 s[20:21], 0
.LBB174_99:
	s_and_b64 vcc, exec, s[20:21]
	s_cbranch_vccz .LBB174_102
; %bb.100:
	s_cmp_eq_u32 s27, 11
	s_mov_b64 s[0:1], -1
	s_cbranch_scc0 .LBB174_102
; %bb.101:
	v_cmp_ne_u32_e32 vcc, 0, v0
	v_cndmask_b32_e64 v1, 0, 1, vcc
	s_mov_b64 s[14:15], -1
	s_mov_b64 s[0:1], 0
	global_store_byte v[2:3], v1, off
.LBB174_102:
	s_branch .LBB174_20
.LBB174_103:
	s_and_b32 s20, 0xffff, s26
	s_cmp_lt_i32 s20, 5
	s_mov_b64 s[14:15], -1
	s_cbranch_scc1 .LBB174_124
; %bb.104:
	s_cmp_lt_i32 s20, 8
	s_cbranch_scc1 .LBB174_114
; %bb.105:
	s_cmp_lt_i32 s20, 9
	s_cbranch_scc1 .LBB174_111
; %bb.106:
	s_cmp_gt_i32 s20, 9
	s_cbranch_scc0 .LBB174_108
; %bb.107:
	v_cvt_f64_i32_e32 v[5:6], v0
	v_mov_b32_e32 v7, 0
	v_mov_b32_e32 v8, v7
	s_mov_b64 s[14:15], 0
	global_store_dwordx4 v[2:3], v[5:8], off
.LBB174_108:
	s_andn2_b64 vcc, exec, s[14:15]
	s_cbranch_vccnz .LBB174_110
; %bb.109:
	v_cvt_f32_i32_e32 v5, v0
	v_mov_b32_e32 v6, 0
	global_store_dwordx2 v[2:3], v[5:6], off
.LBB174_110:
	s_mov_b64 s[14:15], 0
.LBB174_111:
	s_andn2_b64 vcc, exec, s[14:15]
	s_cbranch_vccnz .LBB174_113
; %bb.112:
	v_cvt_f32_i32_e32 v1, v0
	v_cvt_f16_f32_e32 v1, v1
	global_store_dword v[2:3], v1, off
.LBB174_113:
	s_mov_b64 s[14:15], 0
.LBB174_114:
	s_andn2_b64 vcc, exec, s[14:15]
	s_cbranch_vccnz .LBB174_123
; %bb.115:
	s_cmp_lt_i32 s20, 6
	s_mov_b64 s[14:15], -1
	s_cbranch_scc1 .LBB174_121
; %bb.116:
	s_cmp_gt_i32 s20, 6
	s_cbranch_scc0 .LBB174_118
; %bb.117:
	v_cvt_f64_i32_e32 v[5:6], v0
	s_mov_b64 s[14:15], 0
	global_store_dwordx2 v[2:3], v[5:6], off
.LBB174_118:
	s_andn2_b64 vcc, exec, s[14:15]
	s_cbranch_vccnz .LBB174_120
; %bb.119:
	v_cvt_f32_i32_e32 v1, v0
	global_store_dword v[2:3], v1, off
.LBB174_120:
	s_mov_b64 s[14:15], 0
.LBB174_121:
	s_andn2_b64 vcc, exec, s[14:15]
	s_cbranch_vccnz .LBB174_123
; %bb.122:
	v_cvt_f32_i32_e32 v1, v0
	v_cvt_f16_f32_e32 v1, v1
	global_store_short v[2:3], v1, off
.LBB174_123:
	s_mov_b64 s[14:15], 0
.LBB174_124:
	s_andn2_b64 vcc, exec, s[14:15]
	s_cbranch_vccnz .LBB174_140
; %bb.125:
	s_cmp_lt_i32 s20, 2
	s_mov_b64 s[14:15], -1
	s_cbranch_scc1 .LBB174_135
; %bb.126:
	s_cmp_lt_i32 s20, 3
	s_cbranch_scc1 .LBB174_132
; %bb.127:
	s_cmp_gt_i32 s20, 3
	s_cbranch_scc0 .LBB174_129
; %bb.128:
	v_ashrrev_i32_e32 v1, 31, v0
	global_store_dwordx2 v[2:3], v[0:1], off
	s_mov_b64 s[14:15], 0
.LBB174_129:
	s_andn2_b64 vcc, exec, s[14:15]
	s_cbranch_vccnz .LBB174_131
; %bb.130:
	global_store_dword v[2:3], v0, off
.LBB174_131:
	s_mov_b64 s[14:15], 0
.LBB174_132:
	s_andn2_b64 vcc, exec, s[14:15]
	s_cbranch_vccnz .LBB174_134
; %bb.133:
	global_store_short v[2:3], v0, off
.LBB174_134:
	s_mov_b64 s[14:15], 0
.LBB174_135:
	s_andn2_b64 vcc, exec, s[14:15]
	s_cbranch_vccnz .LBB174_140
; %bb.136:
	s_cmp_gt_i32 s20, 0
	s_mov_b64 s[14:15], -1
	s_cbranch_scc0 .LBB174_138
; %bb.137:
	global_store_byte v[2:3], v0, off
	s_mov_b64 s[14:15], 0
.LBB174_138:
	s_andn2_b64 vcc, exec, s[14:15]
	s_cbranch_vccnz .LBB174_140
; %bb.139:
	global_store_byte v[2:3], v0, off
.LBB174_140:
	s_branch .LBB174_21
.LBB174_141:
	s_mov_b64 s[20:21], 0
                                        ; implicit-def: $vgpr4
	s_branch .LBB174_247
.LBB174_142:
	s_mov_b64 s[16:17], -1
                                        ; implicit-def: $vgpr2
.LBB174_143:
	s_mov_b64 s[14:15], 0
.LBB174_144:
	s_and_b64 vcc, exec, s[14:15]
	s_cbranch_vccz .LBB174_148
; %bb.145:
	s_cmp_eq_u32 s20, 29
	s_cbranch_scc0 .LBB174_147
; %bb.146:
	global_load_dword v2, v[0:1], off
	s_mov_b64 s[0:1], -1
	s_mov_b64 s[16:17], 0
	s_branch .LBB174_148
.LBB174_147:
	s_mov_b64 s[16:17], -1
                                        ; implicit-def: $vgpr2
.LBB174_148:
	s_mov_b64 s[14:15], 0
.LBB174_149:
	s_and_b64 vcc, exec, s[14:15]
	s_cbranch_vccz .LBB174_165
; %bb.150:
	s_cmp_lt_i32 s20, 27
	s_cbranch_scc1 .LBB174_153
; %bb.151:
	s_cmp_gt_i32 s20, 27
	s_cbranch_scc0 .LBB174_154
; %bb.152:
	global_load_dword v2, v[0:1], off
	s_mov_b64 s[0:1], 0
	s_branch .LBB174_155
.LBB174_153:
	s_mov_b64 s[0:1], -1
                                        ; implicit-def: $vgpr2
	s_branch .LBB174_158
.LBB174_154:
	s_mov_b64 s[0:1], -1
                                        ; implicit-def: $vgpr2
.LBB174_155:
	s_andn2_b64 vcc, exec, s[0:1]
	s_cbranch_vccnz .LBB174_157
; %bb.156:
	global_load_ushort v2, v[0:1], off
.LBB174_157:
	s_mov_b64 s[0:1], 0
.LBB174_158:
	s_andn2_b64 vcc, exec, s[0:1]
	s_cbranch_vccnz .LBB174_164
; %bb.159:
	global_load_ubyte v3, v[0:1], off
	s_movk_i32 s0, 0x7f
	s_mov_b64 s[14:15], 0
	s_waitcnt vmcnt(0)
	v_cmp_lt_i16_e32 vcc, s0, v3
	s_and_saveexec_b64 s[0:1], vcc
	s_xor_b64 s[0:1], exec, s[0:1]
	s_cbranch_execz .LBB174_175
; %bb.160:
	s_movk_i32 s14, 0x80
	v_cmp_ne_u16_e32 vcc, s14, v3
	s_and_b64 s[14:15], vcc, exec
	s_andn2_saveexec_b64 s[0:1], s[0:1]
	s_cbranch_execnz .LBB174_176
.LBB174_161:
	s_or_b64 exec, exec, s[0:1]
	v_mov_b32_e32 v2, 0
	s_and_saveexec_b64 s[0:1], s[14:15]
	s_cbranch_execz .LBB174_163
.LBB174_162:
	v_lshlrev_b32_e32 v2, 24, v3
	v_and_b32_e32 v3, 0xffff, v3
	v_and_b32_e32 v5, 7, v3
	v_ffbh_u32_e32 v7, v5
	v_min_u32_e32 v7, 32, v7
	v_subrev_u32_e32 v8, 28, v7
	v_bfe_u32 v6, v3, 3, 4
	v_lshlrev_b32_e32 v3, v8, v3
	v_sub_u32_e32 v7, 29, v7
	v_and_b32_e32 v3, 7, v3
	v_cmp_eq_u32_e32 vcc, 0, v6
	v_cndmask_b32_e32 v6, v6, v7, vcc
	v_cndmask_b32_e32 v3, v5, v3, vcc
	v_mov_b32_e32 v5, 0x3b800000
	v_lshlrev_b32_e32 v3, 20, v3
	v_and_b32_e32 v2, 0x80000000, v2
	v_lshl_add_u32 v5, v6, 23, v5
	v_or3_b32 v2, v2, v5, v3
	v_cvt_i32_f32_e32 v2, v2
.LBB174_163:
	s_or_b64 exec, exec, s[0:1]
.LBB174_164:
	s_mov_b64 s[0:1], -1
.LBB174_165:
	s_branch .LBB174_198
.LBB174_166:
	s_cmp_gt_i32 s20, 22
	s_cbranch_scc0 .LBB174_174
; %bb.167:
	s_cmp_lt_i32 s20, 24
	s_cbranch_scc1 .LBB174_177
; %bb.168:
	s_cmp_gt_i32 s20, 24
	s_cbranch_scc0 .LBB174_178
; %bb.169:
	global_load_ubyte v3, v[0:1], off
	s_movk_i32 s0, 0x7f
	s_mov_b64 s[14:15], 0
	s_waitcnt vmcnt(0)
	v_cmp_lt_i16_e32 vcc, s0, v3
	s_and_saveexec_b64 s[0:1], vcc
	s_xor_b64 s[0:1], exec, s[0:1]
	s_cbranch_execz .LBB174_190
; %bb.170:
	s_movk_i32 s14, 0x80
	v_cmp_ne_u16_e32 vcc, s14, v3
	s_and_b64 s[14:15], vcc, exec
	s_andn2_saveexec_b64 s[0:1], s[0:1]
	s_cbranch_execnz .LBB174_191
.LBB174_171:
	s_or_b64 exec, exec, s[0:1]
	v_mov_b32_e32 v2, 0
	s_and_saveexec_b64 s[0:1], s[14:15]
	s_cbranch_execz .LBB174_173
.LBB174_172:
	v_lshlrev_b32_e32 v2, 24, v3
	v_and_b32_e32 v3, 0xffff, v3
	v_and_b32_e32 v5, 3, v3
	v_ffbh_u32_e32 v7, v5
	v_min_u32_e32 v7, 32, v7
	v_subrev_u32_e32 v8, 29, v7
	v_bfe_u32 v6, v3, 2, 5
	v_lshlrev_b32_e32 v3, v8, v3
	v_sub_u32_e32 v7, 30, v7
	v_and_b32_e32 v3, 3, v3
	v_cmp_eq_u32_e32 vcc, 0, v6
	v_cndmask_b32_e32 v6, v6, v7, vcc
	v_cndmask_b32_e32 v3, v5, v3, vcc
	v_mov_b32_e32 v5, 0x37800000
	v_lshlrev_b32_e32 v3, 21, v3
	v_and_b32_e32 v2, 0x80000000, v2
	v_lshl_add_u32 v5, v6, 23, v5
	v_or3_b32 v2, v2, v5, v3
	v_cvt_i32_f32_e32 v2, v2
.LBB174_173:
	s_or_b64 exec, exec, s[0:1]
	s_mov_b64 s[0:1], 0
	s_branch .LBB174_179
.LBB174_174:
	s_mov_b64 s[14:15], -1
                                        ; implicit-def: $vgpr2
	s_branch .LBB174_185
.LBB174_175:
	s_andn2_saveexec_b64 s[0:1], s[0:1]
	s_cbranch_execz .LBB174_161
.LBB174_176:
	v_cmp_ne_u16_e32 vcc, 0, v3
	s_andn2_b64 s[14:15], s[14:15], exec
	s_and_b64 s[24:25], vcc, exec
	s_or_b64 s[14:15], s[14:15], s[24:25]
	s_or_b64 exec, exec, s[0:1]
	v_mov_b32_e32 v2, 0
	s_and_saveexec_b64 s[0:1], s[14:15]
	s_cbranch_execnz .LBB174_162
	s_branch .LBB174_163
.LBB174_177:
	s_mov_b64 s[0:1], -1
                                        ; implicit-def: $vgpr2
	s_branch .LBB174_182
.LBB174_178:
	s_mov_b64 s[0:1], -1
                                        ; implicit-def: $vgpr2
.LBB174_179:
	s_and_b64 vcc, exec, s[0:1]
	s_cbranch_vccz .LBB174_181
; %bb.180:
	global_load_ubyte v2, v[0:1], off
	s_mov_b32 s0, 0x7f800000
	s_waitcnt vmcnt(0)
	v_lshlrev_b32_e32 v2, 24, v2
	v_and_b32_e32 v3, 0x7f000000, v2
	v_ffbh_u32_e32 v5, v3
	v_min_u32_e32 v5, 32, v5
	v_sub_u32_e64 v5, v5, 4 clamp
	v_lshlrev_b32_e32 v7, v5, v3
	v_lshlrev_b32_e32 v5, 23, v5
	v_lshrrev_b32_e32 v7, 4, v7
	v_add_u32_e32 v6, 0x1000000, v3
	v_sub_u32_e32 v5, v7, v5
	v_ashrrev_i32_e32 v6, 8, v6
	v_add_u32_e32 v5, 0x3c000000, v5
	v_and_or_b32 v5, v6, s0, v5
	v_cmp_ne_u32_e32 vcc, 0, v3
	v_cndmask_b32_e32 v3, 0, v5, vcc
	s_brev_b32 s0, 1
	v_and_or_b32 v2, v2, s0, v3
	v_cvt_i32_f32_e32 v2, v2
.LBB174_181:
	s_mov_b64 s[0:1], 0
.LBB174_182:
	s_andn2_b64 vcc, exec, s[0:1]
	s_cbranch_vccnz .LBB174_184
; %bb.183:
	global_load_ubyte v2, v[0:1], off
	s_movk_i32 s0, 0x7f00
	s_brev_b32 s1, 16
	s_waitcnt vmcnt(0)
	v_lshlrev_b16_e32 v3, 8, v2
	v_lshlrev_b32_e32 v2, 25, v2
	v_lshrrev_b32_e32 v5, 4, v2
	v_and_or_b32 v6, v3, s0, 0.5
	v_or_b32_e32 v5, 0x70000000, v5
	v_add_f32_e32 v6, -0.5, v6
	v_mul_f32_e32 v5, 0x7800000, v5
	v_cmp_gt_u32_e32 vcc, s1, v2
	v_bfe_i32 v3, v3, 0, 16
	v_cndmask_b32_e32 v2, v5, v6, vcc
	s_brev_b32 s0, 1
	v_and_or_b32 v2, v3, s0, v2
	v_cvt_i32_f32_e32 v2, v2
.LBB174_184:
	s_mov_b64 s[14:15], 0
	s_mov_b64 s[0:1], -1
.LBB174_185:
	s_andn2_b64 vcc, exec, s[14:15]
	s_cbranch_vccnz .LBB174_198
; %bb.186:
	s_cmp_gt_i32 s20, 14
	s_cbranch_scc0 .LBB174_189
; %bb.187:
	s_cmp_eq_u32 s20, 15
	s_cbranch_scc0 .LBB174_192
; %bb.188:
	global_load_ushort v2, v[0:1], off
	s_mov_b64 s[0:1], -1
	s_mov_b64 s[16:17], 0
	s_waitcnt vmcnt(0)
	v_lshlrev_b32_e32 v2, 16, v2
	v_cvt_i32_f32_e32 v2, v2
	s_branch .LBB174_193
.LBB174_189:
	s_mov_b64 s[14:15], -1
                                        ; implicit-def: $vgpr2
	s_branch .LBB174_194
.LBB174_190:
	s_andn2_saveexec_b64 s[0:1], s[0:1]
	s_cbranch_execz .LBB174_171
.LBB174_191:
	v_cmp_ne_u16_e32 vcc, 0, v3
	s_andn2_b64 s[14:15], s[14:15], exec
	s_and_b64 s[24:25], vcc, exec
	s_or_b64 s[14:15], s[14:15], s[24:25]
	s_or_b64 exec, exec, s[0:1]
	v_mov_b32_e32 v2, 0
	s_and_saveexec_b64 s[0:1], s[14:15]
	s_cbranch_execnz .LBB174_172
	s_branch .LBB174_173
.LBB174_192:
	s_mov_b64 s[16:17], -1
                                        ; implicit-def: $vgpr2
.LBB174_193:
	s_mov_b64 s[14:15], 0
.LBB174_194:
	s_and_b64 vcc, exec, s[14:15]
	s_cbranch_vccz .LBB174_198
; %bb.195:
	s_cmp_eq_u32 s20, 11
	s_cbranch_scc0 .LBB174_197
; %bb.196:
	global_load_ubyte v2, v[0:1], off
	s_mov_b64 s[0:1], -1
	s_mov_b64 s[16:17], 0
	s_waitcnt vmcnt(0)
	v_cmp_ne_u16_e32 vcc, 0, v2
	v_cndmask_b32_e64 v2, 0, 1, vcc
	s_branch .LBB174_198
.LBB174_197:
	s_mov_b64 s[16:17], -1
                                        ; implicit-def: $vgpr2
.LBB174_198:
	s_branch .LBB174_10
.LBB174_199:
	s_cmp_lt_i32 s20, 5
	s_cbranch_scc1 .LBB174_204
; %bb.200:
	s_cmp_lt_i32 s20, 8
	s_cbranch_scc1 .LBB174_205
; %bb.201:
	;; [unrolled: 3-line block ×3, first 2 shown]
	s_cmp_gt_i32 s20, 9
	s_cbranch_scc0 .LBB174_207
; %bb.203:
	global_load_dwordx2 v[2:3], v[0:1], off
	s_mov_b64 s[0:1], 0
	s_waitcnt vmcnt(0)
	v_cvt_i32_f64_e32 v2, v[2:3]
	s_branch .LBB174_208
.LBB174_204:
                                        ; implicit-def: $vgpr2
	s_branch .LBB174_226
.LBB174_205:
	s_mov_b64 s[0:1], -1
                                        ; implicit-def: $vgpr2
	s_branch .LBB174_214
.LBB174_206:
	s_mov_b64 s[0:1], -1
                                        ; implicit-def: $vgpr2
	s_branch .LBB174_211
.LBB174_207:
	s_mov_b64 s[0:1], -1
                                        ; implicit-def: $vgpr2
.LBB174_208:
	s_andn2_b64 vcc, exec, s[0:1]
	s_cbranch_vccnz .LBB174_210
; %bb.209:
	global_load_dword v2, v[0:1], off
	s_waitcnt vmcnt(0)
	v_cvt_i32_f32_e32 v2, v2
.LBB174_210:
	s_mov_b64 s[0:1], 0
.LBB174_211:
	s_andn2_b64 vcc, exec, s[0:1]
	s_cbranch_vccnz .LBB174_213
; %bb.212:
	global_load_dword v2, v[0:1], off
	s_waitcnt vmcnt(0)
	v_cvt_f32_f16_e32 v2, v2
	v_cvt_i32_f32_e32 v2, v2
.LBB174_213:
	s_mov_b64 s[0:1], 0
.LBB174_214:
	s_andn2_b64 vcc, exec, s[0:1]
	s_cbranch_vccnz .LBB174_225
; %bb.215:
	s_cmp_lt_i32 s20, 6
	s_cbranch_scc1 .LBB174_218
; %bb.216:
	s_cmp_gt_i32 s20, 6
	s_cbranch_scc0 .LBB174_219
; %bb.217:
	global_load_dwordx2 v[2:3], v[0:1], off
	s_mov_b64 s[0:1], 0
	s_waitcnt vmcnt(0)
	v_cvt_i32_f64_e32 v2, v[2:3]
	s_branch .LBB174_220
.LBB174_218:
	s_mov_b64 s[0:1], -1
                                        ; implicit-def: $vgpr2
	s_branch .LBB174_223
.LBB174_219:
	s_mov_b64 s[0:1], -1
                                        ; implicit-def: $vgpr2
.LBB174_220:
	s_andn2_b64 vcc, exec, s[0:1]
	s_cbranch_vccnz .LBB174_222
; %bb.221:
	global_load_dword v2, v[0:1], off
	s_waitcnt vmcnt(0)
	v_cvt_i32_f32_e32 v2, v2
.LBB174_222:
	s_mov_b64 s[0:1], 0
.LBB174_223:
	s_andn2_b64 vcc, exec, s[0:1]
	s_cbranch_vccnz .LBB174_225
; %bb.224:
	global_load_ushort v2, v[0:1], off
	s_waitcnt vmcnt(0)
	v_cvt_f32_f16_e32 v2, v2
	v_cvt_i32_f32_e32 v2, v2
.LBB174_225:
	s_cbranch_execnz .LBB174_245
.LBB174_226:
	s_cmp_lt_i32 s20, 2
	s_cbranch_scc1 .LBB174_230
; %bb.227:
	s_cmp_lt_i32 s20, 3
	s_cbranch_scc1 .LBB174_231
; %bb.228:
	s_cmp_gt_i32 s20, 3
	s_cbranch_scc0 .LBB174_232
; %bb.229:
	global_load_dword v2, v[0:1], off
	s_mov_b64 s[0:1], 0
	s_branch .LBB174_233
.LBB174_230:
	s_mov_b64 s[0:1], -1
                                        ; implicit-def: $vgpr2
	s_branch .LBB174_239
.LBB174_231:
	s_mov_b64 s[0:1], -1
                                        ; implicit-def: $vgpr2
	s_branch .LBB174_236
.LBB174_232:
	s_mov_b64 s[0:1], -1
                                        ; implicit-def: $vgpr2
.LBB174_233:
	s_andn2_b64 vcc, exec, s[0:1]
	s_cbranch_vccnz .LBB174_235
; %bb.234:
	global_load_dword v2, v[0:1], off
.LBB174_235:
	s_mov_b64 s[0:1], 0
.LBB174_236:
	s_andn2_b64 vcc, exec, s[0:1]
	s_cbranch_vccnz .LBB174_238
; %bb.237:
	global_load_sshort v2, v[0:1], off
.LBB174_238:
	s_mov_b64 s[0:1], 0
.LBB174_239:
	s_andn2_b64 vcc, exec, s[0:1]
	s_cbranch_vccnz .LBB174_245
; %bb.240:
	s_cmp_gt_i32 s20, 0
	s_cbranch_scc0 .LBB174_242
; %bb.241:
	global_load_sbyte v2, v[0:1], off
	s_mov_b64 s[0:1], 0
	s_branch .LBB174_243
.LBB174_242:
	s_mov_b64 s[0:1], -1
                                        ; implicit-def: $vgpr2
.LBB174_243:
	s_andn2_b64 vcc, exec, s[0:1]
	s_cbranch_vccnz .LBB174_245
; %bb.244:
	global_load_ubyte v2, v[0:1], off
.LBB174_245:
	s_branch .LBB174_11
.LBB174_246:
	s_mov_b64 s[0:1], 0
                                        ; implicit-def: $vgpr4
	s_mov_b64 s[20:21], 0
.LBB174_247:
	s_and_b64 s[14:15], s[0:1], exec
	s_and_b64 s[16:17], s[16:17], exec
	s_orn2_b64 s[20:21], s[20:21], exec
.LBB174_248:
	s_or_b64 exec, exec, s[18:19]
	s_mov_b64 s[24:25], 0
	s_mov_b64 s[0:1], 0
                                        ; implicit-def: $vgpr0_vgpr1
                                        ; implicit-def: $vgpr5
	s_and_saveexec_b64 s[18:19], s[20:21]
	s_cbranch_execz .LBB174_257
; %bb.249:
	v_cmp_gt_i32_e32 vcc, s40, v4
	s_mov_b64 s[0:1], -1
	s_mov_b64 s[20:21], s[16:17]
	s_mov_b64 s[22:23], s[14:15]
	s_and_saveexec_b64 s[24:25], vcc
	s_cbranch_execz .LBB174_505
; %bb.250:
	v_mul_lo_u32 v0, v4, s13
	v_mov_b32_e32 v1, s11
	s_and_b32 s26, 0xffff, s33
	s_cmp_lt_i32 s26, 11
	s_waitcnt vmcnt(0)
	v_ashrrev_i32_e32 v2, 31, v0
	v_add_co_u32_e32 v0, vcc, s10, v0
	v_addc_co_u32_e32 v1, vcc, v1, v2, vcc
	s_cbranch_scc1 .LBB174_260
; %bb.251:
	s_cmp_gt_i32 s26, 25
	s_cbranch_scc0 .LBB174_269
; %bb.252:
	s_cmp_gt_i32 s26, 28
	s_cbranch_scc0 .LBB174_271
	;; [unrolled: 3-line block ×4, first 2 shown]
; %bb.255:
	s_cmp_eq_u32 s26, 46
	s_mov_b64 s[22:23], 0
	s_cbranch_scc0 .LBB174_281
; %bb.256:
	global_load_dword v2, v[0:1], off
	s_mov_b64 s[20:21], 0
	s_waitcnt vmcnt(0)
	v_lshlrev_b32_e32 v2, 16, v2
	v_cvt_i32_f32_e32 v2, v2
	s_branch .LBB174_282
.LBB174_257:
	s_or_b64 exec, exec, s[18:19]
	s_mov_b64 s[18:19], 0
	s_and_saveexec_b64 s[20:21], s[16:17]
	s_cbranch_execnz .LBB174_843
.LBB174_258:
	s_or_b64 exec, exec, s[20:21]
	s_and_saveexec_b64 s[16:17], s[22:23]
	s_xor_b64 s[16:17], exec, s[16:17]
	s_cbranch_execz .LBB174_844
.LBB174_259:
	global_load_ubyte v2, v[0:1], off
	s_or_b64 s[0:1], s[0:1], exec
	s_waitcnt vmcnt(0)
	v_cmp_ne_u16_e32 vcc, 0, v2
	v_cndmask_b32_e64 v5, 0, 1, vcc
	s_or_b64 exec, exec, s[16:17]
	s_and_saveexec_b64 s[16:17], s[24:25]
	s_cbranch_execz .LBB174_890
	s_branch .LBB174_845
.LBB174_260:
	s_mov_b64 s[0:1], 0
                                        ; implicit-def: $vgpr2
	s_mov_b64 s[20:21], s[16:17]
	s_cbranch_execnz .LBB174_455
.LBB174_261:
	s_andn2_b64 vcc, exec, s[0:1]
	s_cbranch_vccnz .LBB174_503
.LBB174_262:
	v_mul_lo_u32 v1, v4, s12
	s_waitcnt vmcnt(0)
	v_min_u32_e32 v0, 31, v2
	v_mov_b32_e32 v3, s9
	s_and_b32 s30, s3, 0xff
	v_ashrrev_i32_e32 v5, 31, v1
	v_add_co_u32_e32 v2, vcc, s8, v1
	v_ashrrev_i32_e64 v0, v0, s2
	s_cmp_lt_i32 s30, 11
	v_addc_co_u32_e32 v3, vcc, v3, v5, vcc
	s_cbranch_scc1 .LBB174_270
; %bb.263:
	s_and_b32 s31, 0xffff, s30
	s_cmp_gt_i32 s31, 25
	s_cbranch_scc0 .LBB174_272
; %bb.264:
	s_cmp_gt_i32 s31, 28
	s_cbranch_scc0 .LBB174_274
; %bb.265:
	;; [unrolled: 3-line block ×4, first 2 shown]
	s_mov_b64 s[26:27], 0
	s_mov_b64 s[0:1], -1
	s_cmp_eq_u32 s31, 46
	s_mov_b64 s[22:23], 0
	s_cbranch_scc0 .LBB174_286
; %bb.268:
	v_cvt_f32_i32_e32 v1, v0
	s_movk_i32 s0, 0x7fff
	s_mov_b64 s[22:23], -1
	v_bfe_u32 v5, v1, 16, 1
	v_add3_u32 v1, v1, v5, s0
	v_lshrrev_b32_e32 v1, 16, v1
	global_store_dword v[2:3], v1, off
	s_mov_b64 s[0:1], 0
	s_branch .LBB174_286
.LBB174_269:
	s_mov_b64 s[22:23], -1
	s_mov_b64 s[0:1], 0
	s_mov_b64 s[20:21], s[16:17]
                                        ; implicit-def: $vgpr2
	s_branch .LBB174_421
.LBB174_270:
	s_mov_b64 s[26:27], -1
	s_mov_b64 s[22:23], 0
	s_mov_b64 s[0:1], s[14:15]
	s_branch .LBB174_355
.LBB174_271:
	s_mov_b64 s[22:23], -1
	s_mov_b64 s[0:1], 0
	s_mov_b64 s[20:21], s[16:17]
                                        ; implicit-def: $vgpr2
	s_branch .LBB174_404
.LBB174_272:
	s_mov_b64 s[26:27], -1
	s_mov_b64 s[22:23], 0
	s_mov_b64 s[0:1], s[14:15]
	s_branch .LBB174_313
.LBB174_273:
	s_mov_b64 s[22:23], -1
	s_mov_b64 s[0:1], 0
	s_mov_b64 s[20:21], s[16:17]
                                        ; implicit-def: $vgpr2
	s_branch .LBB174_399
.LBB174_274:
	s_mov_b64 s[26:27], -1
	s_mov_b64 s[22:23], 0
	s_mov_b64 s[0:1], s[14:15]
	s_branch .LBB174_296
.LBB174_275:
	s_andn2_saveexec_b64 s[24:25], s[24:25]
	s_cbranch_execz .LBB174_55
.LBB174_276:
	s_mov_b32 s28, 0x46000000
	v_add_f32_e64 v5, |v1|, s28
	v_and_b32_e32 v5, 0xff, v5
	v_cmp_ne_u32_e32 vcc, 0, v5
	s_andn2_b64 s[20:21], s[20:21], exec
	s_and_b64 s[28:29], vcc, exec
	s_or_b64 s[20:21], s[20:21], s[28:29]
	s_or_b64 exec, exec, s[24:25]
	v_mov_b32_e32 v6, 0
	s_and_saveexec_b64 s[24:25], s[20:21]
	s_cbranch_execnz .LBB174_56
	s_branch .LBB174_57
.LBB174_277:
	s_mov_b64 s[22:23], -1
	s_mov_b64 s[0:1], 0
	s_mov_b64 s[20:21], s[16:17]
                                        ; implicit-def: $vgpr2
	s_branch .LBB174_282
.LBB174_278:
	s_mov_b64 s[26:27], -1
	s_mov_b64 s[22:23], 0
	s_mov_b64 s[0:1], s[14:15]
	s_branch .LBB174_292
.LBB174_279:
	s_andn2_saveexec_b64 s[24:25], s[24:25]
	s_cbranch_execz .LBB174_68
.LBB174_280:
	s_mov_b32 s28, 0x42800000
	v_add_f32_e64 v5, |v1|, s28
	v_and_b32_e32 v5, 0xff, v5
	v_cmp_ne_u32_e32 vcc, 0, v5
	s_andn2_b64 s[20:21], s[20:21], exec
	s_and_b64 s[28:29], vcc, exec
	s_or_b64 s[20:21], s[20:21], s[28:29]
	s_or_b64 exec, exec, s[24:25]
	v_mov_b32_e32 v6, 0
	s_and_saveexec_b64 s[24:25], s[20:21]
	s_cbranch_execnz .LBB174_69
	s_branch .LBB174_70
.LBB174_281:
	s_mov_b64 s[20:21], -1
                                        ; implicit-def: $vgpr2
	s_mov_b64 s[0:1], 0
.LBB174_282:
	s_and_b64 vcc, exec, s[22:23]
	s_cbranch_vccz .LBB174_398
; %bb.283:
	s_cmp_eq_u32 s26, 44
	s_cbranch_scc0 .LBB174_397
; %bb.284:
	global_load_ubyte v2, v[0:1], off
	s_mov_b64 s[0:1], -1
	s_mov_b64 s[20:21], 0
	s_waitcnt vmcnt(0)
	v_lshlrev_b32_e32 v3, 23, v2
	v_cvt_i32_f32_e32 v3, v3
	v_cmp_ne_u32_e32 vcc, 0, v2
	v_cndmask_b32_e32 v2, 0, v3, vcc
	s_branch .LBB174_398
.LBB174_285:
	s_mov_b64 s[26:27], -1
	s_mov_b64 s[22:23], 0
	s_mov_b64 s[0:1], s[14:15]
.LBB174_286:
	s_and_b64 vcc, exec, s[26:27]
	s_cbranch_vccz .LBB174_291
; %bb.287:
	s_cmp_eq_u32 s31, 44
	s_mov_b64 s[0:1], -1
	s_cbranch_scc0 .LBB174_291
; %bb.288:
	v_cvt_f32_i32_e32 v1, v0
	s_movk_i32 s0, 0xff
	v_mov_b32_e32 v6, 0xff
	v_bfe_u32 v5, v1, 23, 8
	v_cmp_ne_u32_e32 vcc, s0, v5
	s_and_saveexec_b64 s[22:23], vcc
; %bb.289:
	s_mov_b32 s0, 0x3fffff
	v_lshrrev_b32_e32 v6, 23, v1
	v_and_b32_e32 v7, 0x400000, v1
	v_and_or_b32 v1, v1, s0, v5
	v_cmp_ne_u32_e32 vcc, 0, v7
	v_cmp_ne_u32_e64 s[0:1], 0, v1
	s_and_b64 s[0:1], vcc, s[0:1]
	v_cndmask_b32_e64 v1, 0, 1, s[0:1]
	v_add_u32_e32 v6, v6, v1
; %bb.290:
	s_or_b64 exec, exec, s[22:23]
	s_mov_b64 s[22:23], -1
	s_mov_b64 s[0:1], 0
	global_store_byte v[2:3], v6, off
.LBB174_291:
	s_mov_b64 s[26:27], 0
.LBB174_292:
	s_and_b64 vcc, exec, s[26:27]
	s_cbranch_vccz .LBB174_295
; %bb.293:
	s_cmp_eq_u32 s31, 29
	s_mov_b64 s[0:1], -1
	s_cbranch_scc0 .LBB174_295
; %bb.294:
	v_ashrrev_i32_e32 v1, 31, v0
	global_store_dwordx2 v[2:3], v[0:1], off
	s_mov_b64 s[22:23], -1
	s_mov_b64 s[0:1], 0
.LBB174_295:
	s_mov_b64 s[26:27], 0
.LBB174_296:
	s_and_b64 vcc, exec, s[26:27]
	s_cbranch_vccz .LBB174_312
; %bb.297:
	s_cmp_lt_i32 s31, 27
	s_mov_b64 s[22:23], -1
	s_cbranch_scc1 .LBB174_303
; %bb.298:
	s_cmp_gt_i32 s31, 27
	s_cbranch_scc0 .LBB174_300
; %bb.299:
	s_mov_b64 s[22:23], 0
	global_store_dword v[2:3], v0, off
.LBB174_300:
	s_andn2_b64 vcc, exec, s[22:23]
	s_cbranch_vccnz .LBB174_302
; %bb.301:
	global_store_short v[2:3], v0, off
.LBB174_302:
	s_mov_b64 s[22:23], 0
.LBB174_303:
	s_andn2_b64 vcc, exec, s[22:23]
	s_cbranch_vccnz .LBB174_311
; %bb.304:
	v_cvt_f32_i32_e32 v1, v0
	s_mov_b32 s22, 0x43800000
	v_mov_b32_e32 v6, 0x80
	v_and_b32_e32 v5, 0x7fffffff, v1
	v_cmp_gt_u32_e32 vcc, s22, v5
	s_and_saveexec_b64 s[22:23], vcc
	s_cbranch_execz .LBB174_310
; %bb.305:
	s_mov_b32 s26, 0x3bffffff
	v_cmp_lt_u32_e32 vcc, s26, v5
	s_mov_b64 s[26:27], 0
                                        ; implicit-def: $vgpr5
	s_and_saveexec_b64 s[28:29], vcc
	s_xor_b64 s[28:29], exec, s[28:29]
	s_cbranch_execz .LBB174_518
; %bb.306:
	v_bfe_u32 v5, v1, 20, 1
	s_mov_b32 s34, 0x487ffff
	v_add3_u32 v5, v1, v5, s34
	s_mov_b64 s[26:27], exec
	v_lshrrev_b32_e32 v5, 20, v5
	s_andn2_saveexec_b64 s[28:29], s[28:29]
	s_cbranch_execnz .LBB174_519
.LBB174_307:
	s_or_b64 exec, exec, s[28:29]
	v_mov_b32_e32 v6, 0
	s_and_saveexec_b64 s[28:29], s[26:27]
.LBB174_308:
	v_lshrrev_b32_e32 v1, 24, v1
	s_movk_i32 s26, 0x80
	v_and_or_b32 v6, v1, s26, v5
.LBB174_309:
	s_or_b64 exec, exec, s[28:29]
.LBB174_310:
	s_or_b64 exec, exec, s[22:23]
	global_store_byte v[2:3], v6, off
.LBB174_311:
	s_mov_b64 s[22:23], -1
.LBB174_312:
	s_mov_b64 s[26:27], 0
.LBB174_313:
	s_and_b64 vcc, exec, s[26:27]
	s_cbranch_vccz .LBB174_354
; %bb.314:
	s_cmp_gt_i32 s31, 22
	s_mov_b64 s[26:27], -1
	s_cbranch_scc0 .LBB174_346
; %bb.315:
	s_cmp_lt_i32 s31, 24
	s_mov_b64 s[22:23], -1
	s_cbranch_scc1 .LBB174_335
; %bb.316:
	s_cmp_gt_i32 s31, 24
	s_cbranch_scc0 .LBB174_324
; %bb.317:
	v_cvt_f32_i32_e32 v1, v0
	s_mov_b32 s22, 0x47800000
	v_mov_b32_e32 v6, 0x80
	v_and_b32_e32 v5, 0x7fffffff, v1
	v_cmp_gt_u32_e32 vcc, s22, v5
	s_and_saveexec_b64 s[22:23], vcc
	s_cbranch_execz .LBB174_323
; %bb.318:
	s_mov_b32 s26, 0x37ffffff
	v_cmp_lt_u32_e32 vcc, s26, v5
	s_mov_b64 s[26:27], 0
                                        ; implicit-def: $vgpr5
	s_and_saveexec_b64 s[28:29], vcc
	s_xor_b64 s[28:29], exec, s[28:29]
	s_cbranch_execz .LBB174_521
; %bb.319:
	v_bfe_u32 v5, v1, 21, 1
	s_mov_b32 s34, 0x88fffff
	v_add3_u32 v5, v1, v5, s34
	s_mov_b64 s[26:27], exec
	v_lshrrev_b32_e32 v5, 21, v5
	s_andn2_saveexec_b64 s[28:29], s[28:29]
	s_cbranch_execnz .LBB174_522
.LBB174_320:
	s_or_b64 exec, exec, s[28:29]
	v_mov_b32_e32 v6, 0
	s_and_saveexec_b64 s[28:29], s[26:27]
.LBB174_321:
	v_lshrrev_b32_e32 v1, 24, v1
	s_movk_i32 s26, 0x80
	v_and_or_b32 v6, v1, s26, v5
.LBB174_322:
	s_or_b64 exec, exec, s[28:29]
.LBB174_323:
	s_or_b64 exec, exec, s[22:23]
	s_mov_b64 s[22:23], 0
	global_store_byte v[2:3], v6, off
.LBB174_324:
	s_and_b64 vcc, exec, s[22:23]
	s_cbranch_vccz .LBB174_334
; %bb.325:
	v_cvt_f32_i32_e32 v1, v0
	s_mov_b32 s22, 0x43f00000
                                        ; implicit-def: $vgpr5
	v_and_b32_e32 v6, 0x7fffffff, v1
	v_cmp_gt_u32_e32 vcc, s22, v6
	s_and_saveexec_b64 s[22:23], vcc
	s_xor_b64 s[22:23], exec, s[22:23]
	s_cbranch_execz .LBB174_331
; %bb.326:
	s_mov_b32 s26, 0x3c7fffff
	v_cmp_lt_u32_e32 vcc, s26, v6
                                        ; implicit-def: $vgpr5
	s_and_saveexec_b64 s[26:27], vcc
	s_xor_b64 s[26:27], exec, s[26:27]
; %bb.327:
	v_bfe_u32 v5, v1, 20, 1
	s_mov_b32 s28, 0x407ffff
	v_add3_u32 v5, v1, v5, s28
	v_lshrrev_b32_e32 v6, 20, v5
	v_and_b32_e32 v5, 0xff00000, v5
	s_mov_b32 s28, 0x7f00000
	v_mov_b32_e32 v7, 0x7e
	v_cmp_ne_u32_e32 vcc, s28, v5
	v_cndmask_b32_e32 v5, v7, v6, vcc
; %bb.328:
	s_andn2_saveexec_b64 s[26:27], s[26:27]
; %bb.329:
	s_mov_b32 s28, 0x46800000
	v_add_f32_e64 v5, |v1|, s28
; %bb.330:
	s_or_b64 exec, exec, s[26:27]
                                        ; implicit-def: $vgpr6
.LBB174_331:
	s_andn2_saveexec_b64 s[22:23], s[22:23]
; %bb.332:
	s_mov_b32 s26, 0x7f800000
	v_mov_b32_e32 v5, 0x7e
	v_mov_b32_e32 v7, 0x7f
	v_cmp_lt_u32_e32 vcc, s26, v6
	v_cndmask_b32_e32 v5, v5, v7, vcc
; %bb.333:
	s_or_b64 exec, exec, s[22:23]
	v_lshrrev_b32_e32 v1, 24, v1
	s_movk_i32 s22, 0x80
	v_and_or_b32 v1, v1, s22, v5
	global_store_byte v[2:3], v1, off
.LBB174_334:
	s_mov_b64 s[22:23], 0
.LBB174_335:
	s_andn2_b64 vcc, exec, s[22:23]
	s_cbranch_vccnz .LBB174_345
; %bb.336:
	v_cvt_f32_i32_e32 v1, v0
	s_mov_b32 s22, 0x47800000
                                        ; implicit-def: $vgpr5
	v_and_b32_e32 v6, 0x7fffffff, v1
	v_cmp_gt_u32_e32 vcc, s22, v6
	s_and_saveexec_b64 s[22:23], vcc
	s_xor_b64 s[22:23], exec, s[22:23]
	s_cbranch_execz .LBB174_342
; %bb.337:
	s_mov_b32 s26, 0x387fffff
	v_cmp_lt_u32_e32 vcc, s26, v6
                                        ; implicit-def: $vgpr5
	s_and_saveexec_b64 s[26:27], vcc
	s_xor_b64 s[26:27], exec, s[26:27]
; %bb.338:
	v_bfe_u32 v5, v1, 21, 1
	s_mov_b32 s28, 0x80fffff
	v_add3_u32 v5, v1, v5, s28
	v_lshrrev_b32_e32 v5, 21, v5
; %bb.339:
	s_andn2_saveexec_b64 s[26:27], s[26:27]
; %bb.340:
	s_mov_b32 s28, 0x43000000
	v_add_f32_e64 v5, |v1|, s28
; %bb.341:
	s_or_b64 exec, exec, s[26:27]
                                        ; implicit-def: $vgpr6
.LBB174_342:
	s_andn2_saveexec_b64 s[22:23], s[22:23]
; %bb.343:
	s_mov_b32 s26, 0x7f800000
	v_mov_b32_e32 v5, 0x7c
	v_mov_b32_e32 v7, 0x7f
	v_cmp_lt_u32_e32 vcc, s26, v6
	v_cndmask_b32_e32 v5, v5, v7, vcc
; %bb.344:
	s_or_b64 exec, exec, s[22:23]
	v_lshrrev_b32_e32 v1, 24, v1
	s_movk_i32 s22, 0x80
	v_and_or_b32 v1, v1, s22, v5
	global_store_byte v[2:3], v1, off
.LBB174_345:
	s_mov_b64 s[26:27], 0
	s_mov_b64 s[22:23], -1
.LBB174_346:
	s_andn2_b64 vcc, exec, s[26:27]
	s_cbranch_vccnz .LBB174_354
; %bb.347:
	s_cmp_gt_i32 s31, 14
	s_mov_b64 s[26:27], -1
	s_cbranch_scc0 .LBB174_351
; %bb.348:
	s_cmp_eq_u32 s31, 15
	s_mov_b64 s[0:1], -1
	s_cbranch_scc0 .LBB174_350
; %bb.349:
	v_cvt_f32_i32_e32 v1, v0
	s_movk_i32 s0, 0x7fff
	s_mov_b64 s[22:23], -1
	v_bfe_u32 v5, v1, 16, 1
	v_add3_u32 v1, v1, v5, s0
	global_store_short_d16_hi v[2:3], v1, off
	s_mov_b64 s[0:1], 0
.LBB174_350:
	s_mov_b64 s[26:27], 0
.LBB174_351:
	s_and_b64 vcc, exec, s[26:27]
	s_cbranch_vccz .LBB174_354
; %bb.352:
	s_cmp_eq_u32 s31, 11
	s_mov_b64 s[0:1], -1
	s_cbranch_scc0 .LBB174_354
; %bb.353:
	v_cmp_ne_u32_e32 vcc, 0, v0
	v_cndmask_b32_e64 v1, 0, 1, vcc
	s_mov_b64 s[22:23], -1
	s_mov_b64 s[0:1], 0
	global_store_byte v[2:3], v1, off
.LBB174_354:
	s_mov_b64 s[26:27], 0
.LBB174_355:
	s_and_b64 vcc, exec, s[26:27]
	s_cbranch_vccz .LBB174_394
; %bb.356:
	s_and_b32 s26, 0xffff, s30
	s_cmp_lt_i32 s26, 5
	s_mov_b64 s[22:23], -1
	s_cbranch_scc1 .LBB174_377
; %bb.357:
	s_cmp_lt_i32 s26, 8
	s_cbranch_scc1 .LBB174_367
; %bb.358:
	s_cmp_lt_i32 s26, 9
	s_cbranch_scc1 .LBB174_364
; %bb.359:
	s_cmp_gt_i32 s26, 9
	s_cbranch_scc0 .LBB174_361
; %bb.360:
	v_cvt_f64_i32_e32 v[5:6], v0
	v_mov_b32_e32 v7, 0
	v_mov_b32_e32 v8, v7
	s_mov_b64 s[22:23], 0
	global_store_dwordx4 v[2:3], v[5:8], off
.LBB174_361:
	s_andn2_b64 vcc, exec, s[22:23]
	s_cbranch_vccnz .LBB174_363
; %bb.362:
	v_cvt_f32_i32_e32 v5, v0
	v_mov_b32_e32 v6, 0
	global_store_dwordx2 v[2:3], v[5:6], off
.LBB174_363:
	s_mov_b64 s[22:23], 0
.LBB174_364:
	s_andn2_b64 vcc, exec, s[22:23]
	s_cbranch_vccnz .LBB174_366
; %bb.365:
	v_cvt_f32_i32_e32 v1, v0
	v_cvt_f16_f32_e32 v1, v1
	global_store_dword v[2:3], v1, off
.LBB174_366:
	s_mov_b64 s[22:23], 0
.LBB174_367:
	s_andn2_b64 vcc, exec, s[22:23]
	s_cbranch_vccnz .LBB174_376
; %bb.368:
	s_cmp_lt_i32 s26, 6
	s_mov_b64 s[22:23], -1
	s_cbranch_scc1 .LBB174_374
; %bb.369:
	s_cmp_gt_i32 s26, 6
	s_cbranch_scc0 .LBB174_371
; %bb.370:
	v_cvt_f64_i32_e32 v[5:6], v0
	s_mov_b64 s[22:23], 0
	global_store_dwordx2 v[2:3], v[5:6], off
.LBB174_371:
	s_andn2_b64 vcc, exec, s[22:23]
	s_cbranch_vccnz .LBB174_373
; %bb.372:
	v_cvt_f32_i32_e32 v1, v0
	global_store_dword v[2:3], v1, off
.LBB174_373:
	s_mov_b64 s[22:23], 0
.LBB174_374:
	s_andn2_b64 vcc, exec, s[22:23]
	s_cbranch_vccnz .LBB174_376
; %bb.375:
	v_cvt_f32_i32_e32 v1, v0
	v_cvt_f16_f32_e32 v1, v1
	global_store_short v[2:3], v1, off
.LBB174_376:
	s_mov_b64 s[22:23], 0
.LBB174_377:
	s_andn2_b64 vcc, exec, s[22:23]
	s_cbranch_vccnz .LBB174_393
; %bb.378:
	s_cmp_lt_i32 s26, 2
	s_mov_b64 s[22:23], -1
	s_cbranch_scc1 .LBB174_388
; %bb.379:
	s_cmp_lt_i32 s26, 3
	s_cbranch_scc1 .LBB174_385
; %bb.380:
	s_cmp_gt_i32 s26, 3
	s_cbranch_scc0 .LBB174_382
; %bb.381:
	v_ashrrev_i32_e32 v1, 31, v0
	s_mov_b64 s[22:23], 0
	global_store_dwordx2 v[2:3], v[0:1], off
.LBB174_382:
	s_andn2_b64 vcc, exec, s[22:23]
	s_cbranch_vccnz .LBB174_384
; %bb.383:
	global_store_dword v[2:3], v0, off
.LBB174_384:
	s_mov_b64 s[22:23], 0
.LBB174_385:
	s_andn2_b64 vcc, exec, s[22:23]
	s_cbranch_vccnz .LBB174_387
; %bb.386:
	global_store_short v[2:3], v0, off
.LBB174_387:
	s_mov_b64 s[22:23], 0
.LBB174_388:
	s_andn2_b64 vcc, exec, s[22:23]
	s_cbranch_vccnz .LBB174_393
; %bb.389:
	s_cmp_gt_i32 s26, 0
	s_mov_b64 s[22:23], -1
	s_cbranch_scc0 .LBB174_391
; %bb.390:
	s_mov_b64 s[22:23], 0
	global_store_byte v[2:3], v0, off
.LBB174_391:
	s_andn2_b64 vcc, exec, s[22:23]
	s_cbranch_vccnz .LBB174_393
; %bb.392:
	global_store_byte v[2:3], v0, off
.LBB174_393:
	s_mov_b64 s[22:23], -1
.LBB174_394:
	s_andn2_b64 vcc, exec, s[22:23]
	s_cbranch_vccnz .LBB174_396
; %bb.395:
	v_add_u32_e32 v4, 0x80, v4
	s_mov_b64 s[26:27], -1
	s_branch .LBB174_504
.LBB174_396:
	s_mov_b64 s[26:27], 0
                                        ; implicit-def: $vgpr4
	s_branch .LBB174_504
.LBB174_397:
	s_mov_b64 s[20:21], -1
                                        ; implicit-def: $vgpr2
.LBB174_398:
	s_mov_b64 s[22:23], 0
.LBB174_399:
	s_and_b64 vcc, exec, s[22:23]
	s_cbranch_vccz .LBB174_403
; %bb.400:
	s_cmp_eq_u32 s26, 29
	s_cbranch_scc0 .LBB174_402
; %bb.401:
	global_load_dword v2, v[0:1], off
	s_mov_b64 s[0:1], -1
	s_mov_b64 s[20:21], 0
	s_branch .LBB174_403
.LBB174_402:
	s_mov_b64 s[20:21], -1
                                        ; implicit-def: $vgpr2
.LBB174_403:
	s_mov_b64 s[22:23], 0
.LBB174_404:
	s_and_b64 vcc, exec, s[22:23]
	s_cbranch_vccz .LBB174_420
; %bb.405:
	s_cmp_lt_i32 s26, 27
	s_cbranch_scc1 .LBB174_408
; %bb.406:
	s_cmp_gt_i32 s26, 27
	s_cbranch_scc0 .LBB174_409
; %bb.407:
	global_load_dword v2, v[0:1], off
	s_mov_b64 s[0:1], 0
	s_branch .LBB174_410
.LBB174_408:
	s_mov_b64 s[0:1], -1
                                        ; implicit-def: $vgpr2
	s_branch .LBB174_413
.LBB174_409:
	s_mov_b64 s[0:1], -1
                                        ; implicit-def: $vgpr2
.LBB174_410:
	s_andn2_b64 vcc, exec, s[0:1]
	s_cbranch_vccnz .LBB174_412
; %bb.411:
	global_load_ushort v2, v[0:1], off
.LBB174_412:
	s_mov_b64 s[0:1], 0
.LBB174_413:
	s_andn2_b64 vcc, exec, s[0:1]
	s_cbranch_vccnz .LBB174_419
; %bb.414:
	global_load_ubyte v3, v[0:1], off
	s_movk_i32 s0, 0x7f
	s_mov_b64 s[22:23], 0
	s_waitcnt vmcnt(0)
	v_cmp_lt_i16_e32 vcc, s0, v3
	s_and_saveexec_b64 s[0:1], vcc
	s_xor_b64 s[0:1], exec, s[0:1]
	s_cbranch_execz .LBB174_431
; %bb.415:
	s_movk_i32 s22, 0x80
	v_cmp_ne_u16_e32 vcc, s22, v3
	s_and_b64 s[22:23], vcc, exec
	s_andn2_saveexec_b64 s[0:1], s[0:1]
	s_cbranch_execnz .LBB174_432
.LBB174_416:
	s_or_b64 exec, exec, s[0:1]
	v_mov_b32_e32 v2, 0
	s_and_saveexec_b64 s[0:1], s[22:23]
	s_cbranch_execz .LBB174_418
.LBB174_417:
	v_lshlrev_b32_e32 v2, 24, v3
	v_and_b32_e32 v3, 0xffff, v3
	v_and_b32_e32 v5, 7, v3
	v_ffbh_u32_e32 v7, v5
	v_min_u32_e32 v7, 32, v7
	v_subrev_u32_e32 v8, 28, v7
	v_bfe_u32 v6, v3, 3, 4
	v_lshlrev_b32_e32 v3, v8, v3
	v_sub_u32_e32 v7, 29, v7
	v_and_b32_e32 v3, 7, v3
	v_cmp_eq_u32_e32 vcc, 0, v6
	v_cndmask_b32_e32 v6, v6, v7, vcc
	v_cndmask_b32_e32 v3, v5, v3, vcc
	v_mov_b32_e32 v5, 0x3b800000
	v_lshlrev_b32_e32 v3, 20, v3
	v_and_b32_e32 v2, 0x80000000, v2
	v_lshl_add_u32 v5, v6, 23, v5
	v_or3_b32 v2, v2, v5, v3
	v_cvt_i32_f32_e32 v2, v2
.LBB174_418:
	s_or_b64 exec, exec, s[0:1]
.LBB174_419:
	s_mov_b64 s[0:1], -1
.LBB174_420:
	s_mov_b64 s[22:23], 0
.LBB174_421:
	s_and_b64 vcc, exec, s[22:23]
	s_cbranch_vccz .LBB174_454
; %bb.422:
	s_cmp_gt_i32 s26, 22
	s_cbranch_scc0 .LBB174_430
; %bb.423:
	s_cmp_lt_i32 s26, 24
	s_cbranch_scc1 .LBB174_433
; %bb.424:
	s_cmp_gt_i32 s26, 24
	s_cbranch_scc0 .LBB174_434
; %bb.425:
	global_load_ubyte v3, v[0:1], off
	s_movk_i32 s0, 0x7f
	s_mov_b64 s[22:23], 0
	s_waitcnt vmcnt(0)
	v_cmp_lt_i16_e32 vcc, s0, v3
	s_and_saveexec_b64 s[0:1], vcc
	s_xor_b64 s[0:1], exec, s[0:1]
	s_cbranch_execz .LBB174_446
; %bb.426:
	s_movk_i32 s22, 0x80
	v_cmp_ne_u16_e32 vcc, s22, v3
	s_and_b64 s[22:23], vcc, exec
	s_andn2_saveexec_b64 s[0:1], s[0:1]
	s_cbranch_execnz .LBB174_447
.LBB174_427:
	s_or_b64 exec, exec, s[0:1]
	v_mov_b32_e32 v2, 0
	s_and_saveexec_b64 s[0:1], s[22:23]
	s_cbranch_execz .LBB174_429
.LBB174_428:
	v_lshlrev_b32_e32 v2, 24, v3
	v_and_b32_e32 v3, 0xffff, v3
	v_and_b32_e32 v5, 3, v3
	v_ffbh_u32_e32 v7, v5
	v_min_u32_e32 v7, 32, v7
	v_subrev_u32_e32 v8, 29, v7
	v_bfe_u32 v6, v3, 2, 5
	v_lshlrev_b32_e32 v3, v8, v3
	v_sub_u32_e32 v7, 30, v7
	v_and_b32_e32 v3, 3, v3
	v_cmp_eq_u32_e32 vcc, 0, v6
	v_cndmask_b32_e32 v6, v6, v7, vcc
	v_cndmask_b32_e32 v3, v5, v3, vcc
	v_mov_b32_e32 v5, 0x37800000
	v_lshlrev_b32_e32 v3, 21, v3
	v_and_b32_e32 v2, 0x80000000, v2
	v_lshl_add_u32 v5, v6, 23, v5
	v_or3_b32 v2, v2, v5, v3
	v_cvt_i32_f32_e32 v2, v2
.LBB174_429:
	s_or_b64 exec, exec, s[0:1]
	s_mov_b64 s[0:1], 0
	s_branch .LBB174_435
.LBB174_430:
	s_mov_b64 s[22:23], -1
                                        ; implicit-def: $vgpr2
	s_branch .LBB174_441
.LBB174_431:
	s_andn2_saveexec_b64 s[0:1], s[0:1]
	s_cbranch_execz .LBB174_416
.LBB174_432:
	v_cmp_ne_u16_e32 vcc, 0, v3
	s_andn2_b64 s[22:23], s[22:23], exec
	s_and_b64 s[28:29], vcc, exec
	s_or_b64 s[22:23], s[22:23], s[28:29]
	s_or_b64 exec, exec, s[0:1]
	v_mov_b32_e32 v2, 0
	s_and_saveexec_b64 s[0:1], s[22:23]
	s_cbranch_execnz .LBB174_417
	s_branch .LBB174_418
.LBB174_433:
	s_mov_b64 s[0:1], -1
                                        ; implicit-def: $vgpr2
	s_branch .LBB174_438
.LBB174_434:
	s_mov_b64 s[0:1], -1
                                        ; implicit-def: $vgpr2
.LBB174_435:
	s_and_b64 vcc, exec, s[0:1]
	s_cbranch_vccz .LBB174_437
; %bb.436:
	global_load_ubyte v2, v[0:1], off
	s_mov_b32 s0, 0x7f800000
	s_waitcnt vmcnt(0)
	v_lshlrev_b32_e32 v2, 24, v2
	v_and_b32_e32 v3, 0x7f000000, v2
	v_ffbh_u32_e32 v5, v3
	v_min_u32_e32 v5, 32, v5
	v_sub_u32_e64 v5, v5, 4 clamp
	v_lshlrev_b32_e32 v7, v5, v3
	v_lshlrev_b32_e32 v5, 23, v5
	v_lshrrev_b32_e32 v7, 4, v7
	v_add_u32_e32 v6, 0x1000000, v3
	v_sub_u32_e32 v5, v7, v5
	v_ashrrev_i32_e32 v6, 8, v6
	v_add_u32_e32 v5, 0x3c000000, v5
	v_and_or_b32 v5, v6, s0, v5
	v_cmp_ne_u32_e32 vcc, 0, v3
	v_cndmask_b32_e32 v3, 0, v5, vcc
	s_brev_b32 s0, 1
	v_and_or_b32 v2, v2, s0, v3
	v_cvt_i32_f32_e32 v2, v2
.LBB174_437:
	s_mov_b64 s[0:1], 0
.LBB174_438:
	s_andn2_b64 vcc, exec, s[0:1]
	s_cbranch_vccnz .LBB174_440
; %bb.439:
	global_load_ubyte v2, v[0:1], off
	s_movk_i32 s0, 0x7f00
	s_brev_b32 s1, 16
	s_waitcnt vmcnt(0)
	v_lshlrev_b16_e32 v3, 8, v2
	v_lshlrev_b32_e32 v2, 25, v2
	v_lshrrev_b32_e32 v5, 4, v2
	v_and_or_b32 v6, v3, s0, 0.5
	v_or_b32_e32 v5, 0x70000000, v5
	v_add_f32_e32 v6, -0.5, v6
	v_mul_f32_e32 v5, 0x7800000, v5
	v_cmp_gt_u32_e32 vcc, s1, v2
	v_bfe_i32 v3, v3, 0, 16
	v_cndmask_b32_e32 v2, v5, v6, vcc
	s_brev_b32 s0, 1
	v_and_or_b32 v2, v3, s0, v2
	v_cvt_i32_f32_e32 v2, v2
.LBB174_440:
	s_mov_b64 s[22:23], 0
	s_mov_b64 s[0:1], -1
.LBB174_441:
	s_andn2_b64 vcc, exec, s[22:23]
	s_cbranch_vccnz .LBB174_454
; %bb.442:
	s_cmp_gt_i32 s26, 14
	s_cbranch_scc0 .LBB174_445
; %bb.443:
	s_cmp_eq_u32 s26, 15
	s_cbranch_scc0 .LBB174_448
; %bb.444:
	global_load_ushort v2, v[0:1], off
	s_mov_b64 s[0:1], -1
	s_mov_b64 s[20:21], 0
	s_waitcnt vmcnt(0)
	v_lshlrev_b32_e32 v2, 16, v2
	v_cvt_i32_f32_e32 v2, v2
	s_branch .LBB174_449
.LBB174_445:
	s_mov_b64 s[22:23], -1
                                        ; implicit-def: $vgpr2
	s_branch .LBB174_450
.LBB174_446:
	s_andn2_saveexec_b64 s[0:1], s[0:1]
	s_cbranch_execz .LBB174_427
.LBB174_447:
	v_cmp_ne_u16_e32 vcc, 0, v3
	s_andn2_b64 s[22:23], s[22:23], exec
	s_and_b64 s[28:29], vcc, exec
	s_or_b64 s[22:23], s[22:23], s[28:29]
	s_or_b64 exec, exec, s[0:1]
	v_mov_b32_e32 v2, 0
	s_and_saveexec_b64 s[0:1], s[22:23]
	s_cbranch_execnz .LBB174_428
	s_branch .LBB174_429
.LBB174_448:
	s_mov_b64 s[20:21], -1
                                        ; implicit-def: $vgpr2
.LBB174_449:
	s_mov_b64 s[22:23], 0
.LBB174_450:
	s_and_b64 vcc, exec, s[22:23]
	s_cbranch_vccz .LBB174_454
; %bb.451:
	s_cmp_eq_u32 s26, 11
	s_cbranch_scc0 .LBB174_453
; %bb.452:
	global_load_ubyte v2, v[0:1], off
	s_mov_b64 s[0:1], -1
	s_mov_b64 s[20:21], 0
	s_waitcnt vmcnt(0)
	v_cmp_ne_u16_e32 vcc, 0, v2
	v_cndmask_b32_e64 v2, 0, 1, vcc
	s_branch .LBB174_454
.LBB174_453:
	s_mov_b64 s[20:21], -1
                                        ; implicit-def: $vgpr2
.LBB174_454:
	s_branch .LBB174_261
.LBB174_455:
	s_cmp_lt_i32 s26, 5
	s_cbranch_scc1 .LBB174_460
; %bb.456:
	s_cmp_lt_i32 s26, 8
	s_cbranch_scc1 .LBB174_461
; %bb.457:
	;; [unrolled: 3-line block ×3, first 2 shown]
	s_cmp_gt_i32 s26, 9
	s_cbranch_scc0 .LBB174_463
; %bb.459:
	global_load_dwordx2 v[2:3], v[0:1], off
	s_mov_b64 s[0:1], 0
	s_waitcnt vmcnt(0)
	v_cvt_i32_f64_e32 v2, v[2:3]
	s_branch .LBB174_464
.LBB174_460:
	s_mov_b64 s[0:1], -1
                                        ; implicit-def: $vgpr2
	s_branch .LBB174_482
.LBB174_461:
	s_mov_b64 s[0:1], -1
                                        ; implicit-def: $vgpr2
	s_branch .LBB174_470
.LBB174_462:
	s_mov_b64 s[0:1], -1
                                        ; implicit-def: $vgpr2
	s_branch .LBB174_467
.LBB174_463:
	s_mov_b64 s[0:1], -1
                                        ; implicit-def: $vgpr2
.LBB174_464:
	s_andn2_b64 vcc, exec, s[0:1]
	s_cbranch_vccnz .LBB174_466
; %bb.465:
	global_load_dword v2, v[0:1], off
	s_waitcnt vmcnt(0)
	v_cvt_i32_f32_e32 v2, v2
.LBB174_466:
	s_mov_b64 s[0:1], 0
.LBB174_467:
	s_andn2_b64 vcc, exec, s[0:1]
	s_cbranch_vccnz .LBB174_469
; %bb.468:
	global_load_dword v2, v[0:1], off
	s_waitcnt vmcnt(0)
	v_cvt_f32_f16_e32 v2, v2
	v_cvt_i32_f32_e32 v2, v2
.LBB174_469:
	s_mov_b64 s[0:1], 0
.LBB174_470:
	s_andn2_b64 vcc, exec, s[0:1]
	s_cbranch_vccnz .LBB174_481
; %bb.471:
	s_cmp_lt_i32 s26, 6
	s_cbranch_scc1 .LBB174_474
; %bb.472:
	s_cmp_gt_i32 s26, 6
	s_cbranch_scc0 .LBB174_475
; %bb.473:
	global_load_dwordx2 v[2:3], v[0:1], off
	s_mov_b64 s[0:1], 0
	s_waitcnt vmcnt(0)
	v_cvt_i32_f64_e32 v2, v[2:3]
	s_branch .LBB174_476
.LBB174_474:
	s_mov_b64 s[0:1], -1
                                        ; implicit-def: $vgpr2
	s_branch .LBB174_479
.LBB174_475:
	s_mov_b64 s[0:1], -1
                                        ; implicit-def: $vgpr2
.LBB174_476:
	s_andn2_b64 vcc, exec, s[0:1]
	s_cbranch_vccnz .LBB174_478
; %bb.477:
	global_load_dword v2, v[0:1], off
	s_waitcnt vmcnt(0)
	v_cvt_i32_f32_e32 v2, v2
.LBB174_478:
	s_mov_b64 s[0:1], 0
.LBB174_479:
	s_andn2_b64 vcc, exec, s[0:1]
	s_cbranch_vccnz .LBB174_481
; %bb.480:
	global_load_ushort v2, v[0:1], off
	s_waitcnt vmcnt(0)
	v_cvt_f32_f16_e32 v2, v2
	v_cvt_i32_f32_e32 v2, v2
.LBB174_481:
	s_mov_b64 s[0:1], 0
.LBB174_482:
	s_andn2_b64 vcc, exec, s[0:1]
	s_cbranch_vccnz .LBB174_502
; %bb.483:
	s_cmp_lt_i32 s26, 2
	s_cbranch_scc1 .LBB174_487
; %bb.484:
	s_cmp_lt_i32 s26, 3
	s_cbranch_scc1 .LBB174_488
; %bb.485:
	s_cmp_gt_i32 s26, 3
	s_cbranch_scc0 .LBB174_489
; %bb.486:
	global_load_dword v2, v[0:1], off
	s_mov_b64 s[0:1], 0
	s_branch .LBB174_490
.LBB174_487:
	s_mov_b64 s[0:1], -1
                                        ; implicit-def: $vgpr2
	s_branch .LBB174_496
.LBB174_488:
	s_mov_b64 s[0:1], -1
                                        ; implicit-def: $vgpr2
	s_branch .LBB174_493
.LBB174_489:
	s_mov_b64 s[0:1], -1
                                        ; implicit-def: $vgpr2
.LBB174_490:
	s_andn2_b64 vcc, exec, s[0:1]
	s_cbranch_vccnz .LBB174_492
; %bb.491:
	global_load_dword v2, v[0:1], off
.LBB174_492:
	s_mov_b64 s[0:1], 0
.LBB174_493:
	s_andn2_b64 vcc, exec, s[0:1]
	s_cbranch_vccnz .LBB174_495
; %bb.494:
	global_load_sshort v2, v[0:1], off
.LBB174_495:
	s_mov_b64 s[0:1], 0
.LBB174_496:
	s_andn2_b64 vcc, exec, s[0:1]
	s_cbranch_vccnz .LBB174_502
; %bb.497:
	s_cmp_gt_i32 s26, 0
	s_cbranch_scc0 .LBB174_499
; %bb.498:
	global_load_sbyte v2, v[0:1], off
	s_mov_b64 s[0:1], 0
	s_branch .LBB174_500
.LBB174_499:
	s_mov_b64 s[0:1], -1
                                        ; implicit-def: $vgpr2
.LBB174_500:
	s_andn2_b64 vcc, exec, s[0:1]
	s_cbranch_vccnz .LBB174_502
; %bb.501:
	global_load_ubyte v2, v[0:1], off
.LBB174_502:
	s_branch .LBB174_262
.LBB174_503:
	s_mov_b64 s[26:27], 0
                                        ; implicit-def: $vgpr4
	s_mov_b64 s[0:1], s[14:15]
.LBB174_504:
	s_andn2_b64 s[22:23], s[14:15], exec
	s_and_b64 s[0:1], s[0:1], exec
	s_or_b64 s[22:23], s[22:23], s[0:1]
	s_andn2_b64 s[0:1], s[16:17], exec
	s_and_b64 s[20:21], s[20:21], exec
	s_or_b64 s[20:21], s[0:1], s[20:21]
	s_orn2_b64 s[0:1], s[26:27], exec
.LBB174_505:
	s_or_b64 exec, exec, s[24:25]
	s_mov_b64 s[26:27], 0
	s_mov_b64 s[28:29], 0
	;; [unrolled: 1-line block ×3, first 2 shown]
                                        ; implicit-def: $vgpr0_vgpr1
                                        ; implicit-def: $vgpr5
	s_and_saveexec_b64 s[24:25], s[0:1]
	s_cbranch_execz .LBB174_842
; %bb.506:
	v_cmp_gt_i32_e32 vcc, s40, v4
	s_mov_b64 s[36:37], -1
	s_mov_b64 s[0:1], s[20:21]
	s_mov_b64 s[30:31], s[22:23]
	s_and_saveexec_b64 s[26:27], vcc
	s_cbranch_execz .LBB174_760
; %bb.507:
	v_mul_lo_u32 v0, v4, s13
	v_mov_b32_e32 v1, s11
	s_and_b32 s34, 0xffff, s33
	s_cmp_lt_i32 s34, 11
	s_waitcnt vmcnt(0)
	v_ashrrev_i32_e32 v2, 31, v0
	v_add_co_u32_e32 v0, vcc, s10, v0
	v_addc_co_u32_e32 v1, vcc, v1, v2, vcc
	s_cbranch_scc1 .LBB174_514
; %bb.508:
	s_cmp_gt_i32 s34, 25
	s_cbranch_scc0 .LBB174_515
; %bb.509:
	s_cmp_gt_i32 s34, 28
	s_cbranch_scc0 .LBB174_516
	;; [unrolled: 3-line block ×4, first 2 shown]
; %bb.512:
	s_cmp_eq_u32 s34, 46
	s_mov_b64 s[30:31], 0
	s_cbranch_scc0 .LBB174_523
; %bb.513:
	global_load_dword v2, v[0:1], off
	s_mov_b64 s[0:1], -1
	s_waitcnt vmcnt(0)
	v_lshlrev_b32_e32 v2, 16, v2
	v_cvt_i32_f32_e32 v2, v2
	s_branch .LBB174_524
.LBB174_514:
	s_mov_b64 s[30:31], -1
	s_mov_b64 s[0:1], 0
                                        ; implicit-def: $vgpr2
	s_mov_b64 s[28:29], s[20:21]
	s_branch .LBB174_585
.LBB174_515:
	s_mov_b64 s[30:31], -1
	s_mov_b64 s[0:1], 0
	s_mov_b64 s[28:29], s[20:21]
                                        ; implicit-def: $vgpr2
	s_branch .LBB174_551
.LBB174_516:
	s_mov_b64 s[30:31], -1
	s_mov_b64 s[0:1], 0
	s_mov_b64 s[28:29], s[20:21]
                                        ; implicit-def: $vgpr2
	s_branch .LBB174_534
.LBB174_517:
	s_mov_b64 s[30:31], -1
	s_mov_b64 s[0:1], 0
	s_mov_b64 s[28:29], s[20:21]
                                        ; implicit-def: $vgpr2
	s_branch .LBB174_529
.LBB174_518:
	s_andn2_saveexec_b64 s[28:29], s[28:29]
	s_cbranch_execz .LBB174_307
.LBB174_519:
	s_mov_b32 s34, 0x46000000
	v_add_f32_e64 v5, |v1|, s34
	v_and_b32_e32 v5, 0xff, v5
	v_cmp_ne_u32_e32 vcc, 0, v5
	s_andn2_b64 s[26:27], s[26:27], exec
	s_and_b64 s[34:35], vcc, exec
	s_or_b64 s[26:27], s[26:27], s[34:35]
	s_or_b64 exec, exec, s[28:29]
	v_mov_b32_e32 v6, 0
	s_and_saveexec_b64 s[28:29], s[26:27]
	s_cbranch_execnz .LBB174_308
	s_branch .LBB174_309
.LBB174_520:
	s_mov_b64 s[30:31], -1
	s_mov_b64 s[0:1], 0
	s_mov_b64 s[28:29], s[20:21]
                                        ; implicit-def: $vgpr2
	s_branch .LBB174_524
.LBB174_521:
	s_andn2_saveexec_b64 s[28:29], s[28:29]
	s_cbranch_execz .LBB174_320
.LBB174_522:
	s_mov_b32 s34, 0x42800000
	v_add_f32_e64 v5, |v1|, s34
	v_and_b32_e32 v5, 0xff, v5
	v_cmp_ne_u32_e32 vcc, 0, v5
	s_andn2_b64 s[26:27], s[26:27], exec
	s_and_b64 s[34:35], vcc, exec
	s_or_b64 s[26:27], s[26:27], s[34:35]
	s_or_b64 exec, exec, s[28:29]
	v_mov_b32_e32 v6, 0
	s_and_saveexec_b64 s[28:29], s[26:27]
	s_cbranch_execnz .LBB174_321
	s_branch .LBB174_322
.LBB174_523:
	s_mov_b64 s[28:29], -1
                                        ; implicit-def: $vgpr2
	s_mov_b64 s[0:1], 0
.LBB174_524:
	s_and_b64 vcc, exec, s[30:31]
	s_cbranch_vccz .LBB174_528
; %bb.525:
	s_cmp_eq_u32 s34, 44
	s_cbranch_scc0 .LBB174_527
; %bb.526:
	global_load_ubyte v2, v[0:1], off
	s_mov_b64 s[0:1], -1
	s_mov_b64 s[28:29], 0
	s_waitcnt vmcnt(0)
	v_lshlrev_b32_e32 v3, 23, v2
	v_cvt_i32_f32_e32 v3, v3
	v_cmp_ne_u32_e32 vcc, 0, v2
	v_cndmask_b32_e32 v2, 0, v3, vcc
	s_branch .LBB174_528
.LBB174_527:
	s_mov_b64 s[28:29], -1
                                        ; implicit-def: $vgpr2
.LBB174_528:
	s_mov_b64 s[30:31], 0
.LBB174_529:
	s_and_b64 vcc, exec, s[30:31]
	s_cbranch_vccz .LBB174_533
; %bb.530:
	s_cmp_eq_u32 s34, 29
	s_cbranch_scc0 .LBB174_532
; %bb.531:
	global_load_dword v2, v[0:1], off
	s_mov_b64 s[0:1], -1
	s_mov_b64 s[28:29], 0
	s_branch .LBB174_533
.LBB174_532:
	s_mov_b64 s[28:29], -1
                                        ; implicit-def: $vgpr2
.LBB174_533:
	s_mov_b64 s[30:31], 0
.LBB174_534:
	s_and_b64 vcc, exec, s[30:31]
	s_cbranch_vccz .LBB174_550
; %bb.535:
	s_cmp_lt_i32 s34, 27
	s_cbranch_scc1 .LBB174_538
; %bb.536:
	s_cmp_gt_i32 s34, 27
	s_cbranch_scc0 .LBB174_539
; %bb.537:
	global_load_dword v2, v[0:1], off
	s_mov_b64 s[0:1], 0
	s_branch .LBB174_540
.LBB174_538:
	s_mov_b64 s[0:1], -1
                                        ; implicit-def: $vgpr2
	s_branch .LBB174_543
.LBB174_539:
	s_mov_b64 s[0:1], -1
                                        ; implicit-def: $vgpr2
.LBB174_540:
	s_andn2_b64 vcc, exec, s[0:1]
	s_cbranch_vccnz .LBB174_542
; %bb.541:
	global_load_ushort v2, v[0:1], off
.LBB174_542:
	s_mov_b64 s[0:1], 0
.LBB174_543:
	s_andn2_b64 vcc, exec, s[0:1]
	s_cbranch_vccnz .LBB174_549
; %bb.544:
	global_load_ubyte v3, v[0:1], off
	s_movk_i32 s0, 0x7f
	s_mov_b64 s[30:31], 0
	s_waitcnt vmcnt(0)
	v_cmp_lt_i16_e32 vcc, s0, v3
	s_and_saveexec_b64 s[0:1], vcc
	s_xor_b64 s[0:1], exec, s[0:1]
	s_cbranch_execz .LBB174_561
; %bb.545:
	s_movk_i32 s30, 0x80
	v_cmp_ne_u16_e32 vcc, s30, v3
	s_and_b64 s[30:31], vcc, exec
	s_andn2_saveexec_b64 s[0:1], s[0:1]
	s_cbranch_execnz .LBB174_562
.LBB174_546:
	s_or_b64 exec, exec, s[0:1]
	v_mov_b32_e32 v2, 0
	s_and_saveexec_b64 s[0:1], s[30:31]
	s_cbranch_execz .LBB174_548
.LBB174_547:
	v_lshlrev_b32_e32 v2, 24, v3
	v_and_b32_e32 v3, 0xffff, v3
	v_and_b32_e32 v5, 7, v3
	v_ffbh_u32_e32 v7, v5
	v_min_u32_e32 v7, 32, v7
	v_subrev_u32_e32 v8, 28, v7
	v_bfe_u32 v6, v3, 3, 4
	v_lshlrev_b32_e32 v3, v8, v3
	v_sub_u32_e32 v7, 29, v7
	v_and_b32_e32 v3, 7, v3
	v_cmp_eq_u32_e32 vcc, 0, v6
	v_cndmask_b32_e32 v6, v6, v7, vcc
	v_cndmask_b32_e32 v3, v5, v3, vcc
	v_mov_b32_e32 v5, 0x3b800000
	v_lshlrev_b32_e32 v3, 20, v3
	v_and_b32_e32 v2, 0x80000000, v2
	v_lshl_add_u32 v5, v6, 23, v5
	v_or3_b32 v2, v2, v5, v3
	v_cvt_i32_f32_e32 v2, v2
.LBB174_548:
	s_or_b64 exec, exec, s[0:1]
.LBB174_549:
	s_mov_b64 s[0:1], -1
.LBB174_550:
	s_mov_b64 s[30:31], 0
.LBB174_551:
	s_and_b64 vcc, exec, s[30:31]
	s_cbranch_vccz .LBB174_584
; %bb.552:
	s_cmp_gt_i32 s34, 22
	s_cbranch_scc0 .LBB174_560
; %bb.553:
	s_cmp_lt_i32 s34, 24
	s_cbranch_scc1 .LBB174_563
; %bb.554:
	s_cmp_gt_i32 s34, 24
	s_cbranch_scc0 .LBB174_564
; %bb.555:
	global_load_ubyte v3, v[0:1], off
	s_movk_i32 s0, 0x7f
	s_mov_b64 s[30:31], 0
	s_waitcnt vmcnt(0)
	v_cmp_lt_i16_e32 vcc, s0, v3
	s_and_saveexec_b64 s[0:1], vcc
	s_xor_b64 s[0:1], exec, s[0:1]
	s_cbranch_execz .LBB174_576
; %bb.556:
	s_movk_i32 s30, 0x80
	v_cmp_ne_u16_e32 vcc, s30, v3
	s_and_b64 s[30:31], vcc, exec
	s_andn2_saveexec_b64 s[0:1], s[0:1]
	s_cbranch_execnz .LBB174_577
.LBB174_557:
	s_or_b64 exec, exec, s[0:1]
	v_mov_b32_e32 v2, 0
	s_and_saveexec_b64 s[0:1], s[30:31]
	s_cbranch_execz .LBB174_559
.LBB174_558:
	v_lshlrev_b32_e32 v2, 24, v3
	v_and_b32_e32 v3, 0xffff, v3
	v_and_b32_e32 v5, 3, v3
	v_ffbh_u32_e32 v7, v5
	v_min_u32_e32 v7, 32, v7
	v_subrev_u32_e32 v8, 29, v7
	v_bfe_u32 v6, v3, 2, 5
	v_lshlrev_b32_e32 v3, v8, v3
	v_sub_u32_e32 v7, 30, v7
	v_and_b32_e32 v3, 3, v3
	v_cmp_eq_u32_e32 vcc, 0, v6
	v_cndmask_b32_e32 v6, v6, v7, vcc
	v_cndmask_b32_e32 v3, v5, v3, vcc
	v_mov_b32_e32 v5, 0x37800000
	v_lshlrev_b32_e32 v3, 21, v3
	v_and_b32_e32 v2, 0x80000000, v2
	v_lshl_add_u32 v5, v6, 23, v5
	v_or3_b32 v2, v2, v5, v3
	v_cvt_i32_f32_e32 v2, v2
.LBB174_559:
	s_or_b64 exec, exec, s[0:1]
	s_mov_b64 s[0:1], 0
	s_branch .LBB174_565
.LBB174_560:
	s_mov_b64 s[30:31], -1
                                        ; implicit-def: $vgpr2
	s_branch .LBB174_571
.LBB174_561:
	s_andn2_saveexec_b64 s[0:1], s[0:1]
	s_cbranch_execz .LBB174_546
.LBB174_562:
	v_cmp_ne_u16_e32 vcc, 0, v3
	s_andn2_b64 s[30:31], s[30:31], exec
	s_and_b64 s[36:37], vcc, exec
	s_or_b64 s[30:31], s[30:31], s[36:37]
	s_or_b64 exec, exec, s[0:1]
	v_mov_b32_e32 v2, 0
	s_and_saveexec_b64 s[0:1], s[30:31]
	s_cbranch_execnz .LBB174_547
	s_branch .LBB174_548
.LBB174_563:
	s_mov_b64 s[0:1], -1
                                        ; implicit-def: $vgpr2
	s_branch .LBB174_568
.LBB174_564:
	s_mov_b64 s[0:1], -1
                                        ; implicit-def: $vgpr2
.LBB174_565:
	s_and_b64 vcc, exec, s[0:1]
	s_cbranch_vccz .LBB174_567
; %bb.566:
	global_load_ubyte v2, v[0:1], off
	s_mov_b32 s0, 0x7f800000
	s_waitcnt vmcnt(0)
	v_lshlrev_b32_e32 v2, 24, v2
	v_and_b32_e32 v3, 0x7f000000, v2
	v_ffbh_u32_e32 v5, v3
	v_min_u32_e32 v5, 32, v5
	v_sub_u32_e64 v5, v5, 4 clamp
	v_lshlrev_b32_e32 v7, v5, v3
	v_lshlrev_b32_e32 v5, 23, v5
	v_lshrrev_b32_e32 v7, 4, v7
	v_add_u32_e32 v6, 0x1000000, v3
	v_sub_u32_e32 v5, v7, v5
	v_ashrrev_i32_e32 v6, 8, v6
	v_add_u32_e32 v5, 0x3c000000, v5
	v_and_or_b32 v5, v6, s0, v5
	v_cmp_ne_u32_e32 vcc, 0, v3
	v_cndmask_b32_e32 v3, 0, v5, vcc
	s_brev_b32 s0, 1
	v_and_or_b32 v2, v2, s0, v3
	v_cvt_i32_f32_e32 v2, v2
.LBB174_567:
	s_mov_b64 s[0:1], 0
.LBB174_568:
	s_andn2_b64 vcc, exec, s[0:1]
	s_cbranch_vccnz .LBB174_570
; %bb.569:
	global_load_ubyte v2, v[0:1], off
	s_movk_i32 s0, 0x7f00
	s_brev_b32 s1, 16
	s_waitcnt vmcnt(0)
	v_lshlrev_b16_e32 v3, 8, v2
	v_lshlrev_b32_e32 v2, 25, v2
	v_lshrrev_b32_e32 v5, 4, v2
	v_and_or_b32 v6, v3, s0, 0.5
	v_or_b32_e32 v5, 0x70000000, v5
	v_add_f32_e32 v6, -0.5, v6
	v_mul_f32_e32 v5, 0x7800000, v5
	v_cmp_gt_u32_e32 vcc, s1, v2
	v_bfe_i32 v3, v3, 0, 16
	v_cndmask_b32_e32 v2, v5, v6, vcc
	s_brev_b32 s0, 1
	v_and_or_b32 v2, v3, s0, v2
	v_cvt_i32_f32_e32 v2, v2
.LBB174_570:
	s_mov_b64 s[30:31], 0
	s_mov_b64 s[0:1], -1
.LBB174_571:
	s_andn2_b64 vcc, exec, s[30:31]
	s_cbranch_vccnz .LBB174_584
; %bb.572:
	s_cmp_gt_i32 s34, 14
	s_cbranch_scc0 .LBB174_575
; %bb.573:
	s_cmp_eq_u32 s34, 15
	s_cbranch_scc0 .LBB174_578
; %bb.574:
	global_load_ushort v2, v[0:1], off
	s_mov_b64 s[0:1], -1
	s_mov_b64 s[28:29], 0
	s_waitcnt vmcnt(0)
	v_lshlrev_b32_e32 v2, 16, v2
	v_cvt_i32_f32_e32 v2, v2
	s_branch .LBB174_579
.LBB174_575:
	s_mov_b64 s[30:31], -1
                                        ; implicit-def: $vgpr2
	s_branch .LBB174_580
.LBB174_576:
	s_andn2_saveexec_b64 s[0:1], s[0:1]
	s_cbranch_execz .LBB174_557
.LBB174_577:
	v_cmp_ne_u16_e32 vcc, 0, v3
	s_andn2_b64 s[30:31], s[30:31], exec
	s_and_b64 s[36:37], vcc, exec
	s_or_b64 s[30:31], s[30:31], s[36:37]
	s_or_b64 exec, exec, s[0:1]
	v_mov_b32_e32 v2, 0
	s_and_saveexec_b64 s[0:1], s[30:31]
	s_cbranch_execnz .LBB174_558
	s_branch .LBB174_559
.LBB174_578:
	s_mov_b64 s[28:29], -1
                                        ; implicit-def: $vgpr2
.LBB174_579:
	s_mov_b64 s[30:31], 0
.LBB174_580:
	s_and_b64 vcc, exec, s[30:31]
	s_cbranch_vccz .LBB174_584
; %bb.581:
	s_cmp_eq_u32 s34, 11
	s_cbranch_scc0 .LBB174_583
; %bb.582:
	global_load_ubyte v2, v[0:1], off
	s_mov_b64 s[0:1], -1
	s_mov_b64 s[28:29], 0
	s_waitcnt vmcnt(0)
	v_cmp_ne_u16_e32 vcc, 0, v2
	v_cndmask_b32_e64 v2, 0, 1, vcc
	s_branch .LBB174_584
.LBB174_583:
	s_mov_b64 s[28:29], -1
                                        ; implicit-def: $vgpr2
.LBB174_584:
	s_mov_b64 s[30:31], 0
.LBB174_585:
	s_and_b64 vcc, exec, s[30:31]
	s_cbranch_vccz .LBB174_634
; %bb.586:
	s_cmp_lt_i32 s34, 5
	s_cbranch_scc1 .LBB174_591
; %bb.587:
	s_cmp_lt_i32 s34, 8
	s_cbranch_scc1 .LBB174_592
	;; [unrolled: 3-line block ×3, first 2 shown]
; %bb.589:
	s_cmp_gt_i32 s34, 9
	s_cbranch_scc0 .LBB174_594
; %bb.590:
	global_load_dwordx2 v[2:3], v[0:1], off
	s_mov_b64 s[0:1], 0
	s_waitcnt vmcnt(0)
	v_cvt_i32_f64_e32 v2, v[2:3]
	s_branch .LBB174_595
.LBB174_591:
	s_mov_b64 s[0:1], -1
                                        ; implicit-def: $vgpr2
	s_branch .LBB174_613
.LBB174_592:
	s_mov_b64 s[0:1], -1
                                        ; implicit-def: $vgpr2
	s_branch .LBB174_601
.LBB174_593:
	s_mov_b64 s[0:1], -1
                                        ; implicit-def: $vgpr2
	s_branch .LBB174_598
.LBB174_594:
	s_mov_b64 s[0:1], -1
                                        ; implicit-def: $vgpr2
.LBB174_595:
	s_andn2_b64 vcc, exec, s[0:1]
	s_cbranch_vccnz .LBB174_597
; %bb.596:
	global_load_dword v2, v[0:1], off
	s_waitcnt vmcnt(0)
	v_cvt_i32_f32_e32 v2, v2
.LBB174_597:
	s_mov_b64 s[0:1], 0
.LBB174_598:
	s_andn2_b64 vcc, exec, s[0:1]
	s_cbranch_vccnz .LBB174_600
; %bb.599:
	global_load_dword v2, v[0:1], off
	s_waitcnt vmcnt(0)
	v_cvt_f32_f16_e32 v2, v2
	v_cvt_i32_f32_e32 v2, v2
.LBB174_600:
	s_mov_b64 s[0:1], 0
.LBB174_601:
	s_andn2_b64 vcc, exec, s[0:1]
	s_cbranch_vccnz .LBB174_612
; %bb.602:
	s_cmp_lt_i32 s34, 6
	s_cbranch_scc1 .LBB174_605
; %bb.603:
	s_cmp_gt_i32 s34, 6
	s_cbranch_scc0 .LBB174_606
; %bb.604:
	global_load_dwordx2 v[2:3], v[0:1], off
	s_mov_b64 s[0:1], 0
	s_waitcnt vmcnt(0)
	v_cvt_i32_f64_e32 v2, v[2:3]
	s_branch .LBB174_607
.LBB174_605:
	s_mov_b64 s[0:1], -1
                                        ; implicit-def: $vgpr2
	s_branch .LBB174_610
.LBB174_606:
	s_mov_b64 s[0:1], -1
                                        ; implicit-def: $vgpr2
.LBB174_607:
	s_andn2_b64 vcc, exec, s[0:1]
	s_cbranch_vccnz .LBB174_609
; %bb.608:
	global_load_dword v2, v[0:1], off
	s_waitcnt vmcnt(0)
	v_cvt_i32_f32_e32 v2, v2
.LBB174_609:
	s_mov_b64 s[0:1], 0
.LBB174_610:
	s_andn2_b64 vcc, exec, s[0:1]
	s_cbranch_vccnz .LBB174_612
; %bb.611:
	global_load_ushort v2, v[0:1], off
	s_waitcnt vmcnt(0)
	v_cvt_f32_f16_e32 v2, v2
	v_cvt_i32_f32_e32 v2, v2
.LBB174_612:
	s_mov_b64 s[0:1], 0
.LBB174_613:
	s_andn2_b64 vcc, exec, s[0:1]
	s_cbranch_vccnz .LBB174_633
; %bb.614:
	s_cmp_lt_i32 s34, 2
	s_cbranch_scc1 .LBB174_618
; %bb.615:
	s_cmp_lt_i32 s34, 3
	s_cbranch_scc1 .LBB174_619
; %bb.616:
	s_cmp_gt_i32 s34, 3
	s_cbranch_scc0 .LBB174_620
; %bb.617:
	global_load_dword v2, v[0:1], off
	s_mov_b64 s[0:1], 0
	s_branch .LBB174_621
.LBB174_618:
	s_mov_b64 s[0:1], -1
                                        ; implicit-def: $vgpr2
	s_branch .LBB174_627
.LBB174_619:
	s_mov_b64 s[0:1], -1
                                        ; implicit-def: $vgpr2
	s_branch .LBB174_624
.LBB174_620:
	s_mov_b64 s[0:1], -1
                                        ; implicit-def: $vgpr2
.LBB174_621:
	s_andn2_b64 vcc, exec, s[0:1]
	s_cbranch_vccnz .LBB174_623
; %bb.622:
	global_load_dword v2, v[0:1], off
.LBB174_623:
	s_mov_b64 s[0:1], 0
.LBB174_624:
	s_andn2_b64 vcc, exec, s[0:1]
	s_cbranch_vccnz .LBB174_626
; %bb.625:
	global_load_sshort v2, v[0:1], off
.LBB174_626:
	s_mov_b64 s[0:1], 0
.LBB174_627:
	s_andn2_b64 vcc, exec, s[0:1]
	s_cbranch_vccnz .LBB174_633
; %bb.628:
	s_cmp_gt_i32 s34, 0
	s_cbranch_scc0 .LBB174_630
; %bb.629:
	global_load_sbyte v2, v[0:1], off
	s_mov_b64 s[0:1], 0
	s_branch .LBB174_631
.LBB174_630:
	s_mov_b64 s[0:1], -1
                                        ; implicit-def: $vgpr2
.LBB174_631:
	s_andn2_b64 vcc, exec, s[0:1]
	s_cbranch_vccnz .LBB174_633
; %bb.632:
	global_load_ubyte v2, v[0:1], off
.LBB174_633:
	s_mov_b64 s[0:1], -1
.LBB174_634:
	s_andn2_b64 vcc, exec, s[0:1]
	s_cbranch_vccnz .LBB174_642
; %bb.635:
	v_mul_lo_u32 v1, v4, s12
	s_waitcnt vmcnt(0)
	v_min_u32_e32 v0, 31, v2
	v_mov_b32_e32 v3, s9
	s_and_b32 s38, s3, 0xff
	v_ashrrev_i32_e32 v5, 31, v1
	v_add_co_u32_e32 v2, vcc, s8, v1
	v_ashrrev_i32_e64 v0, v0, s2
	s_cmp_lt_i32 s38, 11
	v_addc_co_u32_e32 v3, vcc, v3, v5, vcc
	s_cbranch_scc1 .LBB174_643
; %bb.636:
	s_and_b32 s39, 0xffff, s38
	s_cmp_gt_i32 s39, 25
	s_cbranch_scc0 .LBB174_644
; %bb.637:
	s_cmp_gt_i32 s39, 28
	s_cbranch_scc0 .LBB174_645
; %bb.638:
	;; [unrolled: 3-line block ×4, first 2 shown]
	s_mov_b64 s[34:35], 0
	s_mov_b64 s[0:1], -1
	s_cmp_eq_u32 s39, 46
	s_mov_b64 s[30:31], 0
	s_cbranch_scc0 .LBB174_648
; %bb.641:
	v_cvt_f32_i32_e32 v1, v0
	s_movk_i32 s0, 0x7fff
	s_mov_b64 s[30:31], -1
	v_bfe_u32 v5, v1, 16, 1
	v_add3_u32 v1, v1, v5, s0
	v_lshrrev_b32_e32 v1, 16, v1
	global_store_dword v[2:3], v1, off
	s_mov_b64 s[0:1], 0
	s_branch .LBB174_648
.LBB174_642:
	s_mov_b64 s[34:35], 0
                                        ; implicit-def: $vgpr4
	s_mov_b64 s[0:1], s[22:23]
	s_branch .LBB174_759
.LBB174_643:
	s_mov_b64 s[34:35], -1
	s_mov_b64 s[30:31], 0
	s_mov_b64 s[0:1], s[22:23]
	s_branch .LBB174_717
.LBB174_644:
	s_mov_b64 s[34:35], -1
	s_mov_b64 s[30:31], 0
	s_mov_b64 s[0:1], s[22:23]
	s_branch .LBB174_675
.LBB174_645:
	s_mov_b64 s[34:35], -1
	s_mov_b64 s[30:31], 0
	s_mov_b64 s[0:1], s[22:23]
	s_branch .LBB174_658
.LBB174_646:
	s_mov_b64 s[34:35], -1
	s_mov_b64 s[30:31], 0
	s_mov_b64 s[0:1], s[22:23]
	s_branch .LBB174_654
.LBB174_647:
	s_mov_b64 s[34:35], -1
	s_mov_b64 s[30:31], 0
	s_mov_b64 s[0:1], s[22:23]
.LBB174_648:
	s_and_b64 vcc, exec, s[34:35]
	s_cbranch_vccz .LBB174_653
; %bb.649:
	s_cmp_eq_u32 s39, 44
	s_mov_b64 s[0:1], -1
	s_cbranch_scc0 .LBB174_653
; %bb.650:
	v_cvt_f32_i32_e32 v1, v0
	s_movk_i32 s0, 0xff
	v_mov_b32_e32 v6, 0xff
	v_bfe_u32 v5, v1, 23, 8
	v_cmp_ne_u32_e32 vcc, s0, v5
	s_and_saveexec_b64 s[30:31], vcc
; %bb.651:
	s_mov_b32 s0, 0x3fffff
	v_lshrrev_b32_e32 v6, 23, v1
	v_and_b32_e32 v7, 0x400000, v1
	v_and_or_b32 v1, v1, s0, v5
	v_cmp_ne_u32_e32 vcc, 0, v7
	v_cmp_ne_u32_e64 s[0:1], 0, v1
	s_and_b64 s[0:1], vcc, s[0:1]
	v_cndmask_b32_e64 v1, 0, 1, s[0:1]
	v_add_u32_e32 v6, v6, v1
; %bb.652:
	s_or_b64 exec, exec, s[30:31]
	s_mov_b64 s[30:31], -1
	s_mov_b64 s[0:1], 0
	global_store_byte v[2:3], v6, off
.LBB174_653:
	s_mov_b64 s[34:35], 0
.LBB174_654:
	s_and_b64 vcc, exec, s[34:35]
	s_cbranch_vccz .LBB174_657
; %bb.655:
	s_cmp_eq_u32 s39, 29
	s_mov_b64 s[0:1], -1
	s_cbranch_scc0 .LBB174_657
; %bb.656:
	v_ashrrev_i32_e32 v1, 31, v0
	global_store_dwordx2 v[2:3], v[0:1], off
	s_mov_b64 s[30:31], -1
	s_mov_b64 s[0:1], 0
.LBB174_657:
	s_mov_b64 s[34:35], 0
.LBB174_658:
	s_and_b64 vcc, exec, s[34:35]
	s_cbranch_vccz .LBB174_674
; %bb.659:
	s_cmp_lt_i32 s39, 27
	s_mov_b64 s[30:31], -1
	s_cbranch_scc1 .LBB174_665
; %bb.660:
	s_cmp_gt_i32 s39, 27
	s_cbranch_scc0 .LBB174_662
; %bb.661:
	s_mov_b64 s[30:31], 0
	global_store_dword v[2:3], v0, off
.LBB174_662:
	s_andn2_b64 vcc, exec, s[30:31]
	s_cbranch_vccnz .LBB174_664
; %bb.663:
	global_store_short v[2:3], v0, off
.LBB174_664:
	s_mov_b64 s[30:31], 0
.LBB174_665:
	s_andn2_b64 vcc, exec, s[30:31]
	s_cbranch_vccnz .LBB174_673
; %bb.666:
	v_cvt_f32_i32_e32 v1, v0
	s_mov_b32 s30, 0x43800000
	v_mov_b32_e32 v6, 0x80
	v_and_b32_e32 v5, 0x7fffffff, v1
	v_cmp_gt_u32_e32 vcc, s30, v5
	s_and_saveexec_b64 s[30:31], vcc
	s_cbranch_execz .LBB174_672
; %bb.667:
	s_mov_b32 s34, 0x3bffffff
	v_cmp_lt_u32_e32 vcc, s34, v5
	s_mov_b64 s[34:35], 0
                                        ; implicit-def: $vgpr5
	s_and_saveexec_b64 s[36:37], vcc
	s_xor_b64 s[36:37], exec, s[36:37]
	s_cbranch_execz .LBB174_773
; %bb.668:
	v_bfe_u32 v5, v1, 20, 1
	s_mov_b32 s41, 0x487ffff
	v_add3_u32 v5, v1, v5, s41
	s_mov_b64 s[34:35], exec
	v_lshrrev_b32_e32 v5, 20, v5
	s_andn2_saveexec_b64 s[36:37], s[36:37]
	s_cbranch_execnz .LBB174_774
.LBB174_669:
	s_or_b64 exec, exec, s[36:37]
	v_mov_b32_e32 v6, 0
	s_and_saveexec_b64 s[36:37], s[34:35]
.LBB174_670:
	v_lshrrev_b32_e32 v1, 24, v1
	s_movk_i32 s34, 0x80
	v_and_or_b32 v6, v1, s34, v5
.LBB174_671:
	s_or_b64 exec, exec, s[36:37]
.LBB174_672:
	s_or_b64 exec, exec, s[30:31]
	global_store_byte v[2:3], v6, off
.LBB174_673:
	s_mov_b64 s[30:31], -1
.LBB174_674:
	s_mov_b64 s[34:35], 0
.LBB174_675:
	s_and_b64 vcc, exec, s[34:35]
	s_cbranch_vccz .LBB174_716
; %bb.676:
	s_cmp_gt_i32 s39, 22
	s_mov_b64 s[34:35], -1
	s_cbranch_scc0 .LBB174_708
; %bb.677:
	s_cmp_lt_i32 s39, 24
	s_mov_b64 s[30:31], -1
	s_cbranch_scc1 .LBB174_697
; %bb.678:
	s_cmp_gt_i32 s39, 24
	s_cbranch_scc0 .LBB174_686
; %bb.679:
	v_cvt_f32_i32_e32 v1, v0
	s_mov_b32 s30, 0x47800000
	v_mov_b32_e32 v6, 0x80
	v_and_b32_e32 v5, 0x7fffffff, v1
	v_cmp_gt_u32_e32 vcc, s30, v5
	s_and_saveexec_b64 s[30:31], vcc
	s_cbranch_execz .LBB174_685
; %bb.680:
	s_mov_b32 s34, 0x37ffffff
	v_cmp_lt_u32_e32 vcc, s34, v5
	s_mov_b64 s[34:35], 0
                                        ; implicit-def: $vgpr5
	s_and_saveexec_b64 s[36:37], vcc
	s_xor_b64 s[36:37], exec, s[36:37]
	s_cbranch_execz .LBB174_776
; %bb.681:
	v_bfe_u32 v5, v1, 21, 1
	s_mov_b32 s41, 0x88fffff
	v_add3_u32 v5, v1, v5, s41
	s_mov_b64 s[34:35], exec
	v_lshrrev_b32_e32 v5, 21, v5
	s_andn2_saveexec_b64 s[36:37], s[36:37]
	s_cbranch_execnz .LBB174_777
.LBB174_682:
	s_or_b64 exec, exec, s[36:37]
	v_mov_b32_e32 v6, 0
	s_and_saveexec_b64 s[36:37], s[34:35]
.LBB174_683:
	v_lshrrev_b32_e32 v1, 24, v1
	s_movk_i32 s34, 0x80
	v_and_or_b32 v6, v1, s34, v5
.LBB174_684:
	s_or_b64 exec, exec, s[36:37]
.LBB174_685:
	s_or_b64 exec, exec, s[30:31]
	s_mov_b64 s[30:31], 0
	global_store_byte v[2:3], v6, off
.LBB174_686:
	s_and_b64 vcc, exec, s[30:31]
	s_cbranch_vccz .LBB174_696
; %bb.687:
	v_cvt_f32_i32_e32 v1, v0
	s_mov_b32 s30, 0x43f00000
                                        ; implicit-def: $vgpr5
	v_and_b32_e32 v6, 0x7fffffff, v1
	v_cmp_gt_u32_e32 vcc, s30, v6
	s_and_saveexec_b64 s[30:31], vcc
	s_xor_b64 s[30:31], exec, s[30:31]
	s_cbranch_execz .LBB174_693
; %bb.688:
	s_mov_b32 s34, 0x3c7fffff
	v_cmp_lt_u32_e32 vcc, s34, v6
                                        ; implicit-def: $vgpr5
	s_and_saveexec_b64 s[34:35], vcc
	s_xor_b64 s[34:35], exec, s[34:35]
; %bb.689:
	v_bfe_u32 v5, v1, 20, 1
	s_mov_b32 s36, 0x407ffff
	v_add3_u32 v5, v1, v5, s36
	v_lshrrev_b32_e32 v6, 20, v5
	v_and_b32_e32 v5, 0xff00000, v5
	s_mov_b32 s36, 0x7f00000
	v_mov_b32_e32 v7, 0x7e
	v_cmp_ne_u32_e32 vcc, s36, v5
	v_cndmask_b32_e32 v5, v7, v6, vcc
; %bb.690:
	s_andn2_saveexec_b64 s[34:35], s[34:35]
; %bb.691:
	s_mov_b32 s36, 0x46800000
	v_add_f32_e64 v5, |v1|, s36
; %bb.692:
	s_or_b64 exec, exec, s[34:35]
                                        ; implicit-def: $vgpr6
.LBB174_693:
	s_andn2_saveexec_b64 s[30:31], s[30:31]
; %bb.694:
	s_mov_b32 s34, 0x7f800000
	v_mov_b32_e32 v5, 0x7e
	v_mov_b32_e32 v7, 0x7f
	v_cmp_lt_u32_e32 vcc, s34, v6
	v_cndmask_b32_e32 v5, v5, v7, vcc
; %bb.695:
	s_or_b64 exec, exec, s[30:31]
	v_lshrrev_b32_e32 v1, 24, v1
	s_movk_i32 s30, 0x80
	v_and_or_b32 v1, v1, s30, v5
	global_store_byte v[2:3], v1, off
.LBB174_696:
	s_mov_b64 s[30:31], 0
.LBB174_697:
	s_andn2_b64 vcc, exec, s[30:31]
	s_cbranch_vccnz .LBB174_707
; %bb.698:
	v_cvt_f32_i32_e32 v1, v0
	s_mov_b32 s30, 0x47800000
                                        ; implicit-def: $vgpr5
	v_and_b32_e32 v6, 0x7fffffff, v1
	v_cmp_gt_u32_e32 vcc, s30, v6
	s_and_saveexec_b64 s[30:31], vcc
	s_xor_b64 s[30:31], exec, s[30:31]
	s_cbranch_execz .LBB174_704
; %bb.699:
	s_mov_b32 s34, 0x387fffff
	v_cmp_lt_u32_e32 vcc, s34, v6
                                        ; implicit-def: $vgpr5
	s_and_saveexec_b64 s[34:35], vcc
	s_xor_b64 s[34:35], exec, s[34:35]
; %bb.700:
	v_bfe_u32 v5, v1, 21, 1
	s_mov_b32 s36, 0x80fffff
	v_add3_u32 v5, v1, v5, s36
	v_lshrrev_b32_e32 v5, 21, v5
; %bb.701:
	s_andn2_saveexec_b64 s[34:35], s[34:35]
; %bb.702:
	s_mov_b32 s36, 0x43000000
	v_add_f32_e64 v5, |v1|, s36
; %bb.703:
	s_or_b64 exec, exec, s[34:35]
                                        ; implicit-def: $vgpr6
.LBB174_704:
	s_andn2_saveexec_b64 s[30:31], s[30:31]
; %bb.705:
	s_mov_b32 s34, 0x7f800000
	v_mov_b32_e32 v5, 0x7c
	v_mov_b32_e32 v7, 0x7f
	v_cmp_lt_u32_e32 vcc, s34, v6
	v_cndmask_b32_e32 v5, v5, v7, vcc
; %bb.706:
	s_or_b64 exec, exec, s[30:31]
	v_lshrrev_b32_e32 v1, 24, v1
	s_movk_i32 s30, 0x80
	v_and_or_b32 v1, v1, s30, v5
	global_store_byte v[2:3], v1, off
.LBB174_707:
	s_mov_b64 s[34:35], 0
	s_mov_b64 s[30:31], -1
.LBB174_708:
	s_andn2_b64 vcc, exec, s[34:35]
	s_cbranch_vccnz .LBB174_716
; %bb.709:
	s_cmp_gt_i32 s39, 14
	s_mov_b64 s[34:35], -1
	s_cbranch_scc0 .LBB174_713
; %bb.710:
	s_cmp_eq_u32 s39, 15
	s_mov_b64 s[0:1], -1
	s_cbranch_scc0 .LBB174_712
; %bb.711:
	v_cvt_f32_i32_e32 v1, v0
	s_movk_i32 s0, 0x7fff
	s_mov_b64 s[30:31], -1
	v_bfe_u32 v5, v1, 16, 1
	v_add3_u32 v1, v1, v5, s0
	global_store_short_d16_hi v[2:3], v1, off
	s_mov_b64 s[0:1], 0
.LBB174_712:
	s_mov_b64 s[34:35], 0
.LBB174_713:
	s_and_b64 vcc, exec, s[34:35]
	s_cbranch_vccz .LBB174_716
; %bb.714:
	s_cmp_eq_u32 s39, 11
	s_mov_b64 s[0:1], -1
	s_cbranch_scc0 .LBB174_716
; %bb.715:
	v_cmp_ne_u32_e32 vcc, 0, v0
	v_cndmask_b32_e64 v1, 0, 1, vcc
	s_mov_b64 s[30:31], -1
	s_mov_b64 s[0:1], 0
	global_store_byte v[2:3], v1, off
.LBB174_716:
	s_mov_b64 s[34:35], 0
.LBB174_717:
	s_and_b64 vcc, exec, s[34:35]
	s_cbranch_vccz .LBB174_756
; %bb.718:
	s_and_b32 s34, 0xffff, s38
	s_cmp_lt_i32 s34, 5
	s_mov_b64 s[30:31], -1
	s_cbranch_scc1 .LBB174_739
; %bb.719:
	s_cmp_lt_i32 s34, 8
	s_cbranch_scc1 .LBB174_729
; %bb.720:
	s_cmp_lt_i32 s34, 9
	s_cbranch_scc1 .LBB174_726
; %bb.721:
	s_cmp_gt_i32 s34, 9
	s_cbranch_scc0 .LBB174_723
; %bb.722:
	v_cvt_f64_i32_e32 v[5:6], v0
	v_mov_b32_e32 v7, 0
	v_mov_b32_e32 v8, v7
	s_mov_b64 s[30:31], 0
	global_store_dwordx4 v[2:3], v[5:8], off
.LBB174_723:
	s_andn2_b64 vcc, exec, s[30:31]
	s_cbranch_vccnz .LBB174_725
; %bb.724:
	v_cvt_f32_i32_e32 v5, v0
	v_mov_b32_e32 v6, 0
	global_store_dwordx2 v[2:3], v[5:6], off
.LBB174_725:
	s_mov_b64 s[30:31], 0
.LBB174_726:
	s_andn2_b64 vcc, exec, s[30:31]
	s_cbranch_vccnz .LBB174_728
; %bb.727:
	v_cvt_f32_i32_e32 v1, v0
	v_cvt_f16_f32_e32 v1, v1
	global_store_dword v[2:3], v1, off
.LBB174_728:
	s_mov_b64 s[30:31], 0
.LBB174_729:
	s_andn2_b64 vcc, exec, s[30:31]
	s_cbranch_vccnz .LBB174_738
; %bb.730:
	s_cmp_lt_i32 s34, 6
	s_mov_b64 s[30:31], -1
	s_cbranch_scc1 .LBB174_736
; %bb.731:
	s_cmp_gt_i32 s34, 6
	s_cbranch_scc0 .LBB174_733
; %bb.732:
	v_cvt_f64_i32_e32 v[5:6], v0
	s_mov_b64 s[30:31], 0
	global_store_dwordx2 v[2:3], v[5:6], off
.LBB174_733:
	s_andn2_b64 vcc, exec, s[30:31]
	s_cbranch_vccnz .LBB174_735
; %bb.734:
	v_cvt_f32_i32_e32 v1, v0
	global_store_dword v[2:3], v1, off
.LBB174_735:
	s_mov_b64 s[30:31], 0
.LBB174_736:
	s_andn2_b64 vcc, exec, s[30:31]
	s_cbranch_vccnz .LBB174_738
; %bb.737:
	v_cvt_f32_i32_e32 v1, v0
	v_cvt_f16_f32_e32 v1, v1
	global_store_short v[2:3], v1, off
.LBB174_738:
	s_mov_b64 s[30:31], 0
.LBB174_739:
	s_andn2_b64 vcc, exec, s[30:31]
	s_cbranch_vccnz .LBB174_755
; %bb.740:
	s_cmp_lt_i32 s34, 2
	s_mov_b64 s[30:31], -1
	s_cbranch_scc1 .LBB174_750
; %bb.741:
	s_cmp_lt_i32 s34, 3
	s_cbranch_scc1 .LBB174_747
; %bb.742:
	s_cmp_gt_i32 s34, 3
	s_cbranch_scc0 .LBB174_744
; %bb.743:
	v_ashrrev_i32_e32 v1, 31, v0
	s_mov_b64 s[30:31], 0
	global_store_dwordx2 v[2:3], v[0:1], off
.LBB174_744:
	s_andn2_b64 vcc, exec, s[30:31]
	s_cbranch_vccnz .LBB174_746
; %bb.745:
	global_store_dword v[2:3], v0, off
.LBB174_746:
	s_mov_b64 s[30:31], 0
.LBB174_747:
	s_andn2_b64 vcc, exec, s[30:31]
	s_cbranch_vccnz .LBB174_749
; %bb.748:
	global_store_short v[2:3], v0, off
.LBB174_749:
	s_mov_b64 s[30:31], 0
.LBB174_750:
	s_andn2_b64 vcc, exec, s[30:31]
	s_cbranch_vccnz .LBB174_755
; %bb.751:
	s_cmp_gt_i32 s34, 0
	s_mov_b64 s[30:31], -1
	s_cbranch_scc0 .LBB174_753
; %bb.752:
	s_mov_b64 s[30:31], 0
	global_store_byte v[2:3], v0, off
.LBB174_753:
	s_andn2_b64 vcc, exec, s[30:31]
	s_cbranch_vccnz .LBB174_755
; %bb.754:
	global_store_byte v[2:3], v0, off
.LBB174_755:
	s_mov_b64 s[30:31], -1
.LBB174_756:
	s_andn2_b64 vcc, exec, s[30:31]
	s_cbranch_vccnz .LBB174_758
; %bb.757:
	v_add_u32_e32 v4, 0x80, v4
	s_mov_b64 s[34:35], -1
	s_branch .LBB174_759
.LBB174_758:
	s_mov_b64 s[34:35], 0
                                        ; implicit-def: $vgpr4
.LBB174_759:
	s_andn2_b64 s[30:31], s[22:23], exec
	s_and_b64 s[0:1], s[0:1], exec
	s_or_b64 s[30:31], s[30:31], s[0:1]
	s_andn2_b64 s[0:1], s[20:21], exec
	s_and_b64 s[28:29], s[28:29], exec
	s_or_b64 s[0:1], s[0:1], s[28:29]
	s_orn2_b64 s[36:37], s[34:35], exec
.LBB174_760:
	s_or_b64 exec, exec, s[26:27]
	s_mov_b64 s[34:35], 0
	s_mov_b64 s[28:29], 0
	;; [unrolled: 1-line block ×3, first 2 shown]
                                        ; implicit-def: $vgpr0_vgpr1
                                        ; implicit-def: $vgpr5
	s_and_saveexec_b64 s[26:27], s[36:37]
	s_cbranch_execz .LBB174_841
; %bb.761:
	v_cmp_gt_i32_e32 vcc, s40, v4
	s_mov_b64 s[36:37], 0
	s_mov_b64 s[40:41], s[0:1]
	;; [unrolled: 1-line block ×3, first 2 shown]
                                        ; implicit-def: $vgpr0_vgpr1
                                        ; implicit-def: $vgpr5
	s_and_saveexec_b64 s[28:29], vcc
	s_cbranch_execz .LBB174_840
; %bb.762:
	v_mul_lo_u32 v0, v4, s13
	v_mov_b32_e32 v1, s11
	s_and_b32 s42, 0xffff, s33
	s_cmp_lt_i32 s42, 11
	s_waitcnt vmcnt(0)
	v_ashrrev_i32_e32 v2, 31, v0
	v_add_co_u32_e32 v0, vcc, s10, v0
	v_addc_co_u32_e32 v1, vcc, v1, v2, vcc
	s_cbranch_scc1 .LBB174_769
; %bb.763:
	s_cmp_gt_i32 s42, 25
	s_cbranch_scc0 .LBB174_770
; %bb.764:
	s_cmp_gt_i32 s42, 28
	s_cbranch_scc0 .LBB174_771
	;; [unrolled: 3-line block ×4, first 2 shown]
; %bb.767:
	s_cmp_eq_u32 s42, 46
	s_mov_b64 s[40:41], 0
	s_cbranch_scc0 .LBB174_778
; %bb.768:
	global_load_dword v2, v[0:1], off
	s_mov_b64 s[38:39], -1
	s_waitcnt vmcnt(0)
	v_lshlrev_b32_e32 v2, 16, v2
	v_cvt_i32_f32_e32 v5, v2
	s_branch .LBB174_780
.LBB174_769:
	s_mov_b64 s[40:41], -1
                                        ; implicit-def: $vgpr5
	s_mov_b64 s[34:35], s[0:1]
	s_branch .LBB174_839
.LBB174_770:
	s_mov_b64 s[40:41], -1
	s_mov_b64 s[34:35], s[0:1]
                                        ; implicit-def: $vgpr5
	s_branch .LBB174_807
.LBB174_771:
	s_mov_b64 s[40:41], -1
	s_mov_b64 s[34:35], s[0:1]
                                        ; implicit-def: $vgpr5
	s_branch .LBB174_790
.LBB174_772:
	s_mov_b64 s[40:41], -1
	s_mov_b64 s[34:35], s[0:1]
                                        ; implicit-def: $vgpr5
	s_branch .LBB174_785
.LBB174_773:
	s_andn2_saveexec_b64 s[36:37], s[36:37]
	s_cbranch_execz .LBB174_669
.LBB174_774:
	s_mov_b32 s41, 0x46000000
	v_add_f32_e64 v5, |v1|, s41
	v_and_b32_e32 v5, 0xff, v5
	v_cmp_ne_u32_e32 vcc, 0, v5
	s_andn2_b64 s[34:35], s[34:35], exec
	s_and_b64 s[42:43], vcc, exec
	s_or_b64 s[34:35], s[34:35], s[42:43]
	s_or_b64 exec, exec, s[36:37]
	v_mov_b32_e32 v6, 0
	s_and_saveexec_b64 s[36:37], s[34:35]
	s_cbranch_execnz .LBB174_670
	s_branch .LBB174_671
.LBB174_775:
	s_mov_b64 s[40:41], -1
	s_mov_b64 s[34:35], s[0:1]
	s_branch .LBB174_779
.LBB174_776:
	s_andn2_saveexec_b64 s[36:37], s[36:37]
	s_cbranch_execz .LBB174_682
.LBB174_777:
	s_mov_b32 s41, 0x42800000
	v_add_f32_e64 v5, |v1|, s41
	v_and_b32_e32 v5, 0xff, v5
	v_cmp_ne_u32_e32 vcc, 0, v5
	s_andn2_b64 s[34:35], s[34:35], exec
	s_and_b64 s[42:43], vcc, exec
	s_or_b64 s[34:35], s[34:35], s[42:43]
	s_or_b64 exec, exec, s[36:37]
	v_mov_b32_e32 v6, 0
	s_and_saveexec_b64 s[36:37], s[34:35]
	s_cbranch_execnz .LBB174_683
	s_branch .LBB174_684
.LBB174_778:
	s_mov_b64 s[34:35], -1
.LBB174_779:
                                        ; implicit-def: $vgpr5
.LBB174_780:
	s_and_b64 vcc, exec, s[40:41]
	s_cbranch_vccz .LBB174_784
; %bb.781:
	s_cmp_eq_u32 s42, 44
	s_cbranch_scc0 .LBB174_783
; %bb.782:
	global_load_ubyte v2, v[0:1], off
	s_mov_b64 s[34:35], 0
	s_mov_b64 s[38:39], -1
	s_waitcnt vmcnt(0)
	v_lshlrev_b32_e32 v3, 23, v2
	v_cvt_i32_f32_e32 v3, v3
	v_cmp_ne_u32_e32 vcc, 0, v2
	v_cndmask_b32_e32 v5, 0, v3, vcc
	s_branch .LBB174_784
.LBB174_783:
	s_mov_b64 s[34:35], -1
                                        ; implicit-def: $vgpr5
.LBB174_784:
	s_mov_b64 s[40:41], 0
.LBB174_785:
	s_and_b64 vcc, exec, s[40:41]
	s_cbranch_vccz .LBB174_789
; %bb.786:
	s_cmp_eq_u32 s42, 29
	s_cbranch_scc0 .LBB174_788
; %bb.787:
	global_load_dword v5, v[0:1], off
	s_mov_b64 s[34:35], 0
	s_mov_b64 s[38:39], -1
	s_branch .LBB174_789
.LBB174_788:
	s_mov_b64 s[34:35], -1
                                        ; implicit-def: $vgpr5
.LBB174_789:
	s_mov_b64 s[40:41], 0
.LBB174_790:
	s_and_b64 vcc, exec, s[40:41]
	s_cbranch_vccz .LBB174_806
; %bb.791:
	s_cmp_lt_i32 s42, 27
	s_cbranch_scc1 .LBB174_794
; %bb.792:
	s_cmp_gt_i32 s42, 27
	s_cbranch_scc0 .LBB174_795
; %bb.793:
	global_load_dword v5, v[0:1], off
	s_mov_b64 s[38:39], 0
	s_branch .LBB174_796
.LBB174_794:
	s_mov_b64 s[38:39], -1
                                        ; implicit-def: $vgpr5
	s_branch .LBB174_799
.LBB174_795:
	s_mov_b64 s[38:39], -1
                                        ; implicit-def: $vgpr5
.LBB174_796:
	s_andn2_b64 vcc, exec, s[38:39]
	s_cbranch_vccnz .LBB174_798
; %bb.797:
	global_load_ushort v5, v[0:1], off
.LBB174_798:
	s_mov_b64 s[38:39], 0
.LBB174_799:
	s_andn2_b64 vcc, exec, s[38:39]
	s_cbranch_vccnz .LBB174_805
; %bb.800:
	global_load_ubyte v2, v[0:1], off
	s_movk_i32 s38, 0x7f
	s_mov_b64 s[40:41], 0
	s_waitcnt vmcnt(0)
	v_cmp_lt_i16_e32 vcc, s38, v2
	s_and_saveexec_b64 s[38:39], vcc
	s_xor_b64 s[38:39], exec, s[38:39]
	s_cbranch_execz .LBB174_817
; %bb.801:
	s_movk_i32 s40, 0x80
	v_cmp_ne_u16_e32 vcc, s40, v2
	s_and_b64 s[40:41], vcc, exec
	s_andn2_saveexec_b64 s[38:39], s[38:39]
	s_cbranch_execnz .LBB174_818
.LBB174_802:
	s_or_b64 exec, exec, s[38:39]
	v_mov_b32_e32 v5, 0
	s_and_saveexec_b64 s[38:39], s[40:41]
	s_cbranch_execz .LBB174_804
.LBB174_803:
	v_lshlrev_b32_e32 v3, 24, v2
	v_and_b32_e32 v2, 0xffff, v2
	v_and_b32_e32 v5, 7, v2
	v_ffbh_u32_e32 v7, v5
	v_min_u32_e32 v7, 32, v7
	v_subrev_u32_e32 v8, 28, v7
	v_bfe_u32 v6, v2, 3, 4
	v_lshlrev_b32_e32 v2, v8, v2
	v_sub_u32_e32 v7, 29, v7
	v_and_b32_e32 v2, 7, v2
	v_cmp_eq_u32_e32 vcc, 0, v6
	v_cndmask_b32_e32 v6, v6, v7, vcc
	v_cndmask_b32_e32 v2, v5, v2, vcc
	v_mov_b32_e32 v5, 0x3b800000
	v_lshlrev_b32_e32 v2, 20, v2
	v_and_b32_e32 v3, 0x80000000, v3
	v_lshl_add_u32 v5, v6, 23, v5
	v_or3_b32 v2, v3, v5, v2
	v_cvt_i32_f32_e32 v5, v2
.LBB174_804:
	s_or_b64 exec, exec, s[38:39]
.LBB174_805:
	s_mov_b64 s[38:39], -1
.LBB174_806:
	s_mov_b64 s[40:41], 0
.LBB174_807:
	s_and_b64 vcc, exec, s[40:41]
	s_cbranch_vccz .LBB174_838
; %bb.808:
	s_cmp_gt_i32 s42, 22
	s_cbranch_scc0 .LBB174_816
; %bb.809:
	s_cmp_lt_i32 s42, 24
	s_cbranch_scc1 .LBB174_819
; %bb.810:
	s_cmp_gt_i32 s42, 24
	s_cbranch_scc0 .LBB174_820
; %bb.811:
	global_load_ubyte v2, v[0:1], off
	s_movk_i32 s36, 0x7f
	s_mov_b64 s[38:39], 0
	s_waitcnt vmcnt(0)
	v_cmp_lt_i16_e32 vcc, s36, v2
	s_and_saveexec_b64 s[36:37], vcc
	s_xor_b64 s[36:37], exec, s[36:37]
	s_cbranch_execz .LBB174_832
; %bb.812:
	s_movk_i32 s38, 0x80
	v_cmp_ne_u16_e32 vcc, s38, v2
	s_and_b64 s[38:39], vcc, exec
	s_andn2_saveexec_b64 s[36:37], s[36:37]
	s_cbranch_execnz .LBB174_833
.LBB174_813:
	s_or_b64 exec, exec, s[36:37]
	v_mov_b32_e32 v5, 0
	s_and_saveexec_b64 s[36:37], s[38:39]
	s_cbranch_execz .LBB174_815
.LBB174_814:
	v_lshlrev_b32_e32 v3, 24, v2
	v_and_b32_e32 v2, 0xffff, v2
	v_and_b32_e32 v5, 3, v2
	v_ffbh_u32_e32 v7, v5
	v_min_u32_e32 v7, 32, v7
	v_subrev_u32_e32 v8, 29, v7
	v_bfe_u32 v6, v2, 2, 5
	v_lshlrev_b32_e32 v2, v8, v2
	v_sub_u32_e32 v7, 30, v7
	v_and_b32_e32 v2, 3, v2
	v_cmp_eq_u32_e32 vcc, 0, v6
	v_cndmask_b32_e32 v6, v6, v7, vcc
	v_cndmask_b32_e32 v2, v5, v2, vcc
	v_mov_b32_e32 v5, 0x37800000
	v_lshlrev_b32_e32 v2, 21, v2
	v_and_b32_e32 v3, 0x80000000, v3
	v_lshl_add_u32 v5, v6, 23, v5
	v_or3_b32 v2, v3, v5, v2
	v_cvt_i32_f32_e32 v5, v2
.LBB174_815:
	s_or_b64 exec, exec, s[36:37]
	s_mov_b64 s[36:37], 0
	s_branch .LBB174_821
.LBB174_816:
	s_mov_b64 s[36:37], -1
                                        ; implicit-def: $vgpr5
	s_branch .LBB174_827
.LBB174_817:
	s_andn2_saveexec_b64 s[38:39], s[38:39]
	s_cbranch_execz .LBB174_802
.LBB174_818:
	v_cmp_ne_u16_e32 vcc, 0, v2
	s_andn2_b64 s[40:41], s[40:41], exec
	s_and_b64 s[44:45], vcc, exec
	s_or_b64 s[40:41], s[40:41], s[44:45]
	s_or_b64 exec, exec, s[38:39]
	v_mov_b32_e32 v5, 0
	s_and_saveexec_b64 s[38:39], s[40:41]
	s_cbranch_execnz .LBB174_803
	s_branch .LBB174_804
.LBB174_819:
	s_mov_b64 s[36:37], -1
                                        ; implicit-def: $vgpr5
	s_branch .LBB174_824
.LBB174_820:
	s_mov_b64 s[36:37], -1
                                        ; implicit-def: $vgpr5
.LBB174_821:
	s_and_b64 vcc, exec, s[36:37]
	s_cbranch_vccz .LBB174_823
; %bb.822:
	global_load_ubyte v2, v[0:1], off
	s_mov_b32 s36, 0x7f800000
	s_waitcnt vmcnt(0)
	v_lshlrev_b32_e32 v2, 24, v2
	v_and_b32_e32 v3, 0x7f000000, v2
	v_ffbh_u32_e32 v5, v3
	v_min_u32_e32 v5, 32, v5
	v_sub_u32_e64 v5, v5, 4 clamp
	v_lshlrev_b32_e32 v7, v5, v3
	v_lshlrev_b32_e32 v5, 23, v5
	v_lshrrev_b32_e32 v7, 4, v7
	v_add_u32_e32 v6, 0x1000000, v3
	v_sub_u32_e32 v5, v7, v5
	v_ashrrev_i32_e32 v6, 8, v6
	v_add_u32_e32 v5, 0x3c000000, v5
	v_and_or_b32 v5, v6, s36, v5
	v_cmp_ne_u32_e32 vcc, 0, v3
	v_cndmask_b32_e32 v3, 0, v5, vcc
	s_brev_b32 s36, 1
	v_and_or_b32 v2, v2, s36, v3
	v_cvt_i32_f32_e32 v5, v2
.LBB174_823:
	s_mov_b64 s[36:37], 0
.LBB174_824:
	s_andn2_b64 vcc, exec, s[36:37]
	s_cbranch_vccnz .LBB174_826
; %bb.825:
	global_load_ubyte v2, v[0:1], off
	s_movk_i32 s36, 0x7f00
	s_brev_b32 s37, 16
	s_waitcnt vmcnt(0)
	v_lshlrev_b16_e32 v3, 8, v2
	v_lshlrev_b32_e32 v2, 25, v2
	v_lshrrev_b32_e32 v5, 4, v2
	v_and_or_b32 v6, v3, s36, 0.5
	v_or_b32_e32 v5, 0x70000000, v5
	v_add_f32_e32 v6, -0.5, v6
	v_mul_f32_e32 v5, 0x7800000, v5
	v_cmp_gt_u32_e32 vcc, s37, v2
	v_bfe_i32 v3, v3, 0, 16
	v_cndmask_b32_e32 v2, v5, v6, vcc
	s_brev_b32 s36, 1
	v_and_or_b32 v2, v3, s36, v2
	v_cvt_i32_f32_e32 v5, v2
.LBB174_826:
	s_mov_b64 s[36:37], 0
	s_mov_b64 s[38:39], -1
.LBB174_827:
	s_andn2_b64 vcc, exec, s[36:37]
	s_mov_b64 s[36:37], 0
	s_cbranch_vccnz .LBB174_838
; %bb.828:
	s_cmp_gt_i32 s42, 14
	s_cbranch_scc0 .LBB174_831
; %bb.829:
	s_cmp_eq_u32 s42, 15
	s_cbranch_scc0 .LBB174_834
; %bb.830:
	global_load_ushort v2, v[0:1], off
	s_mov_b64 s[34:35], 0
	s_mov_b64 s[38:39], -1
	s_waitcnt vmcnt(0)
	v_lshlrev_b32_e32 v2, 16, v2
	v_cvt_i32_f32_e32 v5, v2
	s_branch .LBB174_835
.LBB174_831:
	s_mov_b64 s[40:41], -1
                                        ; implicit-def: $vgpr5
	s_branch .LBB174_836
.LBB174_832:
	s_andn2_saveexec_b64 s[36:37], s[36:37]
	s_cbranch_execz .LBB174_813
.LBB174_833:
	v_cmp_ne_u16_e32 vcc, 0, v2
	s_andn2_b64 s[38:39], s[38:39], exec
	s_and_b64 s[40:41], vcc, exec
	s_or_b64 s[38:39], s[38:39], s[40:41]
	s_or_b64 exec, exec, s[36:37]
	v_mov_b32_e32 v5, 0
	s_and_saveexec_b64 s[36:37], s[38:39]
	s_cbranch_execnz .LBB174_814
	s_branch .LBB174_815
.LBB174_834:
	s_mov_b64 s[34:35], -1
                                        ; implicit-def: $vgpr5
.LBB174_835:
	s_mov_b64 s[40:41], 0
.LBB174_836:
	s_and_b64 vcc, exec, s[40:41]
	s_cbranch_vccz .LBB174_838
; %bb.837:
	s_cmp_lg_u32 s42, 11
	s_cselect_b64 s[40:41], -1, 0
	s_andn2_b64 s[34:35], s[34:35], exec
	s_and_b64 s[40:41], s[40:41], exec
	s_mov_b64 s[36:37], -1
	s_or_b64 s[34:35], s[34:35], s[40:41]
.LBB174_838:
	s_mov_b64 s[40:41], 0
.LBB174_839:
	s_and_b64 s[42:43], s[40:41], exec
	s_andn2_b64 s[40:41], s[0:1], exec
	s_and_b64 s[34:35], s[34:35], exec
	s_and_b64 s[38:39], s[38:39], exec
	;; [unrolled: 1-line block ×3, first 2 shown]
	s_or_b64 s[40:41], s[40:41], s[34:35]
.LBB174_840:
	s_or_b64 exec, exec, s[28:29]
	s_and_b64 s[34:35], s[36:37], exec
	s_andn2_b64 s[0:1], s[0:1], exec
	s_and_b64 s[36:37], s[40:41], exec
	s_and_b64 s[38:39], s[38:39], exec
	;; [unrolled: 1-line block ×3, first 2 shown]
	s_or_b64 s[0:1], s[0:1], s[36:37]
.LBB174_841:
	s_or_b64 exec, exec, s[26:27]
	s_andn2_b64 s[22:23], s[22:23], exec
	s_and_b64 s[26:27], s[30:31], exec
	s_andn2_b64 s[20:21], s[20:21], exec
	s_and_b64 s[0:1], s[0:1], exec
	s_or_b64 s[22:23], s[22:23], s[26:27]
	s_and_b64 s[30:31], s[38:39], exec
	s_and_b64 s[28:29], s[28:29], exec
	;; [unrolled: 1-line block ×3, first 2 shown]
	s_or_b64 s[20:21], s[20:21], s[0:1]
.LBB174_842:
	s_or_b64 exec, exec, s[24:25]
	s_andn2_b64 s[0:1], s[14:15], exec
	s_and_b64 s[14:15], s[22:23], exec
	s_andn2_b64 s[16:17], s[16:17], exec
	s_and_b64 s[20:21], s[20:21], exec
	s_or_b64 s[14:15], s[0:1], s[14:15]
	s_and_b64 s[0:1], s[30:31], exec
	s_and_b64 s[24:25], s[28:29], exec
	;; [unrolled: 1-line block ×3, first 2 shown]
	s_or_b64 s[16:17], s[16:17], s[20:21]
	s_or_b64 exec, exec, s[18:19]
	s_mov_b64 s[18:19], 0
	s_and_saveexec_b64 s[20:21], s[16:17]
	s_cbranch_execz .LBB174_258
.LBB174_843:
	s_mov_b64 s[18:19], exec
	s_andn2_b64 s[22:23], s[22:23], exec
	s_trap 2
	s_or_b64 exec, exec, s[20:21]
	s_and_saveexec_b64 s[16:17], s[22:23]
	s_xor_b64 s[16:17], exec, s[16:17]
	s_cbranch_execnz .LBB174_259
.LBB174_844:
	s_or_b64 exec, exec, s[16:17]
	s_and_saveexec_b64 s[16:17], s[24:25]
	s_cbranch_execz .LBB174_890
.LBB174_845:
	s_sext_i32_i16 s20, s33
	s_cmp_lt_i32 s20, 5
	s_cbranch_scc1 .LBB174_850
; %bb.846:
	s_cmp_lt_i32 s20, 8
	s_cbranch_scc1 .LBB174_851
; %bb.847:
	;; [unrolled: 3-line block ×3, first 2 shown]
	s_cmp_gt_i32 s20, 9
	s_cbranch_scc0 .LBB174_853
; %bb.849:
	global_load_dwordx2 v[2:3], v[0:1], off
	s_mov_b64 s[20:21], 0
	s_waitcnt vmcnt(0)
	v_cvt_i32_f64_e32 v5, v[2:3]
	s_branch .LBB174_854
.LBB174_850:
                                        ; implicit-def: $vgpr5
	s_branch .LBB174_871
.LBB174_851:
                                        ; implicit-def: $vgpr5
	s_branch .LBB174_860
.LBB174_852:
	s_mov_b64 s[20:21], -1
                                        ; implicit-def: $vgpr5
	s_branch .LBB174_857
.LBB174_853:
	s_mov_b64 s[20:21], -1
                                        ; implicit-def: $vgpr5
.LBB174_854:
	s_andn2_b64 vcc, exec, s[20:21]
	s_cbranch_vccnz .LBB174_856
; %bb.855:
	global_load_dword v2, v[0:1], off
	s_waitcnt vmcnt(0)
	v_cvt_i32_f32_e32 v5, v2
.LBB174_856:
	s_mov_b64 s[20:21], 0
.LBB174_857:
	s_andn2_b64 vcc, exec, s[20:21]
	s_cbranch_vccnz .LBB174_859
; %bb.858:
	global_load_dword v2, v[0:1], off
	s_waitcnt vmcnt(0)
	v_cvt_f32_f16_e32 v2, v2
	v_cvt_i32_f32_e32 v5, v2
.LBB174_859:
	s_cbranch_execnz .LBB174_870
.LBB174_860:
	s_sext_i32_i16 s20, s33
	s_cmp_lt_i32 s20, 6
	s_cbranch_scc1 .LBB174_863
; %bb.861:
	s_cmp_gt_i32 s20, 6
	s_cbranch_scc0 .LBB174_864
; %bb.862:
	global_load_dwordx2 v[2:3], v[0:1], off
	s_mov_b64 s[20:21], 0
	s_waitcnt vmcnt(0)
	v_cvt_i32_f64_e32 v5, v[2:3]
	s_branch .LBB174_865
.LBB174_863:
	s_mov_b64 s[20:21], -1
                                        ; implicit-def: $vgpr5
	s_branch .LBB174_868
.LBB174_864:
	s_mov_b64 s[20:21], -1
                                        ; implicit-def: $vgpr5
.LBB174_865:
	s_andn2_b64 vcc, exec, s[20:21]
	s_cbranch_vccnz .LBB174_867
; %bb.866:
	global_load_dword v2, v[0:1], off
	s_waitcnt vmcnt(0)
	v_cvt_i32_f32_e32 v5, v2
.LBB174_867:
	s_mov_b64 s[20:21], 0
.LBB174_868:
	s_andn2_b64 vcc, exec, s[20:21]
	s_cbranch_vccnz .LBB174_870
; %bb.869:
	global_load_ushort v2, v[0:1], off
	s_waitcnt vmcnt(0)
	v_cvt_f32_f16_e32 v2, v2
	v_cvt_i32_f32_e32 v5, v2
.LBB174_870:
	s_cbranch_execnz .LBB174_889
.LBB174_871:
	s_sext_i32_i16 s20, s33
	s_cmp_lt_i32 s20, 2
	s_cbranch_scc1 .LBB174_875
; %bb.872:
	s_cmp_lt_i32 s20, 3
	s_cbranch_scc1 .LBB174_876
; %bb.873:
	s_cmp_gt_i32 s20, 3
	s_cbranch_scc0 .LBB174_877
; %bb.874:
	global_load_dword v5, v[0:1], off
	s_mov_b64 s[20:21], 0
	s_branch .LBB174_878
.LBB174_875:
                                        ; implicit-def: $vgpr5
	s_branch .LBB174_884
.LBB174_876:
	s_mov_b64 s[20:21], -1
                                        ; implicit-def: $vgpr5
	s_branch .LBB174_881
.LBB174_877:
	s_mov_b64 s[20:21], -1
                                        ; implicit-def: $vgpr5
.LBB174_878:
	s_andn2_b64 vcc, exec, s[20:21]
	s_cbranch_vccnz .LBB174_880
; %bb.879:
	global_load_dword v5, v[0:1], off
.LBB174_880:
	s_mov_b64 s[20:21], 0
.LBB174_881:
	s_andn2_b64 vcc, exec, s[20:21]
	s_cbranch_vccnz .LBB174_883
; %bb.882:
	global_load_sshort v5, v[0:1], off
.LBB174_883:
	s_cbranch_execnz .LBB174_889
.LBB174_884:
	s_sext_i32_i16 s20, s33
	s_cmp_gt_i32 s20, 0
	s_cbranch_scc0 .LBB174_886
; %bb.885:
	global_load_sbyte v5, v[0:1], off
	s_mov_b64 s[20:21], 0
	s_branch .LBB174_887
.LBB174_886:
	s_mov_b64 s[20:21], -1
                                        ; implicit-def: $vgpr5
.LBB174_887:
	s_andn2_b64 vcc, exec, s[20:21]
	s_cbranch_vccnz .LBB174_889
; %bb.888:
	global_load_ubyte v5, v[0:1], off
.LBB174_889:
	s_or_b64 s[0:1], s[0:1], exec
.LBB174_890:
	s_or_b64 exec, exec, s[16:17]
	s_mov_b64 s[22:23], 0
	s_mov_b64 s[20:21], 0
                                        ; implicit-def: $sgpr28
                                        ; implicit-def: $vgpr2_vgpr3
                                        ; implicit-def: $vgpr0
	s_and_saveexec_b64 s[16:17], s[0:1]
	s_cbranch_execz .LBB174_898
; %bb.891:
	v_mul_lo_u32 v1, v4, s12
	s_waitcnt vmcnt(0)
	v_min_u32_e32 v0, 31, v5
	v_mov_b32_e32 v3, s9
	s_and_b32 s28, s3, 0xff
	v_ashrrev_i32_e32 v4, 31, v1
	v_add_co_u32_e32 v2, vcc, s8, v1
	v_ashrrev_i32_e64 v0, v0, s2
	s_cmp_lt_i32 s28, 11
	v_addc_co_u32_e32 v3, vcc, v3, v4, vcc
	s_cbranch_scc1 .LBB174_901
; %bb.892:
	s_and_b32 s29, 0xffff, s28
	s_mov_b64 s[22:23], -1
	s_cmp_gt_i32 s29, 25
	s_mov_b64 s[0:1], s[14:15]
	s_cbranch_scc0 .LBB174_929
; %bb.893:
	s_mov_b64 s[20:21], -1
	s_cmp_gt_i32 s29, 28
	s_mov_b64 s[0:1], s[14:15]
	s_cbranch_scc0 .LBB174_913
; %bb.894:
	s_cmp_gt_i32 s29, 43
	s_mov_b64 s[0:1], s[14:15]
	s_cbranch_scc0 .LBB174_909
; %bb.895:
	;; [unrolled: 4-line block ×3, first 2 shown]
	s_cmp_eq_u32 s29, 46
	s_mov_b64 s[0:1], -1
	s_cbranch_scc0 .LBB174_902
; %bb.897:
	v_cvt_f32_i32_e32 v1, v0
	s_movk_i32 s0, 0x7fff
	s_mov_b64 s[20:21], 0
	v_bfe_u32 v4, v1, 16, 1
	v_add3_u32 v1, v1, v4, s0
	v_lshrrev_b32_e32 v1, 16, v1
	global_store_dword v[2:3], v1, off
	s_mov_b64 s[0:1], 0
	s_branch .LBB174_903
.LBB174_898:
	s_or_b64 exec, exec, s[16:17]
	s_and_saveexec_b64 s[0:1], s[14:15]
	s_cbranch_execnz .LBB174_971
.LBB174_899:
	s_or_b64 exec, exec, s[0:1]
	s_and_saveexec_b64 s[0:1], s[22:23]
	s_xor_b64 s[0:1], exec, s[0:1]
	s_cbranch_execz .LBB174_972
.LBB174_900:
	v_cmp_ne_u32_e32 vcc, 0, v0
	v_cndmask_b32_e64 v1, 0, 1, vcc
	s_waitcnt vmcnt(0)
	global_store_byte v[2:3], v1, off
	s_or_b64 exec, exec, s[0:1]
	s_and_saveexec_b64 s[0:1], s[20:21]
	s_xor_b64 s[0:1], exec, s[0:1]
	s_cbranch_execz .LBB174_1010
	s_branch .LBB174_973
.LBB174_901:
	s_mov_b64 s[20:21], -1
	s_mov_b64 s[0:1], s[14:15]
	s_branch .LBB174_970
.LBB174_902:
	s_mov_b64 s[20:21], 0
.LBB174_903:
	s_and_b64 vcc, exec, s[20:21]
	s_cbranch_vccz .LBB174_908
; %bb.904:
	s_cmp_eq_u32 s29, 44
	s_mov_b64 s[0:1], -1
	s_cbranch_scc0 .LBB174_908
; %bb.905:
	v_cvt_f32_i32_e32 v1, v0
	s_movk_i32 s0, 0xff
	v_mov_b32_e32 v5, 0xff
	v_bfe_u32 v4, v1, 23, 8
	v_cmp_ne_u32_e32 vcc, s0, v4
	s_and_saveexec_b64 s[20:21], vcc
; %bb.906:
	s_mov_b32 s0, 0x3fffff
	v_lshrrev_b32_e32 v5, 23, v1
	v_and_b32_e32 v6, 0x400000, v1
	v_and_or_b32 v1, v1, s0, v4
	v_cmp_ne_u32_e32 vcc, 0, v6
	v_cmp_ne_u32_e64 s[0:1], 0, v1
	s_and_b64 s[0:1], vcc, s[0:1]
	v_cndmask_b32_e64 v1, 0, 1, s[0:1]
	v_add_u32_e32 v5, v5, v1
; %bb.907:
	s_or_b64 exec, exec, s[20:21]
	s_mov_b64 s[0:1], 0
	global_store_byte v[2:3], v5, off
.LBB174_908:
	s_mov_b64 s[20:21], 0
.LBB174_909:
	s_and_b64 vcc, exec, s[20:21]
	s_cbranch_vccz .LBB174_912
; %bb.910:
	s_cmp_eq_u32 s29, 29
	s_mov_b64 s[0:1], -1
	s_cbranch_scc0 .LBB174_912
; %bb.911:
	v_ashrrev_i32_e32 v1, 31, v0
	global_store_dwordx2 v[2:3], v[0:1], off
	s_mov_b64 s[0:1], 0
.LBB174_912:
	s_mov_b64 s[20:21], 0
.LBB174_913:
	s_and_b64 vcc, exec, s[20:21]
	s_cbranch_vccz .LBB174_928
; %bb.914:
	s_cmp_lt_i32 s29, 27
	s_mov_b64 s[20:21], -1
	s_cbranch_scc1 .LBB174_920
; %bb.915:
	s_cmp_gt_i32 s29, 27
	s_cbranch_scc0 .LBB174_917
; %bb.916:
	s_mov_b64 s[20:21], 0
	global_store_dword v[2:3], v0, off
.LBB174_917:
	s_andn2_b64 vcc, exec, s[20:21]
	s_cbranch_vccnz .LBB174_919
; %bb.918:
	global_store_short v[2:3], v0, off
.LBB174_919:
	s_mov_b64 s[20:21], 0
.LBB174_920:
	s_andn2_b64 vcc, exec, s[20:21]
	s_cbranch_vccnz .LBB174_928
; %bb.921:
	v_cvt_f32_i32_e32 v1, v0
	s_mov_b32 s20, 0x43800000
	v_mov_b32_e32 v5, 0x80
	v_and_b32_e32 v4, 0x7fffffff, v1
	v_cmp_gt_u32_e32 vcc, s20, v4
	s_and_saveexec_b64 s[20:21], vcc
	s_cbranch_execz .LBB174_927
; %bb.922:
	s_mov_b32 s22, 0x3bffffff
	v_cmp_lt_u32_e32 vcc, s22, v4
	s_mov_b64 s[22:23], 0
                                        ; implicit-def: $vgpr4
	s_and_saveexec_b64 s[24:25], vcc
	s_xor_b64 s[24:25], exec, s[24:25]
	s_cbranch_execz .LBB174_1025
; %bb.923:
	v_bfe_u32 v4, v1, 20, 1
	s_mov_b32 s26, 0x487ffff
	v_add3_u32 v4, v1, v4, s26
	s_mov_b64 s[22:23], exec
	v_lshrrev_b32_e32 v4, 20, v4
	s_andn2_saveexec_b64 s[24:25], s[24:25]
	s_cbranch_execnz .LBB174_1026
.LBB174_924:
	s_or_b64 exec, exec, s[24:25]
	v_mov_b32_e32 v5, 0
	s_and_saveexec_b64 s[24:25], s[22:23]
.LBB174_925:
	v_lshrrev_b32_e32 v1, 24, v1
	s_movk_i32 s22, 0x80
	v_and_or_b32 v5, v1, s22, v4
.LBB174_926:
	s_or_b64 exec, exec, s[24:25]
.LBB174_927:
	s_or_b64 exec, exec, s[20:21]
	global_store_byte v[2:3], v5, off
.LBB174_928:
	s_mov_b64 s[22:23], 0
.LBB174_929:
	s_mov_b64 s[20:21], 0
	s_and_b64 vcc, exec, s[22:23]
	s_cbranch_vccz .LBB174_969
; %bb.930:
	s_cmp_gt_i32 s29, 22
	s_mov_b64 s[22:23], -1
	s_cbranch_scc0 .LBB174_962
; %bb.931:
	s_cmp_lt_i32 s29, 24
	s_cbranch_scc1 .LBB174_951
; %bb.932:
	s_cmp_gt_i32 s29, 24
	s_cbranch_scc0 .LBB174_940
; %bb.933:
	v_cvt_f32_i32_e32 v1, v0
	s_mov_b32 s22, 0x47800000
	v_mov_b32_e32 v5, 0x80
	v_and_b32_e32 v4, 0x7fffffff, v1
	v_cmp_gt_u32_e32 vcc, s22, v4
	s_and_saveexec_b64 s[22:23], vcc
	s_cbranch_execz .LBB174_939
; %bb.934:
	s_mov_b32 s24, 0x37ffffff
	v_cmp_lt_u32_e32 vcc, s24, v4
	s_mov_b64 s[24:25], 0
                                        ; implicit-def: $vgpr4
	s_and_saveexec_b64 s[26:27], vcc
	s_xor_b64 s[26:27], exec, s[26:27]
	s_cbranch_execz .LBB174_1145
; %bb.935:
	v_bfe_u32 v4, v1, 21, 1
	s_mov_b32 s30, 0x88fffff
	v_add3_u32 v4, v1, v4, s30
	s_mov_b64 s[24:25], exec
	v_lshrrev_b32_e32 v4, 21, v4
	s_andn2_saveexec_b64 s[26:27], s[26:27]
	s_cbranch_execnz .LBB174_1146
.LBB174_936:
	s_or_b64 exec, exec, s[26:27]
	v_mov_b32_e32 v5, 0
	s_and_saveexec_b64 s[26:27], s[24:25]
.LBB174_937:
	v_lshrrev_b32_e32 v1, 24, v1
	s_movk_i32 s24, 0x80
	v_and_or_b32 v5, v1, s24, v4
.LBB174_938:
	s_or_b64 exec, exec, s[26:27]
.LBB174_939:
	s_or_b64 exec, exec, s[22:23]
	s_mov_b64 s[22:23], 0
	global_store_byte v[2:3], v5, off
.LBB174_940:
	s_and_b64 vcc, exec, s[22:23]
	s_cbranch_vccz .LBB174_950
; %bb.941:
	v_cvt_f32_i32_e32 v1, v0
	s_mov_b32 s22, 0x43f00000
                                        ; implicit-def: $vgpr4
	v_and_b32_e32 v5, 0x7fffffff, v1
	v_cmp_gt_u32_e32 vcc, s22, v5
	s_and_saveexec_b64 s[22:23], vcc
	s_xor_b64 s[22:23], exec, s[22:23]
	s_cbranch_execz .LBB174_947
; %bb.942:
	s_mov_b32 s24, 0x3c7fffff
	v_cmp_lt_u32_e32 vcc, s24, v5
                                        ; implicit-def: $vgpr4
	s_and_saveexec_b64 s[24:25], vcc
	s_xor_b64 s[24:25], exec, s[24:25]
; %bb.943:
	v_bfe_u32 v4, v1, 20, 1
	s_mov_b32 s26, 0x407ffff
	v_add3_u32 v4, v1, v4, s26
	v_lshrrev_b32_e32 v5, 20, v4
	v_and_b32_e32 v4, 0xff00000, v4
	s_mov_b32 s26, 0x7f00000
	v_mov_b32_e32 v6, 0x7e
	v_cmp_ne_u32_e32 vcc, s26, v4
	v_cndmask_b32_e32 v4, v6, v5, vcc
; %bb.944:
	s_andn2_saveexec_b64 s[24:25], s[24:25]
; %bb.945:
	s_mov_b32 s26, 0x46800000
	v_add_f32_e64 v4, |v1|, s26
; %bb.946:
	s_or_b64 exec, exec, s[24:25]
                                        ; implicit-def: $vgpr5
.LBB174_947:
	s_andn2_saveexec_b64 s[22:23], s[22:23]
; %bb.948:
	s_mov_b32 s24, 0x7f800000
	v_mov_b32_e32 v4, 0x7e
	v_mov_b32_e32 v6, 0x7f
	v_cmp_lt_u32_e32 vcc, s24, v5
	v_cndmask_b32_e32 v4, v4, v6, vcc
; %bb.949:
	s_or_b64 exec, exec, s[22:23]
	v_lshrrev_b32_e32 v1, 24, v1
	s_movk_i32 s22, 0x80
	v_and_or_b32 v1, v1, s22, v4
	global_store_byte v[2:3], v1, off
.LBB174_950:
	s_mov_b64 s[22:23], 0
.LBB174_951:
	s_andn2_b64 vcc, exec, s[22:23]
	s_cbranch_vccnz .LBB174_961
; %bb.952:
	v_cvt_f32_i32_e32 v1, v0
	s_mov_b32 s22, 0x47800000
                                        ; implicit-def: $vgpr4
	v_and_b32_e32 v5, 0x7fffffff, v1
	v_cmp_gt_u32_e32 vcc, s22, v5
	s_and_saveexec_b64 s[22:23], vcc
	s_xor_b64 s[22:23], exec, s[22:23]
	s_cbranch_execz .LBB174_958
; %bb.953:
	s_mov_b32 s24, 0x387fffff
	v_cmp_lt_u32_e32 vcc, s24, v5
                                        ; implicit-def: $vgpr4
	s_and_saveexec_b64 s[24:25], vcc
	s_xor_b64 s[24:25], exec, s[24:25]
; %bb.954:
	v_bfe_u32 v4, v1, 21, 1
	s_mov_b32 s26, 0x80fffff
	v_add3_u32 v4, v1, v4, s26
	v_lshrrev_b32_e32 v4, 21, v4
; %bb.955:
	s_andn2_saveexec_b64 s[24:25], s[24:25]
; %bb.956:
	s_mov_b32 s26, 0x43000000
	v_add_f32_e64 v4, |v1|, s26
; %bb.957:
	s_or_b64 exec, exec, s[24:25]
                                        ; implicit-def: $vgpr5
.LBB174_958:
	s_andn2_saveexec_b64 s[22:23], s[22:23]
; %bb.959:
	s_mov_b32 s24, 0x7f800000
	v_mov_b32_e32 v4, 0x7c
	v_mov_b32_e32 v6, 0x7f
	v_cmp_lt_u32_e32 vcc, s24, v5
	v_cndmask_b32_e32 v4, v4, v6, vcc
; %bb.960:
	s_or_b64 exec, exec, s[22:23]
	v_lshrrev_b32_e32 v1, 24, v1
	s_movk_i32 s22, 0x80
	v_and_or_b32 v1, v1, s22, v4
	global_store_byte v[2:3], v1, off
.LBB174_961:
	s_mov_b64 s[22:23], 0
.LBB174_962:
	s_andn2_b64 vcc, exec, s[22:23]
	s_mov_b64 s[22:23], 0
	s_cbranch_vccnz .LBB174_970
; %bb.963:
	s_cmp_gt_i32 s29, 14
	s_mov_b64 s[24:25], -1
	s_cbranch_scc0 .LBB174_967
; %bb.964:
	s_cmp_eq_u32 s29, 15
	s_mov_b64 s[0:1], -1
	s_cbranch_scc0 .LBB174_966
; %bb.965:
	v_cvt_f32_i32_e32 v1, v0
	s_movk_i32 s0, 0x7fff
	v_bfe_u32 v4, v1, 16, 1
	v_add3_u32 v1, v1, v4, s0
	global_store_short_d16_hi v[2:3], v1, off
	s_mov_b64 s[0:1], 0
.LBB174_966:
	s_mov_b64 s[24:25], 0
.LBB174_967:
	s_and_b64 vcc, exec, s[24:25]
	s_cbranch_vccz .LBB174_970
; %bb.968:
	s_cmp_lg_u32 s29, 11
	s_cselect_b64 s[24:25], -1, 0
	s_andn2_b64 s[0:1], s[0:1], exec
	s_and_b64 s[24:25], s[24:25], exec
	s_mov_b64 s[22:23], -1
	s_or_b64 s[0:1], s[0:1], s[24:25]
	s_branch .LBB174_970
.LBB174_969:
	s_mov_b64 s[22:23], 0
.LBB174_970:
	s_andn2_b64 s[14:15], s[14:15], exec
	s_and_b64 s[0:1], s[0:1], exec
	s_and_b64 s[20:21], s[20:21], exec
	;; [unrolled: 1-line block ×3, first 2 shown]
	s_or_b64 s[14:15], s[14:15], s[0:1]
	s_or_b64 exec, exec, s[16:17]
	s_and_saveexec_b64 s[0:1], s[14:15]
	s_cbranch_execz .LBB174_899
.LBB174_971:
	s_or_b64 s[18:19], s[18:19], exec
	s_andn2_b64 s[22:23], s[22:23], exec
	s_trap 2
	s_or_b64 exec, exec, s[0:1]
	s_and_saveexec_b64 s[0:1], s[22:23]
	s_xor_b64 s[0:1], exec, s[0:1]
	s_cbranch_execnz .LBB174_900
.LBB174_972:
	s_or_b64 exec, exec, s[0:1]
	s_and_saveexec_b64 s[0:1], s[20:21]
	s_xor_b64 s[0:1], exec, s[0:1]
	s_cbranch_execz .LBB174_1010
.LBB174_973:
	s_sext_i32_i16 s16, s28
	s_cmp_lt_i32 s16, 5
	s_mov_b64 s[14:15], -1
	s_cbranch_scc1 .LBB174_994
; %bb.974:
	s_cmp_lt_i32 s16, 8
	s_cbranch_scc1 .LBB174_984
; %bb.975:
	s_cmp_lt_i32 s16, 9
	s_cbranch_scc1 .LBB174_981
; %bb.976:
	s_cmp_gt_i32 s16, 9
	s_cbranch_scc0 .LBB174_978
; %bb.977:
	s_waitcnt vmcnt(0)
	v_cvt_f64_i32_e32 v[4:5], v0
	v_mov_b32_e32 v6, 0
	v_mov_b32_e32 v7, v6
	s_mov_b64 s[14:15], 0
	global_store_dwordx4 v[2:3], v[4:7], off
.LBB174_978:
	s_andn2_b64 vcc, exec, s[14:15]
	s_cbranch_vccnz .LBB174_980
; %bb.979:
	v_cvt_f32_i32_e32 v4, v0
	s_waitcnt vmcnt(0)
	v_mov_b32_e32 v5, 0
	global_store_dwordx2 v[2:3], v[4:5], off
.LBB174_980:
	s_mov_b64 s[14:15], 0
.LBB174_981:
	s_andn2_b64 vcc, exec, s[14:15]
	s_cbranch_vccnz .LBB174_983
; %bb.982:
	v_cvt_f32_i32_e32 v1, v0
	v_cvt_f16_f32_e32 v1, v1
	s_waitcnt vmcnt(0)
	global_store_dword v[2:3], v1, off
.LBB174_983:
	s_mov_b64 s[14:15], 0
.LBB174_984:
	s_andn2_b64 vcc, exec, s[14:15]
	s_cbranch_vccnz .LBB174_993
; %bb.985:
	s_sext_i32_i16 s16, s28
	s_cmp_lt_i32 s16, 6
	s_mov_b64 s[14:15], -1
	s_cbranch_scc1 .LBB174_991
; %bb.986:
	s_cmp_gt_i32 s16, 6
	s_cbranch_scc0 .LBB174_988
; %bb.987:
	s_waitcnt vmcnt(0)
	v_cvt_f64_i32_e32 v[4:5], v0
	s_mov_b64 s[14:15], 0
	global_store_dwordx2 v[2:3], v[4:5], off
.LBB174_988:
	s_andn2_b64 vcc, exec, s[14:15]
	s_cbranch_vccnz .LBB174_990
; %bb.989:
	v_cvt_f32_i32_e32 v1, v0
	s_waitcnt vmcnt(0)
	global_store_dword v[2:3], v1, off
.LBB174_990:
	s_mov_b64 s[14:15], 0
.LBB174_991:
	s_andn2_b64 vcc, exec, s[14:15]
	s_cbranch_vccnz .LBB174_993
; %bb.992:
	v_cvt_f32_i32_e32 v1, v0
	v_cvt_f16_f32_e32 v1, v1
	s_waitcnt vmcnt(0)
	global_store_short v[2:3], v1, off
.LBB174_993:
	s_mov_b64 s[14:15], 0
.LBB174_994:
	s_andn2_b64 vcc, exec, s[14:15]
	s_cbranch_vccnz .LBB174_1010
; %bb.995:
	s_sext_i32_i16 s16, s28
	s_cmp_lt_i32 s16, 2
	s_mov_b64 s[14:15], -1
	s_cbranch_scc1 .LBB174_1005
; %bb.996:
	s_cmp_lt_i32 s16, 3
	s_cbranch_scc1 .LBB174_1002
; %bb.997:
	s_cmp_gt_i32 s16, 3
	s_cbranch_scc0 .LBB174_999
; %bb.998:
	v_ashrrev_i32_e32 v1, 31, v0
	s_mov_b64 s[14:15], 0
	s_waitcnt vmcnt(0)
	global_store_dwordx2 v[2:3], v[0:1], off
.LBB174_999:
	s_andn2_b64 vcc, exec, s[14:15]
	s_cbranch_vccnz .LBB174_1001
; %bb.1000:
	s_waitcnt vmcnt(0)
	global_store_dword v[2:3], v0, off
.LBB174_1001:
	s_mov_b64 s[14:15], 0
.LBB174_1002:
	s_andn2_b64 vcc, exec, s[14:15]
	s_cbranch_vccnz .LBB174_1004
; %bb.1003:
	s_waitcnt vmcnt(0)
	global_store_short v[2:3], v0, off
.LBB174_1004:
	s_mov_b64 s[14:15], 0
.LBB174_1005:
	s_andn2_b64 vcc, exec, s[14:15]
	s_cbranch_vccnz .LBB174_1010
; %bb.1006:
	s_sext_i32_i16 s14, s28
	s_cmp_gt_i32 s14, 0
	s_mov_b64 s[14:15], -1
	s_cbranch_scc0 .LBB174_1008
; %bb.1007:
	s_mov_b64 s[14:15], 0
	s_waitcnt vmcnt(0)
	global_store_byte v[2:3], v0, off
.LBB174_1008:
	s_andn2_b64 vcc, exec, s[14:15]
	s_cbranch_vccnz .LBB174_1010
; %bb.1009:
	s_waitcnt vmcnt(0)
	global_store_byte v[2:3], v0, off
.LBB174_1010:
	s_or_b64 exec, exec, s[0:1]
	s_and_b64 s[14:15], s[18:19], exec
                                        ; implicit-def: $vgpr4
.LBB174_1011:
	s_or_saveexec_b64 s[6:7], s[6:7]
	s_mov_b64 s[0:1], 0
                                        ; implicit-def: $sgpr22
                                        ; implicit-def: $vgpr2_vgpr3
                                        ; implicit-def: $vgpr0
	s_xor_b64 exec, exec, s[6:7]
	s_cbranch_execz .LBB174_1942
; %bb.1012:
	v_mul_lo_u32 v3, s13, v4
	v_mov_b32_e32 v1, s11
	s_and_b32 s22, 0xffff, s33
	s_cmp_lt_i32 s22, 11
	s_waitcnt vmcnt(0)
	v_ashrrev_i32_e32 v2, 31, v3
	v_add_co_u32_e32 v0, vcc, s10, v3
	v_addc_co_u32_e32 v1, vcc, v1, v2, vcc
	s_cbranch_scc1 .LBB174_1019
; %bb.1013:
	s_cmp_gt_i32 s22, 25
	s_cbranch_scc0 .LBB174_1021
; %bb.1014:
	s_cmp_gt_i32 s22, 28
	s_cbranch_scc0 .LBB174_1022
	;; [unrolled: 3-line block ×4, first 2 shown]
; %bb.1017:
	s_cmp_eq_u32 s22, 46
	s_mov_b64 s[16:17], 0
	s_cbranch_scc0 .LBB174_1027
; %bb.1018:
	global_load_dword v2, v[0:1], off
	s_mov_b64 s[18:19], -1
	s_waitcnt vmcnt(0)
	v_lshlrev_b32_e32 v2, 16, v2
	v_cvt_i32_f32_e32 v2, v2
	s_branch .LBB174_1028
.LBB174_1019:
	s_mov_b64 s[18:19], 0
                                        ; implicit-def: $vgpr2
	s_mov_b64 s[16:17], s[14:15]
	s_cbranch_execnz .LBB174_1086
.LBB174_1020:
	s_andn2_b64 vcc, exec, s[18:19]
	s_cbranch_vccz .LBB174_1131
	s_branch .LBB174_1940
.LBB174_1021:
	s_mov_b64 s[18:19], 0
                                        ; implicit-def: $vgpr2
	s_cbranch_execnz .LBB174_1053
	s_branch .LBB174_1082
.LBB174_1022:
	s_mov_b64 s[18:19], 0
                                        ; implicit-def: $vgpr2
	s_cbranch_execz .LBB174_1052
	s_branch .LBB174_1037
.LBB174_1023:
	s_mov_b64 s[18:19], 0
                                        ; implicit-def: $vgpr2
	s_cbranch_execnz .LBB174_1033
	s_branch .LBB174_1036
.LBB174_1024:
	s_mov_b64 s[16:17], -1
	s_mov_b64 s[18:19], 0
                                        ; implicit-def: $vgpr2
	s_branch .LBB174_1028
.LBB174_1025:
	s_andn2_saveexec_b64 s[24:25], s[24:25]
	s_cbranch_execz .LBB174_924
.LBB174_1026:
	s_mov_b32 s26, 0x46000000
	v_add_f32_e64 v4, |v1|, s26
	v_and_b32_e32 v4, 0xff, v4
	v_cmp_ne_u32_e32 vcc, 0, v4
	s_andn2_b64 s[22:23], s[22:23], exec
	s_and_b64 s[26:27], vcc, exec
	s_or_b64 s[22:23], s[22:23], s[26:27]
	s_or_b64 exec, exec, s[24:25]
	v_mov_b32_e32 v5, 0
	s_and_saveexec_b64 s[24:25], s[22:23]
	s_cbranch_execnz .LBB174_925
	s_branch .LBB174_926
.LBB174_1027:
	s_mov_b64 s[0:1], -1
                                        ; implicit-def: $vgpr2
	s_mov_b64 s[18:19], 0
.LBB174_1028:
	s_and_b64 vcc, exec, s[16:17]
	s_cbranch_vccz .LBB174_1031
; %bb.1029:
	s_cmp_eq_u32 s22, 44
	s_cbranch_scc0 .LBB174_1032
; %bb.1030:
	global_load_ubyte v2, v[0:1], off
	s_mov_b64 s[0:1], 0
	s_mov_b64 s[18:19], -1
	s_waitcnt vmcnt(0)
	v_lshlrev_b32_e32 v5, 23, v2
	v_cvt_i32_f32_e32 v5, v5
	v_cmp_ne_u32_e32 vcc, 0, v2
	v_cndmask_b32_e32 v2, 0, v5, vcc
.LBB174_1031:
	s_branch .LBB174_1036
.LBB174_1032:
	s_mov_b64 s[0:1], -1
                                        ; implicit-def: $vgpr2
	s_branch .LBB174_1036
.LBB174_1033:
	s_cmp_eq_u32 s22, 29
	s_cbranch_scc0 .LBB174_1035
; %bb.1034:
	global_load_dword v2, v[0:1], off
	s_mov_b64 s[0:1], 0
	s_mov_b64 s[18:19], -1
	s_branch .LBB174_1036
.LBB174_1035:
	s_mov_b64 s[0:1], -1
                                        ; implicit-def: $vgpr2
.LBB174_1036:
	s_branch .LBB174_1052
.LBB174_1037:
	s_cmp_lt_i32 s22, 27
	s_cbranch_scc1 .LBB174_1040
; %bb.1038:
	s_cmp_gt_i32 s22, 27
	s_cbranch_scc0 .LBB174_1041
; %bb.1039:
	global_load_dword v2, v[0:1], off
	s_mov_b64 s[16:17], 0
	s_branch .LBB174_1042
.LBB174_1040:
	s_mov_b64 s[16:17], -1
                                        ; implicit-def: $vgpr2
	s_branch .LBB174_1045
.LBB174_1041:
	s_mov_b64 s[16:17], -1
                                        ; implicit-def: $vgpr2
.LBB174_1042:
	s_andn2_b64 vcc, exec, s[16:17]
	s_cbranch_vccnz .LBB174_1044
; %bb.1043:
	global_load_ushort v2, v[0:1], off
.LBB174_1044:
	s_mov_b64 s[16:17], 0
.LBB174_1045:
	s_andn2_b64 vcc, exec, s[16:17]
	s_cbranch_vccnz .LBB174_1051
; %bb.1046:
	global_load_ubyte v5, v[0:1], off
	s_movk_i32 s16, 0x7f
	s_mov_b64 s[18:19], 0
	s_waitcnt vmcnt(0)
	v_cmp_lt_i16_e32 vcc, s16, v5
	s_and_saveexec_b64 s[16:17], vcc
	s_xor_b64 s[16:17], exec, s[16:17]
	s_cbranch_execz .LBB174_1062
; %bb.1047:
	s_movk_i32 s18, 0x80
	v_cmp_ne_u16_e32 vcc, s18, v5
	s_and_b64 s[18:19], vcc, exec
	s_andn2_saveexec_b64 s[16:17], s[16:17]
	s_cbranch_execnz .LBB174_1063
.LBB174_1048:
	s_or_b64 exec, exec, s[16:17]
	v_mov_b32_e32 v2, 0
	s_and_saveexec_b64 s[16:17], s[18:19]
	s_cbranch_execz .LBB174_1050
.LBB174_1049:
	v_lshlrev_b32_e32 v2, 24, v5
	v_and_b32_e32 v5, 0xffff, v5
	v_and_b32_e32 v6, 7, v5
	v_ffbh_u32_e32 v8, v6
	v_min_u32_e32 v8, 32, v8
	v_subrev_u32_e32 v9, 28, v8
	v_bfe_u32 v7, v5, 3, 4
	v_lshlrev_b32_e32 v5, v9, v5
	v_sub_u32_e32 v8, 29, v8
	v_and_b32_e32 v5, 7, v5
	v_cmp_eq_u32_e32 vcc, 0, v7
	v_cndmask_b32_e32 v7, v7, v8, vcc
	v_cndmask_b32_e32 v5, v6, v5, vcc
	v_mov_b32_e32 v6, 0x3b800000
	v_lshlrev_b32_e32 v5, 20, v5
	v_and_b32_e32 v2, 0x80000000, v2
	v_lshl_add_u32 v6, v7, 23, v6
	v_or3_b32 v2, v2, v6, v5
	v_cvt_i32_f32_e32 v2, v2
.LBB174_1050:
	s_or_b64 exec, exec, s[16:17]
.LBB174_1051:
	s_mov_b64 s[18:19], -1
.LBB174_1052:
	s_branch .LBB174_1082
.LBB174_1053:
	s_cmp_gt_i32 s22, 22
	s_cbranch_scc0 .LBB174_1061
; %bb.1054:
	s_cmp_lt_i32 s22, 24
	s_cbranch_scc1 .LBB174_1064
; %bb.1055:
	s_cmp_gt_i32 s22, 24
	s_cbranch_scc0 .LBB174_1065
; %bb.1056:
	global_load_ubyte v5, v[0:1], off
	s_movk_i32 s4, 0x7f
	s_mov_b64 s[16:17], 0
	s_waitcnt vmcnt(0)
	v_cmp_lt_i16_e32 vcc, s4, v5
	s_and_saveexec_b64 s[4:5], vcc
	s_xor_b64 s[4:5], exec, s[4:5]
	s_cbranch_execz .LBB174_1076
; %bb.1057:
	s_movk_i32 s16, 0x80
	v_cmp_ne_u16_e32 vcc, s16, v5
	s_and_b64 s[16:17], vcc, exec
	s_andn2_saveexec_b64 s[4:5], s[4:5]
	s_cbranch_execnz .LBB174_1077
.LBB174_1058:
	s_or_b64 exec, exec, s[4:5]
	v_mov_b32_e32 v2, 0
	s_and_saveexec_b64 s[4:5], s[16:17]
	s_cbranch_execz .LBB174_1060
.LBB174_1059:
	v_lshlrev_b32_e32 v2, 24, v5
	v_and_b32_e32 v5, 0xffff, v5
	v_and_b32_e32 v6, 3, v5
	v_ffbh_u32_e32 v8, v6
	v_min_u32_e32 v8, 32, v8
	v_subrev_u32_e32 v9, 29, v8
	v_bfe_u32 v7, v5, 2, 5
	v_lshlrev_b32_e32 v5, v9, v5
	v_sub_u32_e32 v8, 30, v8
	v_and_b32_e32 v5, 3, v5
	v_cmp_eq_u32_e32 vcc, 0, v7
	v_cndmask_b32_e32 v7, v7, v8, vcc
	v_cndmask_b32_e32 v5, v6, v5, vcc
	v_mov_b32_e32 v6, 0x37800000
	v_lshlrev_b32_e32 v5, 21, v5
	v_and_b32_e32 v2, 0x80000000, v2
	v_lshl_add_u32 v6, v7, 23, v6
	v_or3_b32 v2, v2, v6, v5
	v_cvt_i32_f32_e32 v2, v2
.LBB174_1060:
	s_or_b64 exec, exec, s[4:5]
	s_mov_b64 s[4:5], 0
	s_branch .LBB174_1066
.LBB174_1061:
                                        ; implicit-def: $vgpr2
	s_mov_b64 s[4:5], 0
	s_branch .LBB174_1072
.LBB174_1062:
	s_andn2_saveexec_b64 s[16:17], s[16:17]
	s_cbranch_execz .LBB174_1048
.LBB174_1063:
	v_cmp_ne_u16_e32 vcc, 0, v5
	s_andn2_b64 s[18:19], s[18:19], exec
	s_and_b64 s[20:21], vcc, exec
	s_or_b64 s[18:19], s[18:19], s[20:21]
	s_or_b64 exec, exec, s[16:17]
	v_mov_b32_e32 v2, 0
	s_and_saveexec_b64 s[16:17], s[18:19]
	s_cbranch_execnz .LBB174_1049
	s_branch .LBB174_1050
.LBB174_1064:
	s_mov_b64 s[4:5], -1
                                        ; implicit-def: $vgpr2
	s_branch .LBB174_1069
.LBB174_1065:
	s_mov_b64 s[4:5], -1
                                        ; implicit-def: $vgpr2
.LBB174_1066:
	s_and_b64 vcc, exec, s[4:5]
	s_cbranch_vccz .LBB174_1068
; %bb.1067:
	global_load_ubyte v2, v[0:1], off
	s_mov_b32 s4, 0x7f800000
	s_waitcnt vmcnt(0)
	v_lshlrev_b32_e32 v2, 24, v2
	v_and_b32_e32 v5, 0x7f000000, v2
	v_ffbh_u32_e32 v6, v5
	v_min_u32_e32 v6, 32, v6
	v_sub_u32_e64 v6, v6, 4 clamp
	v_lshlrev_b32_e32 v8, v6, v5
	v_lshlrev_b32_e32 v6, 23, v6
	v_lshrrev_b32_e32 v8, 4, v8
	v_add_u32_e32 v7, 0x1000000, v5
	v_sub_u32_e32 v6, v8, v6
	v_ashrrev_i32_e32 v7, 8, v7
	v_add_u32_e32 v6, 0x3c000000, v6
	v_and_or_b32 v6, v7, s4, v6
	v_cmp_ne_u32_e32 vcc, 0, v5
	v_cndmask_b32_e32 v5, 0, v6, vcc
	s_brev_b32 s4, 1
	v_and_or_b32 v2, v2, s4, v5
	v_cvt_i32_f32_e32 v2, v2
.LBB174_1068:
	s_mov_b64 s[4:5], 0
.LBB174_1069:
	s_andn2_b64 vcc, exec, s[4:5]
	s_cbranch_vccnz .LBB174_1071
; %bb.1070:
	global_load_ubyte v2, v[0:1], off
	s_movk_i32 s4, 0x7f00
	s_brev_b32 s5, 16
	s_waitcnt vmcnt(0)
	v_lshlrev_b16_e32 v5, 8, v2
	v_lshlrev_b32_e32 v2, 25, v2
	v_lshrrev_b32_e32 v6, 4, v2
	v_and_or_b32 v7, v5, s4, 0.5
	v_or_b32_e32 v6, 0x70000000, v6
	v_add_f32_e32 v7, -0.5, v7
	v_mul_f32_e32 v6, 0x7800000, v6
	v_cmp_gt_u32_e32 vcc, s5, v2
	v_bfe_i32 v5, v5, 0, 16
	v_cndmask_b32_e32 v2, v6, v7, vcc
	s_brev_b32 s4, 1
	v_and_or_b32 v2, v5, s4, v2
	v_cvt_i32_f32_e32 v2, v2
.LBB174_1071:
	s_mov_b64 s[18:19], -1
	s_mov_b64 s[4:5], 0
	s_cbranch_execnz .LBB174_1082
.LBB174_1072:
	s_cmp_gt_i32 s22, 14
	s_cbranch_scc0 .LBB174_1075
; %bb.1073:
	s_cmp_eq_u32 s22, 15
	s_cbranch_scc0 .LBB174_1078
; %bb.1074:
	global_load_ushort v2, v[0:1], off
	s_mov_b64 s[0:1], 0
	s_mov_b64 s[18:19], -1
	s_waitcnt vmcnt(0)
	v_lshlrev_b32_e32 v2, 16, v2
	v_cvt_i32_f32_e32 v2, v2
	s_branch .LBB174_1079
.LBB174_1075:
	s_mov_b64 s[16:17], -1
                                        ; implicit-def: $vgpr2
	s_branch .LBB174_1080
.LBB174_1076:
	s_andn2_saveexec_b64 s[4:5], s[4:5]
	s_cbranch_execz .LBB174_1058
.LBB174_1077:
	v_cmp_ne_u16_e32 vcc, 0, v5
	s_andn2_b64 s[16:17], s[16:17], exec
	s_and_b64 s[18:19], vcc, exec
	s_or_b64 s[16:17], s[16:17], s[18:19]
	s_or_b64 exec, exec, s[4:5]
	v_mov_b32_e32 v2, 0
	s_and_saveexec_b64 s[4:5], s[16:17]
	s_cbranch_execnz .LBB174_1059
	s_branch .LBB174_1060
.LBB174_1078:
	s_mov_b64 s[0:1], -1
                                        ; implicit-def: $vgpr2
.LBB174_1079:
	s_mov_b64 s[16:17], 0
.LBB174_1080:
	s_and_b64 vcc, exec, s[16:17]
	s_cbranch_vccz .LBB174_1082
; %bb.1081:
	s_cmp_lg_u32 s22, 11
	s_mov_b64 s[4:5], -1
	s_cselect_b64 s[0:1], -1, 0
.LBB174_1082:
	s_and_b64 vcc, exec, s[0:1]
	s_mov_b64 s[16:17], s[14:15]
	s_cbranch_vccnz .LBB174_1143
; %bb.1083:
	s_andn2_b64 vcc, exec, s[4:5]
	s_cbranch_vccnz .LBB174_1085
.LBB174_1084:
	global_load_ubyte v2, v[0:1], off
	s_mov_b64 s[18:19], -1
	s_waitcnt vmcnt(0)
	v_cmp_ne_u16_e32 vcc, 0, v2
	v_cndmask_b32_e64 v2, 0, 1, vcc
.LBB174_1085:
	s_branch .LBB174_1020
.LBB174_1086:
	s_cmp_lt_i32 s22, 5
	s_cbranch_scc1 .LBB174_1091
; %bb.1087:
	s_cmp_lt_i32 s22, 8
	s_cbranch_scc1 .LBB174_1092
; %bb.1088:
	;; [unrolled: 3-line block ×3, first 2 shown]
	s_cmp_gt_i32 s22, 9
	s_cbranch_scc0 .LBB174_1094
; %bb.1090:
	global_load_dwordx2 v[5:6], v[0:1], off
	s_mov_b64 s[0:1], 0
	s_waitcnt vmcnt(0)
	v_cvt_i32_f64_e32 v2, v[5:6]
	s_branch .LBB174_1095
.LBB174_1091:
                                        ; implicit-def: $vgpr2
	s_branch .LBB174_1112
.LBB174_1092:
                                        ; implicit-def: $vgpr2
	s_branch .LBB174_1101
.LBB174_1093:
	s_mov_b64 s[0:1], -1
                                        ; implicit-def: $vgpr2
	s_branch .LBB174_1098
.LBB174_1094:
	s_mov_b64 s[0:1], -1
                                        ; implicit-def: $vgpr2
.LBB174_1095:
	s_andn2_b64 vcc, exec, s[0:1]
	s_cbranch_vccnz .LBB174_1097
; %bb.1096:
	global_load_dword v2, v[0:1], off
	s_waitcnt vmcnt(0)
	v_cvt_i32_f32_e32 v2, v2
.LBB174_1097:
	s_mov_b64 s[0:1], 0
.LBB174_1098:
	s_andn2_b64 vcc, exec, s[0:1]
	s_cbranch_vccnz .LBB174_1100
; %bb.1099:
	global_load_dword v2, v[0:1], off
	s_waitcnt vmcnt(0)
	v_cvt_f32_f16_e32 v2, v2
	v_cvt_i32_f32_e32 v2, v2
.LBB174_1100:
	s_cbranch_execnz .LBB174_1111
.LBB174_1101:
	s_cmp_lt_i32 s22, 6
	s_cbranch_scc1 .LBB174_1104
; %bb.1102:
	s_cmp_gt_i32 s22, 6
	s_cbranch_scc0 .LBB174_1105
; %bb.1103:
	global_load_dwordx2 v[5:6], v[0:1], off
	s_mov_b64 s[0:1], 0
	s_waitcnt vmcnt(0)
	v_cvt_i32_f64_e32 v2, v[5:6]
	s_branch .LBB174_1106
.LBB174_1104:
	s_mov_b64 s[0:1], -1
                                        ; implicit-def: $vgpr2
	s_branch .LBB174_1109
.LBB174_1105:
	s_mov_b64 s[0:1], -1
                                        ; implicit-def: $vgpr2
.LBB174_1106:
	s_andn2_b64 vcc, exec, s[0:1]
	s_cbranch_vccnz .LBB174_1108
; %bb.1107:
	global_load_dword v2, v[0:1], off
	s_waitcnt vmcnt(0)
	v_cvt_i32_f32_e32 v2, v2
.LBB174_1108:
	s_mov_b64 s[0:1], 0
.LBB174_1109:
	s_andn2_b64 vcc, exec, s[0:1]
	s_cbranch_vccnz .LBB174_1111
; %bb.1110:
	global_load_ushort v2, v[0:1], off
	s_waitcnt vmcnt(0)
	v_cvt_f32_f16_e32 v2, v2
	v_cvt_i32_f32_e32 v2, v2
.LBB174_1111:
	s_cbranch_execnz .LBB174_1130
.LBB174_1112:
	s_cmp_lt_i32 s22, 2
	s_cbranch_scc1 .LBB174_1116
; %bb.1113:
	s_cmp_lt_i32 s22, 3
	s_cbranch_scc1 .LBB174_1117
; %bb.1114:
	s_cmp_gt_i32 s22, 3
	s_cbranch_scc0 .LBB174_1118
; %bb.1115:
	global_load_dword v2, v[0:1], off
	s_mov_b64 s[0:1], 0
	s_branch .LBB174_1119
.LBB174_1116:
                                        ; implicit-def: $vgpr2
	s_branch .LBB174_1125
.LBB174_1117:
	s_mov_b64 s[0:1], -1
                                        ; implicit-def: $vgpr2
	s_branch .LBB174_1122
.LBB174_1118:
	s_mov_b64 s[0:1], -1
                                        ; implicit-def: $vgpr2
.LBB174_1119:
	s_andn2_b64 vcc, exec, s[0:1]
	s_cbranch_vccnz .LBB174_1121
; %bb.1120:
	global_load_dword v2, v[0:1], off
.LBB174_1121:
	s_mov_b64 s[0:1], 0
.LBB174_1122:
	s_andn2_b64 vcc, exec, s[0:1]
	s_cbranch_vccnz .LBB174_1124
; %bb.1123:
	global_load_sshort v2, v[0:1], off
.LBB174_1124:
	s_cbranch_execnz .LBB174_1130
.LBB174_1125:
	s_cmp_gt_i32 s22, 0
	s_cbranch_scc0 .LBB174_1127
; %bb.1126:
	global_load_sbyte v2, v[0:1], off
	s_mov_b64 s[0:1], 0
	s_branch .LBB174_1128
.LBB174_1127:
	s_mov_b64 s[0:1], -1
                                        ; implicit-def: $vgpr2
.LBB174_1128:
	s_andn2_b64 vcc, exec, s[0:1]
	s_cbranch_vccnz .LBB174_1130
; %bb.1129:
	global_load_ubyte v2, v[0:1], off
.LBB174_1130:
.LBB174_1131:
	s_lshl_b32 s13, s13, 7
	v_add_u32_e32 v3, s13, v3
	v_ashrrev_i32_e32 v1, 31, v3
	v_mov_b32_e32 v5, s11
	v_add_co_u32_e32 v0, vcc, s10, v3
	s_cmp_lt_i32 s22, 11
	v_addc_co_u32_e32 v1, vcc, v5, v1, vcc
	s_cbranch_scc1 .LBB174_1138
; %bb.1132:
	s_cmp_gt_i32 s22, 25
	s_mov_b64 s[4:5], 0
	s_cbranch_scc0 .LBB174_1140
; %bb.1133:
	s_cmp_gt_i32 s22, 28
	s_cbranch_scc0 .LBB174_1141
; %bb.1134:
	s_cmp_gt_i32 s22, 43
	;; [unrolled: 3-line block ×3, first 2 shown]
	s_cbranch_scc0 .LBB174_1144
; %bb.1136:
	s_cmp_eq_u32 s22, 46
	s_mov_b64 s[20:21], 0
	s_cbranch_scc0 .LBB174_1147
; %bb.1137:
	global_load_dword v5, v[0:1], off
	s_mov_b64 s[0:1], 0
	s_mov_b64 s[18:19], -1
	s_waitcnt vmcnt(0)
	v_lshlrev_b32_e32 v5, 16, v5
	v_cvt_i32_f32_e32 v7, v5
	s_branch .LBB174_1148
.LBB174_1138:
	s_mov_b64 s[18:19], 0
                                        ; implicit-def: $vgpr7
	s_cbranch_execnz .LBB174_1209
.LBB174_1139:
	s_andn2_b64 vcc, exec, s[18:19]
	s_cbranch_vccnz .LBB174_1940
	s_branch .LBB174_1256
.LBB174_1140:
	s_mov_b64 s[18:19], 0
	s_mov_b64 s[0:1], 0
                                        ; implicit-def: $vgpr7
	s_cbranch_execnz .LBB174_1175
	s_branch .LBB174_1205
.LBB174_1141:
	s_mov_b64 s[20:21], -1
	s_mov_b64 s[18:19], 0
	s_mov_b64 s[0:1], 0
                                        ; implicit-def: $vgpr7
	s_branch .LBB174_1158
.LBB174_1142:
	s_mov_b64 s[20:21], -1
	s_mov_b64 s[18:19], 0
	s_mov_b64 s[0:1], 0
                                        ; implicit-def: $vgpr7
	s_branch .LBB174_1153
.LBB174_1143:
	s_or_b64 s[16:17], s[14:15], exec
	s_trap 2
	s_cbranch_execz .LBB174_1084
	s_branch .LBB174_1085
.LBB174_1144:
	s_mov_b64 s[20:21], -1
	s_mov_b64 s[18:19], 0
	s_mov_b64 s[0:1], 0
                                        ; implicit-def: $vgpr7
	s_branch .LBB174_1148
.LBB174_1145:
	s_andn2_saveexec_b64 s[26:27], s[26:27]
	s_cbranch_execz .LBB174_936
.LBB174_1146:
	s_mov_b32 s30, 0x42800000
	v_add_f32_e64 v4, |v1|, s30
	v_and_b32_e32 v4, 0xff, v4
	v_cmp_ne_u32_e32 vcc, 0, v4
	s_andn2_b64 s[24:25], s[24:25], exec
	s_and_b64 s[30:31], vcc, exec
	s_or_b64 s[24:25], s[24:25], s[30:31]
	s_or_b64 exec, exec, s[26:27]
	v_mov_b32_e32 v5, 0
	s_and_saveexec_b64 s[26:27], s[24:25]
	s_cbranch_execnz .LBB174_937
	s_branch .LBB174_938
.LBB174_1147:
	s_mov_b64 s[0:1], -1
                                        ; implicit-def: $vgpr7
	s_mov_b64 s[18:19], 0
.LBB174_1148:
	s_and_b64 vcc, exec, s[20:21]
	s_cbranch_vccz .LBB174_1152
; %bb.1149:
	s_cmp_eq_u32 s22, 44
	s_cbranch_scc0 .LBB174_1151
; %bb.1150:
	global_load_ubyte v5, v[0:1], off
	s_mov_b64 s[0:1], 0
	s_mov_b64 s[18:19], -1
	s_waitcnt vmcnt(0)
	v_lshlrev_b32_e32 v6, 23, v5
	v_cvt_i32_f32_e32 v6, v6
	v_cmp_ne_u32_e32 vcc, 0, v5
	v_cndmask_b32_e32 v7, 0, v6, vcc
	s_branch .LBB174_1152
.LBB174_1151:
	s_mov_b64 s[0:1], -1
                                        ; implicit-def: $vgpr7
.LBB174_1152:
	s_mov_b64 s[20:21], 0
.LBB174_1153:
	s_and_b64 vcc, exec, s[20:21]
	s_cbranch_vccz .LBB174_1157
; %bb.1154:
	s_cmp_eq_u32 s22, 29
	s_cbranch_scc0 .LBB174_1156
; %bb.1155:
	global_load_dword v7, v[0:1], off
	s_mov_b64 s[0:1], 0
	s_mov_b64 s[18:19], -1
	s_branch .LBB174_1157
.LBB174_1156:
	s_mov_b64 s[0:1], -1
                                        ; implicit-def: $vgpr7
.LBB174_1157:
	s_mov_b64 s[20:21], 0
.LBB174_1158:
	s_and_b64 vcc, exec, s[20:21]
	s_cbranch_vccz .LBB174_1174
; %bb.1159:
	s_cmp_lt_i32 s22, 27
	s_cbranch_scc1 .LBB174_1162
; %bb.1160:
	s_cmp_gt_i32 s22, 27
	s_cbranch_scc0 .LBB174_1163
; %bb.1161:
	global_load_dword v7, v[0:1], off
	s_mov_b64 s[18:19], 0
	s_branch .LBB174_1164
.LBB174_1162:
	s_mov_b64 s[18:19], -1
                                        ; implicit-def: $vgpr7
	s_branch .LBB174_1167
.LBB174_1163:
	s_mov_b64 s[18:19], -1
                                        ; implicit-def: $vgpr7
.LBB174_1164:
	s_andn2_b64 vcc, exec, s[18:19]
	s_cbranch_vccnz .LBB174_1166
; %bb.1165:
	global_load_ushort v7, v[0:1], off
.LBB174_1166:
	s_mov_b64 s[18:19], 0
.LBB174_1167:
	s_andn2_b64 vcc, exec, s[18:19]
	s_cbranch_vccnz .LBB174_1173
; %bb.1168:
	global_load_ubyte v5, v[0:1], off
	s_movk_i32 s18, 0x7f
	s_mov_b64 s[20:21], 0
	s_waitcnt vmcnt(0)
	v_cmp_lt_i16_e32 vcc, s18, v5
	s_and_saveexec_b64 s[18:19], vcc
	s_xor_b64 s[18:19], exec, s[18:19]
	s_cbranch_execz .LBB174_1184
; %bb.1169:
	s_movk_i32 s20, 0x80
	v_cmp_ne_u16_e32 vcc, s20, v5
	s_and_b64 s[20:21], vcc, exec
	s_andn2_saveexec_b64 s[18:19], s[18:19]
	s_cbranch_execnz .LBB174_1185
.LBB174_1170:
	s_or_b64 exec, exec, s[18:19]
	v_mov_b32_e32 v7, 0
	s_and_saveexec_b64 s[18:19], s[20:21]
	s_cbranch_execz .LBB174_1172
.LBB174_1171:
	v_lshlrev_b32_e32 v6, 24, v5
	v_and_b32_e32 v5, 0xffff, v5
	v_and_b32_e32 v7, 7, v5
	v_ffbh_u32_e32 v9, v7
	v_min_u32_e32 v9, 32, v9
	v_subrev_u32_e32 v10, 28, v9
	v_bfe_u32 v8, v5, 3, 4
	v_lshlrev_b32_e32 v5, v10, v5
	v_sub_u32_e32 v9, 29, v9
	v_and_b32_e32 v5, 7, v5
	v_cmp_eq_u32_e32 vcc, 0, v8
	v_cndmask_b32_e32 v8, v8, v9, vcc
	v_cndmask_b32_e32 v5, v7, v5, vcc
	v_mov_b32_e32 v7, 0x3b800000
	v_lshlrev_b32_e32 v5, 20, v5
	v_and_b32_e32 v6, 0x80000000, v6
	v_lshl_add_u32 v7, v8, 23, v7
	v_or3_b32 v5, v6, v7, v5
	v_cvt_i32_f32_e32 v7, v5
.LBB174_1172:
	s_or_b64 exec, exec, s[18:19]
.LBB174_1173:
	s_mov_b64 s[18:19], -1
.LBB174_1174:
	s_branch .LBB174_1205
.LBB174_1175:
	s_cmp_gt_i32 s22, 22
	s_cbranch_scc0 .LBB174_1183
; %bb.1176:
	s_cmp_lt_i32 s22, 24
	s_cbranch_scc1 .LBB174_1186
; %bb.1177:
	s_cmp_gt_i32 s22, 24
	s_cbranch_scc0 .LBB174_1187
; %bb.1178:
	global_load_ubyte v5, v[0:1], off
	s_movk_i32 s4, 0x7f
	s_mov_b64 s[18:19], 0
	s_waitcnt vmcnt(0)
	v_cmp_lt_i16_e32 vcc, s4, v5
	s_and_saveexec_b64 s[4:5], vcc
	s_xor_b64 s[4:5], exec, s[4:5]
	s_cbranch_execz .LBB174_1199
; %bb.1179:
	s_movk_i32 s18, 0x80
	v_cmp_ne_u16_e32 vcc, s18, v5
	s_and_b64 s[18:19], vcc, exec
	s_andn2_saveexec_b64 s[4:5], s[4:5]
	s_cbranch_execnz .LBB174_1200
.LBB174_1180:
	s_or_b64 exec, exec, s[4:5]
	v_mov_b32_e32 v7, 0
	s_and_saveexec_b64 s[4:5], s[18:19]
	s_cbranch_execz .LBB174_1182
.LBB174_1181:
	v_lshlrev_b32_e32 v6, 24, v5
	v_and_b32_e32 v5, 0xffff, v5
	v_and_b32_e32 v7, 3, v5
	v_ffbh_u32_e32 v9, v7
	v_min_u32_e32 v9, 32, v9
	v_subrev_u32_e32 v10, 29, v9
	v_bfe_u32 v8, v5, 2, 5
	v_lshlrev_b32_e32 v5, v10, v5
	v_sub_u32_e32 v9, 30, v9
	v_and_b32_e32 v5, 3, v5
	v_cmp_eq_u32_e32 vcc, 0, v8
	v_cndmask_b32_e32 v8, v8, v9, vcc
	v_cndmask_b32_e32 v5, v7, v5, vcc
	v_mov_b32_e32 v7, 0x37800000
	v_lshlrev_b32_e32 v5, 21, v5
	v_and_b32_e32 v6, 0x80000000, v6
	v_lshl_add_u32 v7, v8, 23, v7
	v_or3_b32 v5, v6, v7, v5
	v_cvt_i32_f32_e32 v7, v5
.LBB174_1182:
	s_or_b64 exec, exec, s[4:5]
	s_mov_b64 s[4:5], 0
	s_branch .LBB174_1188
.LBB174_1183:
	s_mov_b64 s[4:5], -1
                                        ; implicit-def: $vgpr7
	s_branch .LBB174_1194
.LBB174_1184:
	s_andn2_saveexec_b64 s[18:19], s[18:19]
	s_cbranch_execz .LBB174_1170
.LBB174_1185:
	v_cmp_ne_u16_e32 vcc, 0, v5
	s_andn2_b64 s[20:21], s[20:21], exec
	s_and_b64 s[24:25], vcc, exec
	s_or_b64 s[20:21], s[20:21], s[24:25]
	s_or_b64 exec, exec, s[18:19]
	v_mov_b32_e32 v7, 0
	s_and_saveexec_b64 s[18:19], s[20:21]
	s_cbranch_execnz .LBB174_1171
	s_branch .LBB174_1172
.LBB174_1186:
	s_mov_b64 s[4:5], -1
                                        ; implicit-def: $vgpr7
	s_branch .LBB174_1191
.LBB174_1187:
	s_mov_b64 s[4:5], -1
                                        ; implicit-def: $vgpr7
.LBB174_1188:
	s_and_b64 vcc, exec, s[4:5]
	s_cbranch_vccz .LBB174_1190
; %bb.1189:
	global_load_ubyte v5, v[0:1], off
	s_mov_b32 s4, 0x7f800000
	s_waitcnt vmcnt(0)
	v_lshlrev_b32_e32 v5, 24, v5
	v_and_b32_e32 v6, 0x7f000000, v5
	v_ffbh_u32_e32 v7, v6
	v_min_u32_e32 v7, 32, v7
	v_sub_u32_e64 v7, v7, 4 clamp
	v_lshlrev_b32_e32 v9, v7, v6
	v_lshlrev_b32_e32 v7, 23, v7
	v_lshrrev_b32_e32 v9, 4, v9
	v_add_u32_e32 v8, 0x1000000, v6
	v_sub_u32_e32 v7, v9, v7
	v_ashrrev_i32_e32 v8, 8, v8
	v_add_u32_e32 v7, 0x3c000000, v7
	v_and_or_b32 v7, v8, s4, v7
	v_cmp_ne_u32_e32 vcc, 0, v6
	v_cndmask_b32_e32 v6, 0, v7, vcc
	s_brev_b32 s4, 1
	v_and_or_b32 v5, v5, s4, v6
	v_cvt_i32_f32_e32 v7, v5
.LBB174_1190:
	s_mov_b64 s[4:5], 0
.LBB174_1191:
	s_andn2_b64 vcc, exec, s[4:5]
	s_cbranch_vccnz .LBB174_1193
; %bb.1192:
	global_load_ubyte v5, v[0:1], off
	s_movk_i32 s4, 0x7f00
	s_brev_b32 s5, 16
	s_waitcnt vmcnt(0)
	v_lshlrev_b16_e32 v6, 8, v5
	v_lshlrev_b32_e32 v5, 25, v5
	v_lshrrev_b32_e32 v7, 4, v5
	v_and_or_b32 v8, v6, s4, 0.5
	v_or_b32_e32 v7, 0x70000000, v7
	v_add_f32_e32 v8, -0.5, v8
	v_mul_f32_e32 v7, 0x7800000, v7
	v_cmp_gt_u32_e32 vcc, s5, v5
	v_bfe_i32 v6, v6, 0, 16
	v_cndmask_b32_e32 v5, v7, v8, vcc
	s_brev_b32 s4, 1
	v_and_or_b32 v5, v6, s4, v5
	v_cvt_i32_f32_e32 v7, v5
.LBB174_1193:
	s_mov_b64 s[4:5], 0
	s_mov_b64 s[18:19], -1
.LBB174_1194:
	s_andn2_b64 vcc, exec, s[4:5]
	s_mov_b64 s[4:5], 0
	s_cbranch_vccnz .LBB174_1205
; %bb.1195:
	s_cmp_gt_i32 s22, 14
	s_cbranch_scc0 .LBB174_1198
; %bb.1196:
	s_cmp_eq_u32 s22, 15
	s_cbranch_scc0 .LBB174_1201
; %bb.1197:
	global_load_ushort v5, v[0:1], off
	s_mov_b64 s[0:1], 0
	s_mov_b64 s[18:19], -1
	s_waitcnt vmcnt(0)
	v_lshlrev_b32_e32 v5, 16, v5
	v_cvt_i32_f32_e32 v7, v5
	s_branch .LBB174_1202
.LBB174_1198:
	s_mov_b64 s[20:21], -1
                                        ; implicit-def: $vgpr7
	s_branch .LBB174_1203
.LBB174_1199:
	s_andn2_saveexec_b64 s[4:5], s[4:5]
	s_cbranch_execz .LBB174_1180
.LBB174_1200:
	v_cmp_ne_u16_e32 vcc, 0, v5
	s_andn2_b64 s[18:19], s[18:19], exec
	s_and_b64 s[20:21], vcc, exec
	s_or_b64 s[18:19], s[18:19], s[20:21]
	s_or_b64 exec, exec, s[4:5]
	v_mov_b32_e32 v7, 0
	s_and_saveexec_b64 s[4:5], s[18:19]
	s_cbranch_execnz .LBB174_1181
	s_branch .LBB174_1182
.LBB174_1201:
	s_mov_b64 s[0:1], -1
                                        ; implicit-def: $vgpr7
.LBB174_1202:
	s_mov_b64 s[20:21], 0
.LBB174_1203:
	s_and_b64 vcc, exec, s[20:21]
	s_cbranch_vccz .LBB174_1205
; %bb.1204:
	s_cmp_lg_u32 s22, 11
	s_mov_b64 s[4:5], -1
	s_cselect_b64 s[0:1], -1, 0
.LBB174_1205:
	s_and_b64 vcc, exec, s[0:1]
	s_cbranch_vccnz .LBB174_1268
; %bb.1206:
	s_andn2_b64 vcc, exec, s[4:5]
	s_cbranch_vccnz .LBB174_1208
.LBB174_1207:
	global_load_ubyte v5, v[0:1], off
	s_mov_b64 s[18:19], -1
	s_waitcnt vmcnt(0)
	v_cmp_ne_u16_e32 vcc, 0, v5
	v_cndmask_b32_e64 v7, 0, 1, vcc
.LBB174_1208:
	s_branch .LBB174_1139
.LBB174_1209:
	s_cmp_lt_i32 s22, 5
	s_cbranch_scc1 .LBB174_1214
; %bb.1210:
	s_cmp_lt_i32 s22, 8
	s_cbranch_scc1 .LBB174_1215
; %bb.1211:
	;; [unrolled: 3-line block ×3, first 2 shown]
	s_cmp_gt_i32 s22, 9
	s_cbranch_scc0 .LBB174_1217
; %bb.1213:
	global_load_dwordx2 v[5:6], v[0:1], off
	s_mov_b64 s[0:1], 0
	s_waitcnt vmcnt(0)
	v_cvt_i32_f64_e32 v7, v[5:6]
	s_branch .LBB174_1218
.LBB174_1214:
                                        ; implicit-def: $vgpr7
	s_branch .LBB174_1236
.LBB174_1215:
	s_mov_b64 s[0:1], -1
                                        ; implicit-def: $vgpr7
	s_branch .LBB174_1224
.LBB174_1216:
	s_mov_b64 s[0:1], -1
                                        ; implicit-def: $vgpr7
	s_branch .LBB174_1221
.LBB174_1217:
	s_mov_b64 s[0:1], -1
                                        ; implicit-def: $vgpr7
.LBB174_1218:
	s_andn2_b64 vcc, exec, s[0:1]
	s_cbranch_vccnz .LBB174_1220
; %bb.1219:
	global_load_dword v5, v[0:1], off
	s_waitcnt vmcnt(0)
	v_cvt_i32_f32_e32 v7, v5
.LBB174_1220:
	s_mov_b64 s[0:1], 0
.LBB174_1221:
	s_andn2_b64 vcc, exec, s[0:1]
	s_cbranch_vccnz .LBB174_1223
; %bb.1222:
	global_load_dword v5, v[0:1], off
	s_waitcnt vmcnt(0)
	v_cvt_f32_f16_e32 v5, v5
	v_cvt_i32_f32_e32 v7, v5
.LBB174_1223:
	s_mov_b64 s[0:1], 0
.LBB174_1224:
	s_andn2_b64 vcc, exec, s[0:1]
	s_cbranch_vccnz .LBB174_1235
; %bb.1225:
	s_cmp_lt_i32 s22, 6
	s_cbranch_scc1 .LBB174_1228
; %bb.1226:
	s_cmp_gt_i32 s22, 6
	s_cbranch_scc0 .LBB174_1229
; %bb.1227:
	global_load_dwordx2 v[5:6], v[0:1], off
	s_mov_b64 s[0:1], 0
	s_waitcnt vmcnt(0)
	v_cvt_i32_f64_e32 v7, v[5:6]
	s_branch .LBB174_1230
.LBB174_1228:
	s_mov_b64 s[0:1], -1
                                        ; implicit-def: $vgpr7
	s_branch .LBB174_1233
.LBB174_1229:
	s_mov_b64 s[0:1], -1
                                        ; implicit-def: $vgpr7
.LBB174_1230:
	s_andn2_b64 vcc, exec, s[0:1]
	s_cbranch_vccnz .LBB174_1232
; %bb.1231:
	global_load_dword v5, v[0:1], off
	s_waitcnt vmcnt(0)
	v_cvt_i32_f32_e32 v7, v5
.LBB174_1232:
	s_mov_b64 s[0:1], 0
.LBB174_1233:
	s_andn2_b64 vcc, exec, s[0:1]
	s_cbranch_vccnz .LBB174_1235
; %bb.1234:
	global_load_ushort v5, v[0:1], off
	s_waitcnt vmcnt(0)
	v_cvt_f32_f16_e32 v5, v5
	v_cvt_i32_f32_e32 v7, v5
.LBB174_1235:
	s_cbranch_execnz .LBB174_1255
.LBB174_1236:
	s_cmp_lt_i32 s22, 2
	s_cbranch_scc1 .LBB174_1240
; %bb.1237:
	s_cmp_lt_i32 s22, 3
	s_cbranch_scc1 .LBB174_1241
; %bb.1238:
	s_cmp_gt_i32 s22, 3
	s_cbranch_scc0 .LBB174_1242
; %bb.1239:
	global_load_dword v7, v[0:1], off
	s_mov_b64 s[0:1], 0
	s_branch .LBB174_1243
.LBB174_1240:
	s_mov_b64 s[0:1], -1
                                        ; implicit-def: $vgpr7
	s_branch .LBB174_1249
.LBB174_1241:
	s_mov_b64 s[0:1], -1
                                        ; implicit-def: $vgpr7
	s_branch .LBB174_1246
.LBB174_1242:
	s_mov_b64 s[0:1], -1
                                        ; implicit-def: $vgpr7
.LBB174_1243:
	s_andn2_b64 vcc, exec, s[0:1]
	s_cbranch_vccnz .LBB174_1245
; %bb.1244:
	global_load_dword v7, v[0:1], off
.LBB174_1245:
	s_mov_b64 s[0:1], 0
.LBB174_1246:
	s_andn2_b64 vcc, exec, s[0:1]
	s_cbranch_vccnz .LBB174_1248
; %bb.1247:
	global_load_sshort v7, v[0:1], off
.LBB174_1248:
	s_mov_b64 s[0:1], 0
.LBB174_1249:
	s_andn2_b64 vcc, exec, s[0:1]
	s_cbranch_vccnz .LBB174_1255
; %bb.1250:
	s_cmp_gt_i32 s22, 0
	s_cbranch_scc0 .LBB174_1252
; %bb.1251:
	global_load_sbyte v7, v[0:1], off
	s_mov_b64 s[0:1], 0
	s_branch .LBB174_1253
.LBB174_1252:
	s_mov_b64 s[0:1], -1
                                        ; implicit-def: $vgpr7
.LBB174_1253:
	s_andn2_b64 vcc, exec, s[0:1]
	s_cbranch_vccnz .LBB174_1255
; %bb.1254:
	global_load_ubyte v7, v[0:1], off
.LBB174_1255:
.LBB174_1256:
	v_add_u32_e32 v3, s13, v3
	v_ashrrev_i32_e32 v1, 31, v3
	v_mov_b32_e32 v5, s11
	v_add_co_u32_e32 v0, vcc, s10, v3
	s_cmp_lt_i32 s22, 11
	v_addc_co_u32_e32 v1, vcc, v5, v1, vcc
	s_cbranch_scc1 .LBB174_1263
; %bb.1257:
	s_cmp_gt_i32 s22, 25
	s_mov_b64 s[4:5], 0
	s_cbranch_scc0 .LBB174_1265
; %bb.1258:
	s_cmp_gt_i32 s22, 28
	s_cbranch_scc0 .LBB174_1266
; %bb.1259:
	s_cmp_gt_i32 s22, 43
	;; [unrolled: 3-line block ×3, first 2 shown]
	s_cbranch_scc0 .LBB174_1269
; %bb.1261:
	s_cmp_eq_u32 s22, 46
	s_mov_b64 s[20:21], 0
	s_cbranch_scc0 .LBB174_1270
; %bb.1262:
	global_load_dword v5, v[0:1], off
	s_mov_b64 s[0:1], 0
	s_mov_b64 s[18:19], -1
	s_waitcnt vmcnt(0)
	v_lshlrev_b32_e32 v5, 16, v5
	v_cvt_i32_f32_e32 v6, v5
	s_branch .LBB174_1271
.LBB174_1263:
	s_mov_b64 s[18:19], 0
                                        ; implicit-def: $vgpr6
	s_cbranch_execnz .LBB174_1333
.LBB174_1264:
	s_andn2_b64 vcc, exec, s[18:19]
	s_cbranch_vccnz .LBB174_1940
	s_branch .LBB174_1381
.LBB174_1265:
	s_mov_b64 s[20:21], -1
	s_mov_b64 s[18:19], 0
	s_mov_b64 s[0:1], 0
                                        ; implicit-def: $vgpr6
	s_branch .LBB174_1298
.LBB174_1266:
	s_mov_b64 s[20:21], -1
	s_mov_b64 s[18:19], 0
	s_mov_b64 s[0:1], 0
                                        ; implicit-def: $vgpr6
	s_branch .LBB174_1281
.LBB174_1267:
	s_mov_b64 s[20:21], -1
	s_mov_b64 s[18:19], 0
	s_mov_b64 s[0:1], 0
                                        ; implicit-def: $vgpr6
	s_branch .LBB174_1276
.LBB174_1268:
	s_trap 2
	s_or_b64 s[16:17], s[16:17], exec
	s_cbranch_execz .LBB174_1207
	s_branch .LBB174_1208
.LBB174_1269:
	s_mov_b64 s[20:21], -1
	s_mov_b64 s[18:19], 0
	s_mov_b64 s[0:1], 0
                                        ; implicit-def: $vgpr6
	s_branch .LBB174_1271
.LBB174_1270:
	s_mov_b64 s[0:1], -1
                                        ; implicit-def: $vgpr6
	s_mov_b64 s[18:19], 0
.LBB174_1271:
	s_and_b64 vcc, exec, s[20:21]
	s_cbranch_vccz .LBB174_1275
; %bb.1272:
	s_cmp_eq_u32 s22, 44
	s_cbranch_scc0 .LBB174_1274
; %bb.1273:
	global_load_ubyte v5, v[0:1], off
	s_mov_b64 s[0:1], 0
	s_mov_b64 s[18:19], -1
	s_waitcnt vmcnt(0)
	v_lshlrev_b32_e32 v6, 23, v5
	v_cvt_i32_f32_e32 v6, v6
	v_cmp_ne_u32_e32 vcc, 0, v5
	v_cndmask_b32_e32 v6, 0, v6, vcc
	s_branch .LBB174_1275
.LBB174_1274:
	s_mov_b64 s[0:1], -1
                                        ; implicit-def: $vgpr6
.LBB174_1275:
	s_mov_b64 s[20:21], 0
.LBB174_1276:
	s_and_b64 vcc, exec, s[20:21]
	s_cbranch_vccz .LBB174_1280
; %bb.1277:
	s_cmp_eq_u32 s22, 29
	s_cbranch_scc0 .LBB174_1279
; %bb.1278:
	global_load_dword v6, v[0:1], off
	s_mov_b64 s[0:1], 0
	s_mov_b64 s[18:19], -1
	s_branch .LBB174_1280
.LBB174_1279:
	s_mov_b64 s[0:1], -1
                                        ; implicit-def: $vgpr6
.LBB174_1280:
	s_mov_b64 s[20:21], 0
.LBB174_1281:
	s_and_b64 vcc, exec, s[20:21]
	s_cbranch_vccz .LBB174_1297
; %bb.1282:
	s_cmp_lt_i32 s22, 27
	s_cbranch_scc1 .LBB174_1285
; %bb.1283:
	s_cmp_gt_i32 s22, 27
	s_cbranch_scc0 .LBB174_1286
; %bb.1284:
	global_load_dword v6, v[0:1], off
	s_mov_b64 s[18:19], 0
	s_branch .LBB174_1287
.LBB174_1285:
	s_mov_b64 s[18:19], -1
                                        ; implicit-def: $vgpr6
	s_branch .LBB174_1290
.LBB174_1286:
	s_mov_b64 s[18:19], -1
                                        ; implicit-def: $vgpr6
.LBB174_1287:
	s_andn2_b64 vcc, exec, s[18:19]
	s_cbranch_vccnz .LBB174_1289
; %bb.1288:
	global_load_ushort v6, v[0:1], off
.LBB174_1289:
	s_mov_b64 s[18:19], 0
.LBB174_1290:
	s_andn2_b64 vcc, exec, s[18:19]
	s_cbranch_vccnz .LBB174_1296
; %bb.1291:
	global_load_ubyte v5, v[0:1], off
	s_movk_i32 s18, 0x7f
	s_mov_b64 s[20:21], 0
	s_waitcnt vmcnt(0)
	v_cmp_lt_i16_e32 vcc, s18, v5
	s_and_saveexec_b64 s[18:19], vcc
	s_xor_b64 s[18:19], exec, s[18:19]
	s_cbranch_execz .LBB174_1308
; %bb.1292:
	s_movk_i32 s20, 0x80
	v_cmp_ne_u16_e32 vcc, s20, v5
	s_and_b64 s[20:21], vcc, exec
	s_andn2_saveexec_b64 s[18:19], s[18:19]
	s_cbranch_execnz .LBB174_1309
.LBB174_1293:
	s_or_b64 exec, exec, s[18:19]
	v_mov_b32_e32 v6, 0
	s_and_saveexec_b64 s[18:19], s[20:21]
	s_cbranch_execz .LBB174_1295
.LBB174_1294:
	v_lshlrev_b32_e32 v6, 24, v5
	v_and_b32_e32 v5, 0xffff, v5
	v_and_b32_e32 v8, 7, v5
	v_ffbh_u32_e32 v10, v8
	v_min_u32_e32 v10, 32, v10
	v_subrev_u32_e32 v11, 28, v10
	v_bfe_u32 v9, v5, 3, 4
	v_lshlrev_b32_e32 v5, v11, v5
	v_sub_u32_e32 v10, 29, v10
	v_and_b32_e32 v5, 7, v5
	v_cmp_eq_u32_e32 vcc, 0, v9
	v_cndmask_b32_e32 v9, v9, v10, vcc
	v_cndmask_b32_e32 v5, v8, v5, vcc
	v_mov_b32_e32 v8, 0x3b800000
	v_lshlrev_b32_e32 v5, 20, v5
	v_and_b32_e32 v6, 0x80000000, v6
	v_lshl_add_u32 v8, v9, 23, v8
	v_or3_b32 v5, v6, v8, v5
	v_cvt_i32_f32_e32 v6, v5
.LBB174_1295:
	s_or_b64 exec, exec, s[18:19]
.LBB174_1296:
	s_mov_b64 s[18:19], -1
.LBB174_1297:
	s_mov_b64 s[20:21], 0
.LBB174_1298:
	s_and_b64 vcc, exec, s[20:21]
	s_cbranch_vccz .LBB174_1329
; %bb.1299:
	s_cmp_gt_i32 s22, 22
	s_cbranch_scc0 .LBB174_1307
; %bb.1300:
	s_cmp_lt_i32 s22, 24
	s_cbranch_scc1 .LBB174_1310
; %bb.1301:
	s_cmp_gt_i32 s22, 24
	s_cbranch_scc0 .LBB174_1311
; %bb.1302:
	global_load_ubyte v5, v[0:1], off
	s_movk_i32 s4, 0x7f
	s_mov_b64 s[18:19], 0
	s_waitcnt vmcnt(0)
	v_cmp_lt_i16_e32 vcc, s4, v5
	s_and_saveexec_b64 s[4:5], vcc
	s_xor_b64 s[4:5], exec, s[4:5]
	s_cbranch_execz .LBB174_1323
; %bb.1303:
	s_movk_i32 s18, 0x80
	v_cmp_ne_u16_e32 vcc, s18, v5
	s_and_b64 s[18:19], vcc, exec
	s_andn2_saveexec_b64 s[4:5], s[4:5]
	s_cbranch_execnz .LBB174_1324
.LBB174_1304:
	s_or_b64 exec, exec, s[4:5]
	v_mov_b32_e32 v6, 0
	s_and_saveexec_b64 s[4:5], s[18:19]
	s_cbranch_execz .LBB174_1306
.LBB174_1305:
	v_lshlrev_b32_e32 v6, 24, v5
	v_and_b32_e32 v5, 0xffff, v5
	v_and_b32_e32 v8, 3, v5
	v_ffbh_u32_e32 v10, v8
	v_min_u32_e32 v10, 32, v10
	v_subrev_u32_e32 v11, 29, v10
	v_bfe_u32 v9, v5, 2, 5
	v_lshlrev_b32_e32 v5, v11, v5
	v_sub_u32_e32 v10, 30, v10
	v_and_b32_e32 v5, 3, v5
	v_cmp_eq_u32_e32 vcc, 0, v9
	v_cndmask_b32_e32 v9, v9, v10, vcc
	v_cndmask_b32_e32 v5, v8, v5, vcc
	v_mov_b32_e32 v8, 0x37800000
	v_lshlrev_b32_e32 v5, 21, v5
	v_and_b32_e32 v6, 0x80000000, v6
	v_lshl_add_u32 v8, v9, 23, v8
	v_or3_b32 v5, v6, v8, v5
	v_cvt_i32_f32_e32 v6, v5
.LBB174_1306:
	s_or_b64 exec, exec, s[4:5]
	s_mov_b64 s[4:5], 0
	s_branch .LBB174_1312
.LBB174_1307:
	s_mov_b64 s[4:5], -1
                                        ; implicit-def: $vgpr6
	s_branch .LBB174_1318
.LBB174_1308:
	s_andn2_saveexec_b64 s[18:19], s[18:19]
	s_cbranch_execz .LBB174_1293
.LBB174_1309:
	v_cmp_ne_u16_e32 vcc, 0, v5
	s_andn2_b64 s[20:21], s[20:21], exec
	s_and_b64 s[24:25], vcc, exec
	s_or_b64 s[20:21], s[20:21], s[24:25]
	s_or_b64 exec, exec, s[18:19]
	v_mov_b32_e32 v6, 0
	s_and_saveexec_b64 s[18:19], s[20:21]
	s_cbranch_execnz .LBB174_1294
	s_branch .LBB174_1295
.LBB174_1310:
	s_mov_b64 s[4:5], -1
                                        ; implicit-def: $vgpr6
	s_branch .LBB174_1315
.LBB174_1311:
	s_mov_b64 s[4:5], -1
                                        ; implicit-def: $vgpr6
.LBB174_1312:
	s_and_b64 vcc, exec, s[4:5]
	s_cbranch_vccz .LBB174_1314
; %bb.1313:
	global_load_ubyte v5, v[0:1], off
	s_mov_b32 s4, 0x7f800000
	s_waitcnt vmcnt(0)
	v_lshlrev_b32_e32 v5, 24, v5
	v_and_b32_e32 v6, 0x7f000000, v5
	v_ffbh_u32_e32 v8, v6
	v_min_u32_e32 v8, 32, v8
	v_sub_u32_e64 v8, v8, 4 clamp
	v_lshlrev_b32_e32 v10, v8, v6
	v_lshlrev_b32_e32 v8, 23, v8
	v_lshrrev_b32_e32 v10, 4, v10
	v_add_u32_e32 v9, 0x1000000, v6
	v_sub_u32_e32 v8, v10, v8
	v_ashrrev_i32_e32 v9, 8, v9
	v_add_u32_e32 v8, 0x3c000000, v8
	v_and_or_b32 v8, v9, s4, v8
	v_cmp_ne_u32_e32 vcc, 0, v6
	v_cndmask_b32_e32 v6, 0, v8, vcc
	s_brev_b32 s4, 1
	v_and_or_b32 v5, v5, s4, v6
	v_cvt_i32_f32_e32 v6, v5
.LBB174_1314:
	s_mov_b64 s[4:5], 0
.LBB174_1315:
	s_andn2_b64 vcc, exec, s[4:5]
	s_cbranch_vccnz .LBB174_1317
; %bb.1316:
	global_load_ubyte v5, v[0:1], off
	s_movk_i32 s4, 0x7f00
	s_brev_b32 s5, 16
	s_waitcnt vmcnt(0)
	v_lshlrev_b16_e32 v6, 8, v5
	v_lshlrev_b32_e32 v5, 25, v5
	v_lshrrev_b32_e32 v8, 4, v5
	v_and_or_b32 v9, v6, s4, 0.5
	v_or_b32_e32 v8, 0x70000000, v8
	v_add_f32_e32 v9, -0.5, v9
	v_mul_f32_e32 v8, 0x7800000, v8
	v_cmp_gt_u32_e32 vcc, s5, v5
	v_bfe_i32 v6, v6, 0, 16
	v_cndmask_b32_e32 v5, v8, v9, vcc
	s_brev_b32 s4, 1
	v_and_or_b32 v5, v6, s4, v5
	v_cvt_i32_f32_e32 v6, v5
.LBB174_1317:
	s_mov_b64 s[4:5], 0
	s_mov_b64 s[18:19], -1
.LBB174_1318:
	s_andn2_b64 vcc, exec, s[4:5]
	s_mov_b64 s[4:5], 0
	s_cbranch_vccnz .LBB174_1329
; %bb.1319:
	s_cmp_gt_i32 s22, 14
	s_cbranch_scc0 .LBB174_1322
; %bb.1320:
	s_cmp_eq_u32 s22, 15
	s_cbranch_scc0 .LBB174_1325
; %bb.1321:
	global_load_ushort v5, v[0:1], off
	s_mov_b64 s[0:1], 0
	s_mov_b64 s[18:19], -1
	s_waitcnt vmcnt(0)
	v_lshlrev_b32_e32 v5, 16, v5
	v_cvt_i32_f32_e32 v6, v5
	s_branch .LBB174_1326
.LBB174_1322:
	s_mov_b64 s[20:21], -1
                                        ; implicit-def: $vgpr6
	s_branch .LBB174_1327
.LBB174_1323:
	s_andn2_saveexec_b64 s[4:5], s[4:5]
	s_cbranch_execz .LBB174_1304
.LBB174_1324:
	v_cmp_ne_u16_e32 vcc, 0, v5
	s_andn2_b64 s[18:19], s[18:19], exec
	s_and_b64 s[20:21], vcc, exec
	s_or_b64 s[18:19], s[18:19], s[20:21]
	s_or_b64 exec, exec, s[4:5]
	v_mov_b32_e32 v6, 0
	s_and_saveexec_b64 s[4:5], s[18:19]
	s_cbranch_execnz .LBB174_1305
	s_branch .LBB174_1306
.LBB174_1325:
	s_mov_b64 s[0:1], -1
                                        ; implicit-def: $vgpr6
.LBB174_1326:
	s_mov_b64 s[20:21], 0
.LBB174_1327:
	s_and_b64 vcc, exec, s[20:21]
	s_cbranch_vccz .LBB174_1329
; %bb.1328:
	s_cmp_lg_u32 s22, 11
	s_mov_b64 s[4:5], -1
	s_cselect_b64 s[0:1], -1, 0
.LBB174_1329:
	s_and_b64 vcc, exec, s[0:1]
	s_cbranch_vccnz .LBB174_1392
; %bb.1330:
	s_andn2_b64 vcc, exec, s[4:5]
	s_cbranch_vccnz .LBB174_1332
.LBB174_1331:
	global_load_ubyte v5, v[0:1], off
	s_mov_b64 s[18:19], -1
	s_waitcnt vmcnt(0)
	v_cmp_ne_u16_e32 vcc, 0, v5
	v_cndmask_b32_e64 v6, 0, 1, vcc
.LBB174_1332:
	s_branch .LBB174_1264
.LBB174_1333:
	s_cmp_lt_i32 s22, 5
	s_cbranch_scc1 .LBB174_1338
; %bb.1334:
	s_cmp_lt_i32 s22, 8
	s_cbranch_scc1 .LBB174_1339
; %bb.1335:
	;; [unrolled: 3-line block ×3, first 2 shown]
	s_cmp_gt_i32 s22, 9
	s_cbranch_scc0 .LBB174_1341
; %bb.1337:
	global_load_dwordx2 v[5:6], v[0:1], off
	s_mov_b64 s[0:1], 0
	s_waitcnt vmcnt(0)
	v_cvt_i32_f64_e32 v6, v[5:6]
	s_branch .LBB174_1342
.LBB174_1338:
	s_mov_b64 s[0:1], -1
                                        ; implicit-def: $vgpr6
	s_branch .LBB174_1360
.LBB174_1339:
	s_mov_b64 s[0:1], -1
                                        ; implicit-def: $vgpr6
	s_branch .LBB174_1348
.LBB174_1340:
	s_mov_b64 s[0:1], -1
                                        ; implicit-def: $vgpr6
	s_branch .LBB174_1345
.LBB174_1341:
	s_mov_b64 s[0:1], -1
                                        ; implicit-def: $vgpr6
.LBB174_1342:
	s_andn2_b64 vcc, exec, s[0:1]
	s_cbranch_vccnz .LBB174_1344
; %bb.1343:
	global_load_dword v5, v[0:1], off
	s_waitcnt vmcnt(0)
	v_cvt_i32_f32_e32 v6, v5
.LBB174_1344:
	s_mov_b64 s[0:1], 0
.LBB174_1345:
	s_andn2_b64 vcc, exec, s[0:1]
	s_cbranch_vccnz .LBB174_1347
; %bb.1346:
	global_load_dword v5, v[0:1], off
	s_waitcnt vmcnt(0)
	v_cvt_f32_f16_e32 v5, v5
	v_cvt_i32_f32_e32 v6, v5
.LBB174_1347:
	s_mov_b64 s[0:1], 0
.LBB174_1348:
	s_andn2_b64 vcc, exec, s[0:1]
	s_cbranch_vccnz .LBB174_1359
; %bb.1349:
	s_cmp_lt_i32 s22, 6
	s_cbranch_scc1 .LBB174_1352
; %bb.1350:
	s_cmp_gt_i32 s22, 6
	s_cbranch_scc0 .LBB174_1353
; %bb.1351:
	global_load_dwordx2 v[5:6], v[0:1], off
	s_mov_b64 s[0:1], 0
	s_waitcnt vmcnt(0)
	v_cvt_i32_f64_e32 v6, v[5:6]
	s_branch .LBB174_1354
.LBB174_1352:
	s_mov_b64 s[0:1], -1
                                        ; implicit-def: $vgpr6
	s_branch .LBB174_1357
.LBB174_1353:
	s_mov_b64 s[0:1], -1
                                        ; implicit-def: $vgpr6
.LBB174_1354:
	s_andn2_b64 vcc, exec, s[0:1]
	s_cbranch_vccnz .LBB174_1356
; %bb.1355:
	global_load_dword v5, v[0:1], off
	s_waitcnt vmcnt(0)
	v_cvt_i32_f32_e32 v6, v5
.LBB174_1356:
	s_mov_b64 s[0:1], 0
.LBB174_1357:
	s_andn2_b64 vcc, exec, s[0:1]
	s_cbranch_vccnz .LBB174_1359
; %bb.1358:
	global_load_ushort v5, v[0:1], off
	s_waitcnt vmcnt(0)
	v_cvt_f32_f16_e32 v5, v5
	v_cvt_i32_f32_e32 v6, v5
.LBB174_1359:
	s_mov_b64 s[0:1], 0
.LBB174_1360:
	s_andn2_b64 vcc, exec, s[0:1]
	s_cbranch_vccnz .LBB174_1380
; %bb.1361:
	s_cmp_lt_i32 s22, 2
	s_cbranch_scc1 .LBB174_1365
; %bb.1362:
	s_cmp_lt_i32 s22, 3
	s_cbranch_scc1 .LBB174_1366
; %bb.1363:
	s_cmp_gt_i32 s22, 3
	s_cbranch_scc0 .LBB174_1367
; %bb.1364:
	global_load_dword v6, v[0:1], off
	s_mov_b64 s[0:1], 0
	s_branch .LBB174_1368
.LBB174_1365:
	s_mov_b64 s[0:1], -1
                                        ; implicit-def: $vgpr6
	s_branch .LBB174_1374
.LBB174_1366:
	s_mov_b64 s[0:1], -1
                                        ; implicit-def: $vgpr6
	s_branch .LBB174_1371
.LBB174_1367:
	s_mov_b64 s[0:1], -1
                                        ; implicit-def: $vgpr6
.LBB174_1368:
	s_andn2_b64 vcc, exec, s[0:1]
	s_cbranch_vccnz .LBB174_1370
; %bb.1369:
	global_load_dword v6, v[0:1], off
.LBB174_1370:
	s_mov_b64 s[0:1], 0
.LBB174_1371:
	s_andn2_b64 vcc, exec, s[0:1]
	s_cbranch_vccnz .LBB174_1373
; %bb.1372:
	global_load_sshort v6, v[0:1], off
.LBB174_1373:
	s_mov_b64 s[0:1], 0
.LBB174_1374:
	s_andn2_b64 vcc, exec, s[0:1]
	s_cbranch_vccnz .LBB174_1380
; %bb.1375:
	s_cmp_gt_i32 s22, 0
	s_cbranch_scc0 .LBB174_1377
; %bb.1376:
	global_load_sbyte v6, v[0:1], off
	s_mov_b64 s[0:1], 0
	s_branch .LBB174_1378
.LBB174_1377:
	s_mov_b64 s[0:1], -1
                                        ; implicit-def: $vgpr6
.LBB174_1378:
	s_andn2_b64 vcc, exec, s[0:1]
	s_cbranch_vccnz .LBB174_1380
; %bb.1379:
	global_load_ubyte v6, v[0:1], off
.LBB174_1380:
.LBB174_1381:
	v_add_u32_e32 v0, s13, v3
	v_ashrrev_i32_e32 v1, 31, v0
	v_mov_b32_e32 v3, s11
	v_add_co_u32_e32 v0, vcc, s10, v0
	s_cmp_lt_i32 s22, 11
	v_addc_co_u32_e32 v1, vcc, v3, v1, vcc
	s_cbranch_scc1 .LBB174_1388
; %bb.1382:
	s_cmp_gt_i32 s22, 25
	s_mov_b64 s[4:5], 0
	s_cbranch_scc0 .LBB174_1389
; %bb.1383:
	s_cmp_gt_i32 s22, 28
	s_cbranch_scc0 .LBB174_1390
; %bb.1384:
	s_cmp_gt_i32 s22, 43
	;; [unrolled: 3-line block ×3, first 2 shown]
	s_cbranch_scc0 .LBB174_1393
; %bb.1386:
	s_cmp_eq_u32 s22, 46
	s_mov_b64 s[18:19], 0
	s_cbranch_scc0 .LBB174_1394
; %bb.1387:
	global_load_dword v3, v[0:1], off
	s_mov_b64 s[0:1], 0
	s_mov_b64 s[10:11], -1
	s_waitcnt vmcnt(0)
	v_lshlrev_b32_e32 v3, 16, v3
	v_cvt_i32_f32_e32 v5, v3
	s_branch .LBB174_1395
.LBB174_1388:
	s_mov_b64 s[0:1], -1
	s_mov_b64 s[10:11], 0
                                        ; implicit-def: $vgpr5
	s_branch .LBB174_1457
.LBB174_1389:
	s_mov_b64 s[18:19], -1
	s_mov_b64 s[10:11], 0
	s_mov_b64 s[0:1], 0
                                        ; implicit-def: $vgpr5
	s_branch .LBB174_1422
.LBB174_1390:
	s_mov_b64 s[18:19], -1
	s_mov_b64 s[10:11], 0
	s_mov_b64 s[0:1], 0
                                        ; implicit-def: $vgpr5
	s_branch .LBB174_1405
.LBB174_1391:
	s_mov_b64 s[18:19], -1
	s_mov_b64 s[10:11], 0
	s_mov_b64 s[0:1], 0
                                        ; implicit-def: $vgpr5
	s_branch .LBB174_1400
.LBB174_1392:
	s_trap 2
	s_or_b64 s[16:17], s[16:17], exec
	s_cbranch_execz .LBB174_1331
	s_branch .LBB174_1332
.LBB174_1393:
	s_mov_b64 s[18:19], -1
	s_mov_b64 s[10:11], 0
	s_mov_b64 s[0:1], 0
                                        ; implicit-def: $vgpr5
	s_branch .LBB174_1395
.LBB174_1394:
	s_mov_b64 s[0:1], -1
                                        ; implicit-def: $vgpr5
	s_mov_b64 s[10:11], 0
.LBB174_1395:
	s_and_b64 vcc, exec, s[18:19]
	s_cbranch_vccz .LBB174_1399
; %bb.1396:
	s_cmp_eq_u32 s22, 44
	s_cbranch_scc0 .LBB174_1398
; %bb.1397:
	global_load_ubyte v3, v[0:1], off
	s_mov_b64 s[0:1], 0
	s_mov_b64 s[10:11], -1
	s_waitcnt vmcnt(0)
	v_lshlrev_b32_e32 v5, 23, v3
	v_cvt_i32_f32_e32 v5, v5
	v_cmp_ne_u32_e32 vcc, 0, v3
	v_cndmask_b32_e32 v5, 0, v5, vcc
	s_branch .LBB174_1399
.LBB174_1398:
	s_mov_b64 s[0:1], -1
                                        ; implicit-def: $vgpr5
.LBB174_1399:
	s_mov_b64 s[18:19], 0
.LBB174_1400:
	s_and_b64 vcc, exec, s[18:19]
	s_cbranch_vccz .LBB174_1404
; %bb.1401:
	s_cmp_eq_u32 s22, 29
	s_cbranch_scc0 .LBB174_1403
; %bb.1402:
	global_load_dword v5, v[0:1], off
	s_mov_b64 s[0:1], 0
	s_mov_b64 s[10:11], -1
	s_branch .LBB174_1404
.LBB174_1403:
	s_mov_b64 s[0:1], -1
                                        ; implicit-def: $vgpr5
.LBB174_1404:
	s_mov_b64 s[18:19], 0
.LBB174_1405:
	s_and_b64 vcc, exec, s[18:19]
	s_cbranch_vccz .LBB174_1421
; %bb.1406:
	s_cmp_lt_i32 s22, 27
	s_cbranch_scc1 .LBB174_1409
; %bb.1407:
	s_cmp_gt_i32 s22, 27
	s_cbranch_scc0 .LBB174_1410
; %bb.1408:
	global_load_dword v5, v[0:1], off
	s_mov_b64 s[10:11], 0
	s_branch .LBB174_1411
.LBB174_1409:
	s_mov_b64 s[10:11], -1
                                        ; implicit-def: $vgpr5
	s_branch .LBB174_1414
.LBB174_1410:
	s_mov_b64 s[10:11], -1
                                        ; implicit-def: $vgpr5
.LBB174_1411:
	s_andn2_b64 vcc, exec, s[10:11]
	s_cbranch_vccnz .LBB174_1413
; %bb.1412:
	global_load_ushort v5, v[0:1], off
.LBB174_1413:
	s_mov_b64 s[10:11], 0
.LBB174_1414:
	s_andn2_b64 vcc, exec, s[10:11]
	s_cbranch_vccnz .LBB174_1420
; %bb.1415:
	global_load_ubyte v3, v[0:1], off
	s_movk_i32 s10, 0x7f
	s_mov_b64 s[18:19], 0
	s_waitcnt vmcnt(0)
	v_cmp_lt_i16_e32 vcc, s10, v3
	s_and_saveexec_b64 s[10:11], vcc
	s_xor_b64 s[10:11], exec, s[10:11]
	s_cbranch_execz .LBB174_1432
; %bb.1416:
	s_movk_i32 s13, 0x80
	v_cmp_ne_u16_e32 vcc, s13, v3
	s_and_b64 s[18:19], vcc, exec
	s_andn2_saveexec_b64 s[10:11], s[10:11]
	s_cbranch_execnz .LBB174_1433
.LBB174_1417:
	s_or_b64 exec, exec, s[10:11]
	v_mov_b32_e32 v5, 0
	s_and_saveexec_b64 s[10:11], s[18:19]
	s_cbranch_execz .LBB174_1419
.LBB174_1418:
	v_lshlrev_b32_e32 v5, 24, v3
	v_and_b32_e32 v3, 0xffff, v3
	v_and_b32_e32 v8, 7, v3
	v_ffbh_u32_e32 v10, v8
	v_min_u32_e32 v10, 32, v10
	v_subrev_u32_e32 v11, 28, v10
	v_bfe_u32 v9, v3, 3, 4
	v_lshlrev_b32_e32 v3, v11, v3
	v_sub_u32_e32 v10, 29, v10
	v_and_b32_e32 v3, 7, v3
	v_cmp_eq_u32_e32 vcc, 0, v9
	v_cndmask_b32_e32 v9, v9, v10, vcc
	v_cndmask_b32_e32 v3, v8, v3, vcc
	v_mov_b32_e32 v8, 0x3b800000
	v_lshlrev_b32_e32 v3, 20, v3
	v_and_b32_e32 v5, 0x80000000, v5
	v_lshl_add_u32 v8, v9, 23, v8
	v_or3_b32 v3, v5, v8, v3
	v_cvt_i32_f32_e32 v5, v3
.LBB174_1419:
	s_or_b64 exec, exec, s[10:11]
.LBB174_1420:
	s_mov_b64 s[10:11], -1
.LBB174_1421:
	s_mov_b64 s[18:19], 0
.LBB174_1422:
	s_and_b64 vcc, exec, s[18:19]
	s_cbranch_vccz .LBB174_1453
; %bb.1423:
	s_cmp_gt_i32 s22, 22
	s_cbranch_scc0 .LBB174_1431
; %bb.1424:
	s_cmp_lt_i32 s22, 24
	s_cbranch_scc1 .LBB174_1434
; %bb.1425:
	s_cmp_gt_i32 s22, 24
	s_cbranch_scc0 .LBB174_1435
; %bb.1426:
	global_load_ubyte v3, v[0:1], off
	s_movk_i32 s4, 0x7f
	s_mov_b64 s[10:11], 0
	s_waitcnt vmcnt(0)
	v_cmp_lt_i16_e32 vcc, s4, v3
	s_and_saveexec_b64 s[4:5], vcc
	s_xor_b64 s[4:5], exec, s[4:5]
	s_cbranch_execz .LBB174_1447
; %bb.1427:
	s_movk_i32 s10, 0x80
	v_cmp_ne_u16_e32 vcc, s10, v3
	s_and_b64 s[10:11], vcc, exec
	s_andn2_saveexec_b64 s[4:5], s[4:5]
	s_cbranch_execnz .LBB174_1448
.LBB174_1428:
	s_or_b64 exec, exec, s[4:5]
	v_mov_b32_e32 v5, 0
	s_and_saveexec_b64 s[4:5], s[10:11]
	s_cbranch_execz .LBB174_1430
.LBB174_1429:
	v_lshlrev_b32_e32 v5, 24, v3
	v_and_b32_e32 v3, 0xffff, v3
	v_and_b32_e32 v8, 3, v3
	v_ffbh_u32_e32 v10, v8
	v_min_u32_e32 v10, 32, v10
	v_subrev_u32_e32 v11, 29, v10
	v_bfe_u32 v9, v3, 2, 5
	v_lshlrev_b32_e32 v3, v11, v3
	v_sub_u32_e32 v10, 30, v10
	v_and_b32_e32 v3, 3, v3
	v_cmp_eq_u32_e32 vcc, 0, v9
	v_cndmask_b32_e32 v9, v9, v10, vcc
	v_cndmask_b32_e32 v3, v8, v3, vcc
	v_mov_b32_e32 v8, 0x37800000
	v_lshlrev_b32_e32 v3, 21, v3
	v_and_b32_e32 v5, 0x80000000, v5
	v_lshl_add_u32 v8, v9, 23, v8
	v_or3_b32 v3, v5, v8, v3
	v_cvt_i32_f32_e32 v5, v3
.LBB174_1430:
	s_or_b64 exec, exec, s[4:5]
	s_mov_b64 s[4:5], 0
	s_branch .LBB174_1436
.LBB174_1431:
	s_mov_b64 s[4:5], -1
                                        ; implicit-def: $vgpr5
	s_branch .LBB174_1442
.LBB174_1432:
	s_andn2_saveexec_b64 s[10:11], s[10:11]
	s_cbranch_execz .LBB174_1417
.LBB174_1433:
	v_cmp_ne_u16_e32 vcc, 0, v3
	s_andn2_b64 s[18:19], s[18:19], exec
	s_and_b64 s[20:21], vcc, exec
	s_or_b64 s[18:19], s[18:19], s[20:21]
	s_or_b64 exec, exec, s[10:11]
	v_mov_b32_e32 v5, 0
	s_and_saveexec_b64 s[10:11], s[18:19]
	s_cbranch_execnz .LBB174_1418
	s_branch .LBB174_1419
.LBB174_1434:
	s_mov_b64 s[4:5], -1
                                        ; implicit-def: $vgpr5
	s_branch .LBB174_1439
.LBB174_1435:
	s_mov_b64 s[4:5], -1
                                        ; implicit-def: $vgpr5
.LBB174_1436:
	s_and_b64 vcc, exec, s[4:5]
	s_cbranch_vccz .LBB174_1438
; %bb.1437:
	global_load_ubyte v3, v[0:1], off
	s_mov_b32 s4, 0x7f800000
	s_waitcnt vmcnt(0)
	v_lshlrev_b32_e32 v3, 24, v3
	v_and_b32_e32 v5, 0x7f000000, v3
	v_ffbh_u32_e32 v8, v5
	v_min_u32_e32 v8, 32, v8
	v_sub_u32_e64 v8, v8, 4 clamp
	v_lshlrev_b32_e32 v10, v8, v5
	v_lshlrev_b32_e32 v8, 23, v8
	v_lshrrev_b32_e32 v10, 4, v10
	v_add_u32_e32 v9, 0x1000000, v5
	v_sub_u32_e32 v8, v10, v8
	v_ashrrev_i32_e32 v9, 8, v9
	v_add_u32_e32 v8, 0x3c000000, v8
	v_and_or_b32 v8, v9, s4, v8
	v_cmp_ne_u32_e32 vcc, 0, v5
	v_cndmask_b32_e32 v5, 0, v8, vcc
	s_brev_b32 s4, 1
	v_and_or_b32 v3, v3, s4, v5
	v_cvt_i32_f32_e32 v5, v3
.LBB174_1438:
	s_mov_b64 s[4:5], 0
.LBB174_1439:
	s_andn2_b64 vcc, exec, s[4:5]
	s_cbranch_vccnz .LBB174_1441
; %bb.1440:
	global_load_ubyte v3, v[0:1], off
	s_movk_i32 s4, 0x7f00
	s_brev_b32 s5, 16
	s_waitcnt vmcnt(0)
	v_lshlrev_b16_e32 v5, 8, v3
	v_lshlrev_b32_e32 v3, 25, v3
	v_lshrrev_b32_e32 v8, 4, v3
	v_and_or_b32 v9, v5, s4, 0.5
	v_or_b32_e32 v8, 0x70000000, v8
	v_add_f32_e32 v9, -0.5, v9
	v_mul_f32_e32 v8, 0x7800000, v8
	v_cmp_gt_u32_e32 vcc, s5, v3
	v_bfe_i32 v5, v5, 0, 16
	v_cndmask_b32_e32 v3, v8, v9, vcc
	s_brev_b32 s4, 1
	v_and_or_b32 v3, v5, s4, v3
	v_cvt_i32_f32_e32 v5, v3
.LBB174_1441:
	s_mov_b64 s[4:5], 0
	s_mov_b64 s[10:11], -1
.LBB174_1442:
	s_andn2_b64 vcc, exec, s[4:5]
	s_mov_b64 s[4:5], 0
	s_cbranch_vccnz .LBB174_1453
; %bb.1443:
	s_cmp_gt_i32 s22, 14
	s_cbranch_scc0 .LBB174_1446
; %bb.1444:
	s_cmp_eq_u32 s22, 15
	s_cbranch_scc0 .LBB174_1449
; %bb.1445:
	global_load_ushort v3, v[0:1], off
	s_mov_b64 s[0:1], 0
	s_mov_b64 s[10:11], -1
	s_waitcnt vmcnt(0)
	v_lshlrev_b32_e32 v3, 16, v3
	v_cvt_i32_f32_e32 v5, v3
	s_branch .LBB174_1450
.LBB174_1446:
	s_mov_b64 s[18:19], -1
                                        ; implicit-def: $vgpr5
	s_branch .LBB174_1451
.LBB174_1447:
	s_andn2_saveexec_b64 s[4:5], s[4:5]
	s_cbranch_execz .LBB174_1428
.LBB174_1448:
	v_cmp_ne_u16_e32 vcc, 0, v3
	s_andn2_b64 s[10:11], s[10:11], exec
	s_and_b64 s[18:19], vcc, exec
	s_or_b64 s[10:11], s[10:11], s[18:19]
	s_or_b64 exec, exec, s[4:5]
	v_mov_b32_e32 v5, 0
	s_and_saveexec_b64 s[4:5], s[10:11]
	s_cbranch_execnz .LBB174_1429
	s_branch .LBB174_1430
.LBB174_1449:
	s_mov_b64 s[0:1], -1
                                        ; implicit-def: $vgpr5
.LBB174_1450:
	s_mov_b64 s[18:19], 0
.LBB174_1451:
	s_and_b64 vcc, exec, s[18:19]
	s_cbranch_vccz .LBB174_1453
; %bb.1452:
	s_cmp_lg_u32 s22, 11
	s_mov_b64 s[4:5], -1
	s_cselect_b64 s[0:1], -1, 0
.LBB174_1453:
	s_and_b64 vcc, exec, s[0:1]
	s_cbranch_vccnz .LBB174_1986
; %bb.1454:
	s_andn2_b64 vcc, exec, s[4:5]
	s_cbranch_vccnz .LBB174_1456
.LBB174_1455:
	global_load_ubyte v3, v[0:1], off
	s_mov_b64 s[10:11], -1
	s_waitcnt vmcnt(0)
	v_cmp_ne_u16_e32 vcc, 0, v3
	v_cndmask_b32_e64 v5, 0, 1, vcc
.LBB174_1456:
	s_mov_b64 s[0:1], 0
.LBB174_1457:
	s_and_b64 vcc, exec, s[0:1]
	s_cbranch_vccz .LBB174_1506
; %bb.1458:
	s_cmp_lt_i32 s22, 5
	s_cbranch_scc1 .LBB174_1463
; %bb.1459:
	s_cmp_lt_i32 s22, 8
	s_cbranch_scc1 .LBB174_1464
	;; [unrolled: 3-line block ×3, first 2 shown]
; %bb.1461:
	s_cmp_gt_i32 s22, 9
	s_cbranch_scc0 .LBB174_1466
; %bb.1462:
	global_load_dwordx2 v[8:9], v[0:1], off
	s_mov_b64 s[0:1], 0
	s_waitcnt vmcnt(0)
	v_cvt_i32_f64_e32 v5, v[8:9]
	s_branch .LBB174_1467
.LBB174_1463:
	s_mov_b64 s[0:1], -1
                                        ; implicit-def: $vgpr5
	s_branch .LBB174_1485
.LBB174_1464:
	s_mov_b64 s[0:1], -1
                                        ; implicit-def: $vgpr5
	s_branch .LBB174_1473
.LBB174_1465:
	s_mov_b64 s[0:1], -1
                                        ; implicit-def: $vgpr5
	s_branch .LBB174_1470
.LBB174_1466:
	s_mov_b64 s[0:1], -1
                                        ; implicit-def: $vgpr5
.LBB174_1467:
	s_andn2_b64 vcc, exec, s[0:1]
	s_cbranch_vccnz .LBB174_1469
; %bb.1468:
	global_load_dword v3, v[0:1], off
	s_waitcnt vmcnt(0)
	v_cvt_i32_f32_e32 v5, v3
.LBB174_1469:
	s_mov_b64 s[0:1], 0
.LBB174_1470:
	s_andn2_b64 vcc, exec, s[0:1]
	s_cbranch_vccnz .LBB174_1472
; %bb.1471:
	global_load_dword v3, v[0:1], off
	s_waitcnt vmcnt(0)
	v_cvt_f32_f16_e32 v3, v3
	v_cvt_i32_f32_e32 v5, v3
.LBB174_1472:
	s_mov_b64 s[0:1], 0
.LBB174_1473:
	s_andn2_b64 vcc, exec, s[0:1]
	s_cbranch_vccnz .LBB174_1484
; %bb.1474:
	s_cmp_lt_i32 s22, 6
	s_cbranch_scc1 .LBB174_1477
; %bb.1475:
	s_cmp_gt_i32 s22, 6
	s_cbranch_scc0 .LBB174_1478
; %bb.1476:
	global_load_dwordx2 v[8:9], v[0:1], off
	s_mov_b64 s[0:1], 0
	s_waitcnt vmcnt(0)
	v_cvt_i32_f64_e32 v5, v[8:9]
	s_branch .LBB174_1479
.LBB174_1477:
	s_mov_b64 s[0:1], -1
                                        ; implicit-def: $vgpr5
	s_branch .LBB174_1482
.LBB174_1478:
	s_mov_b64 s[0:1], -1
                                        ; implicit-def: $vgpr5
.LBB174_1479:
	s_andn2_b64 vcc, exec, s[0:1]
	s_cbranch_vccnz .LBB174_1481
; %bb.1480:
	global_load_dword v3, v[0:1], off
	s_waitcnt vmcnt(0)
	v_cvt_i32_f32_e32 v5, v3
.LBB174_1481:
	s_mov_b64 s[0:1], 0
.LBB174_1482:
	s_andn2_b64 vcc, exec, s[0:1]
	s_cbranch_vccnz .LBB174_1484
; %bb.1483:
	global_load_ushort v3, v[0:1], off
	s_waitcnt vmcnt(0)
	v_cvt_f32_f16_e32 v3, v3
	v_cvt_i32_f32_e32 v5, v3
.LBB174_1484:
	s_mov_b64 s[0:1], 0
.LBB174_1485:
	s_andn2_b64 vcc, exec, s[0:1]
	s_cbranch_vccnz .LBB174_1505
; %bb.1486:
	s_cmp_lt_i32 s22, 2
	s_cbranch_scc1 .LBB174_1490
; %bb.1487:
	s_cmp_lt_i32 s22, 3
	s_cbranch_scc1 .LBB174_1491
; %bb.1488:
	s_cmp_gt_i32 s22, 3
	s_cbranch_scc0 .LBB174_1492
; %bb.1489:
	global_load_dword v5, v[0:1], off
	s_mov_b64 s[0:1], 0
	s_branch .LBB174_1493
.LBB174_1490:
	s_mov_b64 s[0:1], -1
                                        ; implicit-def: $vgpr5
	s_branch .LBB174_1499
.LBB174_1491:
	s_mov_b64 s[0:1], -1
                                        ; implicit-def: $vgpr5
	s_branch .LBB174_1496
.LBB174_1492:
	s_mov_b64 s[0:1], -1
                                        ; implicit-def: $vgpr5
.LBB174_1493:
	s_andn2_b64 vcc, exec, s[0:1]
	s_cbranch_vccnz .LBB174_1495
; %bb.1494:
	global_load_dword v5, v[0:1], off
.LBB174_1495:
	s_mov_b64 s[0:1], 0
.LBB174_1496:
	s_andn2_b64 vcc, exec, s[0:1]
	s_cbranch_vccnz .LBB174_1498
; %bb.1497:
	global_load_sshort v5, v[0:1], off
.LBB174_1498:
	s_mov_b64 s[0:1], 0
.LBB174_1499:
	s_andn2_b64 vcc, exec, s[0:1]
	s_cbranch_vccnz .LBB174_1505
; %bb.1500:
	s_cmp_gt_i32 s22, 0
	s_cbranch_scc0 .LBB174_1502
; %bb.1501:
	global_load_sbyte v5, v[0:1], off
	s_mov_b64 s[0:1], 0
	s_branch .LBB174_1503
.LBB174_1502:
	s_mov_b64 s[0:1], -1
                                        ; implicit-def: $vgpr5
.LBB174_1503:
	s_andn2_b64 vcc, exec, s[0:1]
	s_cbranch_vccnz .LBB174_1505
; %bb.1504:
	global_load_ubyte v5, v[0:1], off
.LBB174_1505:
	s_mov_b64 s[10:11], -1
.LBB174_1506:
	s_andn2_b64 vcc, exec, s[10:11]
	s_cbranch_vccnz .LBB174_1940
; %bb.1507:
	v_mul_lo_u32 v4, s12, v4
	s_waitcnt vmcnt(0)
	v_min_u32_e32 v0, 31, v2
	v_mov_b32_e32 v1, s9
	s_and_b32 s22, s3, 0xff
	v_ashrrev_i32_e32 v3, 31, v4
	v_add_co_u32_e32 v2, vcc, s8, v4
	v_ashrrev_i32_e64 v0, v0, s2
	s_cmp_lt_i32 s22, 11
	v_addc_co_u32_e32 v3, vcc, v1, v3, vcc
	s_cbranch_scc1 .LBB174_1585
; %bb.1508:
	s_and_b32 s3, 0xffff, s22
	s_mov_b64 s[18:19], -1
	s_mov_b64 s[4:5], 0
	s_cmp_gt_i32 s3, 25
	s_mov_b64 s[10:11], 0
	s_mov_b64 s[0:1], 0
	s_cbranch_scc0 .LBB174_1541
; %bb.1509:
	s_cmp_gt_i32 s3, 28
	s_cbranch_scc0 .LBB174_1524
; %bb.1510:
	s_cmp_gt_i32 s3, 43
	;; [unrolled: 3-line block ×3, first 2 shown]
	s_cbranch_scc0 .LBB174_1514
; %bb.1512:
	s_mov_b64 s[0:1], -1
	s_mov_b64 s[18:19], 0
	s_cmp_eq_u32 s3, 46
	s_cbranch_scc0 .LBB174_1514
; %bb.1513:
	v_cvt_f32_i32_e32 v1, v0
	s_movk_i32 s10, 0x7fff
	s_mov_b64 s[0:1], 0
	v_bfe_u32 v8, v1, 16, 1
	v_add3_u32 v1, v1, v8, s10
	v_lshrrev_b32_e32 v1, 16, v1
	global_store_dword v[2:3], v1, off
	s_mov_b64 s[10:11], -1
.LBB174_1514:
	s_and_b64 vcc, exec, s[18:19]
	s_cbranch_vccz .LBB174_1519
; %bb.1515:
	s_cmp_eq_u32 s3, 44
	s_mov_b64 s[0:1], -1
	s_cbranch_scc0 .LBB174_1519
; %bb.1516:
	v_cvt_f32_i32_e32 v1, v0
	s_movk_i32 s0, 0xff
	v_mov_b32_e32 v9, 0xff
	v_bfe_u32 v8, v1, 23, 8
	v_cmp_ne_u32_e32 vcc, s0, v8
	s_and_saveexec_b64 s[10:11], vcc
; %bb.1517:
	s_mov_b32 s0, 0x3fffff
	v_lshrrev_b32_e32 v9, 23, v1
	v_and_b32_e32 v10, 0x400000, v1
	v_and_or_b32 v1, v1, s0, v8
	v_cmp_ne_u32_e32 vcc, 0, v10
	v_cmp_ne_u32_e64 s[0:1], 0, v1
	s_and_b64 s[0:1], vcc, s[0:1]
	v_cndmask_b32_e64 v1, 0, 1, s[0:1]
	v_add_u32_e32 v9, v9, v1
; %bb.1518:
	s_or_b64 exec, exec, s[10:11]
	s_mov_b64 s[0:1], 0
	s_mov_b64 s[10:11], -1
	global_store_byte v[2:3], v9, off
.LBB174_1519:
	s_mov_b64 s[18:19], 0
.LBB174_1520:
	s_and_b64 vcc, exec, s[18:19]
	s_cbranch_vccz .LBB174_1523
; %bb.1521:
	s_cmp_eq_u32 s3, 29
	s_mov_b64 s[0:1], -1
	s_cbranch_scc0 .LBB174_1523
; %bb.1522:
	v_ashrrev_i32_e32 v1, 31, v0
	global_store_dwordx2 v[2:3], v[0:1], off
	s_mov_b64 s[0:1], 0
	s_mov_b64 s[10:11], -1
.LBB174_1523:
	s_mov_b64 s[18:19], 0
.LBB174_1524:
	s_and_b64 vcc, exec, s[18:19]
	s_cbranch_vccz .LBB174_1540
; %bb.1525:
	s_cmp_lt_i32 s3, 27
	s_mov_b64 s[10:11], -1
	s_cbranch_scc1 .LBB174_1531
; %bb.1526:
	s_cmp_gt_i32 s3, 27
	s_cbranch_scc0 .LBB174_1528
; %bb.1527:
	s_mov_b64 s[10:11], 0
	global_store_dword v[2:3], v0, off
.LBB174_1528:
	s_andn2_b64 vcc, exec, s[10:11]
	s_cbranch_vccnz .LBB174_1530
; %bb.1529:
	global_store_short v[2:3], v0, off
.LBB174_1530:
	s_mov_b64 s[10:11], 0
.LBB174_1531:
	s_andn2_b64 vcc, exec, s[10:11]
	s_cbranch_vccnz .LBB174_1539
; %bb.1532:
	v_cvt_f32_i32_e32 v1, v0
	s_mov_b32 s10, 0x43800000
	v_mov_b32_e32 v9, 0x80
	v_and_b32_e32 v8, 0x7fffffff, v1
	v_cmp_gt_u32_e32 vcc, s10, v8
	s_and_saveexec_b64 s[10:11], vcc
	s_cbranch_execz .LBB174_1538
; %bb.1533:
	s_mov_b32 s13, 0x3bffffff
	v_cmp_lt_u32_e32 vcc, s13, v8
	s_mov_b64 s[18:19], 0
                                        ; implicit-def: $vgpr8
	s_and_saveexec_b64 s[20:21], vcc
	s_xor_b64 s[20:21], exec, s[20:21]
	s_cbranch_execz .LBB174_1987
; %bb.1534:
	v_bfe_u32 v8, v1, 20, 1
	s_mov_b32 s13, 0x487ffff
	v_add3_u32 v8, v1, v8, s13
	s_mov_b64 s[18:19], exec
	v_lshrrev_b32_e32 v8, 20, v8
	s_andn2_saveexec_b64 s[20:21], s[20:21]
	s_cbranch_execnz .LBB174_1988
.LBB174_1535:
	s_or_b64 exec, exec, s[20:21]
	v_mov_b32_e32 v9, 0
	s_and_saveexec_b64 s[20:21], s[18:19]
.LBB174_1536:
	v_lshrrev_b32_e32 v1, 24, v1
	s_movk_i32 s13, 0x80
	v_and_or_b32 v9, v1, s13, v8
.LBB174_1537:
	s_or_b64 exec, exec, s[20:21]
.LBB174_1538:
	s_or_b64 exec, exec, s[10:11]
	global_store_byte v[2:3], v9, off
.LBB174_1539:
	s_mov_b64 s[10:11], -1
.LBB174_1540:
	s_mov_b64 s[18:19], 0
.LBB174_1541:
	s_and_b64 vcc, exec, s[18:19]
	s_cbranch_vccz .LBB174_1581
; %bb.1542:
	s_cmp_gt_i32 s3, 22
	s_mov_b64 s[4:5], -1
	s_cbranch_scc0 .LBB174_1574
; %bb.1543:
	s_cmp_lt_i32 s3, 24
	s_cbranch_scc1 .LBB174_1563
; %bb.1544:
	s_cmp_gt_i32 s3, 24
	s_cbranch_scc0 .LBB174_1552
; %bb.1545:
	v_cvt_f32_i32_e32 v1, v0
	s_mov_b32 s4, 0x47800000
	v_mov_b32_e32 v9, 0x80
	v_and_b32_e32 v8, 0x7fffffff, v1
	v_cmp_gt_u32_e32 vcc, s4, v8
	s_and_saveexec_b64 s[4:5], vcc
	s_cbranch_execz .LBB174_1551
; %bb.1546:
	s_mov_b32 s10, 0x37ffffff
	v_cmp_lt_u32_e32 vcc, s10, v8
	s_mov_b64 s[10:11], 0
                                        ; implicit-def: $vgpr8
	s_and_saveexec_b64 s[18:19], vcc
	s_xor_b64 s[18:19], exec, s[18:19]
	s_cbranch_execz .LBB174_1990
; %bb.1547:
	v_bfe_u32 v8, v1, 21, 1
	s_mov_b32 s13, 0x88fffff
	v_add3_u32 v8, v1, v8, s13
	s_mov_b64 s[10:11], exec
	v_lshrrev_b32_e32 v8, 21, v8
	s_andn2_saveexec_b64 s[18:19], s[18:19]
	s_cbranch_execnz .LBB174_1991
.LBB174_1548:
	s_or_b64 exec, exec, s[18:19]
	v_mov_b32_e32 v9, 0
	s_and_saveexec_b64 s[18:19], s[10:11]
.LBB174_1549:
	v_lshrrev_b32_e32 v1, 24, v1
	s_movk_i32 s10, 0x80
	v_and_or_b32 v9, v1, s10, v8
.LBB174_1550:
	s_or_b64 exec, exec, s[18:19]
.LBB174_1551:
	s_or_b64 exec, exec, s[4:5]
	s_mov_b64 s[4:5], 0
	global_store_byte v[2:3], v9, off
.LBB174_1552:
	s_and_b64 vcc, exec, s[4:5]
	s_cbranch_vccz .LBB174_1562
; %bb.1553:
	v_cvt_f32_i32_e32 v1, v0
	s_mov_b32 s4, 0x43f00000
                                        ; implicit-def: $vgpr8
	v_and_b32_e32 v9, 0x7fffffff, v1
	v_cmp_gt_u32_e32 vcc, s4, v9
	s_and_saveexec_b64 s[4:5], vcc
	s_xor_b64 s[4:5], exec, s[4:5]
	s_cbranch_execz .LBB174_1559
; %bb.1554:
	s_mov_b32 s10, 0x3c7fffff
	v_cmp_lt_u32_e32 vcc, s10, v9
                                        ; implicit-def: $vgpr8
	s_and_saveexec_b64 s[10:11], vcc
	s_xor_b64 s[10:11], exec, s[10:11]
; %bb.1555:
	v_bfe_u32 v8, v1, 20, 1
	s_mov_b32 s13, 0x407ffff
	v_add3_u32 v8, v1, v8, s13
	v_lshrrev_b32_e32 v9, 20, v8
	v_and_b32_e32 v8, 0xff00000, v8
	s_mov_b32 s13, 0x7f00000
	v_mov_b32_e32 v10, 0x7e
	v_cmp_ne_u32_e32 vcc, s13, v8
	v_cndmask_b32_e32 v8, v10, v9, vcc
; %bb.1556:
	s_andn2_saveexec_b64 s[10:11], s[10:11]
; %bb.1557:
	s_mov_b32 s13, 0x46800000
	v_add_f32_e64 v8, |v1|, s13
; %bb.1558:
	s_or_b64 exec, exec, s[10:11]
                                        ; implicit-def: $vgpr9
.LBB174_1559:
	s_andn2_saveexec_b64 s[4:5], s[4:5]
; %bb.1560:
	s_mov_b32 s10, 0x7f800000
	v_mov_b32_e32 v8, 0x7e
	v_mov_b32_e32 v10, 0x7f
	v_cmp_lt_u32_e32 vcc, s10, v9
	v_cndmask_b32_e32 v8, v8, v10, vcc
; %bb.1561:
	s_or_b64 exec, exec, s[4:5]
	v_lshrrev_b32_e32 v1, 24, v1
	s_movk_i32 s4, 0x80
	v_and_or_b32 v1, v1, s4, v8
	global_store_byte v[2:3], v1, off
.LBB174_1562:
	s_mov_b64 s[4:5], 0
.LBB174_1563:
	s_andn2_b64 vcc, exec, s[4:5]
	s_cbranch_vccnz .LBB174_1573
; %bb.1564:
	v_cvt_f32_i32_e32 v1, v0
	s_mov_b32 s4, 0x47800000
                                        ; implicit-def: $vgpr8
	v_and_b32_e32 v9, 0x7fffffff, v1
	v_cmp_gt_u32_e32 vcc, s4, v9
	s_and_saveexec_b64 s[4:5], vcc
	s_xor_b64 s[4:5], exec, s[4:5]
	s_cbranch_execz .LBB174_1570
; %bb.1565:
	s_mov_b32 s10, 0x387fffff
	v_cmp_lt_u32_e32 vcc, s10, v9
                                        ; implicit-def: $vgpr8
	s_and_saveexec_b64 s[10:11], vcc
	s_xor_b64 s[10:11], exec, s[10:11]
; %bb.1566:
	v_bfe_u32 v8, v1, 21, 1
	s_mov_b32 s13, 0x80fffff
	v_add3_u32 v8, v1, v8, s13
	v_lshrrev_b32_e32 v8, 21, v8
; %bb.1567:
	s_andn2_saveexec_b64 s[10:11], s[10:11]
; %bb.1568:
	s_mov_b32 s13, 0x43000000
	v_add_f32_e64 v8, |v1|, s13
; %bb.1569:
	s_or_b64 exec, exec, s[10:11]
                                        ; implicit-def: $vgpr9
.LBB174_1570:
	s_andn2_saveexec_b64 s[4:5], s[4:5]
; %bb.1571:
	s_mov_b32 s10, 0x7f800000
	v_mov_b32_e32 v8, 0x7c
	v_mov_b32_e32 v10, 0x7f
	v_cmp_lt_u32_e32 vcc, s10, v9
	v_cndmask_b32_e32 v8, v8, v10, vcc
; %bb.1572:
	s_or_b64 exec, exec, s[4:5]
	v_lshrrev_b32_e32 v1, 24, v1
	s_movk_i32 s4, 0x80
	v_and_or_b32 v1, v1, s4, v8
	global_store_byte v[2:3], v1, off
.LBB174_1573:
	s_mov_b64 s[4:5], 0
	s_mov_b64 s[10:11], -1
.LBB174_1574:
	s_andn2_b64 vcc, exec, s[4:5]
	s_mov_b64 s[4:5], 0
	s_cbranch_vccnz .LBB174_1581
; %bb.1575:
	s_cmp_gt_i32 s3, 14
	s_mov_b64 s[18:19], -1
	s_cbranch_scc0 .LBB174_1579
; %bb.1576:
	s_cmp_eq_u32 s3, 15
	s_mov_b64 s[0:1], -1
	s_cbranch_scc0 .LBB174_1578
; %bb.1577:
	v_cvt_f32_i32_e32 v1, v0
	s_movk_i32 s4, 0x7fff
	s_mov_b64 s[0:1], 0
	s_mov_b64 s[10:11], -1
	v_bfe_u32 v8, v1, 16, 1
	v_add3_u32 v1, v1, v8, s4
	global_store_short_d16_hi v[2:3], v1, off
.LBB174_1578:
	s_mov_b64 s[18:19], 0
.LBB174_1579:
	s_mov_b64 s[4:5], 0
	s_and_b64 vcc, exec, s[18:19]
	s_cbranch_vccz .LBB174_1581
; %bb.1580:
	s_cmp_lg_u32 s3, 11
	s_mov_b64 s[4:5], -1
	s_cselect_b64 s[0:1], -1, 0
.LBB174_1581:
	s_and_b64 vcc, exec, s[0:1]
	s_cbranch_vccnz .LBB174_1989
; %bb.1582:
	s_andn2_b64 vcc, exec, s[4:5]
	s_cbranch_vccnz .LBB174_1584
.LBB174_1583:
	v_cmp_ne_u32_e32 vcc, 0, v0
	v_cndmask_b32_e64 v1, 0, 1, vcc
	s_mov_b64 s[10:11], -1
	global_store_byte v[2:3], v1, off
.LBB174_1584:
	s_mov_b64 s[0:1], 0
	s_branch .LBB174_1586
.LBB174_1585:
	s_mov_b64 s[0:1], -1
	s_mov_b64 s[10:11], 0
.LBB174_1586:
	s_and_b64 vcc, exec, s[0:1]
	s_cbranch_vccz .LBB174_1625
; %bb.1587:
	s_and_b32 s3, 0xffff, s22
	s_cmp_lt_i32 s3, 5
	s_mov_b64 s[0:1], -1
	s_cbranch_scc1 .LBB174_1608
; %bb.1588:
	s_cmp_lt_i32 s3, 8
	s_cbranch_scc1 .LBB174_1598
; %bb.1589:
	s_cmp_lt_i32 s3, 9
	s_cbranch_scc1 .LBB174_1595
; %bb.1590:
	s_cmp_gt_i32 s3, 9
	s_cbranch_scc0 .LBB174_1592
; %bb.1591:
	v_cvt_f64_i32_e32 v[8:9], v0
	v_mov_b32_e32 v10, 0
	v_mov_b32_e32 v11, v10
	s_mov_b64 s[0:1], 0
	global_store_dwordx4 v[2:3], v[8:11], off
.LBB174_1592:
	s_andn2_b64 vcc, exec, s[0:1]
	s_cbranch_vccnz .LBB174_1594
; %bb.1593:
	v_cvt_f32_i32_e32 v8, v0
	v_mov_b32_e32 v9, 0
	global_store_dwordx2 v[2:3], v[8:9], off
.LBB174_1594:
	s_mov_b64 s[0:1], 0
.LBB174_1595:
	s_andn2_b64 vcc, exec, s[0:1]
	s_cbranch_vccnz .LBB174_1597
; %bb.1596:
	v_cvt_f32_i32_e32 v1, v0
	v_cvt_f16_f32_e32 v1, v1
	global_store_dword v[2:3], v1, off
.LBB174_1597:
	s_mov_b64 s[0:1], 0
.LBB174_1598:
	s_andn2_b64 vcc, exec, s[0:1]
	s_cbranch_vccnz .LBB174_1607
; %bb.1599:
	s_cmp_lt_i32 s3, 6
	s_mov_b64 s[0:1], -1
	s_cbranch_scc1 .LBB174_1605
; %bb.1600:
	s_cmp_gt_i32 s3, 6
	s_cbranch_scc0 .LBB174_1602
; %bb.1601:
	v_cvt_f64_i32_e32 v[8:9], v0
	s_mov_b64 s[0:1], 0
	global_store_dwordx2 v[2:3], v[8:9], off
.LBB174_1602:
	s_andn2_b64 vcc, exec, s[0:1]
	s_cbranch_vccnz .LBB174_1604
; %bb.1603:
	v_cvt_f32_i32_e32 v1, v0
	global_store_dword v[2:3], v1, off
.LBB174_1604:
	s_mov_b64 s[0:1], 0
.LBB174_1605:
	s_andn2_b64 vcc, exec, s[0:1]
	s_cbranch_vccnz .LBB174_1607
; %bb.1606:
	v_cvt_f32_i32_e32 v1, v0
	v_cvt_f16_f32_e32 v1, v1
	global_store_short v[2:3], v1, off
.LBB174_1607:
	s_mov_b64 s[0:1], 0
.LBB174_1608:
	s_andn2_b64 vcc, exec, s[0:1]
	s_cbranch_vccnz .LBB174_1624
; %bb.1609:
	s_cmp_lt_i32 s3, 2
	s_mov_b64 s[0:1], -1
	s_cbranch_scc1 .LBB174_1619
; %bb.1610:
	s_cmp_lt_i32 s3, 3
	s_cbranch_scc1 .LBB174_1616
; %bb.1611:
	s_cmp_gt_i32 s3, 3
	s_cbranch_scc0 .LBB174_1613
; %bb.1612:
	v_ashrrev_i32_e32 v1, 31, v0
	global_store_dwordx2 v[2:3], v[0:1], off
	s_mov_b64 s[0:1], 0
.LBB174_1613:
	s_andn2_b64 vcc, exec, s[0:1]
	s_cbranch_vccnz .LBB174_1615
; %bb.1614:
	global_store_dword v[2:3], v0, off
.LBB174_1615:
	s_mov_b64 s[0:1], 0
.LBB174_1616:
	s_andn2_b64 vcc, exec, s[0:1]
	s_cbranch_vccnz .LBB174_1618
; %bb.1617:
	global_store_short v[2:3], v0, off
.LBB174_1618:
	s_mov_b64 s[0:1], 0
.LBB174_1619:
	s_andn2_b64 vcc, exec, s[0:1]
	s_cbranch_vccnz .LBB174_1624
; %bb.1620:
	s_cmp_gt_i32 s3, 0
	s_mov_b64 s[0:1], -1
	s_cbranch_scc0 .LBB174_1622
; %bb.1621:
	global_store_byte v[2:3], v0, off
	s_mov_b64 s[0:1], 0
.LBB174_1622:
	s_andn2_b64 vcc, exec, s[0:1]
	s_cbranch_vccnz .LBB174_1624
; %bb.1623:
	global_store_byte v[2:3], v0, off
.LBB174_1624:
	s_mov_b64 s[10:11], -1
.LBB174_1625:
	s_andn2_b64 vcc, exec, s[10:11]
	s_cbranch_vccnz .LBB174_1940
; %bb.1626:
	s_lshl_b32 s3, s12, 7
	v_add_u32_e32 v4, s3, v4
	v_min_u32_e32 v0, 31, v7
	v_ashrrev_i32_e32 v1, 31, v4
	v_mov_b32_e32 v3, s9
	v_add_co_u32_e32 v2, vcc, s8, v4
	v_ashrrev_i32_e64 v0, v0, s2
	s_cmp_lt_i32 s22, 11
	v_addc_co_u32_e32 v3, vcc, v3, v1, vcc
	s_cbranch_scc1 .LBB174_1704
; %bb.1627:
	s_and_b32 s20, 0xffff, s22
	s_mov_b64 s[12:13], -1
	s_mov_b64 s[4:5], 0
	s_cmp_gt_i32 s20, 25
	s_mov_b64 s[10:11], 0
	s_mov_b64 s[0:1], 0
	s_cbranch_scc0 .LBB174_1660
; %bb.1628:
	s_cmp_gt_i32 s20, 28
	s_cbranch_scc0 .LBB174_1643
; %bb.1629:
	s_cmp_gt_i32 s20, 43
	;; [unrolled: 3-line block ×3, first 2 shown]
	s_cbranch_scc0 .LBB174_1633
; %bb.1631:
	s_mov_b64 s[0:1], -1
	s_mov_b64 s[12:13], 0
	s_cmp_eq_u32 s20, 46
	s_cbranch_scc0 .LBB174_1633
; %bb.1632:
	v_cvt_f32_i32_e32 v1, v0
	s_movk_i32 s10, 0x7fff
	s_mov_b64 s[0:1], 0
	v_bfe_u32 v7, v1, 16, 1
	v_add3_u32 v1, v1, v7, s10
	v_lshrrev_b32_e32 v1, 16, v1
	global_store_dword v[2:3], v1, off
	s_mov_b64 s[10:11], -1
.LBB174_1633:
	s_and_b64 vcc, exec, s[12:13]
	s_cbranch_vccz .LBB174_1638
; %bb.1634:
	s_cmp_eq_u32 s20, 44
	s_mov_b64 s[0:1], -1
	s_cbranch_scc0 .LBB174_1638
; %bb.1635:
	v_cvt_f32_i32_e32 v1, v0
	s_movk_i32 s0, 0xff
	v_mov_b32_e32 v8, 0xff
	v_bfe_u32 v7, v1, 23, 8
	v_cmp_ne_u32_e32 vcc, s0, v7
	s_and_saveexec_b64 s[10:11], vcc
; %bb.1636:
	s_mov_b32 s0, 0x3fffff
	v_lshrrev_b32_e32 v8, 23, v1
	v_and_b32_e32 v9, 0x400000, v1
	v_and_or_b32 v1, v1, s0, v7
	v_cmp_ne_u32_e32 vcc, 0, v9
	v_cmp_ne_u32_e64 s[0:1], 0, v1
	s_and_b64 s[0:1], vcc, s[0:1]
	v_cndmask_b32_e64 v1, 0, 1, s[0:1]
	v_add_u32_e32 v8, v8, v1
; %bb.1637:
	s_or_b64 exec, exec, s[10:11]
	s_mov_b64 s[0:1], 0
	s_mov_b64 s[10:11], -1
	global_store_byte v[2:3], v8, off
.LBB174_1638:
	s_mov_b64 s[12:13], 0
.LBB174_1639:
	s_and_b64 vcc, exec, s[12:13]
	s_cbranch_vccz .LBB174_1642
; %bb.1640:
	s_cmp_eq_u32 s20, 29
	s_mov_b64 s[0:1], -1
	s_cbranch_scc0 .LBB174_1642
; %bb.1641:
	v_ashrrev_i32_e32 v1, 31, v0
	global_store_dwordx2 v[2:3], v[0:1], off
	s_mov_b64 s[0:1], 0
	s_mov_b64 s[10:11], -1
.LBB174_1642:
	s_mov_b64 s[12:13], 0
.LBB174_1643:
	s_and_b64 vcc, exec, s[12:13]
	s_cbranch_vccz .LBB174_1659
; %bb.1644:
	s_cmp_lt_i32 s20, 27
	s_mov_b64 s[10:11], -1
	s_cbranch_scc1 .LBB174_1650
; %bb.1645:
	s_cmp_gt_i32 s20, 27
	s_cbranch_scc0 .LBB174_1647
; %bb.1646:
	s_mov_b64 s[10:11], 0
	global_store_dword v[2:3], v0, off
.LBB174_1647:
	s_andn2_b64 vcc, exec, s[10:11]
	s_cbranch_vccnz .LBB174_1649
; %bb.1648:
	global_store_short v[2:3], v0, off
.LBB174_1649:
	s_mov_b64 s[10:11], 0
.LBB174_1650:
	s_andn2_b64 vcc, exec, s[10:11]
	s_cbranch_vccnz .LBB174_1658
; %bb.1651:
	v_cvt_f32_i32_e32 v1, v0
	s_mov_b32 s10, 0x43800000
	v_mov_b32_e32 v8, 0x80
	v_and_b32_e32 v7, 0x7fffffff, v1
	v_cmp_gt_u32_e32 vcc, s10, v7
	s_and_saveexec_b64 s[10:11], vcc
	s_cbranch_execz .LBB174_1657
; %bb.1652:
	s_mov_b32 s12, 0x3bffffff
	v_cmp_lt_u32_e32 vcc, s12, v7
	s_mov_b64 s[12:13], 0
                                        ; implicit-def: $vgpr7
	s_and_saveexec_b64 s[18:19], vcc
	s_xor_b64 s[18:19], exec, s[18:19]
	s_cbranch_execz .LBB174_1992
; %bb.1653:
	v_bfe_u32 v7, v1, 20, 1
	s_mov_b32 s21, 0x487ffff
	v_add3_u32 v7, v1, v7, s21
	s_mov_b64 s[12:13], exec
	v_lshrrev_b32_e32 v7, 20, v7
	s_andn2_saveexec_b64 s[18:19], s[18:19]
	s_cbranch_execnz .LBB174_1993
.LBB174_1654:
	s_or_b64 exec, exec, s[18:19]
	v_mov_b32_e32 v8, 0
	s_and_saveexec_b64 s[18:19], s[12:13]
.LBB174_1655:
	v_lshrrev_b32_e32 v1, 24, v1
	s_movk_i32 s12, 0x80
	v_and_or_b32 v8, v1, s12, v7
.LBB174_1656:
	s_or_b64 exec, exec, s[18:19]
.LBB174_1657:
	s_or_b64 exec, exec, s[10:11]
	global_store_byte v[2:3], v8, off
.LBB174_1658:
	s_mov_b64 s[10:11], -1
.LBB174_1659:
	s_mov_b64 s[12:13], 0
.LBB174_1660:
	s_and_b64 vcc, exec, s[12:13]
	s_cbranch_vccz .LBB174_1700
; %bb.1661:
	s_cmp_gt_i32 s20, 22
	s_mov_b64 s[4:5], -1
	s_cbranch_scc0 .LBB174_1693
; %bb.1662:
	s_cmp_lt_i32 s20, 24
	s_cbranch_scc1 .LBB174_1682
; %bb.1663:
	s_cmp_gt_i32 s20, 24
	s_cbranch_scc0 .LBB174_1671
; %bb.1664:
	v_cvt_f32_i32_e32 v1, v0
	s_mov_b32 s4, 0x47800000
	v_mov_b32_e32 v8, 0x80
	v_and_b32_e32 v7, 0x7fffffff, v1
	v_cmp_gt_u32_e32 vcc, s4, v7
	s_and_saveexec_b64 s[4:5], vcc
	s_cbranch_execz .LBB174_1670
; %bb.1665:
	s_mov_b32 s10, 0x37ffffff
	v_cmp_lt_u32_e32 vcc, s10, v7
	s_mov_b64 s[10:11], 0
                                        ; implicit-def: $vgpr7
	s_and_saveexec_b64 s[12:13], vcc
	s_xor_b64 s[12:13], exec, s[12:13]
	s_cbranch_execz .LBB174_1995
; %bb.1666:
	v_bfe_u32 v7, v1, 21, 1
	s_mov_b32 s18, 0x88fffff
	v_add3_u32 v7, v1, v7, s18
	s_mov_b64 s[10:11], exec
	v_lshrrev_b32_e32 v7, 21, v7
	s_andn2_saveexec_b64 s[12:13], s[12:13]
	s_cbranch_execnz .LBB174_1996
.LBB174_1667:
	s_or_b64 exec, exec, s[12:13]
	v_mov_b32_e32 v8, 0
	s_and_saveexec_b64 s[12:13], s[10:11]
.LBB174_1668:
	v_lshrrev_b32_e32 v1, 24, v1
	s_movk_i32 s10, 0x80
	v_and_or_b32 v8, v1, s10, v7
.LBB174_1669:
	s_or_b64 exec, exec, s[12:13]
.LBB174_1670:
	s_or_b64 exec, exec, s[4:5]
	s_mov_b64 s[4:5], 0
	global_store_byte v[2:3], v8, off
.LBB174_1671:
	s_and_b64 vcc, exec, s[4:5]
	s_cbranch_vccz .LBB174_1681
; %bb.1672:
	v_cvt_f32_i32_e32 v1, v0
	s_mov_b32 s4, 0x43f00000
                                        ; implicit-def: $vgpr7
	v_and_b32_e32 v8, 0x7fffffff, v1
	v_cmp_gt_u32_e32 vcc, s4, v8
	s_and_saveexec_b64 s[4:5], vcc
	s_xor_b64 s[4:5], exec, s[4:5]
	s_cbranch_execz .LBB174_1678
; %bb.1673:
	s_mov_b32 s10, 0x3c7fffff
	v_cmp_lt_u32_e32 vcc, s10, v8
                                        ; implicit-def: $vgpr7
	s_and_saveexec_b64 s[10:11], vcc
	s_xor_b64 s[10:11], exec, s[10:11]
; %bb.1674:
	v_bfe_u32 v7, v1, 20, 1
	s_mov_b32 s12, 0x407ffff
	v_add3_u32 v7, v1, v7, s12
	v_lshrrev_b32_e32 v8, 20, v7
	v_and_b32_e32 v7, 0xff00000, v7
	s_mov_b32 s12, 0x7f00000
	v_mov_b32_e32 v9, 0x7e
	v_cmp_ne_u32_e32 vcc, s12, v7
	v_cndmask_b32_e32 v7, v9, v8, vcc
; %bb.1675:
	s_andn2_saveexec_b64 s[10:11], s[10:11]
; %bb.1676:
	s_mov_b32 s12, 0x46800000
	v_add_f32_e64 v7, |v1|, s12
; %bb.1677:
	s_or_b64 exec, exec, s[10:11]
                                        ; implicit-def: $vgpr8
.LBB174_1678:
	s_andn2_saveexec_b64 s[4:5], s[4:5]
; %bb.1679:
	s_mov_b32 s10, 0x7f800000
	v_mov_b32_e32 v7, 0x7e
	v_mov_b32_e32 v9, 0x7f
	v_cmp_lt_u32_e32 vcc, s10, v8
	v_cndmask_b32_e32 v7, v7, v9, vcc
; %bb.1680:
	s_or_b64 exec, exec, s[4:5]
	v_lshrrev_b32_e32 v1, 24, v1
	s_movk_i32 s4, 0x80
	v_and_or_b32 v1, v1, s4, v7
	global_store_byte v[2:3], v1, off
.LBB174_1681:
	s_mov_b64 s[4:5], 0
.LBB174_1682:
	s_andn2_b64 vcc, exec, s[4:5]
	s_cbranch_vccnz .LBB174_1692
; %bb.1683:
	v_cvt_f32_i32_e32 v1, v0
	s_mov_b32 s4, 0x47800000
                                        ; implicit-def: $vgpr7
	v_and_b32_e32 v8, 0x7fffffff, v1
	v_cmp_gt_u32_e32 vcc, s4, v8
	s_and_saveexec_b64 s[4:5], vcc
	s_xor_b64 s[4:5], exec, s[4:5]
	s_cbranch_execz .LBB174_1689
; %bb.1684:
	s_mov_b32 s10, 0x387fffff
	v_cmp_lt_u32_e32 vcc, s10, v8
                                        ; implicit-def: $vgpr7
	s_and_saveexec_b64 s[10:11], vcc
	s_xor_b64 s[10:11], exec, s[10:11]
; %bb.1685:
	v_bfe_u32 v7, v1, 21, 1
	s_mov_b32 s12, 0x80fffff
	v_add3_u32 v7, v1, v7, s12
	v_lshrrev_b32_e32 v7, 21, v7
; %bb.1686:
	s_andn2_saveexec_b64 s[10:11], s[10:11]
; %bb.1687:
	s_mov_b32 s12, 0x43000000
	v_add_f32_e64 v7, |v1|, s12
; %bb.1688:
	s_or_b64 exec, exec, s[10:11]
                                        ; implicit-def: $vgpr8
.LBB174_1689:
	s_andn2_saveexec_b64 s[4:5], s[4:5]
; %bb.1690:
	s_mov_b32 s10, 0x7f800000
	v_mov_b32_e32 v7, 0x7c
	v_mov_b32_e32 v9, 0x7f
	v_cmp_lt_u32_e32 vcc, s10, v8
	v_cndmask_b32_e32 v7, v7, v9, vcc
; %bb.1691:
	s_or_b64 exec, exec, s[4:5]
	v_lshrrev_b32_e32 v1, 24, v1
	s_movk_i32 s4, 0x80
	v_and_or_b32 v1, v1, s4, v7
	global_store_byte v[2:3], v1, off
.LBB174_1692:
	s_mov_b64 s[4:5], 0
	s_mov_b64 s[10:11], -1
.LBB174_1693:
	s_andn2_b64 vcc, exec, s[4:5]
	s_mov_b64 s[4:5], 0
	s_cbranch_vccnz .LBB174_1700
; %bb.1694:
	s_cmp_gt_i32 s20, 14
	s_mov_b64 s[12:13], -1
	s_cbranch_scc0 .LBB174_1698
; %bb.1695:
	s_cmp_eq_u32 s20, 15
	s_mov_b64 s[0:1], -1
	s_cbranch_scc0 .LBB174_1697
; %bb.1696:
	v_cvt_f32_i32_e32 v1, v0
	s_movk_i32 s4, 0x7fff
	s_mov_b64 s[0:1], 0
	s_mov_b64 s[10:11], -1
	v_bfe_u32 v7, v1, 16, 1
	v_add3_u32 v1, v1, v7, s4
	global_store_short_d16_hi v[2:3], v1, off
.LBB174_1697:
	s_mov_b64 s[12:13], 0
.LBB174_1698:
	s_mov_b64 s[4:5], 0
	s_and_b64 vcc, exec, s[12:13]
	s_cbranch_vccz .LBB174_1700
; %bb.1699:
	s_cmp_lg_u32 s20, 11
	s_mov_b64 s[4:5], -1
	s_cselect_b64 s[0:1], -1, 0
.LBB174_1700:
	s_and_b64 vcc, exec, s[0:1]
	s_cbranch_vccnz .LBB174_1994
; %bb.1701:
	s_andn2_b64 vcc, exec, s[4:5]
	s_cbranch_vccnz .LBB174_1703
.LBB174_1702:
	v_cmp_ne_u32_e32 vcc, 0, v0
	v_cndmask_b32_e64 v1, 0, 1, vcc
	s_mov_b64 s[10:11], -1
	global_store_byte v[2:3], v1, off
.LBB174_1703:
	s_mov_b64 s[0:1], 0
	s_branch .LBB174_1705
.LBB174_1704:
	s_mov_b64 s[0:1], -1
	s_mov_b64 s[10:11], 0
.LBB174_1705:
	s_and_b64 vcc, exec, s[0:1]
	s_cbranch_vccz .LBB174_1744
; %bb.1706:
	s_and_b32 s4, 0xffff, s22
	s_cmp_lt_i32 s4, 5
	s_mov_b64 s[0:1], -1
	s_cbranch_scc1 .LBB174_1727
; %bb.1707:
	s_cmp_lt_i32 s4, 8
	s_cbranch_scc1 .LBB174_1717
; %bb.1708:
	s_cmp_lt_i32 s4, 9
	s_cbranch_scc1 .LBB174_1714
; %bb.1709:
	s_cmp_gt_i32 s4, 9
	s_cbranch_scc0 .LBB174_1711
; %bb.1710:
	v_cvt_f64_i32_e32 v[7:8], v0
	v_mov_b32_e32 v9, 0
	v_mov_b32_e32 v10, v9
	s_mov_b64 s[0:1], 0
	global_store_dwordx4 v[2:3], v[7:10], off
.LBB174_1711:
	s_andn2_b64 vcc, exec, s[0:1]
	s_cbranch_vccnz .LBB174_1713
; %bb.1712:
	v_cvt_f32_i32_e32 v7, v0
	v_mov_b32_e32 v8, 0
	global_store_dwordx2 v[2:3], v[7:8], off
.LBB174_1713:
	s_mov_b64 s[0:1], 0
.LBB174_1714:
	s_andn2_b64 vcc, exec, s[0:1]
	s_cbranch_vccnz .LBB174_1716
; %bb.1715:
	v_cvt_f32_i32_e32 v1, v0
	v_cvt_f16_f32_e32 v1, v1
	global_store_dword v[2:3], v1, off
.LBB174_1716:
	s_mov_b64 s[0:1], 0
.LBB174_1717:
	s_andn2_b64 vcc, exec, s[0:1]
	s_cbranch_vccnz .LBB174_1726
; %bb.1718:
	s_cmp_lt_i32 s4, 6
	s_mov_b64 s[0:1], -1
	s_cbranch_scc1 .LBB174_1724
; %bb.1719:
	s_cmp_gt_i32 s4, 6
	s_cbranch_scc0 .LBB174_1721
; %bb.1720:
	v_cvt_f64_i32_e32 v[7:8], v0
	s_mov_b64 s[0:1], 0
	global_store_dwordx2 v[2:3], v[7:8], off
.LBB174_1721:
	s_andn2_b64 vcc, exec, s[0:1]
	s_cbranch_vccnz .LBB174_1723
; %bb.1722:
	v_cvt_f32_i32_e32 v1, v0
	global_store_dword v[2:3], v1, off
.LBB174_1723:
	s_mov_b64 s[0:1], 0
.LBB174_1724:
	s_andn2_b64 vcc, exec, s[0:1]
	s_cbranch_vccnz .LBB174_1726
; %bb.1725:
	v_cvt_f32_i32_e32 v1, v0
	v_cvt_f16_f32_e32 v1, v1
	global_store_short v[2:3], v1, off
.LBB174_1726:
	s_mov_b64 s[0:1], 0
.LBB174_1727:
	s_andn2_b64 vcc, exec, s[0:1]
	s_cbranch_vccnz .LBB174_1743
; %bb.1728:
	s_cmp_lt_i32 s4, 2
	s_mov_b64 s[0:1], -1
	s_cbranch_scc1 .LBB174_1738
; %bb.1729:
	s_cmp_lt_i32 s4, 3
	s_cbranch_scc1 .LBB174_1735
; %bb.1730:
	s_cmp_gt_i32 s4, 3
	s_cbranch_scc0 .LBB174_1732
; %bb.1731:
	v_ashrrev_i32_e32 v1, 31, v0
	global_store_dwordx2 v[2:3], v[0:1], off
	s_mov_b64 s[0:1], 0
.LBB174_1732:
	s_andn2_b64 vcc, exec, s[0:1]
	s_cbranch_vccnz .LBB174_1734
; %bb.1733:
	global_store_dword v[2:3], v0, off
.LBB174_1734:
	s_mov_b64 s[0:1], 0
.LBB174_1735:
	s_andn2_b64 vcc, exec, s[0:1]
	s_cbranch_vccnz .LBB174_1737
; %bb.1736:
	global_store_short v[2:3], v0, off
.LBB174_1737:
	s_mov_b64 s[0:1], 0
.LBB174_1738:
	s_andn2_b64 vcc, exec, s[0:1]
	s_cbranch_vccnz .LBB174_1743
; %bb.1739:
	s_cmp_gt_i32 s4, 0
	s_mov_b64 s[0:1], -1
	s_cbranch_scc0 .LBB174_1741
; %bb.1740:
	global_store_byte v[2:3], v0, off
	s_mov_b64 s[0:1], 0
.LBB174_1741:
	s_andn2_b64 vcc, exec, s[0:1]
	s_cbranch_vccnz .LBB174_1743
; %bb.1742:
	global_store_byte v[2:3], v0, off
.LBB174_1743:
	s_mov_b64 s[10:11], -1
.LBB174_1744:
	s_andn2_b64 vcc, exec, s[10:11]
	s_cbranch_vccnz .LBB174_1940
; %bb.1745:
	v_add_u32_e32 v4, s3, v4
	v_min_u32_e32 v0, 31, v6
	v_ashrrev_i32_e32 v1, 31, v4
	v_mov_b32_e32 v3, s9
	v_add_co_u32_e32 v2, vcc, s8, v4
	v_ashrrev_i32_e64 v0, v0, s2
	s_cmp_lt_i32 s22, 11
	v_addc_co_u32_e32 v3, vcc, v3, v1, vcc
	s_cbranch_scc1 .LBB174_1823
; %bb.1746:
	s_and_b32 s20, 0xffff, s22
	s_mov_b64 s[12:13], -1
	s_mov_b64 s[4:5], 0
	s_cmp_gt_i32 s20, 25
	s_mov_b64 s[10:11], 0
	s_mov_b64 s[0:1], 0
	s_cbranch_scc0 .LBB174_1779
; %bb.1747:
	s_cmp_gt_i32 s20, 28
	s_cbranch_scc0 .LBB174_1762
; %bb.1748:
	s_cmp_gt_i32 s20, 43
	;; [unrolled: 3-line block ×3, first 2 shown]
	s_cbranch_scc0 .LBB174_1752
; %bb.1750:
	s_mov_b64 s[0:1], -1
	s_mov_b64 s[12:13], 0
	s_cmp_eq_u32 s20, 46
	s_cbranch_scc0 .LBB174_1752
; %bb.1751:
	v_cvt_f32_i32_e32 v1, v0
	s_movk_i32 s10, 0x7fff
	s_mov_b64 s[0:1], 0
	v_bfe_u32 v6, v1, 16, 1
	v_add3_u32 v1, v1, v6, s10
	v_lshrrev_b32_e32 v1, 16, v1
	global_store_dword v[2:3], v1, off
	s_mov_b64 s[10:11], -1
.LBB174_1752:
	s_and_b64 vcc, exec, s[12:13]
	s_cbranch_vccz .LBB174_1757
; %bb.1753:
	s_cmp_eq_u32 s20, 44
	s_mov_b64 s[0:1], -1
	s_cbranch_scc0 .LBB174_1757
; %bb.1754:
	v_cvt_f32_i32_e32 v1, v0
	s_movk_i32 s0, 0xff
	v_mov_b32_e32 v7, 0xff
	v_bfe_u32 v6, v1, 23, 8
	v_cmp_ne_u32_e32 vcc, s0, v6
	s_and_saveexec_b64 s[10:11], vcc
; %bb.1755:
	s_mov_b32 s0, 0x3fffff
	v_lshrrev_b32_e32 v7, 23, v1
	v_and_b32_e32 v8, 0x400000, v1
	v_and_or_b32 v1, v1, s0, v6
	v_cmp_ne_u32_e32 vcc, 0, v8
	v_cmp_ne_u32_e64 s[0:1], 0, v1
	s_and_b64 s[0:1], vcc, s[0:1]
	v_cndmask_b32_e64 v1, 0, 1, s[0:1]
	v_add_u32_e32 v7, v7, v1
; %bb.1756:
	s_or_b64 exec, exec, s[10:11]
	s_mov_b64 s[0:1], 0
	s_mov_b64 s[10:11], -1
	global_store_byte v[2:3], v7, off
.LBB174_1757:
	s_mov_b64 s[12:13], 0
.LBB174_1758:
	s_and_b64 vcc, exec, s[12:13]
	s_cbranch_vccz .LBB174_1761
; %bb.1759:
	s_cmp_eq_u32 s20, 29
	s_mov_b64 s[0:1], -1
	s_cbranch_scc0 .LBB174_1761
; %bb.1760:
	v_ashrrev_i32_e32 v1, 31, v0
	global_store_dwordx2 v[2:3], v[0:1], off
	s_mov_b64 s[0:1], 0
	s_mov_b64 s[10:11], -1
.LBB174_1761:
	s_mov_b64 s[12:13], 0
.LBB174_1762:
	s_and_b64 vcc, exec, s[12:13]
	s_cbranch_vccz .LBB174_1778
; %bb.1763:
	s_cmp_lt_i32 s20, 27
	s_mov_b64 s[10:11], -1
	s_cbranch_scc1 .LBB174_1769
; %bb.1764:
	s_cmp_gt_i32 s20, 27
	s_cbranch_scc0 .LBB174_1766
; %bb.1765:
	s_mov_b64 s[10:11], 0
	global_store_dword v[2:3], v0, off
.LBB174_1766:
	s_andn2_b64 vcc, exec, s[10:11]
	s_cbranch_vccnz .LBB174_1768
; %bb.1767:
	global_store_short v[2:3], v0, off
.LBB174_1768:
	s_mov_b64 s[10:11], 0
.LBB174_1769:
	s_andn2_b64 vcc, exec, s[10:11]
	s_cbranch_vccnz .LBB174_1777
; %bb.1770:
	v_cvt_f32_i32_e32 v1, v0
	s_mov_b32 s10, 0x43800000
	v_mov_b32_e32 v7, 0x80
	v_and_b32_e32 v6, 0x7fffffff, v1
	v_cmp_gt_u32_e32 vcc, s10, v6
	s_and_saveexec_b64 s[10:11], vcc
	s_cbranch_execz .LBB174_1776
; %bb.1771:
	s_mov_b32 s12, 0x3bffffff
	v_cmp_lt_u32_e32 vcc, s12, v6
	s_mov_b64 s[12:13], 0
                                        ; implicit-def: $vgpr6
	s_and_saveexec_b64 s[18:19], vcc
	s_xor_b64 s[18:19], exec, s[18:19]
	s_cbranch_execz .LBB174_1997
; %bb.1772:
	v_bfe_u32 v6, v1, 20, 1
	s_mov_b32 s21, 0x487ffff
	v_add3_u32 v6, v1, v6, s21
	s_mov_b64 s[12:13], exec
	v_lshrrev_b32_e32 v6, 20, v6
	s_andn2_saveexec_b64 s[18:19], s[18:19]
	s_cbranch_execnz .LBB174_1998
.LBB174_1773:
	s_or_b64 exec, exec, s[18:19]
	v_mov_b32_e32 v7, 0
	s_and_saveexec_b64 s[18:19], s[12:13]
.LBB174_1774:
	v_lshrrev_b32_e32 v1, 24, v1
	s_movk_i32 s12, 0x80
	v_and_or_b32 v7, v1, s12, v6
.LBB174_1775:
	s_or_b64 exec, exec, s[18:19]
.LBB174_1776:
	s_or_b64 exec, exec, s[10:11]
	global_store_byte v[2:3], v7, off
.LBB174_1777:
	s_mov_b64 s[10:11], -1
.LBB174_1778:
	s_mov_b64 s[12:13], 0
.LBB174_1779:
	s_and_b64 vcc, exec, s[12:13]
	s_cbranch_vccz .LBB174_1819
; %bb.1780:
	s_cmp_gt_i32 s20, 22
	s_mov_b64 s[4:5], -1
	s_cbranch_scc0 .LBB174_1812
; %bb.1781:
	s_cmp_lt_i32 s20, 24
	s_cbranch_scc1 .LBB174_1801
; %bb.1782:
	s_cmp_gt_i32 s20, 24
	s_cbranch_scc0 .LBB174_1790
; %bb.1783:
	v_cvt_f32_i32_e32 v1, v0
	s_mov_b32 s4, 0x47800000
	v_mov_b32_e32 v7, 0x80
	v_and_b32_e32 v6, 0x7fffffff, v1
	v_cmp_gt_u32_e32 vcc, s4, v6
	s_and_saveexec_b64 s[4:5], vcc
	s_cbranch_execz .LBB174_1789
; %bb.1784:
	s_mov_b32 s10, 0x37ffffff
	v_cmp_lt_u32_e32 vcc, s10, v6
	s_mov_b64 s[10:11], 0
                                        ; implicit-def: $vgpr6
	s_and_saveexec_b64 s[12:13], vcc
	s_xor_b64 s[12:13], exec, s[12:13]
	s_cbranch_execz .LBB174_2000
; %bb.1785:
	v_bfe_u32 v6, v1, 21, 1
	s_mov_b32 s18, 0x88fffff
	v_add3_u32 v6, v1, v6, s18
	s_mov_b64 s[10:11], exec
	v_lshrrev_b32_e32 v6, 21, v6
	s_andn2_saveexec_b64 s[12:13], s[12:13]
	s_cbranch_execnz .LBB174_2001
.LBB174_1786:
	s_or_b64 exec, exec, s[12:13]
	v_mov_b32_e32 v7, 0
	s_and_saveexec_b64 s[12:13], s[10:11]
.LBB174_1787:
	v_lshrrev_b32_e32 v1, 24, v1
	s_movk_i32 s10, 0x80
	v_and_or_b32 v7, v1, s10, v6
.LBB174_1788:
	s_or_b64 exec, exec, s[12:13]
.LBB174_1789:
	s_or_b64 exec, exec, s[4:5]
	s_mov_b64 s[4:5], 0
	global_store_byte v[2:3], v7, off
.LBB174_1790:
	s_and_b64 vcc, exec, s[4:5]
	s_cbranch_vccz .LBB174_1800
; %bb.1791:
	v_cvt_f32_i32_e32 v1, v0
	s_mov_b32 s4, 0x43f00000
                                        ; implicit-def: $vgpr6
	v_and_b32_e32 v7, 0x7fffffff, v1
	v_cmp_gt_u32_e32 vcc, s4, v7
	s_and_saveexec_b64 s[4:5], vcc
	s_xor_b64 s[4:5], exec, s[4:5]
	s_cbranch_execz .LBB174_1797
; %bb.1792:
	s_mov_b32 s10, 0x3c7fffff
	v_cmp_lt_u32_e32 vcc, s10, v7
                                        ; implicit-def: $vgpr6
	s_and_saveexec_b64 s[10:11], vcc
	s_xor_b64 s[10:11], exec, s[10:11]
; %bb.1793:
	v_bfe_u32 v6, v1, 20, 1
	s_mov_b32 s12, 0x407ffff
	v_add3_u32 v6, v1, v6, s12
	v_lshrrev_b32_e32 v7, 20, v6
	v_and_b32_e32 v6, 0xff00000, v6
	s_mov_b32 s12, 0x7f00000
	v_mov_b32_e32 v8, 0x7e
	v_cmp_ne_u32_e32 vcc, s12, v6
	v_cndmask_b32_e32 v6, v8, v7, vcc
; %bb.1794:
	s_andn2_saveexec_b64 s[10:11], s[10:11]
; %bb.1795:
	s_mov_b32 s12, 0x46800000
	v_add_f32_e64 v6, |v1|, s12
; %bb.1796:
	s_or_b64 exec, exec, s[10:11]
                                        ; implicit-def: $vgpr7
.LBB174_1797:
	s_andn2_saveexec_b64 s[4:5], s[4:5]
; %bb.1798:
	s_mov_b32 s10, 0x7f800000
	v_mov_b32_e32 v6, 0x7e
	v_mov_b32_e32 v8, 0x7f
	v_cmp_lt_u32_e32 vcc, s10, v7
	v_cndmask_b32_e32 v6, v6, v8, vcc
; %bb.1799:
	s_or_b64 exec, exec, s[4:5]
	v_lshrrev_b32_e32 v1, 24, v1
	s_movk_i32 s4, 0x80
	v_and_or_b32 v1, v1, s4, v6
	global_store_byte v[2:3], v1, off
.LBB174_1800:
	s_mov_b64 s[4:5], 0
.LBB174_1801:
	s_andn2_b64 vcc, exec, s[4:5]
	s_cbranch_vccnz .LBB174_1811
; %bb.1802:
	v_cvt_f32_i32_e32 v1, v0
	s_mov_b32 s4, 0x47800000
                                        ; implicit-def: $vgpr6
	v_and_b32_e32 v7, 0x7fffffff, v1
	v_cmp_gt_u32_e32 vcc, s4, v7
	s_and_saveexec_b64 s[4:5], vcc
	s_xor_b64 s[4:5], exec, s[4:5]
	s_cbranch_execz .LBB174_1808
; %bb.1803:
	s_mov_b32 s10, 0x387fffff
	v_cmp_lt_u32_e32 vcc, s10, v7
                                        ; implicit-def: $vgpr6
	s_and_saveexec_b64 s[10:11], vcc
	s_xor_b64 s[10:11], exec, s[10:11]
; %bb.1804:
	v_bfe_u32 v6, v1, 21, 1
	s_mov_b32 s12, 0x80fffff
	v_add3_u32 v6, v1, v6, s12
	v_lshrrev_b32_e32 v6, 21, v6
; %bb.1805:
	s_andn2_saveexec_b64 s[10:11], s[10:11]
; %bb.1806:
	s_mov_b32 s12, 0x43000000
	v_add_f32_e64 v6, |v1|, s12
; %bb.1807:
	s_or_b64 exec, exec, s[10:11]
                                        ; implicit-def: $vgpr7
.LBB174_1808:
	s_andn2_saveexec_b64 s[4:5], s[4:5]
; %bb.1809:
	s_mov_b32 s10, 0x7f800000
	v_mov_b32_e32 v6, 0x7c
	v_mov_b32_e32 v8, 0x7f
	v_cmp_lt_u32_e32 vcc, s10, v7
	v_cndmask_b32_e32 v6, v6, v8, vcc
; %bb.1810:
	s_or_b64 exec, exec, s[4:5]
	v_lshrrev_b32_e32 v1, 24, v1
	s_movk_i32 s4, 0x80
	v_and_or_b32 v1, v1, s4, v6
	global_store_byte v[2:3], v1, off
.LBB174_1811:
	s_mov_b64 s[4:5], 0
	s_mov_b64 s[10:11], -1
.LBB174_1812:
	s_andn2_b64 vcc, exec, s[4:5]
	s_mov_b64 s[4:5], 0
	s_cbranch_vccnz .LBB174_1819
; %bb.1813:
	s_cmp_gt_i32 s20, 14
	s_mov_b64 s[12:13], -1
	s_cbranch_scc0 .LBB174_1817
; %bb.1814:
	s_cmp_eq_u32 s20, 15
	s_mov_b64 s[0:1], -1
	s_cbranch_scc0 .LBB174_1816
; %bb.1815:
	v_cvt_f32_i32_e32 v1, v0
	s_movk_i32 s4, 0x7fff
	s_mov_b64 s[0:1], 0
	s_mov_b64 s[10:11], -1
	v_bfe_u32 v6, v1, 16, 1
	v_add3_u32 v1, v1, v6, s4
	global_store_short_d16_hi v[2:3], v1, off
.LBB174_1816:
	s_mov_b64 s[12:13], 0
.LBB174_1817:
	s_mov_b64 s[4:5], 0
	s_and_b64 vcc, exec, s[12:13]
	s_cbranch_vccz .LBB174_1819
; %bb.1818:
	s_cmp_lg_u32 s20, 11
	s_mov_b64 s[4:5], -1
	s_cselect_b64 s[0:1], -1, 0
.LBB174_1819:
	s_and_b64 vcc, exec, s[0:1]
	s_cbranch_vccnz .LBB174_1999
; %bb.1820:
	s_andn2_b64 vcc, exec, s[4:5]
	s_cbranch_vccnz .LBB174_1822
.LBB174_1821:
	v_cmp_ne_u32_e32 vcc, 0, v0
	v_cndmask_b32_e64 v1, 0, 1, vcc
	s_mov_b64 s[10:11], -1
	global_store_byte v[2:3], v1, off
.LBB174_1822:
	s_mov_b64 s[0:1], 0
	s_branch .LBB174_1824
.LBB174_1823:
	s_mov_b64 s[0:1], -1
	s_mov_b64 s[10:11], 0
.LBB174_1824:
	s_and_b64 vcc, exec, s[0:1]
	s_cbranch_vccz .LBB174_1863
; %bb.1825:
	s_and_b32 s4, 0xffff, s22
	s_cmp_lt_i32 s4, 5
	s_mov_b64 s[0:1], -1
	s_cbranch_scc1 .LBB174_1846
; %bb.1826:
	s_cmp_lt_i32 s4, 8
	s_cbranch_scc1 .LBB174_1836
; %bb.1827:
	s_cmp_lt_i32 s4, 9
	s_cbranch_scc1 .LBB174_1833
; %bb.1828:
	s_cmp_gt_i32 s4, 9
	s_cbranch_scc0 .LBB174_1830
; %bb.1829:
	v_cvt_f64_i32_e32 v[6:7], v0
	v_mov_b32_e32 v8, 0
	v_mov_b32_e32 v9, v8
	s_mov_b64 s[0:1], 0
	global_store_dwordx4 v[2:3], v[6:9], off
.LBB174_1830:
	s_andn2_b64 vcc, exec, s[0:1]
	s_cbranch_vccnz .LBB174_1832
; %bb.1831:
	v_cvt_f32_i32_e32 v6, v0
	v_mov_b32_e32 v7, 0
	global_store_dwordx2 v[2:3], v[6:7], off
.LBB174_1832:
	s_mov_b64 s[0:1], 0
.LBB174_1833:
	s_andn2_b64 vcc, exec, s[0:1]
	s_cbranch_vccnz .LBB174_1835
; %bb.1834:
	v_cvt_f32_i32_e32 v1, v0
	v_cvt_f16_f32_e32 v1, v1
	global_store_dword v[2:3], v1, off
.LBB174_1835:
	s_mov_b64 s[0:1], 0
.LBB174_1836:
	s_andn2_b64 vcc, exec, s[0:1]
	s_cbranch_vccnz .LBB174_1845
; %bb.1837:
	s_cmp_lt_i32 s4, 6
	s_mov_b64 s[0:1], -1
	s_cbranch_scc1 .LBB174_1843
; %bb.1838:
	s_cmp_gt_i32 s4, 6
	s_cbranch_scc0 .LBB174_1840
; %bb.1839:
	v_cvt_f64_i32_e32 v[6:7], v0
	s_mov_b64 s[0:1], 0
	global_store_dwordx2 v[2:3], v[6:7], off
.LBB174_1840:
	s_andn2_b64 vcc, exec, s[0:1]
	s_cbranch_vccnz .LBB174_1842
; %bb.1841:
	v_cvt_f32_i32_e32 v1, v0
	global_store_dword v[2:3], v1, off
.LBB174_1842:
	s_mov_b64 s[0:1], 0
.LBB174_1843:
	s_andn2_b64 vcc, exec, s[0:1]
	s_cbranch_vccnz .LBB174_1845
; %bb.1844:
	v_cvt_f32_i32_e32 v1, v0
	v_cvt_f16_f32_e32 v1, v1
	global_store_short v[2:3], v1, off
.LBB174_1845:
	s_mov_b64 s[0:1], 0
.LBB174_1846:
	s_andn2_b64 vcc, exec, s[0:1]
	s_cbranch_vccnz .LBB174_1862
; %bb.1847:
	s_cmp_lt_i32 s4, 2
	s_mov_b64 s[0:1], -1
	s_cbranch_scc1 .LBB174_1857
; %bb.1848:
	s_cmp_lt_i32 s4, 3
	s_cbranch_scc1 .LBB174_1854
; %bb.1849:
	s_cmp_gt_i32 s4, 3
	s_cbranch_scc0 .LBB174_1851
; %bb.1850:
	v_ashrrev_i32_e32 v1, 31, v0
	global_store_dwordx2 v[2:3], v[0:1], off
	s_mov_b64 s[0:1], 0
.LBB174_1851:
	s_andn2_b64 vcc, exec, s[0:1]
	s_cbranch_vccnz .LBB174_1853
; %bb.1852:
	global_store_dword v[2:3], v0, off
.LBB174_1853:
	s_mov_b64 s[0:1], 0
.LBB174_1854:
	s_andn2_b64 vcc, exec, s[0:1]
	s_cbranch_vccnz .LBB174_1856
; %bb.1855:
	global_store_short v[2:3], v0, off
.LBB174_1856:
	s_mov_b64 s[0:1], 0
.LBB174_1857:
	s_andn2_b64 vcc, exec, s[0:1]
	s_cbranch_vccnz .LBB174_1862
; %bb.1858:
	s_cmp_gt_i32 s4, 0
	s_mov_b64 s[0:1], -1
	s_cbranch_scc0 .LBB174_1860
; %bb.1859:
	global_store_byte v[2:3], v0, off
	s_mov_b64 s[0:1], 0
.LBB174_1860:
	s_andn2_b64 vcc, exec, s[0:1]
	s_cbranch_vccnz .LBB174_1862
; %bb.1861:
	global_store_byte v[2:3], v0, off
.LBB174_1862:
	s_mov_b64 s[10:11], -1
.LBB174_1863:
	s_andn2_b64 vcc, exec, s[10:11]
	s_cbranch_vccnz .LBB174_1940
; %bb.1864:
	v_add_u32_e32 v1, s3, v4
	v_min_u32_e32 v0, 31, v5
	v_ashrrev_i32_e32 v3, 31, v1
	v_mov_b32_e32 v4, s9
	v_add_co_u32_e32 v2, vcc, s8, v1
	v_ashrrev_i32_e64 v0, v0, s2
	s_cmp_lt_i32 s22, 11
	v_addc_co_u32_e32 v3, vcc, v4, v3, vcc
	s_cbranch_scc1 .LBB174_1985
; %bb.1865:
	s_and_b32 s12, 0xffff, s22
	s_mov_b64 s[4:5], -1
	s_mov_b64 s[2:3], 0
	s_cmp_gt_i32 s12, 25
	s_mov_b64 s[0:1], 0
	s_cbranch_scc0 .LBB174_1898
; %bb.1866:
	s_cmp_gt_i32 s12, 28
	s_cbranch_scc0 .LBB174_1882
; %bb.1867:
	s_cmp_gt_i32 s12, 43
	;; [unrolled: 3-line block ×3, first 2 shown]
	s_cbranch_scc0 .LBB174_1872
; %bb.1869:
	s_cmp_eq_u32 s12, 46
	s_mov_b64 s[0:1], -1
	s_cbranch_scc0 .LBB174_1871
; %bb.1870:
	v_cvt_f32_i32_e32 v1, v0
	s_movk_i32 s0, 0x7fff
	v_bfe_u32 v4, v1, 16, 1
	v_add3_u32 v1, v1, v4, s0
	v_lshrrev_b32_e32 v1, 16, v1
	global_store_dword v[2:3], v1, off
	s_mov_b64 s[0:1], 0
.LBB174_1871:
	s_mov_b64 s[4:5], 0
.LBB174_1872:
	s_and_b64 vcc, exec, s[4:5]
	s_cbranch_vccz .LBB174_1877
; %bb.1873:
	s_cmp_eq_u32 s12, 44
	s_mov_b64 s[0:1], -1
	s_cbranch_scc0 .LBB174_1877
; %bb.1874:
	v_cvt_f32_i32_e32 v1, v0
	s_movk_i32 s0, 0xff
	v_mov_b32_e32 v5, 0xff
	v_bfe_u32 v4, v1, 23, 8
	v_cmp_ne_u32_e32 vcc, s0, v4
	s_and_saveexec_b64 s[4:5], vcc
; %bb.1875:
	s_mov_b32 s0, 0x3fffff
	v_lshrrev_b32_e32 v5, 23, v1
	v_and_b32_e32 v6, 0x400000, v1
	v_and_or_b32 v1, v1, s0, v4
	v_cmp_ne_u32_e32 vcc, 0, v6
	v_cmp_ne_u32_e64 s[0:1], 0, v1
	s_and_b64 s[0:1], vcc, s[0:1]
	v_cndmask_b32_e64 v1, 0, 1, s[0:1]
	v_add_u32_e32 v5, v5, v1
; %bb.1876:
	s_or_b64 exec, exec, s[4:5]
	s_mov_b64 s[0:1], 0
	global_store_byte v[2:3], v5, off
.LBB174_1877:
	s_mov_b64 s[4:5], 0
.LBB174_1878:
	s_and_b64 vcc, exec, s[4:5]
	s_cbranch_vccz .LBB174_1881
; %bb.1879:
	s_cmp_eq_u32 s12, 29
	s_mov_b64 s[0:1], -1
	s_cbranch_scc0 .LBB174_1881
; %bb.1880:
	v_ashrrev_i32_e32 v1, 31, v0
	global_store_dwordx2 v[2:3], v[0:1], off
	s_mov_b64 s[0:1], 0
.LBB174_1881:
	s_mov_b64 s[4:5], 0
.LBB174_1882:
	s_and_b64 vcc, exec, s[4:5]
	s_cbranch_vccz .LBB174_1897
; %bb.1883:
	s_cmp_lt_i32 s12, 27
	s_mov_b64 s[4:5], -1
	s_cbranch_scc1 .LBB174_1889
; %bb.1884:
	s_cmp_gt_i32 s12, 27
	s_cbranch_scc0 .LBB174_1886
; %bb.1885:
	global_store_dword v[2:3], v0, off
	s_mov_b64 s[4:5], 0
.LBB174_1886:
	s_andn2_b64 vcc, exec, s[4:5]
	s_cbranch_vccnz .LBB174_1888
; %bb.1887:
	global_store_short v[2:3], v0, off
.LBB174_1888:
	s_mov_b64 s[4:5], 0
.LBB174_1889:
	s_andn2_b64 vcc, exec, s[4:5]
	s_cbranch_vccnz .LBB174_1897
; %bb.1890:
	v_cvt_f32_i32_e32 v1, v0
	s_mov_b32 s4, 0x43800000
	v_mov_b32_e32 v5, 0x80
	v_and_b32_e32 v4, 0x7fffffff, v1
	v_cmp_gt_u32_e32 vcc, s4, v4
	s_and_saveexec_b64 s[4:5], vcc
	s_cbranch_execz .LBB174_1896
; %bb.1891:
	s_mov_b32 s8, 0x3bffffff
	v_cmp_lt_u32_e32 vcc, s8, v4
	s_mov_b64 s[8:9], 0
                                        ; implicit-def: $vgpr4
	s_and_saveexec_b64 s[10:11], vcc
	s_xor_b64 s[10:11], exec, s[10:11]
	s_cbranch_execz .LBB174_2002
; %bb.1892:
	v_bfe_u32 v4, v1, 20, 1
	s_mov_b32 s13, 0x487ffff
	v_add3_u32 v4, v1, v4, s13
	s_mov_b64 s[8:9], exec
	v_lshrrev_b32_e32 v4, 20, v4
	s_andn2_saveexec_b64 s[10:11], s[10:11]
	s_cbranch_execnz .LBB174_2003
.LBB174_1893:
	s_or_b64 exec, exec, s[10:11]
	v_mov_b32_e32 v5, 0
	s_and_saveexec_b64 s[10:11], s[8:9]
.LBB174_1894:
	v_lshrrev_b32_e32 v1, 24, v1
	s_movk_i32 s8, 0x80
	v_and_or_b32 v5, v1, s8, v4
.LBB174_1895:
	s_or_b64 exec, exec, s[10:11]
.LBB174_1896:
	s_or_b64 exec, exec, s[4:5]
	global_store_byte v[2:3], v5, off
.LBB174_1897:
	s_mov_b64 s[4:5], 0
.LBB174_1898:
	s_and_b64 vcc, exec, s[4:5]
	s_cbranch_vccz .LBB174_1938
; %bb.1899:
	s_cmp_gt_i32 s12, 22
	s_mov_b64 s[2:3], -1
	s_cbranch_scc0 .LBB174_1931
; %bb.1900:
	s_cmp_lt_i32 s12, 24
	s_cbranch_scc1 .LBB174_1920
; %bb.1901:
	s_cmp_gt_i32 s12, 24
	s_cbranch_scc0 .LBB174_1909
; %bb.1902:
	v_cvt_f32_i32_e32 v1, v0
	s_mov_b32 s2, 0x47800000
	v_mov_b32_e32 v5, 0x80
	v_and_b32_e32 v4, 0x7fffffff, v1
	v_cmp_gt_u32_e32 vcc, s2, v4
	s_and_saveexec_b64 s[2:3], vcc
	s_cbranch_execz .LBB174_1908
; %bb.1903:
	s_mov_b32 s4, 0x37ffffff
	v_cmp_lt_u32_e32 vcc, s4, v4
	s_mov_b64 s[4:5], 0
                                        ; implicit-def: $vgpr4
	s_and_saveexec_b64 s[8:9], vcc
	s_xor_b64 s[8:9], exec, s[8:9]
	s_cbranch_execz .LBB174_2005
; %bb.1904:
	v_bfe_u32 v4, v1, 21, 1
	s_mov_b32 s10, 0x88fffff
	v_add3_u32 v4, v1, v4, s10
	s_mov_b64 s[4:5], exec
	v_lshrrev_b32_e32 v4, 21, v4
	s_andn2_saveexec_b64 s[8:9], s[8:9]
	s_cbranch_execnz .LBB174_2006
.LBB174_1905:
	s_or_b64 exec, exec, s[8:9]
	v_mov_b32_e32 v5, 0
	s_and_saveexec_b64 s[8:9], s[4:5]
.LBB174_1906:
	v_lshrrev_b32_e32 v1, 24, v1
	s_movk_i32 s4, 0x80
	v_and_or_b32 v5, v1, s4, v4
.LBB174_1907:
	s_or_b64 exec, exec, s[8:9]
.LBB174_1908:
	s_or_b64 exec, exec, s[2:3]
	s_mov_b64 s[2:3], 0
	global_store_byte v[2:3], v5, off
.LBB174_1909:
	s_and_b64 vcc, exec, s[2:3]
	s_cbranch_vccz .LBB174_1919
; %bb.1910:
	v_cvt_f32_i32_e32 v1, v0
	s_mov_b32 s2, 0x43f00000
                                        ; implicit-def: $vgpr4
	v_and_b32_e32 v5, 0x7fffffff, v1
	v_cmp_gt_u32_e32 vcc, s2, v5
	s_and_saveexec_b64 s[2:3], vcc
	s_xor_b64 s[2:3], exec, s[2:3]
	s_cbranch_execz .LBB174_1916
; %bb.1911:
	s_mov_b32 s4, 0x3c7fffff
	v_cmp_lt_u32_e32 vcc, s4, v5
                                        ; implicit-def: $vgpr4
	s_and_saveexec_b64 s[4:5], vcc
	s_xor_b64 s[4:5], exec, s[4:5]
; %bb.1912:
	v_bfe_u32 v4, v1, 20, 1
	s_mov_b32 s8, 0x407ffff
	v_add3_u32 v4, v1, v4, s8
	v_lshrrev_b32_e32 v5, 20, v4
	v_and_b32_e32 v4, 0xff00000, v4
	s_mov_b32 s8, 0x7f00000
	v_mov_b32_e32 v6, 0x7e
	v_cmp_ne_u32_e32 vcc, s8, v4
	v_cndmask_b32_e32 v4, v6, v5, vcc
; %bb.1913:
	s_andn2_saveexec_b64 s[4:5], s[4:5]
; %bb.1914:
	s_mov_b32 s8, 0x46800000
	v_add_f32_e64 v4, |v1|, s8
; %bb.1915:
	s_or_b64 exec, exec, s[4:5]
                                        ; implicit-def: $vgpr5
.LBB174_1916:
	s_andn2_saveexec_b64 s[2:3], s[2:3]
; %bb.1917:
	s_mov_b32 s4, 0x7f800000
	v_mov_b32_e32 v4, 0x7e
	v_mov_b32_e32 v6, 0x7f
	v_cmp_lt_u32_e32 vcc, s4, v5
	v_cndmask_b32_e32 v4, v4, v6, vcc
; %bb.1918:
	s_or_b64 exec, exec, s[2:3]
	v_lshrrev_b32_e32 v1, 24, v1
	s_movk_i32 s2, 0x80
	v_and_or_b32 v1, v1, s2, v4
	global_store_byte v[2:3], v1, off
.LBB174_1919:
	s_mov_b64 s[2:3], 0
.LBB174_1920:
	s_andn2_b64 vcc, exec, s[2:3]
	s_cbranch_vccnz .LBB174_1930
; %bb.1921:
	v_cvt_f32_i32_e32 v1, v0
	s_mov_b32 s2, 0x47800000
                                        ; implicit-def: $vgpr4
	v_and_b32_e32 v5, 0x7fffffff, v1
	v_cmp_gt_u32_e32 vcc, s2, v5
	s_and_saveexec_b64 s[2:3], vcc
	s_xor_b64 s[2:3], exec, s[2:3]
	s_cbranch_execz .LBB174_1927
; %bb.1922:
	s_mov_b32 s4, 0x387fffff
	v_cmp_lt_u32_e32 vcc, s4, v5
                                        ; implicit-def: $vgpr4
	s_and_saveexec_b64 s[4:5], vcc
	s_xor_b64 s[4:5], exec, s[4:5]
; %bb.1923:
	v_bfe_u32 v4, v1, 21, 1
	s_mov_b32 s8, 0x80fffff
	v_add3_u32 v4, v1, v4, s8
	v_lshrrev_b32_e32 v4, 21, v4
; %bb.1924:
	s_andn2_saveexec_b64 s[4:5], s[4:5]
; %bb.1925:
	s_mov_b32 s8, 0x43000000
	v_add_f32_e64 v4, |v1|, s8
; %bb.1926:
	s_or_b64 exec, exec, s[4:5]
                                        ; implicit-def: $vgpr5
.LBB174_1927:
	s_andn2_saveexec_b64 s[2:3], s[2:3]
; %bb.1928:
	s_mov_b32 s4, 0x7f800000
	v_mov_b32_e32 v4, 0x7c
	v_mov_b32_e32 v6, 0x7f
	v_cmp_lt_u32_e32 vcc, s4, v5
	v_cndmask_b32_e32 v4, v4, v6, vcc
; %bb.1929:
	s_or_b64 exec, exec, s[2:3]
	v_lshrrev_b32_e32 v1, 24, v1
	s_movk_i32 s2, 0x80
	v_and_or_b32 v1, v1, s2, v4
	global_store_byte v[2:3], v1, off
.LBB174_1930:
	s_mov_b64 s[2:3], 0
.LBB174_1931:
	s_andn2_b64 vcc, exec, s[2:3]
	s_mov_b64 s[2:3], 0
	s_cbranch_vccnz .LBB174_1938
; %bb.1932:
	s_cmp_gt_i32 s12, 14
	s_mov_b64 s[4:5], -1
	s_cbranch_scc0 .LBB174_1936
; %bb.1933:
	s_cmp_eq_u32 s12, 15
	s_mov_b64 s[0:1], -1
	s_cbranch_scc0 .LBB174_1935
; %bb.1934:
	v_cvt_f32_i32_e32 v1, v0
	s_movk_i32 s0, 0x7fff
	v_bfe_u32 v4, v1, 16, 1
	v_add3_u32 v1, v1, v4, s0
	global_store_short_d16_hi v[2:3], v1, off
	s_mov_b64 s[0:1], 0
.LBB174_1935:
	s_mov_b64 s[4:5], 0
.LBB174_1936:
	s_and_b64 vcc, exec, s[4:5]
	s_cbranch_vccz .LBB174_1938
; %bb.1937:
	s_cmp_lg_u32 s12, 11
	s_mov_b64 s[2:3], -1
	s_cselect_b64 s[0:1], -1, 0
.LBB174_1938:
	s_and_b64 vcc, exec, s[0:1]
	s_cbranch_vccnz .LBB174_2004
.LBB174_1939:
	s_mov_b64 s[0:1], 0
	s_branch .LBB174_1941
.LBB174_1940:
	s_mov_b64 s[0:1], 0
	s_mov_b64 s[2:3], 0
                                        ; implicit-def: $sgpr22
                                        ; implicit-def: $vgpr2_vgpr3
                                        ; implicit-def: $vgpr0
.LBB174_1941:
	s_and_b64 s[4:5], s[2:3], exec
	s_andn2_b64 s[2:3], s[14:15], exec
	s_and_b64 s[8:9], s[16:17], exec
	s_and_b64 s[0:1], s[0:1], exec
	s_or_b64 s[14:15], s[2:3], s[8:9]
.LBB174_1942:
	s_or_b64 exec, exec, s[6:7]
	s_and_saveexec_b64 s[2:3], s[14:15]
	s_cbranch_execz .LBB174_1945
; %bb.1943:
	; divergent unreachable
	s_or_b64 exec, exec, s[2:3]
	s_and_saveexec_b64 s[2:3], s[4:5]
	s_xor_b64 s[2:3], exec, s[2:3]
	s_cbranch_execnz .LBB174_1946
.LBB174_1944:
	s_or_b64 exec, exec, s[2:3]
	s_and_saveexec_b64 s[2:3], s[0:1]
	s_cbranch_execnz .LBB174_1947
	s_branch .LBB174_1984
.LBB174_1945:
	s_or_b64 exec, exec, s[2:3]
	s_and_saveexec_b64 s[2:3], s[4:5]
	s_xor_b64 s[2:3], exec, s[2:3]
	s_cbranch_execz .LBB174_1944
.LBB174_1946:
	v_cmp_ne_u32_e32 vcc, 0, v0
	v_cndmask_b32_e64 v1, 0, 1, vcc
	s_waitcnt vmcnt(0)
	global_store_byte v[2:3], v1, off
	s_or_b64 exec, exec, s[2:3]
	s_and_saveexec_b64 s[2:3], s[0:1]
	s_cbranch_execz .LBB174_1984
.LBB174_1947:
	s_sext_i32_i16 s2, s22
	s_cmp_lt_i32 s2, 5
	s_mov_b64 s[0:1], -1
	s_cbranch_scc1 .LBB174_1968
; %bb.1948:
	s_cmp_lt_i32 s2, 8
	s_cbranch_scc1 .LBB174_1958
; %bb.1949:
	s_cmp_lt_i32 s2, 9
	s_cbranch_scc1 .LBB174_1955
; %bb.1950:
	s_cmp_gt_i32 s2, 9
	s_cbranch_scc0 .LBB174_1952
; %bb.1951:
	s_waitcnt vmcnt(0)
	v_cvt_f64_i32_e32 v[4:5], v0
	v_mov_b32_e32 v6, 0
	v_mov_b32_e32 v7, v6
	s_mov_b64 s[0:1], 0
	global_store_dwordx4 v[2:3], v[4:7], off
.LBB174_1952:
	s_andn2_b64 vcc, exec, s[0:1]
	s_cbranch_vccnz .LBB174_1954
; %bb.1953:
	v_cvt_f32_i32_e32 v4, v0
	s_waitcnt vmcnt(0)
	v_mov_b32_e32 v5, 0
	global_store_dwordx2 v[2:3], v[4:5], off
.LBB174_1954:
	s_mov_b64 s[0:1], 0
.LBB174_1955:
	s_andn2_b64 vcc, exec, s[0:1]
	s_cbranch_vccnz .LBB174_1957
; %bb.1956:
	v_cvt_f32_i32_e32 v1, v0
	v_cvt_f16_f32_e32 v1, v1
	s_waitcnt vmcnt(0)
	global_store_dword v[2:3], v1, off
.LBB174_1957:
	s_mov_b64 s[0:1], 0
.LBB174_1958:
	s_andn2_b64 vcc, exec, s[0:1]
	s_cbranch_vccnz .LBB174_1967
; %bb.1959:
	s_sext_i32_i16 s2, s22
	s_cmp_lt_i32 s2, 6
	s_mov_b64 s[0:1], -1
	s_cbranch_scc1 .LBB174_1965
; %bb.1960:
	s_cmp_gt_i32 s2, 6
	s_cbranch_scc0 .LBB174_1962
; %bb.1961:
	s_waitcnt vmcnt(0)
	v_cvt_f64_i32_e32 v[4:5], v0
	s_mov_b64 s[0:1], 0
	global_store_dwordx2 v[2:3], v[4:5], off
.LBB174_1962:
	s_andn2_b64 vcc, exec, s[0:1]
	s_cbranch_vccnz .LBB174_1964
; %bb.1963:
	v_cvt_f32_i32_e32 v1, v0
	s_waitcnt vmcnt(0)
	global_store_dword v[2:3], v1, off
.LBB174_1964:
	s_mov_b64 s[0:1], 0
.LBB174_1965:
	s_andn2_b64 vcc, exec, s[0:1]
	s_cbranch_vccnz .LBB174_1967
; %bb.1966:
	v_cvt_f32_i32_e32 v1, v0
	v_cvt_f16_f32_e32 v1, v1
	s_waitcnt vmcnt(0)
	global_store_short v[2:3], v1, off
.LBB174_1967:
	s_mov_b64 s[0:1], 0
.LBB174_1968:
	s_andn2_b64 vcc, exec, s[0:1]
	s_cbranch_vccnz .LBB174_1984
; %bb.1969:
	s_sext_i32_i16 s2, s22
	s_cmp_lt_i32 s2, 2
	s_mov_b64 s[0:1], -1
	s_cbranch_scc1 .LBB174_1979
; %bb.1970:
	s_cmp_lt_i32 s2, 3
	s_cbranch_scc1 .LBB174_1976
; %bb.1971:
	s_cmp_gt_i32 s2, 3
	s_cbranch_scc0 .LBB174_1973
; %bb.1972:
	v_ashrrev_i32_e32 v1, 31, v0
	s_waitcnt vmcnt(0)
	global_store_dwordx2 v[2:3], v[0:1], off
	s_mov_b64 s[0:1], 0
.LBB174_1973:
	s_andn2_b64 vcc, exec, s[0:1]
	s_cbranch_vccnz .LBB174_1975
; %bb.1974:
	s_waitcnt vmcnt(0)
	global_store_dword v[2:3], v0, off
.LBB174_1975:
	s_mov_b64 s[0:1], 0
.LBB174_1976:
	s_andn2_b64 vcc, exec, s[0:1]
	s_cbranch_vccnz .LBB174_1978
; %bb.1977:
	s_waitcnt vmcnt(0)
	global_store_short v[2:3], v0, off
.LBB174_1978:
	s_mov_b64 s[0:1], 0
.LBB174_1979:
	s_andn2_b64 vcc, exec, s[0:1]
	s_cbranch_vccnz .LBB174_1984
; %bb.1980:
	s_sext_i32_i16 s0, s22
	s_cmp_gt_i32 s0, 0
	s_mov_b64 s[0:1], -1
	s_cbranch_scc0 .LBB174_1982
; %bb.1981:
	s_waitcnt vmcnt(0)
	global_store_byte v[2:3], v0, off
	s_mov_b64 s[0:1], 0
.LBB174_1982:
	s_andn2_b64 vcc, exec, s[0:1]
	s_cbranch_vccnz .LBB174_1984
; %bb.1983:
	s_waitcnt vmcnt(0)
	global_store_byte v[2:3], v0, off
	s_endpgm
.LBB174_1984:
	s_endpgm
.LBB174_1985:
	s_mov_b64 s[2:3], 0
	s_mov_b64 s[0:1], -1
	s_branch .LBB174_1941
.LBB174_1986:
	s_trap 2
	s_or_b64 s[16:17], s[16:17], exec
	s_cbranch_execz .LBB174_1455
	s_branch .LBB174_1456
.LBB174_1987:
	s_andn2_saveexec_b64 s[20:21], s[20:21]
	s_cbranch_execz .LBB174_1535
.LBB174_1988:
	s_mov_b32 s13, 0x46000000
	v_add_f32_e64 v8, |v1|, s13
	v_and_b32_e32 v8, 0xff, v8
	v_cmp_ne_u32_e32 vcc, 0, v8
	s_andn2_b64 s[18:19], s[18:19], exec
	s_and_b64 s[24:25], vcc, exec
	s_or_b64 s[18:19], s[18:19], s[24:25]
	s_or_b64 exec, exec, s[20:21]
	v_mov_b32_e32 v9, 0
	s_and_saveexec_b64 s[20:21], s[18:19]
	s_cbranch_execnz .LBB174_1536
	s_branch .LBB174_1537
.LBB174_1989:
	s_trap 2
	s_or_b64 s[16:17], s[16:17], exec
	s_cbranch_execz .LBB174_1583
	s_branch .LBB174_1584
.LBB174_1990:
	s_andn2_saveexec_b64 s[18:19], s[18:19]
	s_cbranch_execz .LBB174_1548
.LBB174_1991:
	s_mov_b32 s13, 0x42800000
	v_add_f32_e64 v8, |v1|, s13
	v_and_b32_e32 v8, 0xff, v8
	v_cmp_ne_u32_e32 vcc, 0, v8
	s_andn2_b64 s[10:11], s[10:11], exec
	s_and_b64 s[20:21], vcc, exec
	s_or_b64 s[10:11], s[10:11], s[20:21]
	s_or_b64 exec, exec, s[18:19]
	v_mov_b32_e32 v9, 0
	s_and_saveexec_b64 s[18:19], s[10:11]
	s_cbranch_execnz .LBB174_1549
	s_branch .LBB174_1550
.LBB174_1992:
	s_andn2_saveexec_b64 s[18:19], s[18:19]
	s_cbranch_execz .LBB174_1654
.LBB174_1993:
	s_mov_b32 s21, 0x46000000
	v_add_f32_e64 v7, |v1|, s21
	v_and_b32_e32 v7, 0xff, v7
	v_cmp_ne_u32_e32 vcc, 0, v7
	s_andn2_b64 s[12:13], s[12:13], exec
	s_and_b64 s[24:25], vcc, exec
	s_or_b64 s[12:13], s[12:13], s[24:25]
	s_or_b64 exec, exec, s[18:19]
	v_mov_b32_e32 v8, 0
	s_and_saveexec_b64 s[18:19], s[12:13]
	s_cbranch_execnz .LBB174_1655
	s_branch .LBB174_1656
.LBB174_1994:
	s_trap 2
	s_or_b64 s[16:17], s[16:17], exec
	s_cbranch_execz .LBB174_1702
	s_branch .LBB174_1703
.LBB174_1995:
	s_andn2_saveexec_b64 s[12:13], s[12:13]
	s_cbranch_execz .LBB174_1667
.LBB174_1996:
	s_mov_b32 s18, 0x42800000
	v_add_f32_e64 v7, |v1|, s18
	v_and_b32_e32 v7, 0xff, v7
	v_cmp_ne_u32_e32 vcc, 0, v7
	s_andn2_b64 s[10:11], s[10:11], exec
	s_and_b64 s[18:19], vcc, exec
	s_or_b64 s[10:11], s[10:11], s[18:19]
	s_or_b64 exec, exec, s[12:13]
	v_mov_b32_e32 v8, 0
	s_and_saveexec_b64 s[12:13], s[10:11]
	s_cbranch_execnz .LBB174_1668
	s_branch .LBB174_1669
.LBB174_1997:
	s_andn2_saveexec_b64 s[18:19], s[18:19]
	s_cbranch_execz .LBB174_1773
.LBB174_1998:
	s_mov_b32 s21, 0x46000000
	v_add_f32_e64 v6, |v1|, s21
	v_and_b32_e32 v6, 0xff, v6
	v_cmp_ne_u32_e32 vcc, 0, v6
	s_andn2_b64 s[12:13], s[12:13], exec
	s_and_b64 s[24:25], vcc, exec
	s_or_b64 s[12:13], s[12:13], s[24:25]
	s_or_b64 exec, exec, s[18:19]
	v_mov_b32_e32 v7, 0
	s_and_saveexec_b64 s[18:19], s[12:13]
	s_cbranch_execnz .LBB174_1774
	s_branch .LBB174_1775
.LBB174_1999:
	s_trap 2
	s_or_b64 s[16:17], s[16:17], exec
	s_cbranch_execz .LBB174_1821
	s_branch .LBB174_1822
.LBB174_2000:
	s_andn2_saveexec_b64 s[12:13], s[12:13]
	s_cbranch_execz .LBB174_1786
.LBB174_2001:
	s_mov_b32 s18, 0x42800000
	v_add_f32_e64 v6, |v1|, s18
	v_and_b32_e32 v6, 0xff, v6
	v_cmp_ne_u32_e32 vcc, 0, v6
	s_andn2_b64 s[10:11], s[10:11], exec
	s_and_b64 s[18:19], vcc, exec
	s_or_b64 s[10:11], s[10:11], s[18:19]
	s_or_b64 exec, exec, s[12:13]
	v_mov_b32_e32 v7, 0
	s_and_saveexec_b64 s[12:13], s[10:11]
	s_cbranch_execnz .LBB174_1787
	s_branch .LBB174_1788
.LBB174_2002:
	s_andn2_saveexec_b64 s[10:11], s[10:11]
	s_cbranch_execz .LBB174_1893
.LBB174_2003:
	s_mov_b32 s13, 0x46000000
	v_add_f32_e64 v4, |v1|, s13
	v_and_b32_e32 v4, 0xff, v4
	v_cmp_ne_u32_e32 vcc, 0, v4
	s_andn2_b64 s[8:9], s[8:9], exec
	s_and_b64 s[18:19], vcc, exec
	s_or_b64 s[8:9], s[8:9], s[18:19]
	s_or_b64 exec, exec, s[10:11]
	v_mov_b32_e32 v5, 0
	s_and_saveexec_b64 s[10:11], s[8:9]
	s_cbranch_execnz .LBB174_1894
	s_branch .LBB174_1895
.LBB174_2004:
	s_mov_b64 s[2:3], 0
	s_or_b64 s[16:17], s[16:17], exec
	s_trap 2
	s_branch .LBB174_1939
.LBB174_2005:
	s_andn2_saveexec_b64 s[8:9], s[8:9]
	s_cbranch_execz .LBB174_1905
.LBB174_2006:
	s_mov_b32 s10, 0x42800000
	v_add_f32_e64 v4, |v1|, s10
	v_and_b32_e32 v4, 0xff, v4
	v_cmp_ne_u32_e32 vcc, 0, v4
	s_andn2_b64 s[4:5], s[4:5], exec
	s_and_b64 s[10:11], vcc, exec
	s_or_b64 s[4:5], s[4:5], s[10:11]
	s_or_b64 exec, exec, s[8:9]
	v_mov_b32_e32 v5, 0
	s_and_saveexec_b64 s[8:9], s[4:5]
	s_cbranch_execnz .LBB174_1906
	s_branch .LBB174_1907
	.section	.rodata,"a",@progbits
	.p2align	6, 0x0
	.amdhsa_kernel _ZN2at6native32elementwise_kernel_manual_unrollILi128ELi4EZNS0_15gpu_kernel_implINS0_13AUnaryFunctorIiiiZZZNS0_18rshift_kernel_cudaERNS_18TensorIteratorBaseEENKUlvE_clEvENKUlvE1_clEvEUliiE_EEEEvS5_RKT_EUlibE_EEviT1_
		.amdhsa_group_segment_fixed_size 0
		.amdhsa_private_segment_fixed_size 0
		.amdhsa_kernarg_size 48
		.amdhsa_user_sgpr_count 6
		.amdhsa_user_sgpr_private_segment_buffer 1
		.amdhsa_user_sgpr_dispatch_ptr 0
		.amdhsa_user_sgpr_queue_ptr 0
		.amdhsa_user_sgpr_kernarg_segment_ptr 1
		.amdhsa_user_sgpr_dispatch_id 0
		.amdhsa_user_sgpr_flat_scratch_init 0
		.amdhsa_user_sgpr_private_segment_size 0
		.amdhsa_uses_dynamic_stack 0
		.amdhsa_system_sgpr_private_segment_wavefront_offset 0
		.amdhsa_system_sgpr_workgroup_id_x 1
		.amdhsa_system_sgpr_workgroup_id_y 0
		.amdhsa_system_sgpr_workgroup_id_z 0
		.amdhsa_system_sgpr_workgroup_info 0
		.amdhsa_system_vgpr_workitem_id 0
		.amdhsa_next_free_vgpr 12
		.amdhsa_next_free_sgpr 46
		.amdhsa_reserve_vcc 1
		.amdhsa_reserve_flat_scratch 0
		.amdhsa_float_round_mode_32 0
		.amdhsa_float_round_mode_16_64 0
		.amdhsa_float_denorm_mode_32 3
		.amdhsa_float_denorm_mode_16_64 3
		.amdhsa_dx10_clamp 1
		.amdhsa_ieee_mode 1
		.amdhsa_fp16_overflow 0
		.amdhsa_exception_fp_ieee_invalid_op 0
		.amdhsa_exception_fp_denorm_src 0
		.amdhsa_exception_fp_ieee_div_zero 0
		.amdhsa_exception_fp_ieee_overflow 0
		.amdhsa_exception_fp_ieee_underflow 0
		.amdhsa_exception_fp_ieee_inexact 0
		.amdhsa_exception_int_div_zero 0
	.end_amdhsa_kernel
	.section	.text._ZN2at6native32elementwise_kernel_manual_unrollILi128ELi4EZNS0_15gpu_kernel_implINS0_13AUnaryFunctorIiiiZZZNS0_18rshift_kernel_cudaERNS_18TensorIteratorBaseEENKUlvE_clEvENKUlvE1_clEvEUliiE_EEEEvS5_RKT_EUlibE_EEviT1_,"axG",@progbits,_ZN2at6native32elementwise_kernel_manual_unrollILi128ELi4EZNS0_15gpu_kernel_implINS0_13AUnaryFunctorIiiiZZZNS0_18rshift_kernel_cudaERNS_18TensorIteratorBaseEENKUlvE_clEvENKUlvE1_clEvEUliiE_EEEEvS5_RKT_EUlibE_EEviT1_,comdat
.Lfunc_end174:
	.size	_ZN2at6native32elementwise_kernel_manual_unrollILi128ELi4EZNS0_15gpu_kernel_implINS0_13AUnaryFunctorIiiiZZZNS0_18rshift_kernel_cudaERNS_18TensorIteratorBaseEENKUlvE_clEvENKUlvE1_clEvEUliiE_EEEEvS5_RKT_EUlibE_EEviT1_, .Lfunc_end174-_ZN2at6native32elementwise_kernel_manual_unrollILi128ELi4EZNS0_15gpu_kernel_implINS0_13AUnaryFunctorIiiiZZZNS0_18rshift_kernel_cudaERNS_18TensorIteratorBaseEENKUlvE_clEvENKUlvE1_clEvEUliiE_EEEEvS5_RKT_EUlibE_EEviT1_
                                        ; -- End function
	.set _ZN2at6native32elementwise_kernel_manual_unrollILi128ELi4EZNS0_15gpu_kernel_implINS0_13AUnaryFunctorIiiiZZZNS0_18rshift_kernel_cudaERNS_18TensorIteratorBaseEENKUlvE_clEvENKUlvE1_clEvEUliiE_EEEEvS5_RKT_EUlibE_EEviT1_.num_vgpr, 12
	.set _ZN2at6native32elementwise_kernel_manual_unrollILi128ELi4EZNS0_15gpu_kernel_implINS0_13AUnaryFunctorIiiiZZZNS0_18rshift_kernel_cudaERNS_18TensorIteratorBaseEENKUlvE_clEvENKUlvE1_clEvEUliiE_EEEEvS5_RKT_EUlibE_EEviT1_.num_agpr, 0
	.set _ZN2at6native32elementwise_kernel_manual_unrollILi128ELi4EZNS0_15gpu_kernel_implINS0_13AUnaryFunctorIiiiZZZNS0_18rshift_kernel_cudaERNS_18TensorIteratorBaseEENKUlvE_clEvENKUlvE1_clEvEUliiE_EEEEvS5_RKT_EUlibE_EEviT1_.numbered_sgpr, 46
	.set _ZN2at6native32elementwise_kernel_manual_unrollILi128ELi4EZNS0_15gpu_kernel_implINS0_13AUnaryFunctorIiiiZZZNS0_18rshift_kernel_cudaERNS_18TensorIteratorBaseEENKUlvE_clEvENKUlvE1_clEvEUliiE_EEEEvS5_RKT_EUlibE_EEviT1_.num_named_barrier, 0
	.set _ZN2at6native32elementwise_kernel_manual_unrollILi128ELi4EZNS0_15gpu_kernel_implINS0_13AUnaryFunctorIiiiZZZNS0_18rshift_kernel_cudaERNS_18TensorIteratorBaseEENKUlvE_clEvENKUlvE1_clEvEUliiE_EEEEvS5_RKT_EUlibE_EEviT1_.private_seg_size, 0
	.set _ZN2at6native32elementwise_kernel_manual_unrollILi128ELi4EZNS0_15gpu_kernel_implINS0_13AUnaryFunctorIiiiZZZNS0_18rshift_kernel_cudaERNS_18TensorIteratorBaseEENKUlvE_clEvENKUlvE1_clEvEUliiE_EEEEvS5_RKT_EUlibE_EEviT1_.uses_vcc, 1
	.set _ZN2at6native32elementwise_kernel_manual_unrollILi128ELi4EZNS0_15gpu_kernel_implINS0_13AUnaryFunctorIiiiZZZNS0_18rshift_kernel_cudaERNS_18TensorIteratorBaseEENKUlvE_clEvENKUlvE1_clEvEUliiE_EEEEvS5_RKT_EUlibE_EEviT1_.uses_flat_scratch, 0
	.set _ZN2at6native32elementwise_kernel_manual_unrollILi128ELi4EZNS0_15gpu_kernel_implINS0_13AUnaryFunctorIiiiZZZNS0_18rshift_kernel_cudaERNS_18TensorIteratorBaseEENKUlvE_clEvENKUlvE1_clEvEUliiE_EEEEvS5_RKT_EUlibE_EEviT1_.has_dyn_sized_stack, 0
	.set _ZN2at6native32elementwise_kernel_manual_unrollILi128ELi4EZNS0_15gpu_kernel_implINS0_13AUnaryFunctorIiiiZZZNS0_18rshift_kernel_cudaERNS_18TensorIteratorBaseEENKUlvE_clEvENKUlvE1_clEvEUliiE_EEEEvS5_RKT_EUlibE_EEviT1_.has_recursion, 0
	.set _ZN2at6native32elementwise_kernel_manual_unrollILi128ELi4EZNS0_15gpu_kernel_implINS0_13AUnaryFunctorIiiiZZZNS0_18rshift_kernel_cudaERNS_18TensorIteratorBaseEENKUlvE_clEvENKUlvE1_clEvEUliiE_EEEEvS5_RKT_EUlibE_EEviT1_.has_indirect_call, 0
	.section	.AMDGPU.csdata,"",@progbits
; Kernel info:
; codeLenInByte = 29368
; TotalNumSgprs: 50
; NumVgprs: 12
; ScratchSize: 0
; MemoryBound: 1
; FloatMode: 240
; IeeeMode: 1
; LDSByteSize: 0 bytes/workgroup (compile time only)
; SGPRBlocks: 6
; VGPRBlocks: 2
; NumSGPRsForWavesPerEU: 50
; NumVGPRsForWavesPerEU: 12
; Occupancy: 10
; WaveLimiterHint : 0
; COMPUTE_PGM_RSRC2:SCRATCH_EN: 0
; COMPUTE_PGM_RSRC2:USER_SGPR: 6
; COMPUTE_PGM_RSRC2:TRAP_HANDLER: 0
; COMPUTE_PGM_RSRC2:TGID_X_EN: 1
; COMPUTE_PGM_RSRC2:TGID_Y_EN: 0
; COMPUTE_PGM_RSRC2:TGID_Z_EN: 0
; COMPUTE_PGM_RSRC2:TIDIG_COMP_CNT: 0
	.section	.text._ZN2at6native32elementwise_kernel_manual_unrollILi128ELi4EZNS0_15gpu_kernel_implINS0_13AUnaryFunctorIiiiZZZNS0_18rshift_kernel_cudaERNS_18TensorIteratorBaseEENKUlvE_clEvENKUlvE1_clEvEUliiE_EEEEvS5_RKT_EUlibE0_EEviT1_,"axG",@progbits,_ZN2at6native32elementwise_kernel_manual_unrollILi128ELi4EZNS0_15gpu_kernel_implINS0_13AUnaryFunctorIiiiZZZNS0_18rshift_kernel_cudaERNS_18TensorIteratorBaseEENKUlvE_clEvENKUlvE1_clEvEUliiE_EEEEvS5_RKT_EUlibE0_EEviT1_,comdat
	.globl	_ZN2at6native32elementwise_kernel_manual_unrollILi128ELi4EZNS0_15gpu_kernel_implINS0_13AUnaryFunctorIiiiZZZNS0_18rshift_kernel_cudaERNS_18TensorIteratorBaseEENKUlvE_clEvENKUlvE1_clEvEUliiE_EEEEvS5_RKT_EUlibE0_EEviT1_ ; -- Begin function _ZN2at6native32elementwise_kernel_manual_unrollILi128ELi4EZNS0_15gpu_kernel_implINS0_13AUnaryFunctorIiiiZZZNS0_18rshift_kernel_cudaERNS_18TensorIteratorBaseEENKUlvE_clEvENKUlvE1_clEvEUliiE_EEEEvS5_RKT_EUlibE0_EEviT1_
	.p2align	8
	.type	_ZN2at6native32elementwise_kernel_manual_unrollILi128ELi4EZNS0_15gpu_kernel_implINS0_13AUnaryFunctorIiiiZZZNS0_18rshift_kernel_cudaERNS_18TensorIteratorBaseEENKUlvE_clEvENKUlvE1_clEvEUliiE_EEEEvS5_RKT_EUlibE0_EEviT1_,@function
_ZN2at6native32elementwise_kernel_manual_unrollILi128ELi4EZNS0_15gpu_kernel_implINS0_13AUnaryFunctorIiiiZZZNS0_18rshift_kernel_cudaERNS_18TensorIteratorBaseEENKUlvE_clEvENKUlvE1_clEvEUliiE_EEEEvS5_RKT_EUlibE0_EEviT1_: ; @_ZN2at6native32elementwise_kernel_manual_unrollILi128ELi4EZNS0_15gpu_kernel_implINS0_13AUnaryFunctorIiiiZZZNS0_18rshift_kernel_cudaERNS_18TensorIteratorBaseEENKUlvE_clEvENKUlvE1_clEvEUliiE_EEEEvS5_RKT_EUlibE0_EEviT1_
; %bb.0:
	s_load_dword s72, s[4:5], 0x0
	s_load_dword s33, s[4:5], 0x8
	s_add_u32 s34, s4, 8
	s_addc_u32 s35, s5, 0
	v_lshl_or_b32 v8, s6, 9, v0
	v_or_b32_e32 v15, 0x180, v8
	s_waitcnt lgkmcnt(0)
	s_add_i32 s74, s33, -1
	s_cmp_gt_u32 s74, 1
	v_cmp_le_i32_e32 vcc, s72, v15
	s_cselect_b64 s[40:41], -1, 0
	s_mov_b64 s[6:7], 0
	s_mov_b64 s[28:29], 0
	s_and_saveexec_b64 s[0:1], vcc
	s_xor_b64 s[42:43], exec, s[0:1]
	s_cbranch_execz .LBB175_1070
; %bb.1:
	s_load_dwordx4 s[28:31], s[34:35], 0x4
	s_load_dwordx2 s[46:47], s[34:35], 0x14
	s_load_dwordx2 s[44:45], s[34:35], 0x15c
	s_cmp_lg_u32 s33, 0
	s_load_dwordx4 s[36:39], s[34:35], 0xc4
	s_load_dwordx4 s[24:27], s[34:35], 0x148
	s_cselect_b64 s[52:53], -1, 0
	s_add_u32 s50, s34, 0xc4
	s_addc_u32 s51, s35, 0
	s_min_u32 s76, s74, 15
	s_cmp_gt_u32 s33, 1
	s_cselect_b64 s[48:49], -1, 0
	s_waitcnt lgkmcnt(0)
	s_bfe_u32 s75, s45, 0x80008
	v_cmp_gt_i32_e32 vcc, s72, v8
	s_mov_b64 s[2:3], -1
	s_mov_b64 s[62:63], 0
	s_mov_b64 s[56:57], 0
	;; [unrolled: 1-line block ×3, first 2 shown]
	s_and_saveexec_b64 s[58:59], vcc
	s_cbranch_execz .LBB175_262
; %bb.2:
	s_andn2_b64 vcc, exec, s[40:41]
	s_cbranch_vccnz .LBB175_7
; %bb.3:
	s_andn2_b64 vcc, exec, s[52:53]
	s_cbranch_vccnz .LBB175_8
; %bb.4:
	s_add_i32 s61, s76, 1
	s_cmp_eq_u32 s74, 2
	s_cbranch_scc1 .LBB175_9
; %bb.5:
	s_and_b32 s60, s61, 28
	v_mov_b32_e32 v2, 0
	s_mov_b32 s64, 0
	s_mov_b64 s[54:55], s[34:35]
	s_mov_b64 s[56:57], s[50:51]
	v_mov_b32_e32 v0, 0
	v_mov_b32_e32 v1, v8
.LBB175_6:                              ; =>This Inner Loop Header: Depth=1
	s_load_dwordx8 s[16:23], s[54:55], 0x4
	s_load_dwordx4 s[0:3], s[54:55], 0x24
	s_load_dwordx8 s[8:15], s[56:57], 0x0
	s_add_u32 s54, s54, 48
	s_addc_u32 s55, s55, 0
	s_waitcnt lgkmcnt(0)
	v_mul_hi_u32 v3, s17, v1
	s_add_i32 s64, s64, 4
	s_add_u32 s56, s56, 32
	s_addc_u32 s57, s57, 0
	v_add_u32_e32 v3, v1, v3
	v_lshrrev_b32_e32 v3, s18, v3
	v_mul_lo_u32 v4, v3, s16
	v_mul_hi_u32 v5, s20, v3
	s_cmp_lg_u32 s60, s64
	v_sub_u32_e32 v1, v1, v4
	v_add_u32_e32 v4, v3, v5
	v_mul_lo_u32 v5, v1, s8
	v_mul_lo_u32 v6, v1, s9
	v_lshrrev_b32_e32 v1, s21, v4
	v_mul_lo_u32 v4, v1, s19
	v_mul_hi_u32 v7, s23, v1
	v_sub_u32_e32 v3, v3, v4
	v_add_u32_e32 v4, v1, v7
	v_lshrrev_b32_e32 v4, s0, v4
	v_mul_hi_u32 v9, s2, v4
	v_mul_lo_u32 v10, v4, s22
	v_mul_lo_u32 v7, v3, s10
	;; [unrolled: 1-line block ×3, first 2 shown]
	v_sub_u32_e32 v10, v1, v10
	v_add_u32_e32 v1, v4, v9
	v_lshrrev_b32_e32 v1, s3, v1
	v_mul_lo_u32 v9, v1, s1
	v_mul_lo_u32 v11, v10, s12
	;; [unrolled: 1-line block ×3, first 2 shown]
	v_add3_u32 v0, v5, v0, v7
	v_sub_u32_e32 v4, v4, v9
	v_mul_lo_u32 v9, v4, s14
	v_mul_lo_u32 v4, v4, s15
	v_add3_u32 v2, v6, v2, v3
	v_add3_u32 v0, v11, v0, v9
	;; [unrolled: 1-line block ×3, first 2 shown]
	s_cbranch_scc1 .LBB175_6
	s_branch .LBB175_10
.LBB175_7:
                                        ; implicit-def: $vgpr0
                                        ; implicit-def: $vgpr2
	s_branch .LBB175_14
.LBB175_8:
	v_mov_b32_e32 v0, 0
	v_mov_b32_e32 v2, 0
	s_branch .LBB175_13
.LBB175_9:
	s_mov_b32 s60, 0
	v_mov_b32_e32 v0, 0
	v_mov_b32_e32 v2, 0
	;; [unrolled: 1-line block ×3, first 2 shown]
.LBB175_10:
	s_and_b32 s8, s61, 3
	s_cmp_eq_u32 s8, 0
	s_cbranch_scc1 .LBB175_13
; %bb.11:
	s_lshl_b32 s0, s60, 3
	s_add_u32 s0, s34, s0
	s_addc_u32 s1, s35, 0
	s_add_u32 s0, s0, 0xc4
	s_addc_u32 s1, s1, 0
	s_mul_i32 s2, s60, 12
	s_add_u32 s2, s34, s2
	s_addc_u32 s3, s35, 0
.LBB175_12:                             ; =>This Inner Loop Header: Depth=1
	s_load_dwordx2 s[10:11], s[2:3], 0x4
	s_load_dword s9, s[2:3], 0xc
	s_load_dwordx2 s[12:13], s[0:1], 0x0
	s_add_u32 s2, s2, 12
	s_addc_u32 s3, s3, 0
	s_waitcnt lgkmcnt(0)
	v_mul_hi_u32 v3, s11, v1
	s_add_u32 s0, s0, 8
	s_addc_u32 s1, s1, 0
	s_add_i32 s8, s8, -1
	v_add_u32_e32 v3, v1, v3
	v_lshrrev_b32_e32 v4, s9, v3
	v_mul_lo_u32 v3, v4, s10
	s_cmp_lg_u32 s8, 0
	v_sub_u32_e32 v3, v1, v3
	v_mad_u64_u32 v[0:1], s[10:11], v3, s12, v[0:1]
	v_mad_u64_u32 v[2:3], s[10:11], v3, s13, v[2:3]
	v_mov_b32_e32 v1, v4
	s_cbranch_scc1 .LBB175_12
.LBB175_13:
	s_cbranch_execnz .LBB175_16
.LBB175_14:
	v_mul_hi_u32 v0, s29, v8
	s_andn2_b64 vcc, exec, s[48:49]
	v_add_u32_e32 v0, v8, v0
	v_lshrrev_b32_e32 v1, s30, v0
	v_mul_lo_u32 v0, v1, s28
	v_sub_u32_e32 v2, v8, v0
	v_mul_lo_u32 v0, v2, s36
	v_mul_lo_u32 v2, v2, s37
	s_cbranch_vccnz .LBB175_16
; %bb.15:
	v_mul_hi_u32 v3, s46, v1
	v_add_u32_e32 v3, v1, v3
	v_lshrrev_b32_e32 v3, s47, v3
	v_mul_lo_u32 v3, v3, s31
	v_sub_u32_e32 v3, v1, v3
	v_mad_u64_u32 v[0:1], s[0:1], v3, s38, v[0:1]
	v_mad_u64_u32 v[2:3], s[0:1], v3, s39, v[2:3]
.LBB175_16:
	v_mov_b32_e32 v3, s27
	s_and_b32 s10, 0xffff, s75
	v_add_co_u32_e32 v1, vcc, s26, v2
	s_cmp_lt_i32 s10, 11
	v_addc_co_u32_e32 v2, vcc, 0, v3, vcc
	s_cbranch_scc1 .LBB175_23
; %bb.17:
	s_cmp_gt_i32 s10, 25
	s_cbranch_scc0 .LBB175_32
; %bb.18:
	s_cmp_gt_i32 s10, 28
	s_cbranch_scc0 .LBB175_35
; %bb.19:
	s_cmp_gt_i32 s10, 43
	s_cbranch_scc0 .LBB175_37
; %bb.20:
	s_cmp_gt_i32 s10, 45
	s_cbranch_scc0 .LBB175_39
; %bb.21:
	s_cmp_eq_u32 s10, 46
	s_mov_b64 s[8:9], 0
	s_cbranch_scc0 .LBB175_41
; %bb.22:
	global_load_dword v3, v[1:2], off
	s_mov_b64 s[0:1], -1
	s_mov_b64 s[2:3], 0
	s_waitcnt vmcnt(0)
	v_lshlrev_b32_e32 v3, 16, v3
	v_cvt_i32_f32_e32 v3, v3
	s_branch .LBB175_43
.LBB175_23:
	s_mov_b64 s[2:3], 0
                                        ; implicit-def: $vgpr3
	s_mov_b64 s[0:1], 0
	s_cbranch_execnz .LBB175_212
.LBB175_24:
	s_andn2_b64 vcc, exec, s[0:1]
	s_cbranch_vccnz .LBB175_259
.LBB175_25:
	s_waitcnt vmcnt(0)
	v_min_u32_e32 v1, 31, v3
	v_mov_b32_e32 v2, s25
	s_and_b32 s14, s45, 0xff
	v_add_co_u32_e32 v3, vcc, s24, v0
	v_ashrrev_i32_e64 v1, v1, s44
	s_cmp_lt_i32 s14, 11
	v_addc_co_u32_e32 v4, vcc, 0, v2, vcc
	s_cbranch_scc1 .LBB175_33
; %bb.26:
	s_and_b32 s15, 0xffff, s14
	s_cmp_gt_i32 s15, 25
	s_cbranch_scc0 .LBB175_36
; %bb.27:
	s_cmp_gt_i32 s15, 28
	s_cbranch_scc0 .LBB175_38
; %bb.28:
	;; [unrolled: 3-line block ×4, first 2 shown]
	s_mov_b64 s[10:11], 0
	s_mov_b64 s[0:1], -1
	s_cmp_eq_u32 s15, 46
	s_mov_b64 s[8:9], 0
	s_cbranch_scc0 .LBB175_47
; %bb.31:
	v_cvt_f32_i32_e32 v0, v1
	s_movk_i32 s0, 0x7fff
	s_mov_b64 s[8:9], -1
	v_bfe_u32 v2, v0, 16, 1
	v_add3_u32 v0, v0, v2, s0
	v_lshrrev_b32_e32 v0, 16, v0
	global_store_dword v[3:4], v0, off
	s_mov_b64 s[0:1], 0
	s_branch .LBB175_47
.LBB175_32:
	s_mov_b64 s[2:3], 0
	s_mov_b64 s[0:1], 0
                                        ; implicit-def: $vgpr3
	s_cbranch_execnz .LBB175_179
	s_branch .LBB175_211
.LBB175_33:
	s_mov_b64 s[0:1], 0
	s_mov_b64 s[8:9], 0
	s_cbranch_execnz .LBB175_116
.LBB175_34:
	s_andn2_b64 vcc, exec, s[8:9]
	s_cbranch_vccnz .LBB175_260
	s_branch .LBB175_154
.LBB175_35:
	s_mov_b64 s[8:9], -1
	s_mov_b64 s[2:3], 0
	s_mov_b64 s[0:1], 0
                                        ; implicit-def: $vgpr3
	s_branch .LBB175_162
.LBB175_36:
	s_mov_b64 s[10:11], -1
	s_mov_b64 s[0:1], 0
	s_mov_b64 s[8:9], 0
	s_branch .LBB175_74
.LBB175_37:
	s_mov_b64 s[8:9], -1
	s_mov_b64 s[2:3], 0
	s_mov_b64 s[0:1], 0
                                        ; implicit-def: $vgpr3
	s_branch .LBB175_157
.LBB175_38:
	s_mov_b64 s[10:11], -1
	s_mov_b64 s[0:1], 0
	s_mov_b64 s[8:9], 0
	s_branch .LBB175_57
.LBB175_39:
	s_mov_b64 s[8:9], -1
	s_mov_b64 s[2:3], 0
	s_branch .LBB175_42
.LBB175_40:
	s_mov_b64 s[10:11], -1
	s_mov_b64 s[0:1], 0
	s_mov_b64 s[8:9], 0
	s_branch .LBB175_53
.LBB175_41:
	s_mov_b64 s[2:3], -1
.LBB175_42:
	s_mov_b64 s[0:1], 0
                                        ; implicit-def: $vgpr3
.LBB175_43:
	s_and_b64 vcc, exec, s[8:9]
	s_cbranch_vccz .LBB175_156
; %bb.44:
	s_cmp_eq_u32 s10, 44
	s_cbranch_scc0 .LBB175_155
; %bb.45:
	global_load_ubyte v3, v[1:2], off
	s_mov_b64 s[0:1], -1
	s_mov_b64 s[2:3], 0
	s_waitcnt vmcnt(0)
	v_lshlrev_b32_e32 v4, 23, v3
	v_cvt_i32_f32_e32 v4, v4
	v_cmp_ne_u32_e32 vcc, 0, v3
	v_cndmask_b32_e32 v3, 0, v4, vcc
	s_branch .LBB175_156
.LBB175_46:
	s_mov_b64 s[10:11], -1
	s_mov_b64 s[0:1], 0
	s_mov_b64 s[8:9], 0
.LBB175_47:
	s_and_b64 vcc, exec, s[10:11]
	s_cbranch_vccz .LBB175_52
; %bb.48:
	s_cmp_eq_u32 s15, 44
	s_mov_b64 s[0:1], -1
	s_cbranch_scc0 .LBB175_52
; %bb.49:
	v_cvt_f32_i32_e32 v0, v1
	s_movk_i32 s0, 0xff
	v_mov_b32_e32 v5, 0xff
	v_bfe_u32 v2, v0, 23, 8
	v_cmp_ne_u32_e32 vcc, s0, v2
	s_and_saveexec_b64 s[8:9], vcc
; %bb.50:
	s_mov_b32 s0, 0x3fffff
	v_lshrrev_b32_e32 v5, 23, v0
	v_and_b32_e32 v6, 0x400000, v0
	v_and_or_b32 v0, v0, s0, v2
	v_cmp_ne_u32_e32 vcc, 0, v6
	v_cmp_ne_u32_e64 s[0:1], 0, v0
	s_and_b64 s[0:1], vcc, s[0:1]
	v_cndmask_b32_e64 v0, 0, 1, s[0:1]
	v_add_u32_e32 v5, v5, v0
; %bb.51:
	s_or_b64 exec, exec, s[8:9]
	s_mov_b64 s[8:9], -1
	s_mov_b64 s[0:1], 0
	global_store_byte v[3:4], v5, off
.LBB175_52:
	s_mov_b64 s[10:11], 0
.LBB175_53:
	s_and_b64 vcc, exec, s[10:11]
	s_cbranch_vccz .LBB175_56
; %bb.54:
	s_cmp_eq_u32 s15, 29
	s_mov_b64 s[0:1], -1
	s_cbranch_scc0 .LBB175_56
; %bb.55:
	v_ashrrev_i32_e32 v2, 31, v1
	global_store_dwordx2 v[3:4], v[1:2], off
	s_mov_b64 s[8:9], -1
	s_mov_b64 s[0:1], 0
.LBB175_56:
	s_mov_b64 s[10:11], 0
.LBB175_57:
	s_and_b64 vcc, exec, s[10:11]
	s_cbranch_vccz .LBB175_73
; %bb.58:
	s_cmp_lt_i32 s15, 27
	s_mov_b64 s[8:9], -1
	s_cbranch_scc1 .LBB175_64
; %bb.59:
	s_cmp_gt_i32 s15, 27
	s_cbranch_scc0 .LBB175_61
; %bb.60:
	s_mov_b64 s[8:9], 0
	global_store_dword v[3:4], v1, off
.LBB175_61:
	s_andn2_b64 vcc, exec, s[8:9]
	s_cbranch_vccnz .LBB175_63
; %bb.62:
	global_store_short v[3:4], v1, off
.LBB175_63:
	s_mov_b64 s[8:9], 0
.LBB175_64:
	s_andn2_b64 vcc, exec, s[8:9]
	s_cbranch_vccnz .LBB175_72
; %bb.65:
	v_cvt_f32_i32_e32 v0, v1
	s_mov_b32 s8, 0x43800000
	v_mov_b32_e32 v5, 0x80
	v_and_b32_e32 v2, 0x7fffffff, v0
	v_cmp_gt_u32_e32 vcc, s8, v2
	s_and_saveexec_b64 s[8:9], vcc
	s_cbranch_execz .LBB175_71
; %bb.66:
	s_mov_b32 s10, 0x3bffffff
	v_cmp_lt_u32_e32 vcc, s10, v2
	s_mov_b64 s[10:11], 0
                                        ; implicit-def: $vgpr2
	s_and_saveexec_b64 s[12:13], vcc
	s_xor_b64 s[12:13], exec, s[12:13]
	s_cbranch_execz .LBB175_303
; %bb.67:
	v_bfe_u32 v2, v0, 20, 1
	s_mov_b32 s16, 0x487ffff
	v_add3_u32 v2, v0, v2, s16
	s_mov_b64 s[10:11], exec
	v_lshrrev_b32_e32 v2, 20, v2
	s_andn2_saveexec_b64 s[12:13], s[12:13]
	s_cbranch_execnz .LBB175_304
.LBB175_68:
	s_or_b64 exec, exec, s[12:13]
	v_mov_b32_e32 v5, 0
	s_and_saveexec_b64 s[12:13], s[10:11]
.LBB175_69:
	v_lshrrev_b32_e32 v0, 24, v0
	s_movk_i32 s10, 0x80
	v_and_or_b32 v5, v0, s10, v2
.LBB175_70:
	s_or_b64 exec, exec, s[12:13]
.LBB175_71:
	s_or_b64 exec, exec, s[8:9]
	global_store_byte v[3:4], v5, off
.LBB175_72:
	s_mov_b64 s[8:9], -1
.LBB175_73:
	s_mov_b64 s[10:11], 0
.LBB175_74:
	s_and_b64 vcc, exec, s[10:11]
	s_cbranch_vccz .LBB175_115
; %bb.75:
	s_cmp_gt_i32 s15, 22
	s_mov_b64 s[10:11], -1
	s_cbranch_scc0 .LBB175_107
; %bb.76:
	s_cmp_lt_i32 s15, 24
	s_mov_b64 s[8:9], -1
	s_cbranch_scc1 .LBB175_96
; %bb.77:
	s_cmp_gt_i32 s15, 24
	s_cbranch_scc0 .LBB175_85
; %bb.78:
	v_cvt_f32_i32_e32 v0, v1
	s_mov_b32 s8, 0x47800000
	v_mov_b32_e32 v5, 0x80
	v_and_b32_e32 v2, 0x7fffffff, v0
	v_cmp_gt_u32_e32 vcc, s8, v2
	s_and_saveexec_b64 s[8:9], vcc
	s_cbranch_execz .LBB175_84
; %bb.79:
	s_mov_b32 s10, 0x37ffffff
	v_cmp_lt_u32_e32 vcc, s10, v2
	s_mov_b64 s[10:11], 0
                                        ; implicit-def: $vgpr2
	s_and_saveexec_b64 s[12:13], vcc
	s_xor_b64 s[12:13], exec, s[12:13]
	s_cbranch_execz .LBB175_307
; %bb.80:
	v_bfe_u32 v2, v0, 21, 1
	s_mov_b32 s16, 0x88fffff
	v_add3_u32 v2, v0, v2, s16
	s_mov_b64 s[10:11], exec
	v_lshrrev_b32_e32 v2, 21, v2
	s_andn2_saveexec_b64 s[12:13], s[12:13]
	s_cbranch_execnz .LBB175_308
.LBB175_81:
	s_or_b64 exec, exec, s[12:13]
	v_mov_b32_e32 v5, 0
	s_and_saveexec_b64 s[12:13], s[10:11]
.LBB175_82:
	v_lshrrev_b32_e32 v0, 24, v0
	s_movk_i32 s10, 0x80
	v_and_or_b32 v5, v0, s10, v2
.LBB175_83:
	s_or_b64 exec, exec, s[12:13]
.LBB175_84:
	s_or_b64 exec, exec, s[8:9]
	s_mov_b64 s[8:9], 0
	global_store_byte v[3:4], v5, off
.LBB175_85:
	s_and_b64 vcc, exec, s[8:9]
	s_cbranch_vccz .LBB175_95
; %bb.86:
	v_cvt_f32_i32_e32 v0, v1
	s_mov_b32 s8, 0x43f00000
                                        ; implicit-def: $vgpr2
	v_and_b32_e32 v5, 0x7fffffff, v0
	v_cmp_gt_u32_e32 vcc, s8, v5
	s_and_saveexec_b64 s[8:9], vcc
	s_xor_b64 s[8:9], exec, s[8:9]
	s_cbranch_execz .LBB175_92
; %bb.87:
	s_mov_b32 s10, 0x3c7fffff
	v_cmp_lt_u32_e32 vcc, s10, v5
                                        ; implicit-def: $vgpr2
	s_and_saveexec_b64 s[10:11], vcc
	s_xor_b64 s[10:11], exec, s[10:11]
; %bb.88:
	v_bfe_u32 v2, v0, 20, 1
	s_mov_b32 s12, 0x407ffff
	v_add3_u32 v2, v0, v2, s12
	v_lshrrev_b32_e32 v5, 20, v2
	v_and_b32_e32 v2, 0xff00000, v2
	s_mov_b32 s12, 0x7f00000
	v_mov_b32_e32 v6, 0x7e
	v_cmp_ne_u32_e32 vcc, s12, v2
	v_cndmask_b32_e32 v2, v6, v5, vcc
; %bb.89:
	s_andn2_saveexec_b64 s[10:11], s[10:11]
; %bb.90:
	s_mov_b32 s12, 0x46800000
	v_add_f32_e64 v2, |v0|, s12
; %bb.91:
	s_or_b64 exec, exec, s[10:11]
                                        ; implicit-def: $vgpr5
.LBB175_92:
	s_andn2_saveexec_b64 s[8:9], s[8:9]
; %bb.93:
	s_mov_b32 s10, 0x7f800000
	v_mov_b32_e32 v2, 0x7e
	v_mov_b32_e32 v6, 0x7f
	v_cmp_lt_u32_e32 vcc, s10, v5
	v_cndmask_b32_e32 v2, v2, v6, vcc
; %bb.94:
	s_or_b64 exec, exec, s[8:9]
	v_lshrrev_b32_e32 v0, 24, v0
	s_movk_i32 s8, 0x80
	v_and_or_b32 v0, v0, s8, v2
	global_store_byte v[3:4], v0, off
.LBB175_95:
	s_mov_b64 s[8:9], 0
.LBB175_96:
	s_andn2_b64 vcc, exec, s[8:9]
	s_cbranch_vccnz .LBB175_106
; %bb.97:
	v_cvt_f32_i32_e32 v0, v1
	s_mov_b32 s8, 0x47800000
                                        ; implicit-def: $vgpr2
	v_and_b32_e32 v5, 0x7fffffff, v0
	v_cmp_gt_u32_e32 vcc, s8, v5
	s_and_saveexec_b64 s[8:9], vcc
	s_xor_b64 s[8:9], exec, s[8:9]
	s_cbranch_execz .LBB175_103
; %bb.98:
	s_mov_b32 s10, 0x387fffff
	v_cmp_lt_u32_e32 vcc, s10, v5
                                        ; implicit-def: $vgpr2
	s_and_saveexec_b64 s[10:11], vcc
	s_xor_b64 s[10:11], exec, s[10:11]
; %bb.99:
	v_bfe_u32 v2, v0, 21, 1
	s_mov_b32 s12, 0x80fffff
	v_add3_u32 v2, v0, v2, s12
	v_lshrrev_b32_e32 v2, 21, v2
; %bb.100:
	s_andn2_saveexec_b64 s[10:11], s[10:11]
; %bb.101:
	s_mov_b32 s12, 0x43000000
	v_add_f32_e64 v2, |v0|, s12
; %bb.102:
	s_or_b64 exec, exec, s[10:11]
                                        ; implicit-def: $vgpr5
.LBB175_103:
	s_andn2_saveexec_b64 s[8:9], s[8:9]
; %bb.104:
	s_mov_b32 s10, 0x7f800000
	v_mov_b32_e32 v2, 0x7c
	v_mov_b32_e32 v6, 0x7f
	v_cmp_lt_u32_e32 vcc, s10, v5
	v_cndmask_b32_e32 v2, v2, v6, vcc
; %bb.105:
	s_or_b64 exec, exec, s[8:9]
	v_lshrrev_b32_e32 v0, 24, v0
	s_movk_i32 s8, 0x80
	v_and_or_b32 v0, v0, s8, v2
	global_store_byte v[3:4], v0, off
.LBB175_106:
	s_mov_b64 s[10:11], 0
	s_mov_b64 s[8:9], -1
.LBB175_107:
	s_andn2_b64 vcc, exec, s[10:11]
	s_cbranch_vccnz .LBB175_115
; %bb.108:
	s_cmp_gt_i32 s15, 14
	s_mov_b64 s[10:11], -1
	s_cbranch_scc0 .LBB175_112
; %bb.109:
	s_cmp_eq_u32 s15, 15
	s_mov_b64 s[0:1], -1
	s_cbranch_scc0 .LBB175_111
; %bb.110:
	v_cvt_f32_i32_e32 v0, v1
	s_movk_i32 s0, 0x7fff
	s_mov_b64 s[8:9], -1
	v_bfe_u32 v2, v0, 16, 1
	v_add3_u32 v0, v0, v2, s0
	global_store_short_d16_hi v[3:4], v0, off
	s_mov_b64 s[0:1], 0
.LBB175_111:
	s_mov_b64 s[10:11], 0
.LBB175_112:
	s_and_b64 vcc, exec, s[10:11]
	s_cbranch_vccz .LBB175_115
; %bb.113:
	s_cmp_eq_u32 s15, 11
	s_mov_b64 s[0:1], -1
	s_cbranch_scc0 .LBB175_115
; %bb.114:
	v_cmp_ne_u32_e32 vcc, 0, v1
	v_cndmask_b32_e64 v0, 0, 1, vcc
	s_mov_b64 s[8:9], -1
	s_mov_b64 s[0:1], 0
	global_store_byte v[3:4], v0, off
.LBB175_115:
	s_branch .LBB175_34
.LBB175_116:
	s_and_b32 s10, 0xffff, s14
	s_cmp_lt_i32 s10, 5
	s_mov_b64 s[8:9], -1
	s_cbranch_scc1 .LBB175_137
; %bb.117:
	s_cmp_lt_i32 s10, 8
	s_cbranch_scc1 .LBB175_127
; %bb.118:
	s_cmp_lt_i32 s10, 9
	s_cbranch_scc1 .LBB175_124
; %bb.119:
	s_cmp_gt_i32 s10, 9
	s_cbranch_scc0 .LBB175_121
; %bb.120:
	v_cvt_f64_i32_e32 v[9:10], v1
	v_mov_b32_e32 v11, 0
	v_mov_b32_e32 v12, v11
	s_mov_b64 s[8:9], 0
	global_store_dwordx4 v[3:4], v[9:12], off
.LBB175_121:
	s_andn2_b64 vcc, exec, s[8:9]
	s_cbranch_vccnz .LBB175_123
; %bb.122:
	v_cvt_f32_i32_e32 v5, v1
	v_mov_b32_e32 v6, 0
	global_store_dwordx2 v[3:4], v[5:6], off
.LBB175_123:
	s_mov_b64 s[8:9], 0
.LBB175_124:
	s_andn2_b64 vcc, exec, s[8:9]
	s_cbranch_vccnz .LBB175_126
; %bb.125:
	v_cvt_f32_i32_e32 v0, v1
	v_cvt_f16_f32_e32 v0, v0
	global_store_dword v[3:4], v0, off
.LBB175_126:
	s_mov_b64 s[8:9], 0
.LBB175_127:
	s_andn2_b64 vcc, exec, s[8:9]
	s_cbranch_vccnz .LBB175_136
; %bb.128:
	s_cmp_lt_i32 s10, 6
	s_mov_b64 s[8:9], -1
	s_cbranch_scc1 .LBB175_134
; %bb.129:
	s_cmp_gt_i32 s10, 6
	s_cbranch_scc0 .LBB175_131
; %bb.130:
	v_cvt_f64_i32_e32 v[5:6], v1
	s_mov_b64 s[8:9], 0
	global_store_dwordx2 v[3:4], v[5:6], off
.LBB175_131:
	s_andn2_b64 vcc, exec, s[8:9]
	s_cbranch_vccnz .LBB175_133
; %bb.132:
	v_cvt_f32_i32_e32 v0, v1
	global_store_dword v[3:4], v0, off
.LBB175_133:
	s_mov_b64 s[8:9], 0
.LBB175_134:
	s_andn2_b64 vcc, exec, s[8:9]
	s_cbranch_vccnz .LBB175_136
; %bb.135:
	v_cvt_f32_i32_e32 v0, v1
	v_cvt_f16_f32_e32 v0, v0
	global_store_short v[3:4], v0, off
.LBB175_136:
	s_mov_b64 s[8:9], 0
.LBB175_137:
	s_andn2_b64 vcc, exec, s[8:9]
	s_cbranch_vccnz .LBB175_153
; %bb.138:
	s_cmp_lt_i32 s10, 2
	s_mov_b64 s[8:9], -1
	s_cbranch_scc1 .LBB175_148
; %bb.139:
	s_cmp_lt_i32 s10, 3
	s_cbranch_scc1 .LBB175_145
; %bb.140:
	s_cmp_gt_i32 s10, 3
	s_cbranch_scc0 .LBB175_142
; %bb.141:
	v_ashrrev_i32_e32 v2, 31, v1
	global_store_dwordx2 v[3:4], v[1:2], off
	s_mov_b64 s[8:9], 0
.LBB175_142:
	s_andn2_b64 vcc, exec, s[8:9]
	s_cbranch_vccnz .LBB175_144
; %bb.143:
	global_store_dword v[3:4], v1, off
.LBB175_144:
	s_mov_b64 s[8:9], 0
.LBB175_145:
	s_andn2_b64 vcc, exec, s[8:9]
	s_cbranch_vccnz .LBB175_147
; %bb.146:
	global_store_short v[3:4], v1, off
.LBB175_147:
	s_mov_b64 s[8:9], 0
.LBB175_148:
	s_andn2_b64 vcc, exec, s[8:9]
	s_cbranch_vccnz .LBB175_153
; %bb.149:
	s_cmp_gt_i32 s10, 0
	s_mov_b64 s[8:9], -1
	s_cbranch_scc0 .LBB175_151
; %bb.150:
	global_store_byte v[3:4], v1, off
	s_mov_b64 s[8:9], 0
.LBB175_151:
	s_andn2_b64 vcc, exec, s[8:9]
	s_cbranch_vccnz .LBB175_153
; %bb.152:
	global_store_byte v[3:4], v1, off
.LBB175_153:
.LBB175_154:
	v_add_u32_e32 v8, 0x80, v8
	s_mov_b64 s[8:9], -1
	s_branch .LBB175_261
.LBB175_155:
	s_mov_b64 s[2:3], -1
                                        ; implicit-def: $vgpr3
.LBB175_156:
	s_mov_b64 s[8:9], 0
.LBB175_157:
	s_and_b64 vcc, exec, s[8:9]
	s_cbranch_vccz .LBB175_161
; %bb.158:
	s_cmp_eq_u32 s10, 29
	s_cbranch_scc0 .LBB175_160
; %bb.159:
	global_load_dword v3, v[1:2], off
	s_mov_b64 s[0:1], -1
	s_mov_b64 s[2:3], 0
	s_branch .LBB175_161
.LBB175_160:
	s_mov_b64 s[2:3], -1
                                        ; implicit-def: $vgpr3
.LBB175_161:
	s_mov_b64 s[8:9], 0
.LBB175_162:
	s_and_b64 vcc, exec, s[8:9]
	s_cbranch_vccz .LBB175_178
; %bb.163:
	s_cmp_lt_i32 s10, 27
	s_cbranch_scc1 .LBB175_166
; %bb.164:
	s_cmp_gt_i32 s10, 27
	s_cbranch_scc0 .LBB175_167
; %bb.165:
	global_load_dword v3, v[1:2], off
	s_mov_b64 s[0:1], 0
	s_branch .LBB175_168
.LBB175_166:
	s_mov_b64 s[0:1], -1
                                        ; implicit-def: $vgpr3
	s_branch .LBB175_171
.LBB175_167:
	s_mov_b64 s[0:1], -1
                                        ; implicit-def: $vgpr3
.LBB175_168:
	s_andn2_b64 vcc, exec, s[0:1]
	s_cbranch_vccnz .LBB175_170
; %bb.169:
	global_load_ushort v3, v[1:2], off
.LBB175_170:
	s_mov_b64 s[0:1], 0
.LBB175_171:
	s_andn2_b64 vcc, exec, s[0:1]
	s_cbranch_vccnz .LBB175_177
; %bb.172:
	global_load_ubyte v4, v[1:2], off
	s_movk_i32 s0, 0x7f
	s_mov_b64 s[8:9], 0
	s_waitcnt vmcnt(0)
	v_cmp_lt_i16_e32 vcc, s0, v4
	s_and_saveexec_b64 s[0:1], vcc
	s_xor_b64 s[0:1], exec, s[0:1]
	s_cbranch_execz .LBB175_188
; %bb.173:
	s_movk_i32 s8, 0x80
	v_cmp_ne_u16_e32 vcc, s8, v4
	s_and_b64 s[8:9], vcc, exec
	s_andn2_saveexec_b64 s[0:1], s[0:1]
	s_cbranch_execnz .LBB175_189
.LBB175_174:
	s_or_b64 exec, exec, s[0:1]
	v_mov_b32_e32 v3, 0
	s_and_saveexec_b64 s[0:1], s[8:9]
	s_cbranch_execz .LBB175_176
.LBB175_175:
	v_lshlrev_b32_e32 v3, 24, v4
	v_and_b32_e32 v4, 0xffff, v4
	v_and_b32_e32 v5, 7, v4
	v_ffbh_u32_e32 v7, v5
	v_min_u32_e32 v7, 32, v7
	v_subrev_u32_e32 v9, 28, v7
	v_bfe_u32 v6, v4, 3, 4
	v_lshlrev_b32_e32 v4, v9, v4
	v_sub_u32_e32 v7, 29, v7
	v_and_b32_e32 v4, 7, v4
	v_cmp_eq_u32_e32 vcc, 0, v6
	v_cndmask_b32_e32 v6, v6, v7, vcc
	v_cndmask_b32_e32 v4, v5, v4, vcc
	v_mov_b32_e32 v5, 0x3b800000
	v_lshlrev_b32_e32 v4, 20, v4
	v_and_b32_e32 v3, 0x80000000, v3
	v_lshl_add_u32 v5, v6, 23, v5
	v_or3_b32 v3, v3, v5, v4
	v_cvt_i32_f32_e32 v3, v3
.LBB175_176:
	s_or_b64 exec, exec, s[0:1]
.LBB175_177:
	s_mov_b64 s[0:1], -1
.LBB175_178:
	s_branch .LBB175_211
.LBB175_179:
	s_cmp_gt_i32 s10, 22
	s_cbranch_scc0 .LBB175_187
; %bb.180:
	s_cmp_lt_i32 s10, 24
	s_cbranch_scc1 .LBB175_190
; %bb.181:
	s_cmp_gt_i32 s10, 24
	s_cbranch_scc0 .LBB175_191
; %bb.182:
	global_load_ubyte v4, v[1:2], off
	s_movk_i32 s0, 0x7f
	s_mov_b64 s[8:9], 0
	s_waitcnt vmcnt(0)
	v_cmp_lt_i16_e32 vcc, s0, v4
	s_and_saveexec_b64 s[0:1], vcc
	s_xor_b64 s[0:1], exec, s[0:1]
	s_cbranch_execz .LBB175_203
; %bb.183:
	s_movk_i32 s8, 0x80
	v_cmp_ne_u16_e32 vcc, s8, v4
	s_and_b64 s[8:9], vcc, exec
	s_andn2_saveexec_b64 s[0:1], s[0:1]
	s_cbranch_execnz .LBB175_204
.LBB175_184:
	s_or_b64 exec, exec, s[0:1]
	v_mov_b32_e32 v3, 0
	s_and_saveexec_b64 s[0:1], s[8:9]
	s_cbranch_execz .LBB175_186
.LBB175_185:
	v_lshlrev_b32_e32 v3, 24, v4
	v_and_b32_e32 v4, 0xffff, v4
	v_and_b32_e32 v5, 3, v4
	v_ffbh_u32_e32 v7, v5
	v_min_u32_e32 v7, 32, v7
	v_subrev_u32_e32 v9, 29, v7
	v_bfe_u32 v6, v4, 2, 5
	v_lshlrev_b32_e32 v4, v9, v4
	v_sub_u32_e32 v7, 30, v7
	v_and_b32_e32 v4, 3, v4
	v_cmp_eq_u32_e32 vcc, 0, v6
	v_cndmask_b32_e32 v6, v6, v7, vcc
	v_cndmask_b32_e32 v4, v5, v4, vcc
	v_mov_b32_e32 v5, 0x37800000
	v_lshlrev_b32_e32 v4, 21, v4
	v_and_b32_e32 v3, 0x80000000, v3
	v_lshl_add_u32 v5, v6, 23, v5
	v_or3_b32 v3, v3, v5, v4
	v_cvt_i32_f32_e32 v3, v3
.LBB175_186:
	s_or_b64 exec, exec, s[0:1]
	s_mov_b64 s[0:1], 0
	s_branch .LBB175_192
.LBB175_187:
	s_mov_b64 s[8:9], -1
                                        ; implicit-def: $vgpr3
	s_branch .LBB175_198
.LBB175_188:
	s_andn2_saveexec_b64 s[0:1], s[0:1]
	s_cbranch_execz .LBB175_174
.LBB175_189:
	v_cmp_ne_u16_e32 vcc, 0, v4
	s_andn2_b64 s[8:9], s[8:9], exec
	s_and_b64 s[12:13], vcc, exec
	s_or_b64 s[8:9], s[8:9], s[12:13]
	s_or_b64 exec, exec, s[0:1]
	v_mov_b32_e32 v3, 0
	s_and_saveexec_b64 s[0:1], s[8:9]
	s_cbranch_execnz .LBB175_175
	s_branch .LBB175_176
.LBB175_190:
	s_mov_b64 s[0:1], -1
                                        ; implicit-def: $vgpr3
	s_branch .LBB175_195
.LBB175_191:
	s_mov_b64 s[0:1], -1
                                        ; implicit-def: $vgpr3
.LBB175_192:
	s_and_b64 vcc, exec, s[0:1]
	s_cbranch_vccz .LBB175_194
; %bb.193:
	global_load_ubyte v3, v[1:2], off
	s_mov_b32 s0, 0x7f800000
	s_waitcnt vmcnt(0)
	v_lshlrev_b32_e32 v3, 24, v3
	v_and_b32_e32 v4, 0x7f000000, v3
	v_ffbh_u32_e32 v5, v4
	v_min_u32_e32 v5, 32, v5
	v_sub_u32_e64 v5, v5, 4 clamp
	v_lshlrev_b32_e32 v7, v5, v4
	v_lshlrev_b32_e32 v5, 23, v5
	v_lshrrev_b32_e32 v7, 4, v7
	v_add_u32_e32 v6, 0x1000000, v4
	v_sub_u32_e32 v5, v7, v5
	v_ashrrev_i32_e32 v6, 8, v6
	v_add_u32_e32 v5, 0x3c000000, v5
	v_and_or_b32 v5, v6, s0, v5
	v_cmp_ne_u32_e32 vcc, 0, v4
	v_cndmask_b32_e32 v4, 0, v5, vcc
	s_brev_b32 s0, 1
	v_and_or_b32 v3, v3, s0, v4
	v_cvt_i32_f32_e32 v3, v3
.LBB175_194:
	s_mov_b64 s[0:1], 0
.LBB175_195:
	s_andn2_b64 vcc, exec, s[0:1]
	s_cbranch_vccnz .LBB175_197
; %bb.196:
	global_load_ubyte v3, v[1:2], off
	s_movk_i32 s0, 0x7f00
	s_brev_b32 s1, 16
	s_waitcnt vmcnt(0)
	v_lshlrev_b16_e32 v4, 8, v3
	v_lshlrev_b32_e32 v3, 25, v3
	v_lshrrev_b32_e32 v5, 4, v3
	v_and_or_b32 v6, v4, s0, 0.5
	v_or_b32_e32 v5, 0x70000000, v5
	v_add_f32_e32 v6, -0.5, v6
	v_mul_f32_e32 v5, 0x7800000, v5
	v_cmp_gt_u32_e32 vcc, s1, v3
	v_bfe_i32 v4, v4, 0, 16
	v_cndmask_b32_e32 v3, v5, v6, vcc
	s_brev_b32 s0, 1
	v_and_or_b32 v3, v4, s0, v3
	v_cvt_i32_f32_e32 v3, v3
.LBB175_197:
	s_mov_b64 s[8:9], 0
	s_mov_b64 s[0:1], -1
.LBB175_198:
	s_andn2_b64 vcc, exec, s[8:9]
	s_cbranch_vccnz .LBB175_211
; %bb.199:
	s_cmp_gt_i32 s10, 14
	s_cbranch_scc0 .LBB175_202
; %bb.200:
	s_cmp_eq_u32 s10, 15
	s_cbranch_scc0 .LBB175_205
; %bb.201:
	global_load_ushort v3, v[1:2], off
	s_mov_b64 s[0:1], -1
	s_mov_b64 s[2:3], 0
	s_waitcnt vmcnt(0)
	v_lshlrev_b32_e32 v3, 16, v3
	v_cvt_i32_f32_e32 v3, v3
	s_branch .LBB175_206
.LBB175_202:
	s_mov_b64 s[8:9], -1
                                        ; implicit-def: $vgpr3
	s_branch .LBB175_207
.LBB175_203:
	s_andn2_saveexec_b64 s[0:1], s[0:1]
	s_cbranch_execz .LBB175_184
.LBB175_204:
	v_cmp_ne_u16_e32 vcc, 0, v4
	s_andn2_b64 s[8:9], s[8:9], exec
	s_and_b64 s[12:13], vcc, exec
	s_or_b64 s[8:9], s[8:9], s[12:13]
	s_or_b64 exec, exec, s[0:1]
	v_mov_b32_e32 v3, 0
	s_and_saveexec_b64 s[0:1], s[8:9]
	s_cbranch_execnz .LBB175_185
	s_branch .LBB175_186
.LBB175_205:
	s_mov_b64 s[2:3], -1
                                        ; implicit-def: $vgpr3
.LBB175_206:
	s_mov_b64 s[8:9], 0
.LBB175_207:
	s_and_b64 vcc, exec, s[8:9]
	s_cbranch_vccz .LBB175_211
; %bb.208:
	s_cmp_eq_u32 s10, 11
	s_cbranch_scc0 .LBB175_210
; %bb.209:
	global_load_ubyte v3, v[1:2], off
	s_mov_b64 s[0:1], -1
	s_mov_b64 s[2:3], 0
	s_waitcnt vmcnt(0)
	v_cmp_ne_u16_e32 vcc, 0, v3
	v_cndmask_b32_e64 v3, 0, 1, vcc
	s_branch .LBB175_211
.LBB175_210:
	s_mov_b64 s[2:3], -1
                                        ; implicit-def: $vgpr3
.LBB175_211:
	s_branch .LBB175_24
.LBB175_212:
	s_cmp_lt_i32 s10, 5
	s_cbranch_scc1 .LBB175_217
; %bb.213:
	s_cmp_lt_i32 s10, 8
	s_cbranch_scc1 .LBB175_218
; %bb.214:
	;; [unrolled: 3-line block ×3, first 2 shown]
	s_cmp_gt_i32 s10, 9
	s_cbranch_scc0 .LBB175_220
; %bb.216:
	global_load_dwordx2 v[3:4], v[1:2], off
	s_mov_b64 s[0:1], 0
	s_waitcnt vmcnt(0)
	v_cvt_i32_f64_e32 v3, v[3:4]
	s_branch .LBB175_221
.LBB175_217:
                                        ; implicit-def: $vgpr3
	s_branch .LBB175_239
.LBB175_218:
	s_mov_b64 s[0:1], -1
                                        ; implicit-def: $vgpr3
	s_branch .LBB175_227
.LBB175_219:
	s_mov_b64 s[0:1], -1
                                        ; implicit-def: $vgpr3
	s_branch .LBB175_224
.LBB175_220:
	s_mov_b64 s[0:1], -1
                                        ; implicit-def: $vgpr3
.LBB175_221:
	s_andn2_b64 vcc, exec, s[0:1]
	s_cbranch_vccnz .LBB175_223
; %bb.222:
	global_load_dword v3, v[1:2], off
	s_waitcnt vmcnt(0)
	v_cvt_i32_f32_e32 v3, v3
.LBB175_223:
	s_mov_b64 s[0:1], 0
.LBB175_224:
	s_andn2_b64 vcc, exec, s[0:1]
	s_cbranch_vccnz .LBB175_226
; %bb.225:
	global_load_dword v3, v[1:2], off
	s_waitcnt vmcnt(0)
	v_cvt_f32_f16_e32 v3, v3
	v_cvt_i32_f32_e32 v3, v3
.LBB175_226:
	s_mov_b64 s[0:1], 0
.LBB175_227:
	s_andn2_b64 vcc, exec, s[0:1]
	s_cbranch_vccnz .LBB175_238
; %bb.228:
	s_cmp_lt_i32 s10, 6
	s_cbranch_scc1 .LBB175_231
; %bb.229:
	s_cmp_gt_i32 s10, 6
	s_cbranch_scc0 .LBB175_232
; %bb.230:
	global_load_dwordx2 v[3:4], v[1:2], off
	s_mov_b64 s[0:1], 0
	s_waitcnt vmcnt(0)
	v_cvt_i32_f64_e32 v3, v[3:4]
	s_branch .LBB175_233
.LBB175_231:
	s_mov_b64 s[0:1], -1
                                        ; implicit-def: $vgpr3
	s_branch .LBB175_236
.LBB175_232:
	s_mov_b64 s[0:1], -1
                                        ; implicit-def: $vgpr3
.LBB175_233:
	s_andn2_b64 vcc, exec, s[0:1]
	s_cbranch_vccnz .LBB175_235
; %bb.234:
	global_load_dword v3, v[1:2], off
	s_waitcnt vmcnt(0)
	v_cvt_i32_f32_e32 v3, v3
.LBB175_235:
	s_mov_b64 s[0:1], 0
.LBB175_236:
	s_andn2_b64 vcc, exec, s[0:1]
	s_cbranch_vccnz .LBB175_238
; %bb.237:
	global_load_ushort v3, v[1:2], off
	s_waitcnt vmcnt(0)
	v_cvt_f32_f16_e32 v3, v3
	v_cvt_i32_f32_e32 v3, v3
.LBB175_238:
	s_cbranch_execnz .LBB175_258
.LBB175_239:
	s_cmp_lt_i32 s10, 2
	s_cbranch_scc1 .LBB175_243
; %bb.240:
	s_cmp_lt_i32 s10, 3
	s_cbranch_scc1 .LBB175_244
; %bb.241:
	s_cmp_gt_i32 s10, 3
	s_cbranch_scc0 .LBB175_245
; %bb.242:
	global_load_dword v3, v[1:2], off
	s_mov_b64 s[0:1], 0
	s_branch .LBB175_246
.LBB175_243:
	s_mov_b64 s[0:1], -1
                                        ; implicit-def: $vgpr3
	s_branch .LBB175_252
.LBB175_244:
	s_mov_b64 s[0:1], -1
                                        ; implicit-def: $vgpr3
	s_branch .LBB175_249
.LBB175_245:
	s_mov_b64 s[0:1], -1
                                        ; implicit-def: $vgpr3
.LBB175_246:
	s_andn2_b64 vcc, exec, s[0:1]
	s_cbranch_vccnz .LBB175_248
; %bb.247:
	global_load_dword v3, v[1:2], off
.LBB175_248:
	s_mov_b64 s[0:1], 0
.LBB175_249:
	s_andn2_b64 vcc, exec, s[0:1]
	s_cbranch_vccnz .LBB175_251
; %bb.250:
	global_load_sshort v3, v[1:2], off
.LBB175_251:
	s_mov_b64 s[0:1], 0
.LBB175_252:
	s_andn2_b64 vcc, exec, s[0:1]
	s_cbranch_vccnz .LBB175_258
; %bb.253:
	s_cmp_gt_i32 s10, 0
	s_cbranch_scc0 .LBB175_255
; %bb.254:
	global_load_sbyte v3, v[1:2], off
	s_mov_b64 s[0:1], 0
	s_branch .LBB175_256
.LBB175_255:
	s_mov_b64 s[0:1], -1
                                        ; implicit-def: $vgpr3
.LBB175_256:
	s_andn2_b64 vcc, exec, s[0:1]
	s_cbranch_vccnz .LBB175_258
; %bb.257:
	global_load_ubyte v3, v[1:2], off
.LBB175_258:
	s_branch .LBB175_25
.LBB175_259:
	s_mov_b64 s[0:1], 0
.LBB175_260:
	s_mov_b64 s[8:9], 0
                                        ; implicit-def: $vgpr8
.LBB175_261:
	s_and_b64 s[54:55], s[0:1], exec
	s_and_b64 s[56:57], s[2:3], exec
	s_orn2_b64 s[2:3], s[8:9], exec
.LBB175_262:
	s_or_b64 exec, exec, s[58:59]
	s_mov_b64 s[10:11], 0
	s_mov_b64 s[0:1], 0
                                        ; implicit-def: $vgpr1_vgpr2
                                        ; implicit-def: $vgpr0
                                        ; implicit-def: $vgpr5
	s_and_saveexec_b64 s[58:59], s[2:3]
	s_cbranch_execz .LBB175_269
; %bb.263:
	v_cmp_gt_i32_e32 vcc, s72, v8
	s_mov_b64 s[0:1], -1
	s_mov_b64 s[60:61], s[56:57]
	s_mov_b64 s[62:63], s[54:55]
	s_and_saveexec_b64 s[64:65], vcc
	s_cbranch_execz .LBB175_534
; %bb.264:
	s_andn2_b64 vcc, exec, s[40:41]
	s_cbranch_vccnz .LBB175_272
; %bb.265:
	s_andn2_b64 vcc, exec, s[52:53]
	s_cbranch_vccnz .LBB175_273
; %bb.266:
	s_add_i32 s67, s76, 1
	s_cmp_eq_u32 s74, 2
	s_cbranch_scc1 .LBB175_274
; %bb.267:
	s_and_b32 s66, s67, 28
	v_mov_b32_e32 v2, 0
	s_mov_b32 s68, 0
	s_mov_b64 s[60:61], s[34:35]
	s_mov_b64 s[62:63], s[50:51]
	v_mov_b32_e32 v0, 0
	v_mov_b32_e32 v1, v8
.LBB175_268:                            ; =>This Inner Loop Header: Depth=1
	s_load_dwordx8 s[16:23], s[60:61], 0x4
	s_load_dwordx4 s[0:3], s[60:61], 0x24
	s_load_dwordx8 s[8:15], s[62:63], 0x0
	s_add_u32 s60, s60, 48
	s_addc_u32 s61, s61, 0
	s_waitcnt vmcnt(0) lgkmcnt(0)
	v_mul_hi_u32 v3, s17, v1
	s_add_i32 s68, s68, 4
	s_add_u32 s62, s62, 32
	s_addc_u32 s63, s63, 0
	v_add_u32_e32 v3, v1, v3
	v_lshrrev_b32_e32 v3, s18, v3
	v_mul_lo_u32 v4, v3, s16
	v_mul_hi_u32 v5, s20, v3
	s_cmp_eq_u32 s66, s68
	v_sub_u32_e32 v1, v1, v4
	v_add_u32_e32 v4, v3, v5
	v_mul_lo_u32 v5, v1, s8
	v_mul_lo_u32 v6, v1, s9
	v_lshrrev_b32_e32 v1, s21, v4
	v_mul_lo_u32 v4, v1, s19
	v_mul_hi_u32 v7, s23, v1
	v_sub_u32_e32 v3, v3, v4
	v_add_u32_e32 v4, v1, v7
	v_lshrrev_b32_e32 v4, s0, v4
	v_mul_hi_u32 v9, s2, v4
	v_mul_lo_u32 v10, v4, s22
	v_mul_lo_u32 v7, v3, s10
	;; [unrolled: 1-line block ×3, first 2 shown]
	v_sub_u32_e32 v10, v1, v10
	v_add_u32_e32 v1, v4, v9
	v_lshrrev_b32_e32 v1, s3, v1
	v_mul_lo_u32 v9, v1, s1
	v_mul_lo_u32 v11, v10, s12
	v_mul_lo_u32 v10, v10, s13
	v_add3_u32 v0, v5, v0, v7
	v_sub_u32_e32 v4, v4, v9
	v_mul_lo_u32 v9, v4, s14
	v_mul_lo_u32 v4, v4, s15
	v_add3_u32 v2, v6, v2, v3
	v_add3_u32 v0, v11, v0, v9
	;; [unrolled: 1-line block ×3, first 2 shown]
	s_cbranch_scc0 .LBB175_268
	s_branch .LBB175_275
.LBB175_269:
	s_or_b64 exec, exec, s[58:59]
	s_mov_b64 s[2:3], 0
	s_and_saveexec_b64 s[8:9], s[56:57]
	s_cbranch_execnz .LBB175_902
.LBB175_270:
	s_or_b64 exec, exec, s[8:9]
	s_and_saveexec_b64 s[8:9], s[62:63]
	s_xor_b64 s[8:9], exec, s[8:9]
	s_cbranch_execz .LBB175_903
.LBB175_271:
	global_load_ubyte v3, v[1:2], off
	s_or_b64 s[0:1], s[0:1], exec
	s_waitcnt vmcnt(0)
	v_cmp_ne_u16_e32 vcc, 0, v3
	v_cndmask_b32_e64 v5, 0, 1, vcc
	s_or_b64 exec, exec, s[8:9]
	s_and_saveexec_b64 s[8:9], s[10:11]
	s_cbranch_execz .LBB175_949
	s_branch .LBB175_904
.LBB175_272:
                                        ; implicit-def: $vgpr0
                                        ; implicit-def: $vgpr2
	s_andn2_b64 vcc, exec, s[0:1]
	s_cbranch_vccz .LBB175_279
	s_branch .LBB175_281
.LBB175_273:
	v_mov_b32_e32 v0, 0
	v_mov_b32_e32 v2, 0
	s_branch .LBB175_278
.LBB175_274:
	s_mov_b32 s66, 0
	v_mov_b32_e32 v0, 0
	v_mov_b32_e32 v2, 0
	;; [unrolled: 1-line block ×3, first 2 shown]
.LBB175_275:
	s_and_b32 s8, s67, 3
	s_cmp_eq_u32 s8, 0
	s_cbranch_scc1 .LBB175_278
; %bb.276:
	s_lshl_b32 s0, s66, 3
	s_add_u32 s0, s34, s0
	s_addc_u32 s1, s35, 0
	s_add_u32 s0, s0, 0xc4
	s_addc_u32 s1, s1, 0
	s_mul_i32 s2, s66, 12
	s_add_u32 s2, s34, s2
	s_addc_u32 s3, s35, 0
.LBB175_277:                            ; =>This Inner Loop Header: Depth=1
	s_load_dwordx2 s[10:11], s[2:3], 0x4
	s_load_dword s9, s[2:3], 0xc
	s_load_dwordx2 s[12:13], s[0:1], 0x0
	s_add_u32 s2, s2, 12
	s_addc_u32 s3, s3, 0
	s_waitcnt vmcnt(0) lgkmcnt(0)
	v_mul_hi_u32 v3, s11, v1
	s_add_u32 s0, s0, 8
	s_addc_u32 s1, s1, 0
	s_add_i32 s8, s8, -1
	v_add_u32_e32 v3, v1, v3
	v_lshrrev_b32_e32 v4, s9, v3
	v_mul_lo_u32 v3, v4, s10
	s_cmp_lg_u32 s8, 0
	v_sub_u32_e32 v3, v1, v3
	v_mad_u64_u32 v[0:1], s[10:11], v3, s12, v[0:1]
	v_mad_u64_u32 v[2:3], s[10:11], v3, s13, v[2:3]
	v_mov_b32_e32 v1, v4
	s_cbranch_scc1 .LBB175_277
.LBB175_278:
	s_cbranch_execnz .LBB175_281
.LBB175_279:
	v_mul_hi_u32 v0, s29, v8
	s_andn2_b64 vcc, exec, s[48:49]
	v_add_u32_e32 v0, v8, v0
	v_lshrrev_b32_e32 v1, s30, v0
	v_mul_lo_u32 v0, v1, s28
	v_sub_u32_e32 v2, v8, v0
	v_mul_lo_u32 v0, v2, s36
	v_mul_lo_u32 v2, v2, s37
	s_cbranch_vccnz .LBB175_281
; %bb.280:
	s_waitcnt vmcnt(0)
	v_mul_hi_u32 v3, s46, v1
	v_add_u32_e32 v3, v1, v3
	v_lshrrev_b32_e32 v3, s47, v3
	v_mul_lo_u32 v3, v3, s31
	v_sub_u32_e32 v3, v1, v3
	v_mad_u64_u32 v[0:1], s[0:1], v3, s38, v[0:1]
	v_mad_u64_u32 v[2:3], s[0:1], v3, s39, v[2:3]
.LBB175_281:
	s_waitcnt vmcnt(0)
	v_mov_b32_e32 v3, s27
	s_and_b32 s10, 0xffff, s75
	v_add_co_u32_e32 v1, vcc, s26, v2
	s_cmp_lt_i32 s10, 11
	v_addc_co_u32_e32 v2, vcc, 0, v3, vcc
	s_cbranch_scc1 .LBB175_288
; %bb.282:
	s_cmp_gt_i32 s10, 25
	s_cbranch_scc0 .LBB175_297
; %bb.283:
	s_cmp_gt_i32 s10, 28
	s_cbranch_scc0 .LBB175_299
	;; [unrolled: 3-line block ×4, first 2 shown]
; %bb.286:
	s_cmp_eq_u32 s10, 46
	s_mov_b64 s[8:9], 0
	s_cbranch_scc0 .LBB175_309
; %bb.287:
	global_load_dword v3, v[1:2], off
	s_mov_b64 s[0:1], -1
	s_mov_b64 s[2:3], 0
	s_waitcnt vmcnt(0)
	v_lshlrev_b32_e32 v3, 16, v3
	v_cvt_i32_f32_e32 v3, v3
	s_branch .LBB175_310
.LBB175_288:
	s_mov_b64 s[0:1], 0
                                        ; implicit-def: $vgpr3
	s_mov_b64 s[2:3], s[56:57]
	s_cbranch_execnz .LBB175_483
.LBB175_289:
	s_andn2_b64 vcc, exec, s[0:1]
	s_cbranch_vccnz .LBB175_531
.LBB175_290:
	s_waitcnt vmcnt(0)
	v_min_u32_e32 v1, 31, v3
	v_mov_b32_e32 v2, s25
	s_and_b32 s14, s45, 0xff
	v_add_co_u32_e32 v3, vcc, s24, v0
	v_ashrrev_i32_e64 v1, v1, s44
	s_cmp_lt_i32 s14, 11
	v_addc_co_u32_e32 v4, vcc, 0, v2, vcc
	s_cbranch_scc1 .LBB175_298
; %bb.291:
	s_and_b32 s15, 0xffff, s14
	s_cmp_gt_i32 s15, 25
	s_cbranch_scc0 .LBB175_300
; %bb.292:
	s_cmp_gt_i32 s15, 28
	s_cbranch_scc0 .LBB175_302
; %bb.293:
	;; [unrolled: 3-line block ×4, first 2 shown]
	s_mov_b64 s[10:11], 0
	s_mov_b64 s[0:1], -1
	s_cmp_eq_u32 s15, 46
	s_mov_b64 s[8:9], 0
	s_cbranch_scc0 .LBB175_314
; %bb.296:
	v_cvt_f32_i32_e32 v0, v1
	s_movk_i32 s0, 0x7fff
	s_mov_b64 s[8:9], -1
	v_bfe_u32 v2, v0, 16, 1
	v_add3_u32 v0, v0, v2, s0
	v_lshrrev_b32_e32 v0, 16, v0
	global_store_dword v[3:4], v0, off
	s_mov_b64 s[0:1], 0
	s_branch .LBB175_314
.LBB175_297:
	s_mov_b64 s[8:9], -1
	s_mov_b64 s[0:1], 0
	s_mov_b64 s[2:3], s[56:57]
                                        ; implicit-def: $vgpr3
	s_branch .LBB175_449
.LBB175_298:
	s_mov_b64 s[10:11], -1
	s_mov_b64 s[8:9], 0
	s_mov_b64 s[0:1], s[54:55]
	s_branch .LBB175_383
.LBB175_299:
	s_mov_b64 s[8:9], -1
	s_mov_b64 s[0:1], 0
	s_mov_b64 s[2:3], s[56:57]
                                        ; implicit-def: $vgpr3
	s_branch .LBB175_432
.LBB175_300:
	s_mov_b64 s[10:11], -1
	s_mov_b64 s[8:9], 0
	s_mov_b64 s[0:1], s[54:55]
	s_branch .LBB175_341
.LBB175_301:
	s_mov_b64 s[8:9], -1
	s_mov_b64 s[0:1], 0
	s_mov_b64 s[2:3], s[56:57]
                                        ; implicit-def: $vgpr3
	s_branch .LBB175_427
.LBB175_302:
	s_mov_b64 s[10:11], -1
	s_mov_b64 s[8:9], 0
	s_mov_b64 s[0:1], s[54:55]
	s_branch .LBB175_324
.LBB175_303:
	s_andn2_saveexec_b64 s[12:13], s[12:13]
	s_cbranch_execz .LBB175_68
.LBB175_304:
	s_mov_b32 s16, 0x46000000
	v_add_f32_e64 v2, |v0|, s16
	v_and_b32_e32 v2, 0xff, v2
	v_cmp_ne_u32_e32 vcc, 0, v2
	s_andn2_b64 s[10:11], s[10:11], exec
	s_and_b64 s[16:17], vcc, exec
	s_or_b64 s[10:11], s[10:11], s[16:17]
	s_or_b64 exec, exec, s[12:13]
	v_mov_b32_e32 v5, 0
	s_and_saveexec_b64 s[12:13], s[10:11]
	s_cbranch_execnz .LBB175_69
	s_branch .LBB175_70
.LBB175_305:
	s_mov_b64 s[8:9], -1
	s_mov_b64 s[0:1], 0
	s_mov_b64 s[2:3], s[56:57]
                                        ; implicit-def: $vgpr3
	s_branch .LBB175_310
.LBB175_306:
	s_mov_b64 s[10:11], -1
	s_mov_b64 s[8:9], 0
	s_mov_b64 s[0:1], s[54:55]
	s_branch .LBB175_320
.LBB175_307:
	s_andn2_saveexec_b64 s[12:13], s[12:13]
	s_cbranch_execz .LBB175_81
.LBB175_308:
	s_mov_b32 s16, 0x42800000
	v_add_f32_e64 v2, |v0|, s16
	v_and_b32_e32 v2, 0xff, v2
	v_cmp_ne_u32_e32 vcc, 0, v2
	s_andn2_b64 s[10:11], s[10:11], exec
	s_and_b64 s[16:17], vcc, exec
	s_or_b64 s[10:11], s[10:11], s[16:17]
	s_or_b64 exec, exec, s[12:13]
	v_mov_b32_e32 v5, 0
	s_and_saveexec_b64 s[12:13], s[10:11]
	s_cbranch_execnz .LBB175_82
	s_branch .LBB175_83
.LBB175_309:
	s_mov_b64 s[2:3], -1
                                        ; implicit-def: $vgpr3
	s_mov_b64 s[0:1], 0
.LBB175_310:
	s_and_b64 vcc, exec, s[8:9]
	s_cbranch_vccz .LBB175_426
; %bb.311:
	s_cmp_eq_u32 s10, 44
	s_cbranch_scc0 .LBB175_425
; %bb.312:
	global_load_ubyte v3, v[1:2], off
	s_mov_b64 s[0:1], -1
	s_mov_b64 s[2:3], 0
	s_waitcnt vmcnt(0)
	v_lshlrev_b32_e32 v4, 23, v3
	v_cvt_i32_f32_e32 v4, v4
	v_cmp_ne_u32_e32 vcc, 0, v3
	v_cndmask_b32_e32 v3, 0, v4, vcc
	s_branch .LBB175_426
.LBB175_313:
	s_mov_b64 s[10:11], -1
	s_mov_b64 s[8:9], 0
	s_mov_b64 s[0:1], s[54:55]
.LBB175_314:
	s_and_b64 vcc, exec, s[10:11]
	s_cbranch_vccz .LBB175_319
; %bb.315:
	s_cmp_eq_u32 s15, 44
	s_mov_b64 s[0:1], -1
	s_cbranch_scc0 .LBB175_319
; %bb.316:
	v_cvt_f32_i32_e32 v0, v1
	s_movk_i32 s0, 0xff
	v_mov_b32_e32 v5, 0xff
	v_bfe_u32 v2, v0, 23, 8
	v_cmp_ne_u32_e32 vcc, s0, v2
	s_and_saveexec_b64 s[8:9], vcc
; %bb.317:
	s_mov_b32 s0, 0x3fffff
	v_lshrrev_b32_e32 v5, 23, v0
	v_and_b32_e32 v6, 0x400000, v0
	v_and_or_b32 v0, v0, s0, v2
	v_cmp_ne_u32_e32 vcc, 0, v6
	v_cmp_ne_u32_e64 s[0:1], 0, v0
	s_and_b64 s[0:1], vcc, s[0:1]
	v_cndmask_b32_e64 v0, 0, 1, s[0:1]
	v_add_u32_e32 v5, v5, v0
; %bb.318:
	s_or_b64 exec, exec, s[8:9]
	s_mov_b64 s[8:9], -1
	s_mov_b64 s[0:1], 0
	global_store_byte v[3:4], v5, off
.LBB175_319:
	s_mov_b64 s[10:11], 0
.LBB175_320:
	s_and_b64 vcc, exec, s[10:11]
	s_cbranch_vccz .LBB175_323
; %bb.321:
	s_cmp_eq_u32 s15, 29
	s_mov_b64 s[0:1], -1
	s_cbranch_scc0 .LBB175_323
; %bb.322:
	v_ashrrev_i32_e32 v2, 31, v1
	global_store_dwordx2 v[3:4], v[1:2], off
	s_mov_b64 s[8:9], -1
	s_mov_b64 s[0:1], 0
.LBB175_323:
	s_mov_b64 s[10:11], 0
.LBB175_324:
	s_and_b64 vcc, exec, s[10:11]
	s_cbranch_vccz .LBB175_340
; %bb.325:
	s_cmp_lt_i32 s15, 27
	s_mov_b64 s[8:9], -1
	s_cbranch_scc1 .LBB175_331
; %bb.326:
	s_cmp_gt_i32 s15, 27
	s_cbranch_scc0 .LBB175_328
; %bb.327:
	s_mov_b64 s[8:9], 0
	global_store_dword v[3:4], v1, off
.LBB175_328:
	s_andn2_b64 vcc, exec, s[8:9]
	s_cbranch_vccnz .LBB175_330
; %bb.329:
	global_store_short v[3:4], v1, off
.LBB175_330:
	s_mov_b64 s[8:9], 0
.LBB175_331:
	s_andn2_b64 vcc, exec, s[8:9]
	s_cbranch_vccnz .LBB175_339
; %bb.332:
	v_cvt_f32_i32_e32 v0, v1
	s_mov_b32 s8, 0x43800000
	v_mov_b32_e32 v5, 0x80
	v_and_b32_e32 v2, 0x7fffffff, v0
	v_cmp_gt_u32_e32 vcc, s8, v2
	s_and_saveexec_b64 s[8:9], vcc
	s_cbranch_execz .LBB175_338
; %bb.333:
	s_mov_b32 s10, 0x3bffffff
	v_cmp_lt_u32_e32 vcc, s10, v2
	s_mov_b64 s[10:11], 0
                                        ; implicit-def: $vgpr2
	s_and_saveexec_b64 s[12:13], vcc
	s_xor_b64 s[12:13], exec, s[12:13]
	s_cbranch_execz .LBB175_562
; %bb.334:
	v_bfe_u32 v2, v0, 20, 1
	s_mov_b32 s16, 0x487ffff
	v_add3_u32 v2, v0, v2, s16
	s_mov_b64 s[10:11], exec
	v_lshrrev_b32_e32 v2, 20, v2
	s_andn2_saveexec_b64 s[12:13], s[12:13]
	s_cbranch_execnz .LBB175_563
.LBB175_335:
	s_or_b64 exec, exec, s[12:13]
	v_mov_b32_e32 v5, 0
	s_and_saveexec_b64 s[12:13], s[10:11]
.LBB175_336:
	v_lshrrev_b32_e32 v0, 24, v0
	s_movk_i32 s10, 0x80
	v_and_or_b32 v5, v0, s10, v2
.LBB175_337:
	s_or_b64 exec, exec, s[12:13]
.LBB175_338:
	s_or_b64 exec, exec, s[8:9]
	global_store_byte v[3:4], v5, off
.LBB175_339:
	s_mov_b64 s[8:9], -1
.LBB175_340:
	s_mov_b64 s[10:11], 0
.LBB175_341:
	s_and_b64 vcc, exec, s[10:11]
	s_cbranch_vccz .LBB175_382
; %bb.342:
	s_cmp_gt_i32 s15, 22
	s_mov_b64 s[10:11], -1
	s_cbranch_scc0 .LBB175_374
; %bb.343:
	s_cmp_lt_i32 s15, 24
	s_mov_b64 s[8:9], -1
	s_cbranch_scc1 .LBB175_363
; %bb.344:
	s_cmp_gt_i32 s15, 24
	s_cbranch_scc0 .LBB175_352
; %bb.345:
	v_cvt_f32_i32_e32 v0, v1
	s_mov_b32 s8, 0x47800000
	v_mov_b32_e32 v5, 0x80
	v_and_b32_e32 v2, 0x7fffffff, v0
	v_cmp_gt_u32_e32 vcc, s8, v2
	s_and_saveexec_b64 s[8:9], vcc
	s_cbranch_execz .LBB175_351
; %bb.346:
	s_mov_b32 s10, 0x37ffffff
	v_cmp_lt_u32_e32 vcc, s10, v2
	s_mov_b64 s[10:11], 0
                                        ; implicit-def: $vgpr2
	s_and_saveexec_b64 s[12:13], vcc
	s_xor_b64 s[12:13], exec, s[12:13]
	s_cbranch_execz .LBB175_565
; %bb.347:
	v_bfe_u32 v2, v0, 21, 1
	s_mov_b32 s16, 0x88fffff
	v_add3_u32 v2, v0, v2, s16
	s_mov_b64 s[10:11], exec
	v_lshrrev_b32_e32 v2, 21, v2
	s_andn2_saveexec_b64 s[12:13], s[12:13]
	s_cbranch_execnz .LBB175_566
.LBB175_348:
	s_or_b64 exec, exec, s[12:13]
	v_mov_b32_e32 v5, 0
	s_and_saveexec_b64 s[12:13], s[10:11]
.LBB175_349:
	v_lshrrev_b32_e32 v0, 24, v0
	s_movk_i32 s10, 0x80
	v_and_or_b32 v5, v0, s10, v2
.LBB175_350:
	s_or_b64 exec, exec, s[12:13]
.LBB175_351:
	s_or_b64 exec, exec, s[8:9]
	s_mov_b64 s[8:9], 0
	global_store_byte v[3:4], v5, off
.LBB175_352:
	s_and_b64 vcc, exec, s[8:9]
	s_cbranch_vccz .LBB175_362
; %bb.353:
	v_cvt_f32_i32_e32 v0, v1
	s_mov_b32 s8, 0x43f00000
                                        ; implicit-def: $vgpr2
	v_and_b32_e32 v5, 0x7fffffff, v0
	v_cmp_gt_u32_e32 vcc, s8, v5
	s_and_saveexec_b64 s[8:9], vcc
	s_xor_b64 s[8:9], exec, s[8:9]
	s_cbranch_execz .LBB175_359
; %bb.354:
	s_mov_b32 s10, 0x3c7fffff
	v_cmp_lt_u32_e32 vcc, s10, v5
                                        ; implicit-def: $vgpr2
	s_and_saveexec_b64 s[10:11], vcc
	s_xor_b64 s[10:11], exec, s[10:11]
; %bb.355:
	v_bfe_u32 v2, v0, 20, 1
	s_mov_b32 s12, 0x407ffff
	v_add3_u32 v2, v0, v2, s12
	v_lshrrev_b32_e32 v5, 20, v2
	v_and_b32_e32 v2, 0xff00000, v2
	s_mov_b32 s12, 0x7f00000
	v_mov_b32_e32 v6, 0x7e
	v_cmp_ne_u32_e32 vcc, s12, v2
	v_cndmask_b32_e32 v2, v6, v5, vcc
; %bb.356:
	s_andn2_saveexec_b64 s[10:11], s[10:11]
; %bb.357:
	s_mov_b32 s12, 0x46800000
	v_add_f32_e64 v2, |v0|, s12
; %bb.358:
	s_or_b64 exec, exec, s[10:11]
                                        ; implicit-def: $vgpr5
.LBB175_359:
	s_andn2_saveexec_b64 s[8:9], s[8:9]
; %bb.360:
	s_mov_b32 s10, 0x7f800000
	v_mov_b32_e32 v2, 0x7e
	v_mov_b32_e32 v6, 0x7f
	v_cmp_lt_u32_e32 vcc, s10, v5
	v_cndmask_b32_e32 v2, v2, v6, vcc
; %bb.361:
	s_or_b64 exec, exec, s[8:9]
	v_lshrrev_b32_e32 v0, 24, v0
	s_movk_i32 s8, 0x80
	v_and_or_b32 v0, v0, s8, v2
	global_store_byte v[3:4], v0, off
.LBB175_362:
	s_mov_b64 s[8:9], 0
.LBB175_363:
	s_andn2_b64 vcc, exec, s[8:9]
	s_cbranch_vccnz .LBB175_373
; %bb.364:
	v_cvt_f32_i32_e32 v0, v1
	s_mov_b32 s8, 0x47800000
                                        ; implicit-def: $vgpr2
	v_and_b32_e32 v5, 0x7fffffff, v0
	v_cmp_gt_u32_e32 vcc, s8, v5
	s_and_saveexec_b64 s[8:9], vcc
	s_xor_b64 s[8:9], exec, s[8:9]
	s_cbranch_execz .LBB175_370
; %bb.365:
	s_mov_b32 s10, 0x387fffff
	v_cmp_lt_u32_e32 vcc, s10, v5
                                        ; implicit-def: $vgpr2
	s_and_saveexec_b64 s[10:11], vcc
	s_xor_b64 s[10:11], exec, s[10:11]
; %bb.366:
	v_bfe_u32 v2, v0, 21, 1
	s_mov_b32 s12, 0x80fffff
	v_add3_u32 v2, v0, v2, s12
	v_lshrrev_b32_e32 v2, 21, v2
; %bb.367:
	s_andn2_saveexec_b64 s[10:11], s[10:11]
; %bb.368:
	s_mov_b32 s12, 0x43000000
	v_add_f32_e64 v2, |v0|, s12
; %bb.369:
	s_or_b64 exec, exec, s[10:11]
                                        ; implicit-def: $vgpr5
.LBB175_370:
	s_andn2_saveexec_b64 s[8:9], s[8:9]
; %bb.371:
	s_mov_b32 s10, 0x7f800000
	v_mov_b32_e32 v2, 0x7c
	v_mov_b32_e32 v6, 0x7f
	v_cmp_lt_u32_e32 vcc, s10, v5
	v_cndmask_b32_e32 v2, v2, v6, vcc
; %bb.372:
	s_or_b64 exec, exec, s[8:9]
	v_lshrrev_b32_e32 v0, 24, v0
	s_movk_i32 s8, 0x80
	v_and_or_b32 v0, v0, s8, v2
	global_store_byte v[3:4], v0, off
.LBB175_373:
	s_mov_b64 s[10:11], 0
	s_mov_b64 s[8:9], -1
.LBB175_374:
	s_andn2_b64 vcc, exec, s[10:11]
	s_cbranch_vccnz .LBB175_382
; %bb.375:
	s_cmp_gt_i32 s15, 14
	s_mov_b64 s[10:11], -1
	s_cbranch_scc0 .LBB175_379
; %bb.376:
	s_cmp_eq_u32 s15, 15
	s_mov_b64 s[0:1], -1
	s_cbranch_scc0 .LBB175_378
; %bb.377:
	v_cvt_f32_i32_e32 v0, v1
	s_movk_i32 s0, 0x7fff
	s_mov_b64 s[8:9], -1
	v_bfe_u32 v2, v0, 16, 1
	v_add3_u32 v0, v0, v2, s0
	global_store_short_d16_hi v[3:4], v0, off
	s_mov_b64 s[0:1], 0
.LBB175_378:
	s_mov_b64 s[10:11], 0
.LBB175_379:
	s_and_b64 vcc, exec, s[10:11]
	s_cbranch_vccz .LBB175_382
; %bb.380:
	s_cmp_eq_u32 s15, 11
	s_mov_b64 s[0:1], -1
	s_cbranch_scc0 .LBB175_382
; %bb.381:
	v_cmp_ne_u32_e32 vcc, 0, v1
	v_cndmask_b32_e64 v0, 0, 1, vcc
	s_mov_b64 s[8:9], -1
	s_mov_b64 s[0:1], 0
	global_store_byte v[3:4], v0, off
.LBB175_382:
	s_mov_b64 s[10:11], 0
.LBB175_383:
	s_and_b64 vcc, exec, s[10:11]
	s_cbranch_vccz .LBB175_422
; %bb.384:
	s_and_b32 s10, 0xffff, s14
	s_cmp_lt_i32 s10, 5
	s_mov_b64 s[8:9], -1
	s_cbranch_scc1 .LBB175_405
; %bb.385:
	s_cmp_lt_i32 s10, 8
	s_cbranch_scc1 .LBB175_395
; %bb.386:
	s_cmp_lt_i32 s10, 9
	s_cbranch_scc1 .LBB175_392
; %bb.387:
	s_cmp_gt_i32 s10, 9
	s_cbranch_scc0 .LBB175_389
; %bb.388:
	v_cvt_f64_i32_e32 v[9:10], v1
	v_mov_b32_e32 v11, 0
	v_mov_b32_e32 v12, v11
	s_mov_b64 s[8:9], 0
	global_store_dwordx4 v[3:4], v[9:12], off
.LBB175_389:
	s_andn2_b64 vcc, exec, s[8:9]
	s_cbranch_vccnz .LBB175_391
; %bb.390:
	v_cvt_f32_i32_e32 v5, v1
	v_mov_b32_e32 v6, 0
	global_store_dwordx2 v[3:4], v[5:6], off
.LBB175_391:
	s_mov_b64 s[8:9], 0
.LBB175_392:
	s_andn2_b64 vcc, exec, s[8:9]
	s_cbranch_vccnz .LBB175_394
; %bb.393:
	v_cvt_f32_i32_e32 v0, v1
	v_cvt_f16_f32_e32 v0, v0
	global_store_dword v[3:4], v0, off
.LBB175_394:
	s_mov_b64 s[8:9], 0
.LBB175_395:
	s_andn2_b64 vcc, exec, s[8:9]
	s_cbranch_vccnz .LBB175_404
; %bb.396:
	s_cmp_lt_i32 s10, 6
	s_mov_b64 s[8:9], -1
	s_cbranch_scc1 .LBB175_402
; %bb.397:
	s_cmp_gt_i32 s10, 6
	s_cbranch_scc0 .LBB175_399
; %bb.398:
	v_cvt_f64_i32_e32 v[5:6], v1
	s_mov_b64 s[8:9], 0
	global_store_dwordx2 v[3:4], v[5:6], off
.LBB175_399:
	s_andn2_b64 vcc, exec, s[8:9]
	s_cbranch_vccnz .LBB175_401
; %bb.400:
	v_cvt_f32_i32_e32 v0, v1
	global_store_dword v[3:4], v0, off
.LBB175_401:
	s_mov_b64 s[8:9], 0
.LBB175_402:
	s_andn2_b64 vcc, exec, s[8:9]
	s_cbranch_vccnz .LBB175_404
; %bb.403:
	v_cvt_f32_i32_e32 v0, v1
	v_cvt_f16_f32_e32 v0, v0
	global_store_short v[3:4], v0, off
.LBB175_404:
	s_mov_b64 s[8:9], 0
.LBB175_405:
	s_andn2_b64 vcc, exec, s[8:9]
	s_cbranch_vccnz .LBB175_421
; %bb.406:
	s_cmp_lt_i32 s10, 2
	s_mov_b64 s[8:9], -1
	s_cbranch_scc1 .LBB175_416
; %bb.407:
	s_cmp_lt_i32 s10, 3
	s_cbranch_scc1 .LBB175_413
; %bb.408:
	s_cmp_gt_i32 s10, 3
	s_cbranch_scc0 .LBB175_410
; %bb.409:
	v_ashrrev_i32_e32 v2, 31, v1
	s_mov_b64 s[8:9], 0
	global_store_dwordx2 v[3:4], v[1:2], off
.LBB175_410:
	s_andn2_b64 vcc, exec, s[8:9]
	s_cbranch_vccnz .LBB175_412
; %bb.411:
	global_store_dword v[3:4], v1, off
.LBB175_412:
	s_mov_b64 s[8:9], 0
.LBB175_413:
	s_andn2_b64 vcc, exec, s[8:9]
	s_cbranch_vccnz .LBB175_415
; %bb.414:
	global_store_short v[3:4], v1, off
.LBB175_415:
	s_mov_b64 s[8:9], 0
.LBB175_416:
	s_andn2_b64 vcc, exec, s[8:9]
	s_cbranch_vccnz .LBB175_421
; %bb.417:
	s_cmp_gt_i32 s10, 0
	s_mov_b64 s[8:9], -1
	s_cbranch_scc0 .LBB175_419
; %bb.418:
	s_mov_b64 s[8:9], 0
	global_store_byte v[3:4], v1, off
.LBB175_419:
	s_andn2_b64 vcc, exec, s[8:9]
	s_cbranch_vccnz .LBB175_421
; %bb.420:
	global_store_byte v[3:4], v1, off
.LBB175_421:
	s_mov_b64 s[8:9], -1
.LBB175_422:
	s_andn2_b64 vcc, exec, s[8:9]
	s_cbranch_vccnz .LBB175_424
; %bb.423:
	v_add_u32_e32 v8, 0x80, v8
	s_mov_b64 s[8:9], -1
	s_branch .LBB175_533
.LBB175_424:
	s_mov_b64 s[8:9], 0
	s_branch .LBB175_532
.LBB175_425:
	s_mov_b64 s[2:3], -1
                                        ; implicit-def: $vgpr3
.LBB175_426:
	s_mov_b64 s[8:9], 0
.LBB175_427:
	s_and_b64 vcc, exec, s[8:9]
	s_cbranch_vccz .LBB175_431
; %bb.428:
	s_cmp_eq_u32 s10, 29
	s_cbranch_scc0 .LBB175_430
; %bb.429:
	global_load_dword v3, v[1:2], off
	s_mov_b64 s[0:1], -1
	s_mov_b64 s[2:3], 0
	s_branch .LBB175_431
.LBB175_430:
	s_mov_b64 s[2:3], -1
                                        ; implicit-def: $vgpr3
.LBB175_431:
	s_mov_b64 s[8:9], 0
.LBB175_432:
	s_and_b64 vcc, exec, s[8:9]
	s_cbranch_vccz .LBB175_448
; %bb.433:
	s_cmp_lt_i32 s10, 27
	s_cbranch_scc1 .LBB175_436
; %bb.434:
	s_cmp_gt_i32 s10, 27
	s_cbranch_scc0 .LBB175_437
; %bb.435:
	global_load_dword v3, v[1:2], off
	s_mov_b64 s[0:1], 0
	s_branch .LBB175_438
.LBB175_436:
	s_mov_b64 s[0:1], -1
                                        ; implicit-def: $vgpr3
	s_branch .LBB175_441
.LBB175_437:
	s_mov_b64 s[0:1], -1
                                        ; implicit-def: $vgpr3
.LBB175_438:
	s_andn2_b64 vcc, exec, s[0:1]
	s_cbranch_vccnz .LBB175_440
; %bb.439:
	global_load_ushort v3, v[1:2], off
.LBB175_440:
	s_mov_b64 s[0:1], 0
.LBB175_441:
	s_andn2_b64 vcc, exec, s[0:1]
	s_cbranch_vccnz .LBB175_447
; %bb.442:
	global_load_ubyte v4, v[1:2], off
	s_movk_i32 s0, 0x7f
	s_mov_b64 s[8:9], 0
	s_waitcnt vmcnt(0)
	v_cmp_lt_i16_e32 vcc, s0, v4
	s_and_saveexec_b64 s[0:1], vcc
	s_xor_b64 s[0:1], exec, s[0:1]
	s_cbranch_execz .LBB175_459
; %bb.443:
	s_movk_i32 s8, 0x80
	v_cmp_ne_u16_e32 vcc, s8, v4
	s_and_b64 s[8:9], vcc, exec
	s_andn2_saveexec_b64 s[0:1], s[0:1]
	s_cbranch_execnz .LBB175_460
.LBB175_444:
	s_or_b64 exec, exec, s[0:1]
	v_mov_b32_e32 v3, 0
	s_and_saveexec_b64 s[0:1], s[8:9]
	s_cbranch_execz .LBB175_446
.LBB175_445:
	v_lshlrev_b32_e32 v3, 24, v4
	v_and_b32_e32 v4, 0xffff, v4
	v_and_b32_e32 v5, 7, v4
	v_ffbh_u32_e32 v7, v5
	v_min_u32_e32 v7, 32, v7
	v_subrev_u32_e32 v9, 28, v7
	v_bfe_u32 v6, v4, 3, 4
	v_lshlrev_b32_e32 v4, v9, v4
	v_sub_u32_e32 v7, 29, v7
	v_and_b32_e32 v4, 7, v4
	v_cmp_eq_u32_e32 vcc, 0, v6
	v_cndmask_b32_e32 v6, v6, v7, vcc
	v_cndmask_b32_e32 v4, v5, v4, vcc
	v_mov_b32_e32 v5, 0x3b800000
	v_lshlrev_b32_e32 v4, 20, v4
	v_and_b32_e32 v3, 0x80000000, v3
	v_lshl_add_u32 v5, v6, 23, v5
	v_or3_b32 v3, v3, v5, v4
	v_cvt_i32_f32_e32 v3, v3
.LBB175_446:
	s_or_b64 exec, exec, s[0:1]
.LBB175_447:
	s_mov_b64 s[0:1], -1
.LBB175_448:
	s_mov_b64 s[8:9], 0
.LBB175_449:
	s_and_b64 vcc, exec, s[8:9]
	s_cbranch_vccz .LBB175_482
; %bb.450:
	s_cmp_gt_i32 s10, 22
	s_cbranch_scc0 .LBB175_458
; %bb.451:
	s_cmp_lt_i32 s10, 24
	s_cbranch_scc1 .LBB175_461
; %bb.452:
	s_cmp_gt_i32 s10, 24
	s_cbranch_scc0 .LBB175_462
; %bb.453:
	global_load_ubyte v4, v[1:2], off
	s_movk_i32 s0, 0x7f
	s_mov_b64 s[8:9], 0
	s_waitcnt vmcnt(0)
	v_cmp_lt_i16_e32 vcc, s0, v4
	s_and_saveexec_b64 s[0:1], vcc
	s_xor_b64 s[0:1], exec, s[0:1]
	s_cbranch_execz .LBB175_474
; %bb.454:
	s_movk_i32 s8, 0x80
	v_cmp_ne_u16_e32 vcc, s8, v4
	s_and_b64 s[8:9], vcc, exec
	s_andn2_saveexec_b64 s[0:1], s[0:1]
	s_cbranch_execnz .LBB175_475
.LBB175_455:
	s_or_b64 exec, exec, s[0:1]
	v_mov_b32_e32 v3, 0
	s_and_saveexec_b64 s[0:1], s[8:9]
	s_cbranch_execz .LBB175_457
.LBB175_456:
	v_lshlrev_b32_e32 v3, 24, v4
	v_and_b32_e32 v4, 0xffff, v4
	v_and_b32_e32 v5, 3, v4
	v_ffbh_u32_e32 v7, v5
	v_min_u32_e32 v7, 32, v7
	v_subrev_u32_e32 v9, 29, v7
	v_bfe_u32 v6, v4, 2, 5
	v_lshlrev_b32_e32 v4, v9, v4
	v_sub_u32_e32 v7, 30, v7
	v_and_b32_e32 v4, 3, v4
	v_cmp_eq_u32_e32 vcc, 0, v6
	v_cndmask_b32_e32 v6, v6, v7, vcc
	v_cndmask_b32_e32 v4, v5, v4, vcc
	v_mov_b32_e32 v5, 0x37800000
	v_lshlrev_b32_e32 v4, 21, v4
	v_and_b32_e32 v3, 0x80000000, v3
	v_lshl_add_u32 v5, v6, 23, v5
	v_or3_b32 v3, v3, v5, v4
	v_cvt_i32_f32_e32 v3, v3
.LBB175_457:
	s_or_b64 exec, exec, s[0:1]
	s_mov_b64 s[0:1], 0
	s_branch .LBB175_463
.LBB175_458:
	s_mov_b64 s[8:9], -1
                                        ; implicit-def: $vgpr3
	s_branch .LBB175_469
.LBB175_459:
	s_andn2_saveexec_b64 s[0:1], s[0:1]
	s_cbranch_execz .LBB175_444
.LBB175_460:
	v_cmp_ne_u16_e32 vcc, 0, v4
	s_andn2_b64 s[8:9], s[8:9], exec
	s_and_b64 s[12:13], vcc, exec
	s_or_b64 s[8:9], s[8:9], s[12:13]
	s_or_b64 exec, exec, s[0:1]
	v_mov_b32_e32 v3, 0
	s_and_saveexec_b64 s[0:1], s[8:9]
	s_cbranch_execnz .LBB175_445
	s_branch .LBB175_446
.LBB175_461:
	s_mov_b64 s[0:1], -1
                                        ; implicit-def: $vgpr3
	s_branch .LBB175_466
.LBB175_462:
	s_mov_b64 s[0:1], -1
                                        ; implicit-def: $vgpr3
.LBB175_463:
	s_and_b64 vcc, exec, s[0:1]
	s_cbranch_vccz .LBB175_465
; %bb.464:
	global_load_ubyte v3, v[1:2], off
	s_mov_b32 s0, 0x7f800000
	s_waitcnt vmcnt(0)
	v_lshlrev_b32_e32 v3, 24, v3
	v_and_b32_e32 v4, 0x7f000000, v3
	v_ffbh_u32_e32 v5, v4
	v_min_u32_e32 v5, 32, v5
	v_sub_u32_e64 v5, v5, 4 clamp
	v_lshlrev_b32_e32 v7, v5, v4
	v_lshlrev_b32_e32 v5, 23, v5
	v_lshrrev_b32_e32 v7, 4, v7
	v_add_u32_e32 v6, 0x1000000, v4
	v_sub_u32_e32 v5, v7, v5
	v_ashrrev_i32_e32 v6, 8, v6
	v_add_u32_e32 v5, 0x3c000000, v5
	v_and_or_b32 v5, v6, s0, v5
	v_cmp_ne_u32_e32 vcc, 0, v4
	v_cndmask_b32_e32 v4, 0, v5, vcc
	s_brev_b32 s0, 1
	v_and_or_b32 v3, v3, s0, v4
	v_cvt_i32_f32_e32 v3, v3
.LBB175_465:
	s_mov_b64 s[0:1], 0
.LBB175_466:
	s_andn2_b64 vcc, exec, s[0:1]
	s_cbranch_vccnz .LBB175_468
; %bb.467:
	global_load_ubyte v3, v[1:2], off
	s_movk_i32 s0, 0x7f00
	s_brev_b32 s1, 16
	s_waitcnt vmcnt(0)
	v_lshlrev_b16_e32 v4, 8, v3
	v_lshlrev_b32_e32 v3, 25, v3
	v_lshrrev_b32_e32 v5, 4, v3
	v_and_or_b32 v6, v4, s0, 0.5
	v_or_b32_e32 v5, 0x70000000, v5
	v_add_f32_e32 v6, -0.5, v6
	v_mul_f32_e32 v5, 0x7800000, v5
	v_cmp_gt_u32_e32 vcc, s1, v3
	v_bfe_i32 v4, v4, 0, 16
	v_cndmask_b32_e32 v3, v5, v6, vcc
	s_brev_b32 s0, 1
	v_and_or_b32 v3, v4, s0, v3
	v_cvt_i32_f32_e32 v3, v3
.LBB175_468:
	s_mov_b64 s[8:9], 0
	s_mov_b64 s[0:1], -1
.LBB175_469:
	s_andn2_b64 vcc, exec, s[8:9]
	s_cbranch_vccnz .LBB175_482
; %bb.470:
	s_cmp_gt_i32 s10, 14
	s_cbranch_scc0 .LBB175_473
; %bb.471:
	s_cmp_eq_u32 s10, 15
	s_cbranch_scc0 .LBB175_476
; %bb.472:
	global_load_ushort v3, v[1:2], off
	s_mov_b64 s[0:1], -1
	s_mov_b64 s[2:3], 0
	s_waitcnt vmcnt(0)
	v_lshlrev_b32_e32 v3, 16, v3
	v_cvt_i32_f32_e32 v3, v3
	s_branch .LBB175_477
.LBB175_473:
	s_mov_b64 s[8:9], -1
                                        ; implicit-def: $vgpr3
	s_branch .LBB175_478
.LBB175_474:
	s_andn2_saveexec_b64 s[0:1], s[0:1]
	s_cbranch_execz .LBB175_455
.LBB175_475:
	v_cmp_ne_u16_e32 vcc, 0, v4
	s_andn2_b64 s[8:9], s[8:9], exec
	s_and_b64 s[12:13], vcc, exec
	s_or_b64 s[8:9], s[8:9], s[12:13]
	s_or_b64 exec, exec, s[0:1]
	v_mov_b32_e32 v3, 0
	s_and_saveexec_b64 s[0:1], s[8:9]
	s_cbranch_execnz .LBB175_456
	s_branch .LBB175_457
.LBB175_476:
	s_mov_b64 s[2:3], -1
                                        ; implicit-def: $vgpr3
.LBB175_477:
	s_mov_b64 s[8:9], 0
.LBB175_478:
	s_and_b64 vcc, exec, s[8:9]
	s_cbranch_vccz .LBB175_482
; %bb.479:
	s_cmp_eq_u32 s10, 11
	s_cbranch_scc0 .LBB175_481
; %bb.480:
	global_load_ubyte v3, v[1:2], off
	s_mov_b64 s[0:1], -1
	s_mov_b64 s[2:3], 0
	s_waitcnt vmcnt(0)
	v_cmp_ne_u16_e32 vcc, 0, v3
	v_cndmask_b32_e64 v3, 0, 1, vcc
	s_branch .LBB175_482
.LBB175_481:
	s_mov_b64 s[2:3], -1
                                        ; implicit-def: $vgpr3
.LBB175_482:
	s_branch .LBB175_289
.LBB175_483:
	s_cmp_lt_i32 s10, 5
	s_cbranch_scc1 .LBB175_488
; %bb.484:
	s_cmp_lt_i32 s10, 8
	s_cbranch_scc1 .LBB175_489
; %bb.485:
	;; [unrolled: 3-line block ×3, first 2 shown]
	s_cmp_gt_i32 s10, 9
	s_cbranch_scc0 .LBB175_491
; %bb.487:
	global_load_dwordx2 v[3:4], v[1:2], off
	s_mov_b64 s[0:1], 0
	s_waitcnt vmcnt(0)
	v_cvt_i32_f64_e32 v3, v[3:4]
	s_branch .LBB175_492
.LBB175_488:
	s_mov_b64 s[0:1], -1
                                        ; implicit-def: $vgpr3
	s_branch .LBB175_510
.LBB175_489:
	s_mov_b64 s[0:1], -1
                                        ; implicit-def: $vgpr3
	s_branch .LBB175_498
.LBB175_490:
	s_mov_b64 s[0:1], -1
                                        ; implicit-def: $vgpr3
	s_branch .LBB175_495
.LBB175_491:
	s_mov_b64 s[0:1], -1
                                        ; implicit-def: $vgpr3
.LBB175_492:
	s_andn2_b64 vcc, exec, s[0:1]
	s_cbranch_vccnz .LBB175_494
; %bb.493:
	global_load_dword v3, v[1:2], off
	s_waitcnt vmcnt(0)
	v_cvt_i32_f32_e32 v3, v3
.LBB175_494:
	s_mov_b64 s[0:1], 0
.LBB175_495:
	s_andn2_b64 vcc, exec, s[0:1]
	s_cbranch_vccnz .LBB175_497
; %bb.496:
	global_load_dword v3, v[1:2], off
	s_waitcnt vmcnt(0)
	v_cvt_f32_f16_e32 v3, v3
	v_cvt_i32_f32_e32 v3, v3
.LBB175_497:
	s_mov_b64 s[0:1], 0
.LBB175_498:
	s_andn2_b64 vcc, exec, s[0:1]
	s_cbranch_vccnz .LBB175_509
; %bb.499:
	s_cmp_lt_i32 s10, 6
	s_cbranch_scc1 .LBB175_502
; %bb.500:
	s_cmp_gt_i32 s10, 6
	s_cbranch_scc0 .LBB175_503
; %bb.501:
	global_load_dwordx2 v[3:4], v[1:2], off
	s_mov_b64 s[0:1], 0
	s_waitcnt vmcnt(0)
	v_cvt_i32_f64_e32 v3, v[3:4]
	s_branch .LBB175_504
.LBB175_502:
	s_mov_b64 s[0:1], -1
                                        ; implicit-def: $vgpr3
	s_branch .LBB175_507
.LBB175_503:
	s_mov_b64 s[0:1], -1
                                        ; implicit-def: $vgpr3
.LBB175_504:
	s_andn2_b64 vcc, exec, s[0:1]
	s_cbranch_vccnz .LBB175_506
; %bb.505:
	global_load_dword v3, v[1:2], off
	s_waitcnt vmcnt(0)
	v_cvt_i32_f32_e32 v3, v3
.LBB175_506:
	s_mov_b64 s[0:1], 0
.LBB175_507:
	s_andn2_b64 vcc, exec, s[0:1]
	s_cbranch_vccnz .LBB175_509
; %bb.508:
	global_load_ushort v3, v[1:2], off
	s_waitcnt vmcnt(0)
	v_cvt_f32_f16_e32 v3, v3
	v_cvt_i32_f32_e32 v3, v3
.LBB175_509:
	s_mov_b64 s[0:1], 0
.LBB175_510:
	s_andn2_b64 vcc, exec, s[0:1]
	s_cbranch_vccnz .LBB175_530
; %bb.511:
	s_cmp_lt_i32 s10, 2
	s_cbranch_scc1 .LBB175_515
; %bb.512:
	s_cmp_lt_i32 s10, 3
	s_cbranch_scc1 .LBB175_516
; %bb.513:
	s_cmp_gt_i32 s10, 3
	s_cbranch_scc0 .LBB175_517
; %bb.514:
	global_load_dword v3, v[1:2], off
	s_mov_b64 s[0:1], 0
	s_branch .LBB175_518
.LBB175_515:
	s_mov_b64 s[0:1], -1
                                        ; implicit-def: $vgpr3
	s_branch .LBB175_524
.LBB175_516:
	s_mov_b64 s[0:1], -1
                                        ; implicit-def: $vgpr3
	s_branch .LBB175_521
.LBB175_517:
	s_mov_b64 s[0:1], -1
                                        ; implicit-def: $vgpr3
.LBB175_518:
	s_andn2_b64 vcc, exec, s[0:1]
	s_cbranch_vccnz .LBB175_520
; %bb.519:
	global_load_dword v3, v[1:2], off
.LBB175_520:
	s_mov_b64 s[0:1], 0
.LBB175_521:
	s_andn2_b64 vcc, exec, s[0:1]
	s_cbranch_vccnz .LBB175_523
; %bb.522:
	global_load_sshort v3, v[1:2], off
.LBB175_523:
	s_mov_b64 s[0:1], 0
.LBB175_524:
	s_andn2_b64 vcc, exec, s[0:1]
	s_cbranch_vccnz .LBB175_530
; %bb.525:
	s_cmp_gt_i32 s10, 0
	s_cbranch_scc0 .LBB175_527
; %bb.526:
	global_load_sbyte v3, v[1:2], off
	s_mov_b64 s[0:1], 0
	s_branch .LBB175_528
.LBB175_527:
	s_mov_b64 s[0:1], -1
                                        ; implicit-def: $vgpr3
.LBB175_528:
	s_andn2_b64 vcc, exec, s[0:1]
	s_cbranch_vccnz .LBB175_530
; %bb.529:
	global_load_ubyte v3, v[1:2], off
.LBB175_530:
	s_branch .LBB175_290
.LBB175_531:
	s_mov_b64 s[8:9], 0
	s_mov_b64 s[0:1], s[54:55]
.LBB175_532:
                                        ; implicit-def: $vgpr8
.LBB175_533:
	s_andn2_b64 s[10:11], s[54:55], exec
	s_and_b64 s[0:1], s[0:1], exec
	s_or_b64 s[62:63], s[10:11], s[0:1]
	s_andn2_b64 s[0:1], s[56:57], exec
	s_and_b64 s[2:3], s[2:3], exec
	s_or_b64 s[60:61], s[0:1], s[2:3]
	s_orn2_b64 s[0:1], s[8:9], exec
.LBB175_534:
	s_or_b64 exec, exec, s[64:65]
	s_mov_b64 s[2:3], 0
	s_mov_b64 s[8:9], 0
	;; [unrolled: 1-line block ×3, first 2 shown]
                                        ; implicit-def: $vgpr1_vgpr2
                                        ; implicit-def: $vgpr0
                                        ; implicit-def: $vgpr5
	s_and_saveexec_b64 s[64:65], s[0:1]
	s_cbranch_execz .LBB175_901
; %bb.535:
	v_cmp_gt_i32_e32 vcc, s72, v8
	s_mov_b64 s[2:3], -1
	s_mov_b64 s[68:69], s[60:61]
	s_mov_b64 s[70:71], s[62:63]
	s_and_saveexec_b64 s[66:67], vcc
	s_cbranch_execz .LBB175_805
; %bb.536:
	s_andn2_b64 vcc, exec, s[40:41]
	s_cbranch_vccnz .LBB175_541
; %bb.537:
	s_andn2_b64 vcc, exec, s[52:53]
	s_cbranch_vccnz .LBB175_542
; %bb.538:
	s_add_i32 s77, s76, 1
	s_cmp_eq_u32 s74, 2
	s_cbranch_scc1 .LBB175_543
; %bb.539:
	s_and_b32 s73, s77, 28
	v_mov_b32_e32 v2, 0
	s_mov_b32 s78, 0
	s_mov_b64 s[68:69], s[34:35]
	s_mov_b64 s[70:71], s[50:51]
	v_mov_b32_e32 v0, 0
	v_mov_b32_e32 v1, v8
.LBB175_540:                            ; =>This Inner Loop Header: Depth=1
	s_load_dwordx8 s[16:23], s[68:69], 0x4
	s_load_dwordx4 s[0:3], s[68:69], 0x24
	s_load_dwordx8 s[8:15], s[70:71], 0x0
	s_add_u32 s68, s68, 48
	s_addc_u32 s69, s69, 0
	s_waitcnt vmcnt(0) lgkmcnt(0)
	v_mul_hi_u32 v3, s17, v1
	s_add_i32 s78, s78, 4
	s_add_u32 s70, s70, 32
	s_addc_u32 s71, s71, 0
	v_add_u32_e32 v3, v1, v3
	v_lshrrev_b32_e32 v3, s18, v3
	v_mul_lo_u32 v4, v3, s16
	v_mul_hi_u32 v5, s20, v3
	s_cmp_eq_u32 s73, s78
	v_sub_u32_e32 v1, v1, v4
	v_add_u32_e32 v4, v3, v5
	v_mul_lo_u32 v5, v1, s8
	v_mul_lo_u32 v6, v1, s9
	v_lshrrev_b32_e32 v1, s21, v4
	v_mul_lo_u32 v4, v1, s19
	v_mul_hi_u32 v7, s23, v1
	v_sub_u32_e32 v3, v3, v4
	v_add_u32_e32 v4, v1, v7
	v_lshrrev_b32_e32 v4, s0, v4
	v_mul_hi_u32 v9, s2, v4
	v_mul_lo_u32 v10, v4, s22
	v_mul_lo_u32 v7, v3, s10
	;; [unrolled: 1-line block ×3, first 2 shown]
	v_sub_u32_e32 v10, v1, v10
	v_add_u32_e32 v1, v4, v9
	v_lshrrev_b32_e32 v1, s3, v1
	v_mul_lo_u32 v9, v1, s1
	v_mul_lo_u32 v11, v10, s12
	;; [unrolled: 1-line block ×3, first 2 shown]
	v_add3_u32 v0, v5, v0, v7
	v_sub_u32_e32 v4, v4, v9
	v_mul_lo_u32 v9, v4, s14
	v_mul_lo_u32 v4, v4, s15
	v_add3_u32 v2, v6, v2, v3
	v_add3_u32 v0, v11, v0, v9
	v_add3_u32 v2, v10, v2, v4
	s_cbranch_scc0 .LBB175_540
	s_branch .LBB175_544
.LBB175_541:
	s_mov_b64 s[0:1], -1
                                        ; implicit-def: $vgpr0
                                        ; implicit-def: $vgpr2
	s_branch .LBB175_548
.LBB175_542:
	v_mov_b32_e32 v0, 0
	v_mov_b32_e32 v2, 0
	s_branch .LBB175_547
.LBB175_543:
	s_mov_b32 s73, 0
	v_mov_b32_e32 v0, 0
	v_mov_b32_e32 v2, 0
	;; [unrolled: 1-line block ×3, first 2 shown]
.LBB175_544:
	s_and_b32 s8, s77, 3
	s_cmp_eq_u32 s8, 0
	s_cbranch_scc1 .LBB175_547
; %bb.545:
	s_lshl_b32 s0, s73, 3
	s_add_u32 s0, s34, s0
	s_addc_u32 s1, s35, 0
	s_add_u32 s0, s0, 0xc4
	s_addc_u32 s1, s1, 0
	s_mul_i32 s2, s73, 12
	s_add_u32 s2, s34, s2
	s_addc_u32 s3, s35, 0
.LBB175_546:                            ; =>This Inner Loop Header: Depth=1
	s_load_dwordx2 s[10:11], s[2:3], 0x4
	s_load_dword s9, s[2:3], 0xc
	s_load_dwordx2 s[12:13], s[0:1], 0x0
	s_add_u32 s2, s2, 12
	s_addc_u32 s3, s3, 0
	s_waitcnt vmcnt(0) lgkmcnt(0)
	v_mul_hi_u32 v3, s11, v1
	s_add_u32 s0, s0, 8
	s_addc_u32 s1, s1, 0
	s_add_i32 s8, s8, -1
	v_add_u32_e32 v3, v1, v3
	v_lshrrev_b32_e32 v4, s9, v3
	v_mul_lo_u32 v3, v4, s10
	s_cmp_lg_u32 s8, 0
	v_sub_u32_e32 v3, v1, v3
	v_mad_u64_u32 v[0:1], s[10:11], v3, s12, v[0:1]
	v_mad_u64_u32 v[2:3], s[10:11], v3, s13, v[2:3]
	v_mov_b32_e32 v1, v4
	s_cbranch_scc1 .LBB175_546
.LBB175_547:
	s_mov_b64 s[0:1], 0
.LBB175_548:
	s_andn2_b64 vcc, exec, s[0:1]
	s_cbranch_vccnz .LBB175_551
; %bb.549:
	v_mul_hi_u32 v0, s29, v8
	s_andn2_b64 vcc, exec, s[48:49]
	v_add_u32_e32 v0, v8, v0
	v_lshrrev_b32_e32 v1, s30, v0
	v_mul_lo_u32 v0, v1, s28
	v_sub_u32_e32 v2, v8, v0
	v_mul_lo_u32 v0, v2, s36
	v_mul_lo_u32 v2, v2, s37
	s_cbranch_vccnz .LBB175_551
; %bb.550:
	s_waitcnt vmcnt(0)
	v_mul_hi_u32 v3, s46, v1
	v_add_u32_e32 v3, v1, v3
	v_lshrrev_b32_e32 v3, s47, v3
	v_mul_lo_u32 v3, v3, s31
	v_sub_u32_e32 v3, v1, v3
	v_mad_u64_u32 v[0:1], s[0:1], v3, s38, v[0:1]
	v_mad_u64_u32 v[2:3], s[0:1], v3, s39, v[2:3]
.LBB175_551:
	s_waitcnt vmcnt(0)
	v_mov_b32_e32 v3, s27
	s_and_b32 s10, 0xffff, s75
	v_add_co_u32_e32 v1, vcc, s26, v2
	s_cmp_lt_i32 s10, 11
	v_addc_co_u32_e32 v2, vcc, 0, v3, vcc
	s_cbranch_scc1 .LBB175_558
; %bb.552:
	s_cmp_gt_i32 s10, 25
	s_cbranch_scc0 .LBB175_559
; %bb.553:
	s_cmp_gt_i32 s10, 28
	s_cbranch_scc0 .LBB175_560
	;; [unrolled: 3-line block ×4, first 2 shown]
; %bb.556:
	s_cmp_eq_u32 s10, 46
	s_mov_b64 s[8:9], 0
	s_cbranch_scc0 .LBB175_567
; %bb.557:
	global_load_dword v3, v[1:2], off
	s_mov_b64 s[0:1], -1
	s_mov_b64 s[2:3], 0
	s_waitcnt vmcnt(0)
	v_lshlrev_b32_e32 v3, 16, v3
	v_cvt_i32_f32_e32 v3, v3
	s_branch .LBB175_568
.LBB175_558:
	s_mov_b64 s[8:9], -1
	s_mov_b64 s[0:1], 0
                                        ; implicit-def: $vgpr3
	s_mov_b64 s[2:3], s[60:61]
	s_branch .LBB175_629
.LBB175_559:
	s_mov_b64 s[8:9], -1
	s_mov_b64 s[0:1], 0
	s_mov_b64 s[2:3], s[60:61]
                                        ; implicit-def: $vgpr3
	s_branch .LBB175_595
.LBB175_560:
	s_mov_b64 s[8:9], -1
	s_mov_b64 s[0:1], 0
	s_mov_b64 s[2:3], s[60:61]
                                        ; implicit-def: $vgpr3
	s_branch .LBB175_578
.LBB175_561:
	s_mov_b64 s[8:9], -1
	s_mov_b64 s[0:1], 0
	s_mov_b64 s[2:3], s[60:61]
                                        ; implicit-def: $vgpr3
	s_branch .LBB175_573
.LBB175_562:
	s_andn2_saveexec_b64 s[12:13], s[12:13]
	s_cbranch_execz .LBB175_335
.LBB175_563:
	s_mov_b32 s16, 0x46000000
	v_add_f32_e64 v2, |v0|, s16
	v_and_b32_e32 v2, 0xff, v2
	v_cmp_ne_u32_e32 vcc, 0, v2
	s_andn2_b64 s[10:11], s[10:11], exec
	s_and_b64 s[16:17], vcc, exec
	s_or_b64 s[10:11], s[10:11], s[16:17]
	s_or_b64 exec, exec, s[12:13]
	v_mov_b32_e32 v5, 0
	s_and_saveexec_b64 s[12:13], s[10:11]
	s_cbranch_execnz .LBB175_336
	s_branch .LBB175_337
.LBB175_564:
	s_mov_b64 s[8:9], -1
	s_mov_b64 s[0:1], 0
	s_mov_b64 s[2:3], s[60:61]
                                        ; implicit-def: $vgpr3
	s_branch .LBB175_568
.LBB175_565:
	s_andn2_saveexec_b64 s[12:13], s[12:13]
	s_cbranch_execz .LBB175_348
.LBB175_566:
	s_mov_b32 s16, 0x42800000
	v_add_f32_e64 v2, |v0|, s16
	v_and_b32_e32 v2, 0xff, v2
	v_cmp_ne_u32_e32 vcc, 0, v2
	s_andn2_b64 s[10:11], s[10:11], exec
	s_and_b64 s[16:17], vcc, exec
	s_or_b64 s[10:11], s[10:11], s[16:17]
	s_or_b64 exec, exec, s[12:13]
	v_mov_b32_e32 v5, 0
	s_and_saveexec_b64 s[12:13], s[10:11]
	s_cbranch_execnz .LBB175_349
	s_branch .LBB175_350
.LBB175_567:
	s_mov_b64 s[2:3], -1
                                        ; implicit-def: $vgpr3
	s_mov_b64 s[0:1], 0
.LBB175_568:
	s_and_b64 vcc, exec, s[8:9]
	s_cbranch_vccz .LBB175_572
; %bb.569:
	s_cmp_eq_u32 s10, 44
	s_cbranch_scc0 .LBB175_571
; %bb.570:
	global_load_ubyte v3, v[1:2], off
	s_mov_b64 s[0:1], -1
	s_mov_b64 s[2:3], 0
	s_waitcnt vmcnt(0)
	v_lshlrev_b32_e32 v4, 23, v3
	v_cvt_i32_f32_e32 v4, v4
	v_cmp_ne_u32_e32 vcc, 0, v3
	v_cndmask_b32_e32 v3, 0, v4, vcc
	s_branch .LBB175_572
.LBB175_571:
	s_mov_b64 s[2:3], -1
                                        ; implicit-def: $vgpr3
.LBB175_572:
	s_mov_b64 s[8:9], 0
.LBB175_573:
	s_and_b64 vcc, exec, s[8:9]
	s_cbranch_vccz .LBB175_577
; %bb.574:
	s_cmp_eq_u32 s10, 29
	s_cbranch_scc0 .LBB175_576
; %bb.575:
	global_load_dword v3, v[1:2], off
	s_mov_b64 s[0:1], -1
	s_mov_b64 s[2:3], 0
	s_branch .LBB175_577
.LBB175_576:
	s_mov_b64 s[2:3], -1
                                        ; implicit-def: $vgpr3
.LBB175_577:
	s_mov_b64 s[8:9], 0
.LBB175_578:
	s_and_b64 vcc, exec, s[8:9]
	s_cbranch_vccz .LBB175_594
; %bb.579:
	s_cmp_lt_i32 s10, 27
	s_cbranch_scc1 .LBB175_582
; %bb.580:
	s_cmp_gt_i32 s10, 27
	s_cbranch_scc0 .LBB175_583
; %bb.581:
	global_load_dword v3, v[1:2], off
	s_mov_b64 s[0:1], 0
	s_branch .LBB175_584
.LBB175_582:
	s_mov_b64 s[0:1], -1
                                        ; implicit-def: $vgpr3
	s_branch .LBB175_587
.LBB175_583:
	s_mov_b64 s[0:1], -1
                                        ; implicit-def: $vgpr3
.LBB175_584:
	s_andn2_b64 vcc, exec, s[0:1]
	s_cbranch_vccnz .LBB175_586
; %bb.585:
	global_load_ushort v3, v[1:2], off
.LBB175_586:
	s_mov_b64 s[0:1], 0
.LBB175_587:
	s_andn2_b64 vcc, exec, s[0:1]
	s_cbranch_vccnz .LBB175_593
; %bb.588:
	global_load_ubyte v4, v[1:2], off
	s_movk_i32 s0, 0x7f
	s_mov_b64 s[8:9], 0
	s_waitcnt vmcnt(0)
	v_cmp_lt_i16_e32 vcc, s0, v4
	s_and_saveexec_b64 s[0:1], vcc
	s_xor_b64 s[0:1], exec, s[0:1]
	s_cbranch_execz .LBB175_605
; %bb.589:
	s_movk_i32 s8, 0x80
	v_cmp_ne_u16_e32 vcc, s8, v4
	s_and_b64 s[8:9], vcc, exec
	s_andn2_saveexec_b64 s[0:1], s[0:1]
	s_cbranch_execnz .LBB175_606
.LBB175_590:
	s_or_b64 exec, exec, s[0:1]
	v_mov_b32_e32 v3, 0
	s_and_saveexec_b64 s[0:1], s[8:9]
	s_cbranch_execz .LBB175_592
.LBB175_591:
	v_lshlrev_b32_e32 v3, 24, v4
	v_and_b32_e32 v4, 0xffff, v4
	v_and_b32_e32 v5, 7, v4
	v_ffbh_u32_e32 v7, v5
	v_min_u32_e32 v7, 32, v7
	v_subrev_u32_e32 v9, 28, v7
	v_bfe_u32 v6, v4, 3, 4
	v_lshlrev_b32_e32 v4, v9, v4
	v_sub_u32_e32 v7, 29, v7
	v_and_b32_e32 v4, 7, v4
	v_cmp_eq_u32_e32 vcc, 0, v6
	v_cndmask_b32_e32 v6, v6, v7, vcc
	v_cndmask_b32_e32 v4, v5, v4, vcc
	v_mov_b32_e32 v5, 0x3b800000
	v_lshlrev_b32_e32 v4, 20, v4
	v_and_b32_e32 v3, 0x80000000, v3
	v_lshl_add_u32 v5, v6, 23, v5
	v_or3_b32 v3, v3, v5, v4
	v_cvt_i32_f32_e32 v3, v3
.LBB175_592:
	s_or_b64 exec, exec, s[0:1]
.LBB175_593:
	s_mov_b64 s[0:1], -1
.LBB175_594:
	s_mov_b64 s[8:9], 0
.LBB175_595:
	s_and_b64 vcc, exec, s[8:9]
	s_cbranch_vccz .LBB175_628
; %bb.596:
	s_cmp_gt_i32 s10, 22
	s_cbranch_scc0 .LBB175_604
; %bb.597:
	s_cmp_lt_i32 s10, 24
	s_cbranch_scc1 .LBB175_607
; %bb.598:
	s_cmp_gt_i32 s10, 24
	s_cbranch_scc0 .LBB175_608
; %bb.599:
	global_load_ubyte v4, v[1:2], off
	s_movk_i32 s0, 0x7f
	s_mov_b64 s[8:9], 0
	s_waitcnt vmcnt(0)
	v_cmp_lt_i16_e32 vcc, s0, v4
	s_and_saveexec_b64 s[0:1], vcc
	s_xor_b64 s[0:1], exec, s[0:1]
	s_cbranch_execz .LBB175_620
; %bb.600:
	s_movk_i32 s8, 0x80
	v_cmp_ne_u16_e32 vcc, s8, v4
	s_and_b64 s[8:9], vcc, exec
	s_andn2_saveexec_b64 s[0:1], s[0:1]
	s_cbranch_execnz .LBB175_621
.LBB175_601:
	s_or_b64 exec, exec, s[0:1]
	v_mov_b32_e32 v3, 0
	s_and_saveexec_b64 s[0:1], s[8:9]
	s_cbranch_execz .LBB175_603
.LBB175_602:
	v_lshlrev_b32_e32 v3, 24, v4
	v_and_b32_e32 v4, 0xffff, v4
	v_and_b32_e32 v5, 3, v4
	v_ffbh_u32_e32 v7, v5
	v_min_u32_e32 v7, 32, v7
	v_subrev_u32_e32 v9, 29, v7
	v_bfe_u32 v6, v4, 2, 5
	v_lshlrev_b32_e32 v4, v9, v4
	v_sub_u32_e32 v7, 30, v7
	v_and_b32_e32 v4, 3, v4
	v_cmp_eq_u32_e32 vcc, 0, v6
	v_cndmask_b32_e32 v6, v6, v7, vcc
	v_cndmask_b32_e32 v4, v5, v4, vcc
	v_mov_b32_e32 v5, 0x37800000
	v_lshlrev_b32_e32 v4, 21, v4
	v_and_b32_e32 v3, 0x80000000, v3
	v_lshl_add_u32 v5, v6, 23, v5
	v_or3_b32 v3, v3, v5, v4
	v_cvt_i32_f32_e32 v3, v3
.LBB175_603:
	s_or_b64 exec, exec, s[0:1]
	s_mov_b64 s[0:1], 0
	s_branch .LBB175_609
.LBB175_604:
	s_mov_b64 s[8:9], -1
                                        ; implicit-def: $vgpr3
	s_branch .LBB175_615
.LBB175_605:
	s_andn2_saveexec_b64 s[0:1], s[0:1]
	s_cbranch_execz .LBB175_590
.LBB175_606:
	v_cmp_ne_u16_e32 vcc, 0, v4
	s_andn2_b64 s[8:9], s[8:9], exec
	s_and_b64 s[12:13], vcc, exec
	s_or_b64 s[8:9], s[8:9], s[12:13]
	s_or_b64 exec, exec, s[0:1]
	v_mov_b32_e32 v3, 0
	s_and_saveexec_b64 s[0:1], s[8:9]
	s_cbranch_execnz .LBB175_591
	s_branch .LBB175_592
.LBB175_607:
	s_mov_b64 s[0:1], -1
                                        ; implicit-def: $vgpr3
	s_branch .LBB175_612
.LBB175_608:
	s_mov_b64 s[0:1], -1
                                        ; implicit-def: $vgpr3
.LBB175_609:
	s_and_b64 vcc, exec, s[0:1]
	s_cbranch_vccz .LBB175_611
; %bb.610:
	global_load_ubyte v3, v[1:2], off
	s_mov_b32 s0, 0x7f800000
	s_waitcnt vmcnt(0)
	v_lshlrev_b32_e32 v3, 24, v3
	v_and_b32_e32 v4, 0x7f000000, v3
	v_ffbh_u32_e32 v5, v4
	v_min_u32_e32 v5, 32, v5
	v_sub_u32_e64 v5, v5, 4 clamp
	v_lshlrev_b32_e32 v7, v5, v4
	v_lshlrev_b32_e32 v5, 23, v5
	v_lshrrev_b32_e32 v7, 4, v7
	v_add_u32_e32 v6, 0x1000000, v4
	v_sub_u32_e32 v5, v7, v5
	v_ashrrev_i32_e32 v6, 8, v6
	v_add_u32_e32 v5, 0x3c000000, v5
	v_and_or_b32 v5, v6, s0, v5
	v_cmp_ne_u32_e32 vcc, 0, v4
	v_cndmask_b32_e32 v4, 0, v5, vcc
	s_brev_b32 s0, 1
	v_and_or_b32 v3, v3, s0, v4
	v_cvt_i32_f32_e32 v3, v3
.LBB175_611:
	s_mov_b64 s[0:1], 0
.LBB175_612:
	s_andn2_b64 vcc, exec, s[0:1]
	s_cbranch_vccnz .LBB175_614
; %bb.613:
	global_load_ubyte v3, v[1:2], off
	s_movk_i32 s0, 0x7f00
	s_brev_b32 s1, 16
	s_waitcnt vmcnt(0)
	v_lshlrev_b16_e32 v4, 8, v3
	v_lshlrev_b32_e32 v3, 25, v3
	v_lshrrev_b32_e32 v5, 4, v3
	v_and_or_b32 v6, v4, s0, 0.5
	v_or_b32_e32 v5, 0x70000000, v5
	v_add_f32_e32 v6, -0.5, v6
	v_mul_f32_e32 v5, 0x7800000, v5
	v_cmp_gt_u32_e32 vcc, s1, v3
	v_bfe_i32 v4, v4, 0, 16
	v_cndmask_b32_e32 v3, v5, v6, vcc
	s_brev_b32 s0, 1
	v_and_or_b32 v3, v4, s0, v3
	v_cvt_i32_f32_e32 v3, v3
.LBB175_614:
	s_mov_b64 s[8:9], 0
	s_mov_b64 s[0:1], -1
.LBB175_615:
	s_andn2_b64 vcc, exec, s[8:9]
	s_cbranch_vccnz .LBB175_628
; %bb.616:
	s_cmp_gt_i32 s10, 14
	s_cbranch_scc0 .LBB175_619
; %bb.617:
	s_cmp_eq_u32 s10, 15
	s_cbranch_scc0 .LBB175_622
; %bb.618:
	global_load_ushort v3, v[1:2], off
	s_mov_b64 s[0:1], -1
	s_mov_b64 s[2:3], 0
	s_waitcnt vmcnt(0)
	v_lshlrev_b32_e32 v3, 16, v3
	v_cvt_i32_f32_e32 v3, v3
	s_branch .LBB175_623
.LBB175_619:
	s_mov_b64 s[8:9], -1
                                        ; implicit-def: $vgpr3
	s_branch .LBB175_624
.LBB175_620:
	s_andn2_saveexec_b64 s[0:1], s[0:1]
	s_cbranch_execz .LBB175_601
.LBB175_621:
	v_cmp_ne_u16_e32 vcc, 0, v4
	s_andn2_b64 s[8:9], s[8:9], exec
	s_and_b64 s[12:13], vcc, exec
	s_or_b64 s[8:9], s[8:9], s[12:13]
	s_or_b64 exec, exec, s[0:1]
	v_mov_b32_e32 v3, 0
	s_and_saveexec_b64 s[0:1], s[8:9]
	s_cbranch_execnz .LBB175_602
	s_branch .LBB175_603
.LBB175_622:
	s_mov_b64 s[2:3], -1
                                        ; implicit-def: $vgpr3
.LBB175_623:
	s_mov_b64 s[8:9], 0
.LBB175_624:
	s_and_b64 vcc, exec, s[8:9]
	s_cbranch_vccz .LBB175_628
; %bb.625:
	s_cmp_eq_u32 s10, 11
	s_cbranch_scc0 .LBB175_627
; %bb.626:
	global_load_ubyte v3, v[1:2], off
	s_mov_b64 s[0:1], -1
	s_mov_b64 s[2:3], 0
	s_waitcnt vmcnt(0)
	v_cmp_ne_u16_e32 vcc, 0, v3
	v_cndmask_b32_e64 v3, 0, 1, vcc
	s_branch .LBB175_628
.LBB175_627:
	s_mov_b64 s[2:3], -1
                                        ; implicit-def: $vgpr3
.LBB175_628:
	s_mov_b64 s[8:9], 0
.LBB175_629:
	s_and_b64 vcc, exec, s[8:9]
	s_cbranch_vccz .LBB175_678
; %bb.630:
	s_cmp_lt_i32 s10, 5
	s_cbranch_scc1 .LBB175_635
; %bb.631:
	s_cmp_lt_i32 s10, 8
	s_cbranch_scc1 .LBB175_636
	;; [unrolled: 3-line block ×3, first 2 shown]
; %bb.633:
	s_cmp_gt_i32 s10, 9
	s_cbranch_scc0 .LBB175_638
; %bb.634:
	global_load_dwordx2 v[3:4], v[1:2], off
	s_mov_b64 s[0:1], 0
	s_waitcnt vmcnt(0)
	v_cvt_i32_f64_e32 v3, v[3:4]
	s_branch .LBB175_639
.LBB175_635:
	s_mov_b64 s[0:1], -1
                                        ; implicit-def: $vgpr3
	s_branch .LBB175_657
.LBB175_636:
	s_mov_b64 s[0:1], -1
                                        ; implicit-def: $vgpr3
	s_branch .LBB175_645
.LBB175_637:
	s_mov_b64 s[0:1], -1
                                        ; implicit-def: $vgpr3
	s_branch .LBB175_642
.LBB175_638:
	s_mov_b64 s[0:1], -1
                                        ; implicit-def: $vgpr3
.LBB175_639:
	s_andn2_b64 vcc, exec, s[0:1]
	s_cbranch_vccnz .LBB175_641
; %bb.640:
	global_load_dword v3, v[1:2], off
	s_waitcnt vmcnt(0)
	v_cvt_i32_f32_e32 v3, v3
.LBB175_641:
	s_mov_b64 s[0:1], 0
.LBB175_642:
	s_andn2_b64 vcc, exec, s[0:1]
	s_cbranch_vccnz .LBB175_644
; %bb.643:
	global_load_dword v3, v[1:2], off
	s_waitcnt vmcnt(0)
	v_cvt_f32_f16_e32 v3, v3
	v_cvt_i32_f32_e32 v3, v3
.LBB175_644:
	s_mov_b64 s[0:1], 0
.LBB175_645:
	s_andn2_b64 vcc, exec, s[0:1]
	s_cbranch_vccnz .LBB175_656
; %bb.646:
	s_cmp_lt_i32 s10, 6
	s_cbranch_scc1 .LBB175_649
; %bb.647:
	s_cmp_gt_i32 s10, 6
	s_cbranch_scc0 .LBB175_650
; %bb.648:
	global_load_dwordx2 v[3:4], v[1:2], off
	s_mov_b64 s[0:1], 0
	s_waitcnt vmcnt(0)
	v_cvt_i32_f64_e32 v3, v[3:4]
	s_branch .LBB175_651
.LBB175_649:
	s_mov_b64 s[0:1], -1
                                        ; implicit-def: $vgpr3
	s_branch .LBB175_654
.LBB175_650:
	s_mov_b64 s[0:1], -1
                                        ; implicit-def: $vgpr3
.LBB175_651:
	s_andn2_b64 vcc, exec, s[0:1]
	s_cbranch_vccnz .LBB175_653
; %bb.652:
	global_load_dword v3, v[1:2], off
	s_waitcnt vmcnt(0)
	v_cvt_i32_f32_e32 v3, v3
.LBB175_653:
	s_mov_b64 s[0:1], 0
.LBB175_654:
	s_andn2_b64 vcc, exec, s[0:1]
	s_cbranch_vccnz .LBB175_656
; %bb.655:
	global_load_ushort v3, v[1:2], off
	s_waitcnt vmcnt(0)
	v_cvt_f32_f16_e32 v3, v3
	v_cvt_i32_f32_e32 v3, v3
.LBB175_656:
	s_mov_b64 s[0:1], 0
.LBB175_657:
	s_andn2_b64 vcc, exec, s[0:1]
	s_cbranch_vccnz .LBB175_677
; %bb.658:
	s_cmp_lt_i32 s10, 2
	s_cbranch_scc1 .LBB175_662
; %bb.659:
	s_cmp_lt_i32 s10, 3
	s_cbranch_scc1 .LBB175_663
; %bb.660:
	s_cmp_gt_i32 s10, 3
	s_cbranch_scc0 .LBB175_664
; %bb.661:
	global_load_dword v3, v[1:2], off
	s_mov_b64 s[0:1], 0
	s_branch .LBB175_665
.LBB175_662:
	s_mov_b64 s[0:1], -1
                                        ; implicit-def: $vgpr3
	s_branch .LBB175_671
.LBB175_663:
	s_mov_b64 s[0:1], -1
                                        ; implicit-def: $vgpr3
	s_branch .LBB175_668
.LBB175_664:
	s_mov_b64 s[0:1], -1
                                        ; implicit-def: $vgpr3
.LBB175_665:
	s_andn2_b64 vcc, exec, s[0:1]
	s_cbranch_vccnz .LBB175_667
; %bb.666:
	global_load_dword v3, v[1:2], off
.LBB175_667:
	s_mov_b64 s[0:1], 0
.LBB175_668:
	s_andn2_b64 vcc, exec, s[0:1]
	s_cbranch_vccnz .LBB175_670
; %bb.669:
	global_load_sshort v3, v[1:2], off
.LBB175_670:
	s_mov_b64 s[0:1], 0
.LBB175_671:
	s_andn2_b64 vcc, exec, s[0:1]
	s_cbranch_vccnz .LBB175_677
; %bb.672:
	s_cmp_gt_i32 s10, 0
	s_cbranch_scc0 .LBB175_674
; %bb.673:
	global_load_sbyte v3, v[1:2], off
	s_mov_b64 s[0:1], 0
	s_branch .LBB175_675
.LBB175_674:
	s_mov_b64 s[0:1], -1
                                        ; implicit-def: $vgpr3
.LBB175_675:
	s_andn2_b64 vcc, exec, s[0:1]
	s_cbranch_vccnz .LBB175_677
; %bb.676:
	global_load_ubyte v3, v[1:2], off
.LBB175_677:
	s_mov_b64 s[0:1], -1
.LBB175_678:
	s_andn2_b64 vcc, exec, s[0:1]
	s_cbranch_vccnz .LBB175_686
; %bb.679:
	s_waitcnt vmcnt(0)
	v_min_u32_e32 v1, 31, v3
	v_mov_b32_e32 v2, s25
	s_and_b32 s14, s45, 0xff
	v_add_co_u32_e32 v3, vcc, s24, v0
	v_ashrrev_i32_e64 v1, v1, s44
	s_cmp_lt_i32 s14, 11
	v_addc_co_u32_e32 v4, vcc, 0, v2, vcc
	s_cbranch_scc1 .LBB175_687
; %bb.680:
	s_and_b32 s15, 0xffff, s14
	s_cmp_gt_i32 s15, 25
	s_cbranch_scc0 .LBB175_688
; %bb.681:
	s_cmp_gt_i32 s15, 28
	s_cbranch_scc0 .LBB175_689
; %bb.682:
	;; [unrolled: 3-line block ×4, first 2 shown]
	s_mov_b64 s[10:11], 0
	s_mov_b64 s[0:1], -1
	s_cmp_eq_u32 s15, 46
	s_mov_b64 s[8:9], 0
	s_cbranch_scc0 .LBB175_692
; %bb.685:
	v_cvt_f32_i32_e32 v0, v1
	s_movk_i32 s0, 0x7fff
	s_mov_b64 s[8:9], -1
	v_bfe_u32 v2, v0, 16, 1
	v_add3_u32 v0, v0, v2, s0
	v_lshrrev_b32_e32 v0, 16, v0
	global_store_dword v[3:4], v0, off
	s_mov_b64 s[0:1], 0
	s_branch .LBB175_692
.LBB175_686:
	s_mov_b64 s[8:9], 0
	s_mov_b64 s[0:1], s[62:63]
	s_branch .LBB175_803
.LBB175_687:
	s_mov_b64 s[10:11], -1
	s_mov_b64 s[8:9], 0
	s_mov_b64 s[0:1], s[62:63]
	s_branch .LBB175_761
.LBB175_688:
	s_mov_b64 s[10:11], -1
	s_mov_b64 s[8:9], 0
	s_mov_b64 s[0:1], s[62:63]
	s_branch .LBB175_719
.LBB175_689:
	s_mov_b64 s[10:11], -1
	s_mov_b64 s[8:9], 0
	s_mov_b64 s[0:1], s[62:63]
	s_branch .LBB175_702
.LBB175_690:
	s_mov_b64 s[10:11], -1
	s_mov_b64 s[8:9], 0
	s_mov_b64 s[0:1], s[62:63]
	s_branch .LBB175_698
.LBB175_691:
	s_mov_b64 s[10:11], -1
	s_mov_b64 s[8:9], 0
	s_mov_b64 s[0:1], s[62:63]
.LBB175_692:
	s_and_b64 vcc, exec, s[10:11]
	s_cbranch_vccz .LBB175_697
; %bb.693:
	s_cmp_eq_u32 s15, 44
	s_mov_b64 s[0:1], -1
	s_cbranch_scc0 .LBB175_697
; %bb.694:
	v_cvt_f32_i32_e32 v0, v1
	s_movk_i32 s0, 0xff
	v_mov_b32_e32 v5, 0xff
	v_bfe_u32 v2, v0, 23, 8
	v_cmp_ne_u32_e32 vcc, s0, v2
	s_and_saveexec_b64 s[8:9], vcc
; %bb.695:
	s_mov_b32 s0, 0x3fffff
	v_lshrrev_b32_e32 v5, 23, v0
	v_and_b32_e32 v6, 0x400000, v0
	v_and_or_b32 v0, v0, s0, v2
	v_cmp_ne_u32_e32 vcc, 0, v6
	v_cmp_ne_u32_e64 s[0:1], 0, v0
	s_and_b64 s[0:1], vcc, s[0:1]
	v_cndmask_b32_e64 v0, 0, 1, s[0:1]
	v_add_u32_e32 v5, v5, v0
; %bb.696:
	s_or_b64 exec, exec, s[8:9]
	s_mov_b64 s[8:9], -1
	s_mov_b64 s[0:1], 0
	global_store_byte v[3:4], v5, off
.LBB175_697:
	s_mov_b64 s[10:11], 0
.LBB175_698:
	s_and_b64 vcc, exec, s[10:11]
	s_cbranch_vccz .LBB175_701
; %bb.699:
	s_cmp_eq_u32 s15, 29
	s_mov_b64 s[0:1], -1
	s_cbranch_scc0 .LBB175_701
; %bb.700:
	v_ashrrev_i32_e32 v2, 31, v1
	global_store_dwordx2 v[3:4], v[1:2], off
	s_mov_b64 s[8:9], -1
	s_mov_b64 s[0:1], 0
.LBB175_701:
	s_mov_b64 s[10:11], 0
.LBB175_702:
	s_and_b64 vcc, exec, s[10:11]
	s_cbranch_vccz .LBB175_718
; %bb.703:
	s_cmp_lt_i32 s15, 27
	s_mov_b64 s[8:9], -1
	s_cbranch_scc1 .LBB175_709
; %bb.704:
	s_cmp_gt_i32 s15, 27
	s_cbranch_scc0 .LBB175_706
; %bb.705:
	s_mov_b64 s[8:9], 0
	global_store_dword v[3:4], v1, off
.LBB175_706:
	s_andn2_b64 vcc, exec, s[8:9]
	s_cbranch_vccnz .LBB175_708
; %bb.707:
	global_store_short v[3:4], v1, off
.LBB175_708:
	s_mov_b64 s[8:9], 0
.LBB175_709:
	s_andn2_b64 vcc, exec, s[8:9]
	s_cbranch_vccnz .LBB175_717
; %bb.710:
	v_cvt_f32_i32_e32 v0, v1
	s_mov_b32 s8, 0x43800000
	v_mov_b32_e32 v5, 0x80
	v_and_b32_e32 v2, 0x7fffffff, v0
	v_cmp_gt_u32_e32 vcc, s8, v2
	s_and_saveexec_b64 s[8:9], vcc
	s_cbranch_execz .LBB175_716
; %bb.711:
	s_mov_b32 s10, 0x3bffffff
	v_cmp_lt_u32_e32 vcc, s10, v2
	s_mov_b64 s[10:11], 0
                                        ; implicit-def: $vgpr2
	s_and_saveexec_b64 s[12:13], vcc
	s_xor_b64 s[12:13], exec, s[12:13]
	s_cbranch_execz .LBB175_833
; %bb.712:
	v_bfe_u32 v2, v0, 20, 1
	s_mov_b32 s16, 0x487ffff
	v_add3_u32 v2, v0, v2, s16
	s_mov_b64 s[10:11], exec
	v_lshrrev_b32_e32 v2, 20, v2
	s_andn2_saveexec_b64 s[12:13], s[12:13]
	s_cbranch_execnz .LBB175_834
.LBB175_713:
	s_or_b64 exec, exec, s[12:13]
	v_mov_b32_e32 v5, 0
	s_and_saveexec_b64 s[12:13], s[10:11]
.LBB175_714:
	v_lshrrev_b32_e32 v0, 24, v0
	s_movk_i32 s10, 0x80
	v_and_or_b32 v5, v0, s10, v2
.LBB175_715:
	s_or_b64 exec, exec, s[12:13]
.LBB175_716:
	s_or_b64 exec, exec, s[8:9]
	global_store_byte v[3:4], v5, off
.LBB175_717:
	s_mov_b64 s[8:9], -1
.LBB175_718:
	s_mov_b64 s[10:11], 0
.LBB175_719:
	s_and_b64 vcc, exec, s[10:11]
	s_cbranch_vccz .LBB175_760
; %bb.720:
	s_cmp_gt_i32 s15, 22
	s_mov_b64 s[10:11], -1
	s_cbranch_scc0 .LBB175_752
; %bb.721:
	s_cmp_lt_i32 s15, 24
	s_mov_b64 s[8:9], -1
	s_cbranch_scc1 .LBB175_741
; %bb.722:
	s_cmp_gt_i32 s15, 24
	s_cbranch_scc0 .LBB175_730
; %bb.723:
	v_cvt_f32_i32_e32 v0, v1
	s_mov_b32 s8, 0x47800000
	v_mov_b32_e32 v5, 0x80
	v_and_b32_e32 v2, 0x7fffffff, v0
	v_cmp_gt_u32_e32 vcc, s8, v2
	s_and_saveexec_b64 s[8:9], vcc
	s_cbranch_execz .LBB175_729
; %bb.724:
	s_mov_b32 s10, 0x37ffffff
	v_cmp_lt_u32_e32 vcc, s10, v2
	s_mov_b64 s[10:11], 0
                                        ; implicit-def: $vgpr2
	s_and_saveexec_b64 s[12:13], vcc
	s_xor_b64 s[12:13], exec, s[12:13]
	s_cbranch_execz .LBB175_836
; %bb.725:
	v_bfe_u32 v2, v0, 21, 1
	s_mov_b32 s16, 0x88fffff
	v_add3_u32 v2, v0, v2, s16
	s_mov_b64 s[10:11], exec
	v_lshrrev_b32_e32 v2, 21, v2
	s_andn2_saveexec_b64 s[12:13], s[12:13]
	s_cbranch_execnz .LBB175_837
.LBB175_726:
	s_or_b64 exec, exec, s[12:13]
	v_mov_b32_e32 v5, 0
	s_and_saveexec_b64 s[12:13], s[10:11]
.LBB175_727:
	v_lshrrev_b32_e32 v0, 24, v0
	s_movk_i32 s10, 0x80
	v_and_or_b32 v5, v0, s10, v2
.LBB175_728:
	s_or_b64 exec, exec, s[12:13]
.LBB175_729:
	s_or_b64 exec, exec, s[8:9]
	s_mov_b64 s[8:9], 0
	global_store_byte v[3:4], v5, off
.LBB175_730:
	s_and_b64 vcc, exec, s[8:9]
	s_cbranch_vccz .LBB175_740
; %bb.731:
	v_cvt_f32_i32_e32 v0, v1
	s_mov_b32 s8, 0x43f00000
                                        ; implicit-def: $vgpr2
	v_and_b32_e32 v5, 0x7fffffff, v0
	v_cmp_gt_u32_e32 vcc, s8, v5
	s_and_saveexec_b64 s[8:9], vcc
	s_xor_b64 s[8:9], exec, s[8:9]
	s_cbranch_execz .LBB175_737
; %bb.732:
	s_mov_b32 s10, 0x3c7fffff
	v_cmp_lt_u32_e32 vcc, s10, v5
                                        ; implicit-def: $vgpr2
	s_and_saveexec_b64 s[10:11], vcc
	s_xor_b64 s[10:11], exec, s[10:11]
; %bb.733:
	v_bfe_u32 v2, v0, 20, 1
	s_mov_b32 s12, 0x407ffff
	v_add3_u32 v2, v0, v2, s12
	v_lshrrev_b32_e32 v5, 20, v2
	v_and_b32_e32 v2, 0xff00000, v2
	s_mov_b32 s12, 0x7f00000
	v_mov_b32_e32 v6, 0x7e
	v_cmp_ne_u32_e32 vcc, s12, v2
	v_cndmask_b32_e32 v2, v6, v5, vcc
; %bb.734:
	s_andn2_saveexec_b64 s[10:11], s[10:11]
; %bb.735:
	s_mov_b32 s12, 0x46800000
	v_add_f32_e64 v2, |v0|, s12
; %bb.736:
	s_or_b64 exec, exec, s[10:11]
                                        ; implicit-def: $vgpr5
.LBB175_737:
	s_andn2_saveexec_b64 s[8:9], s[8:9]
; %bb.738:
	s_mov_b32 s10, 0x7f800000
	v_mov_b32_e32 v2, 0x7e
	v_mov_b32_e32 v6, 0x7f
	v_cmp_lt_u32_e32 vcc, s10, v5
	v_cndmask_b32_e32 v2, v2, v6, vcc
; %bb.739:
	s_or_b64 exec, exec, s[8:9]
	v_lshrrev_b32_e32 v0, 24, v0
	s_movk_i32 s8, 0x80
	v_and_or_b32 v0, v0, s8, v2
	global_store_byte v[3:4], v0, off
.LBB175_740:
	s_mov_b64 s[8:9], 0
.LBB175_741:
	s_andn2_b64 vcc, exec, s[8:9]
	s_cbranch_vccnz .LBB175_751
; %bb.742:
	v_cvt_f32_i32_e32 v0, v1
	s_mov_b32 s8, 0x47800000
                                        ; implicit-def: $vgpr2
	v_and_b32_e32 v5, 0x7fffffff, v0
	v_cmp_gt_u32_e32 vcc, s8, v5
	s_and_saveexec_b64 s[8:9], vcc
	s_xor_b64 s[8:9], exec, s[8:9]
	s_cbranch_execz .LBB175_748
; %bb.743:
	s_mov_b32 s10, 0x387fffff
	v_cmp_lt_u32_e32 vcc, s10, v5
                                        ; implicit-def: $vgpr2
	s_and_saveexec_b64 s[10:11], vcc
	s_xor_b64 s[10:11], exec, s[10:11]
; %bb.744:
	v_bfe_u32 v2, v0, 21, 1
	s_mov_b32 s12, 0x80fffff
	v_add3_u32 v2, v0, v2, s12
	v_lshrrev_b32_e32 v2, 21, v2
; %bb.745:
	s_andn2_saveexec_b64 s[10:11], s[10:11]
; %bb.746:
	s_mov_b32 s12, 0x43000000
	v_add_f32_e64 v2, |v0|, s12
; %bb.747:
	s_or_b64 exec, exec, s[10:11]
                                        ; implicit-def: $vgpr5
.LBB175_748:
	s_andn2_saveexec_b64 s[8:9], s[8:9]
; %bb.749:
	s_mov_b32 s10, 0x7f800000
	v_mov_b32_e32 v2, 0x7c
	v_mov_b32_e32 v6, 0x7f
	v_cmp_lt_u32_e32 vcc, s10, v5
	v_cndmask_b32_e32 v2, v2, v6, vcc
; %bb.750:
	s_or_b64 exec, exec, s[8:9]
	v_lshrrev_b32_e32 v0, 24, v0
	s_movk_i32 s8, 0x80
	v_and_or_b32 v0, v0, s8, v2
	global_store_byte v[3:4], v0, off
.LBB175_751:
	s_mov_b64 s[10:11], 0
	s_mov_b64 s[8:9], -1
.LBB175_752:
	s_andn2_b64 vcc, exec, s[10:11]
	s_cbranch_vccnz .LBB175_760
; %bb.753:
	s_cmp_gt_i32 s15, 14
	s_mov_b64 s[10:11], -1
	s_cbranch_scc0 .LBB175_757
; %bb.754:
	s_cmp_eq_u32 s15, 15
	s_mov_b64 s[0:1], -1
	s_cbranch_scc0 .LBB175_756
; %bb.755:
	v_cvt_f32_i32_e32 v0, v1
	s_movk_i32 s0, 0x7fff
	s_mov_b64 s[8:9], -1
	v_bfe_u32 v2, v0, 16, 1
	v_add3_u32 v0, v0, v2, s0
	global_store_short_d16_hi v[3:4], v0, off
	s_mov_b64 s[0:1], 0
.LBB175_756:
	s_mov_b64 s[10:11], 0
.LBB175_757:
	s_and_b64 vcc, exec, s[10:11]
	s_cbranch_vccz .LBB175_760
; %bb.758:
	s_cmp_eq_u32 s15, 11
	s_mov_b64 s[0:1], -1
	s_cbranch_scc0 .LBB175_760
; %bb.759:
	v_cmp_ne_u32_e32 vcc, 0, v1
	v_cndmask_b32_e64 v0, 0, 1, vcc
	s_mov_b64 s[8:9], -1
	s_mov_b64 s[0:1], 0
	global_store_byte v[3:4], v0, off
.LBB175_760:
	s_mov_b64 s[10:11], 0
.LBB175_761:
	s_and_b64 vcc, exec, s[10:11]
	s_cbranch_vccz .LBB175_800
; %bb.762:
	s_and_b32 s10, 0xffff, s14
	s_cmp_lt_i32 s10, 5
	s_mov_b64 s[8:9], -1
	s_cbranch_scc1 .LBB175_783
; %bb.763:
	s_cmp_lt_i32 s10, 8
	s_cbranch_scc1 .LBB175_773
; %bb.764:
	s_cmp_lt_i32 s10, 9
	s_cbranch_scc1 .LBB175_770
; %bb.765:
	s_cmp_gt_i32 s10, 9
	s_cbranch_scc0 .LBB175_767
; %bb.766:
	v_cvt_f64_i32_e32 v[9:10], v1
	v_mov_b32_e32 v11, 0
	v_mov_b32_e32 v12, v11
	s_mov_b64 s[8:9], 0
	global_store_dwordx4 v[3:4], v[9:12], off
.LBB175_767:
	s_andn2_b64 vcc, exec, s[8:9]
	s_cbranch_vccnz .LBB175_769
; %bb.768:
	v_cvt_f32_i32_e32 v5, v1
	v_mov_b32_e32 v6, 0
	global_store_dwordx2 v[3:4], v[5:6], off
.LBB175_769:
	s_mov_b64 s[8:9], 0
.LBB175_770:
	s_andn2_b64 vcc, exec, s[8:9]
	s_cbranch_vccnz .LBB175_772
; %bb.771:
	v_cvt_f32_i32_e32 v0, v1
	v_cvt_f16_f32_e32 v0, v0
	global_store_dword v[3:4], v0, off
.LBB175_772:
	s_mov_b64 s[8:9], 0
.LBB175_773:
	s_andn2_b64 vcc, exec, s[8:9]
	s_cbranch_vccnz .LBB175_782
; %bb.774:
	s_cmp_lt_i32 s10, 6
	s_mov_b64 s[8:9], -1
	s_cbranch_scc1 .LBB175_780
; %bb.775:
	s_cmp_gt_i32 s10, 6
	s_cbranch_scc0 .LBB175_777
; %bb.776:
	v_cvt_f64_i32_e32 v[5:6], v1
	s_mov_b64 s[8:9], 0
	global_store_dwordx2 v[3:4], v[5:6], off
.LBB175_777:
	s_andn2_b64 vcc, exec, s[8:9]
	s_cbranch_vccnz .LBB175_779
; %bb.778:
	v_cvt_f32_i32_e32 v0, v1
	global_store_dword v[3:4], v0, off
.LBB175_779:
	s_mov_b64 s[8:9], 0
.LBB175_780:
	s_andn2_b64 vcc, exec, s[8:9]
	s_cbranch_vccnz .LBB175_782
; %bb.781:
	v_cvt_f32_i32_e32 v0, v1
	v_cvt_f16_f32_e32 v0, v0
	global_store_short v[3:4], v0, off
.LBB175_782:
	s_mov_b64 s[8:9], 0
.LBB175_783:
	s_andn2_b64 vcc, exec, s[8:9]
	s_cbranch_vccnz .LBB175_799
; %bb.784:
	s_cmp_lt_i32 s10, 2
	s_mov_b64 s[8:9], -1
	s_cbranch_scc1 .LBB175_794
; %bb.785:
	s_cmp_lt_i32 s10, 3
	s_cbranch_scc1 .LBB175_791
; %bb.786:
	s_cmp_gt_i32 s10, 3
	s_cbranch_scc0 .LBB175_788
; %bb.787:
	v_ashrrev_i32_e32 v2, 31, v1
	s_mov_b64 s[8:9], 0
	global_store_dwordx2 v[3:4], v[1:2], off
.LBB175_788:
	s_andn2_b64 vcc, exec, s[8:9]
	s_cbranch_vccnz .LBB175_790
; %bb.789:
	global_store_dword v[3:4], v1, off
.LBB175_790:
	s_mov_b64 s[8:9], 0
.LBB175_791:
	s_andn2_b64 vcc, exec, s[8:9]
	s_cbranch_vccnz .LBB175_793
; %bb.792:
	global_store_short v[3:4], v1, off
.LBB175_793:
	s_mov_b64 s[8:9], 0
.LBB175_794:
	s_andn2_b64 vcc, exec, s[8:9]
	s_cbranch_vccnz .LBB175_799
; %bb.795:
	s_cmp_gt_i32 s10, 0
	s_mov_b64 s[8:9], -1
	s_cbranch_scc0 .LBB175_797
; %bb.796:
	s_mov_b64 s[8:9], 0
	global_store_byte v[3:4], v1, off
.LBB175_797:
	s_andn2_b64 vcc, exec, s[8:9]
	s_cbranch_vccnz .LBB175_799
; %bb.798:
	global_store_byte v[3:4], v1, off
.LBB175_799:
	s_mov_b64 s[8:9], -1
.LBB175_800:
	s_andn2_b64 vcc, exec, s[8:9]
	s_cbranch_vccnz .LBB175_802
; %bb.801:
	v_add_u32_e32 v8, 0x80, v8
	s_mov_b64 s[8:9], -1
	s_branch .LBB175_804
.LBB175_802:
	s_mov_b64 s[8:9], 0
.LBB175_803:
                                        ; implicit-def: $vgpr8
.LBB175_804:
	s_andn2_b64 s[10:11], s[62:63], exec
	s_and_b64 s[0:1], s[0:1], exec
	s_or_b64 s[70:71], s[10:11], s[0:1]
	s_andn2_b64 s[0:1], s[60:61], exec
	s_and_b64 s[2:3], s[2:3], exec
	s_or_b64 s[68:69], s[0:1], s[2:3]
	s_orn2_b64 s[2:3], s[8:9], exec
.LBB175_805:
	s_or_b64 exec, exec, s[66:67]
	s_mov_b64 s[0:1], 0
	s_mov_b64 s[8:9], 0
	;; [unrolled: 1-line block ×3, first 2 shown]
                                        ; implicit-def: $vgpr1_vgpr2
                                        ; implicit-def: $vgpr0
                                        ; implicit-def: $vgpr5
	s_and_saveexec_b64 s[66:67], s[2:3]
	s_cbranch_execz .LBB175_900
; %bb.806:
	v_cmp_gt_i32_e32 vcc, s72, v8
	s_mov_b64 s[2:3], 0
	s_mov_b64 s[12:13], s[68:69]
                                        ; implicit-def: $vgpr1_vgpr2
                                        ; implicit-def: $vgpr0
                                        ; implicit-def: $vgpr5
	s_and_saveexec_b64 s[72:73], vcc
	s_cbranch_execz .LBB175_899
; %bb.807:
	s_andn2_b64 vcc, exec, s[40:41]
	s_cbranch_vccnz .LBB175_812
; %bb.808:
	s_andn2_b64 vcc, exec, s[52:53]
	s_cbranch_vccnz .LBB175_813
; %bb.809:
	s_add_i32 s77, s76, 1
	s_cmp_eq_u32 s74, 2
	s_cbranch_scc1 .LBB175_814
; %bb.810:
	s_and_b32 s76, s77, 28
	v_mov_b32_e32 v2, 0
	s_mov_b32 s78, 0
	s_mov_b64 s[52:53], s[34:35]
	v_mov_b32_e32 v0, 0
	v_mov_b32_e32 v1, v8
.LBB175_811:                            ; =>This Inner Loop Header: Depth=1
	s_load_dwordx8 s[16:23], s[52:53], 0x4
	s_load_dwordx4 s[0:3], s[52:53], 0x24
	s_load_dwordx8 s[8:15], s[50:51], 0x0
	s_add_u32 s52, s52, 48
	s_addc_u32 s53, s53, 0
	s_waitcnt vmcnt(0) lgkmcnt(0)
	v_mul_hi_u32 v3, s17, v1
	s_add_i32 s78, s78, 4
	s_add_u32 s50, s50, 32
	s_addc_u32 s51, s51, 0
	v_add_u32_e32 v3, v1, v3
	v_lshrrev_b32_e32 v3, s18, v3
	v_mul_lo_u32 v4, v3, s16
	v_mul_hi_u32 v5, s20, v3
	s_cmp_eq_u32 s76, s78
	v_sub_u32_e32 v1, v1, v4
	v_add_u32_e32 v4, v3, v5
	v_mul_lo_u32 v5, v1, s8
	v_mul_lo_u32 v6, v1, s9
	v_lshrrev_b32_e32 v1, s21, v4
	v_mul_lo_u32 v4, v1, s19
	v_mul_hi_u32 v7, s23, v1
	v_sub_u32_e32 v3, v3, v4
	v_add_u32_e32 v4, v1, v7
	v_lshrrev_b32_e32 v4, s0, v4
	v_mul_hi_u32 v9, s2, v4
	v_mul_lo_u32 v10, v4, s22
	v_mul_lo_u32 v7, v3, s10
	;; [unrolled: 1-line block ×3, first 2 shown]
	v_sub_u32_e32 v10, v1, v10
	v_add_u32_e32 v1, v4, v9
	v_lshrrev_b32_e32 v1, s3, v1
	v_mul_lo_u32 v9, v1, s1
	v_mul_lo_u32 v11, v10, s12
	;; [unrolled: 1-line block ×3, first 2 shown]
	v_add3_u32 v0, v5, v0, v7
	v_sub_u32_e32 v4, v4, v9
	v_mul_lo_u32 v9, v4, s14
	v_mul_lo_u32 v4, v4, s15
	v_add3_u32 v2, v6, v2, v3
	v_add3_u32 v0, v11, v0, v9
	;; [unrolled: 1-line block ×3, first 2 shown]
	s_cbranch_scc0 .LBB175_811
	s_branch .LBB175_815
.LBB175_812:
	s_mov_b64 s[0:1], -1
                                        ; implicit-def: $vgpr0
                                        ; implicit-def: $vgpr2
	s_branch .LBB175_819
.LBB175_813:
	v_mov_b32_e32 v0, 0
	v_mov_b32_e32 v2, 0
	s_branch .LBB175_818
.LBB175_814:
	s_mov_b32 s76, 0
	v_mov_b32_e32 v0, 0
	v_mov_b32_e32 v2, 0
	;; [unrolled: 1-line block ×3, first 2 shown]
.LBB175_815:
	s_and_b32 s8, s77, 3
	s_cmp_eq_u32 s8, 0
	s_cbranch_scc1 .LBB175_818
; %bb.816:
	s_lshl_b32 s0, s76, 3
	s_add_u32 s0, s34, s0
	s_addc_u32 s1, s35, 0
	s_add_u32 s0, s0, 0xc4
	s_addc_u32 s1, s1, 0
	s_mul_i32 s2, s76, 12
	s_add_u32 s2, s34, s2
	s_addc_u32 s3, s35, 0
.LBB175_817:                            ; =>This Inner Loop Header: Depth=1
	s_load_dwordx2 s[10:11], s[2:3], 0x4
	s_load_dword s9, s[2:3], 0xc
	s_load_dwordx2 s[12:13], s[0:1], 0x0
	s_add_u32 s2, s2, 12
	s_addc_u32 s3, s3, 0
	s_waitcnt vmcnt(0) lgkmcnt(0)
	v_mul_hi_u32 v3, s11, v1
	s_add_u32 s0, s0, 8
	s_addc_u32 s1, s1, 0
	s_add_i32 s8, s8, -1
	v_add_u32_e32 v3, v1, v3
	v_lshrrev_b32_e32 v4, s9, v3
	v_mul_lo_u32 v3, v4, s10
	s_cmp_lg_u32 s8, 0
	v_sub_u32_e32 v3, v1, v3
	v_mad_u64_u32 v[0:1], s[10:11], v3, s12, v[0:1]
	v_mad_u64_u32 v[2:3], s[10:11], v3, s13, v[2:3]
	v_mov_b32_e32 v1, v4
	s_cbranch_scc1 .LBB175_817
.LBB175_818:
	s_mov_b64 s[0:1], 0
.LBB175_819:
	s_andn2_b64 vcc, exec, s[0:1]
	s_cbranch_vccnz .LBB175_822
; %bb.820:
	v_mul_hi_u32 v0, s29, v8
	s_andn2_b64 vcc, exec, s[48:49]
	v_add_u32_e32 v0, v8, v0
	v_lshrrev_b32_e32 v1, s30, v0
	v_mul_lo_u32 v0, v1, s28
	v_sub_u32_e32 v2, v8, v0
	v_mul_lo_u32 v0, v2, s36
	v_mul_lo_u32 v2, v2, s37
	s_cbranch_vccnz .LBB175_822
; %bb.821:
	s_waitcnt vmcnt(0)
	v_mul_hi_u32 v3, s46, v1
	v_add_u32_e32 v3, v1, v3
	v_lshrrev_b32_e32 v3, s47, v3
	v_mul_lo_u32 v3, v3, s31
	v_sub_u32_e32 v3, v1, v3
	v_mad_u64_u32 v[0:1], s[0:1], v3, s38, v[0:1]
	v_mad_u64_u32 v[2:3], s[0:1], v3, s39, v[2:3]
.LBB175_822:
	s_waitcnt vmcnt(0)
	v_mov_b32_e32 v3, s27
	s_and_b32 s12, 0xffff, s75
	v_add_co_u32_e32 v1, vcc, s26, v2
	s_cmp_lt_i32 s12, 11
	v_addc_co_u32_e32 v2, vcc, 0, v3, vcc
	s_cbranch_scc1 .LBB175_829
; %bb.823:
	s_cmp_gt_i32 s12, 25
	s_mov_b64 s[2:3], 0
	s_cbranch_scc0 .LBB175_830
; %bb.824:
	s_cmp_gt_i32 s12, 28
	s_cbranch_scc0 .LBB175_831
; %bb.825:
	s_cmp_gt_i32 s12, 43
	;; [unrolled: 3-line block ×3, first 2 shown]
	s_cbranch_scc0 .LBB175_835
; %bb.827:
	s_cmp_eq_u32 s12, 46
	s_mov_b64 s[10:11], 0
	s_cbranch_scc0 .LBB175_838
; %bb.828:
	global_load_dword v3, v[1:2], off
	s_mov_b64 s[0:1], 0
	s_mov_b64 s[8:9], -1
	s_waitcnt vmcnt(0)
	v_lshlrev_b32_e32 v3, 16, v3
	v_cvt_i32_f32_e32 v5, v3
	s_branch .LBB175_839
.LBB175_829:
	s_mov_b64 s[12:13], -1
	s_mov_b64 s[8:9], 0
	s_mov_b64 s[2:3], 0
	;; [unrolled: 1-line block ×3, first 2 shown]
                                        ; implicit-def: $vgpr5
	s_branch .LBB175_898
.LBB175_830:
	s_mov_b64 s[10:11], -1
	s_mov_b64 s[8:9], 0
	s_mov_b64 s[0:1], s[68:69]
                                        ; implicit-def: $vgpr5
	s_branch .LBB175_866
.LBB175_831:
	s_mov_b64 s[10:11], -1
	s_mov_b64 s[8:9], 0
	s_mov_b64 s[0:1], s[68:69]
                                        ; implicit-def: $vgpr5
	s_branch .LBB175_849
.LBB175_832:
	s_mov_b64 s[10:11], -1
	s_mov_b64 s[8:9], 0
	s_mov_b64 s[0:1], s[68:69]
                                        ; implicit-def: $vgpr5
	s_branch .LBB175_844
.LBB175_833:
	s_andn2_saveexec_b64 s[12:13], s[12:13]
	s_cbranch_execz .LBB175_713
.LBB175_834:
	s_mov_b32 s16, 0x46000000
	v_add_f32_e64 v2, |v0|, s16
	v_and_b32_e32 v2, 0xff, v2
	v_cmp_ne_u32_e32 vcc, 0, v2
	s_andn2_b64 s[10:11], s[10:11], exec
	s_and_b64 s[16:17], vcc, exec
	s_or_b64 s[10:11], s[10:11], s[16:17]
	s_or_b64 exec, exec, s[12:13]
	v_mov_b32_e32 v5, 0
	s_and_saveexec_b64 s[12:13], s[10:11]
	s_cbranch_execnz .LBB175_714
	s_branch .LBB175_715
.LBB175_835:
	s_mov_b64 s[10:11], -1
	s_mov_b64 s[8:9], 0
	s_mov_b64 s[0:1], s[68:69]
                                        ; implicit-def: $vgpr5
	s_branch .LBB175_839
.LBB175_836:
	s_andn2_saveexec_b64 s[12:13], s[12:13]
	s_cbranch_execz .LBB175_726
.LBB175_837:
	s_mov_b32 s16, 0x42800000
	v_add_f32_e64 v2, |v0|, s16
	v_and_b32_e32 v2, 0xff, v2
	v_cmp_ne_u32_e32 vcc, 0, v2
	s_andn2_b64 s[10:11], s[10:11], exec
	s_and_b64 s[16:17], vcc, exec
	s_or_b64 s[10:11], s[10:11], s[16:17]
	s_or_b64 exec, exec, s[12:13]
	v_mov_b32_e32 v5, 0
	s_and_saveexec_b64 s[12:13], s[10:11]
	s_cbranch_execnz .LBB175_727
	s_branch .LBB175_728
.LBB175_838:
	s_mov_b64 s[0:1], -1
                                        ; implicit-def: $vgpr5
	s_mov_b64 s[8:9], 0
.LBB175_839:
	s_and_b64 vcc, exec, s[10:11]
	s_cbranch_vccz .LBB175_843
; %bb.840:
	s_cmp_eq_u32 s12, 44
	s_cbranch_scc0 .LBB175_842
; %bb.841:
	global_load_ubyte v3, v[1:2], off
	s_mov_b64 s[0:1], 0
	s_mov_b64 s[8:9], -1
	s_waitcnt vmcnt(0)
	v_lshlrev_b32_e32 v4, 23, v3
	v_cvt_i32_f32_e32 v4, v4
	v_cmp_ne_u32_e32 vcc, 0, v3
	v_cndmask_b32_e32 v5, 0, v4, vcc
	s_branch .LBB175_843
.LBB175_842:
	s_mov_b64 s[0:1], -1
                                        ; implicit-def: $vgpr5
.LBB175_843:
	s_mov_b64 s[10:11], 0
.LBB175_844:
	s_and_b64 vcc, exec, s[10:11]
	s_cbranch_vccz .LBB175_848
; %bb.845:
	s_cmp_eq_u32 s12, 29
	s_cbranch_scc0 .LBB175_847
; %bb.846:
	global_load_dword v5, v[1:2], off
	s_mov_b64 s[0:1], 0
	s_mov_b64 s[8:9], -1
	s_branch .LBB175_848
.LBB175_847:
	s_mov_b64 s[0:1], -1
                                        ; implicit-def: $vgpr5
.LBB175_848:
	s_mov_b64 s[10:11], 0
.LBB175_849:
	s_and_b64 vcc, exec, s[10:11]
	s_cbranch_vccz .LBB175_865
; %bb.850:
	s_cmp_lt_i32 s12, 27
	s_cbranch_scc1 .LBB175_853
; %bb.851:
	s_cmp_gt_i32 s12, 27
	s_cbranch_scc0 .LBB175_854
; %bb.852:
	global_load_dword v5, v[1:2], off
	s_mov_b64 s[8:9], 0
	s_branch .LBB175_855
.LBB175_853:
	s_mov_b64 s[8:9], -1
                                        ; implicit-def: $vgpr5
	s_branch .LBB175_858
.LBB175_854:
	s_mov_b64 s[8:9], -1
                                        ; implicit-def: $vgpr5
.LBB175_855:
	s_andn2_b64 vcc, exec, s[8:9]
	s_cbranch_vccnz .LBB175_857
; %bb.856:
	global_load_ushort v5, v[1:2], off
.LBB175_857:
	s_mov_b64 s[8:9], 0
.LBB175_858:
	s_andn2_b64 vcc, exec, s[8:9]
	s_cbranch_vccnz .LBB175_864
; %bb.859:
	global_load_ubyte v3, v[1:2], off
	s_movk_i32 s8, 0x7f
	s_mov_b64 s[10:11], 0
	s_waitcnt vmcnt(0)
	v_cmp_lt_i16_e32 vcc, s8, v3
	s_and_saveexec_b64 s[8:9], vcc
	s_xor_b64 s[8:9], exec, s[8:9]
	s_cbranch_execz .LBB175_876
; %bb.860:
	s_movk_i32 s10, 0x80
	v_cmp_ne_u16_e32 vcc, s10, v3
	s_and_b64 s[10:11], vcc, exec
	s_andn2_saveexec_b64 s[8:9], s[8:9]
	s_cbranch_execnz .LBB175_877
.LBB175_861:
	s_or_b64 exec, exec, s[8:9]
	v_mov_b32_e32 v5, 0
	s_and_saveexec_b64 s[8:9], s[10:11]
	s_cbranch_execz .LBB175_863
.LBB175_862:
	v_lshlrev_b32_e32 v4, 24, v3
	v_and_b32_e32 v3, 0xffff, v3
	v_and_b32_e32 v5, 7, v3
	v_ffbh_u32_e32 v7, v5
	v_min_u32_e32 v7, 32, v7
	v_subrev_u32_e32 v8, 28, v7
	v_bfe_u32 v6, v3, 3, 4
	v_lshlrev_b32_e32 v3, v8, v3
	v_sub_u32_e32 v7, 29, v7
	v_and_b32_e32 v3, 7, v3
	v_cmp_eq_u32_e32 vcc, 0, v6
	v_cndmask_b32_e32 v6, v6, v7, vcc
	v_cndmask_b32_e32 v3, v5, v3, vcc
	v_mov_b32_e32 v5, 0x3b800000
	v_lshlrev_b32_e32 v3, 20, v3
	v_and_b32_e32 v4, 0x80000000, v4
	v_lshl_add_u32 v5, v6, 23, v5
	v_or3_b32 v3, v4, v5, v3
	v_cvt_i32_f32_e32 v5, v3
.LBB175_863:
	s_or_b64 exec, exec, s[8:9]
.LBB175_864:
	s_mov_b64 s[8:9], -1
.LBB175_865:
	s_mov_b64 s[10:11], 0
.LBB175_866:
	s_and_b64 vcc, exec, s[10:11]
	s_cbranch_vccz .LBB175_897
; %bb.867:
	s_cmp_gt_i32 s12, 22
	s_cbranch_scc0 .LBB175_875
; %bb.868:
	s_cmp_lt_i32 s12, 24
	s_cbranch_scc1 .LBB175_878
; %bb.869:
	s_cmp_gt_i32 s12, 24
	s_cbranch_scc0 .LBB175_879
; %bb.870:
	global_load_ubyte v3, v[1:2], off
	s_movk_i32 s2, 0x7f
	s_mov_b64 s[8:9], 0
	s_waitcnt vmcnt(0)
	v_cmp_lt_i16_e32 vcc, s2, v3
	s_and_saveexec_b64 s[2:3], vcc
	s_xor_b64 s[2:3], exec, s[2:3]
	s_cbranch_execz .LBB175_891
; %bb.871:
	s_movk_i32 s8, 0x80
	v_cmp_ne_u16_e32 vcc, s8, v3
	s_and_b64 s[8:9], vcc, exec
	s_andn2_saveexec_b64 s[2:3], s[2:3]
	s_cbranch_execnz .LBB175_892
.LBB175_872:
	s_or_b64 exec, exec, s[2:3]
	v_mov_b32_e32 v5, 0
	s_and_saveexec_b64 s[2:3], s[8:9]
	s_cbranch_execz .LBB175_874
.LBB175_873:
	v_lshlrev_b32_e32 v4, 24, v3
	v_and_b32_e32 v3, 0xffff, v3
	v_and_b32_e32 v5, 3, v3
	v_ffbh_u32_e32 v7, v5
	v_min_u32_e32 v7, 32, v7
	v_subrev_u32_e32 v8, 29, v7
	v_bfe_u32 v6, v3, 2, 5
	v_lshlrev_b32_e32 v3, v8, v3
	v_sub_u32_e32 v7, 30, v7
	v_and_b32_e32 v3, 3, v3
	v_cmp_eq_u32_e32 vcc, 0, v6
	v_cndmask_b32_e32 v6, v6, v7, vcc
	v_cndmask_b32_e32 v3, v5, v3, vcc
	v_mov_b32_e32 v5, 0x37800000
	v_lshlrev_b32_e32 v3, 21, v3
	v_and_b32_e32 v4, 0x80000000, v4
	v_lshl_add_u32 v5, v6, 23, v5
	v_or3_b32 v3, v4, v5, v3
	v_cvt_i32_f32_e32 v5, v3
.LBB175_874:
	s_or_b64 exec, exec, s[2:3]
	s_mov_b64 s[2:3], 0
	s_branch .LBB175_880
.LBB175_875:
	s_mov_b64 s[2:3], -1
                                        ; implicit-def: $vgpr5
	s_branch .LBB175_886
.LBB175_876:
	s_andn2_saveexec_b64 s[8:9], s[8:9]
	s_cbranch_execz .LBB175_861
.LBB175_877:
	v_cmp_ne_u16_e32 vcc, 0, v3
	s_andn2_b64 s[10:11], s[10:11], exec
	s_and_b64 s[14:15], vcc, exec
	s_or_b64 s[10:11], s[10:11], s[14:15]
	s_or_b64 exec, exec, s[8:9]
	v_mov_b32_e32 v5, 0
	s_and_saveexec_b64 s[8:9], s[10:11]
	s_cbranch_execnz .LBB175_862
	s_branch .LBB175_863
.LBB175_878:
	s_mov_b64 s[2:3], -1
                                        ; implicit-def: $vgpr5
	s_branch .LBB175_883
.LBB175_879:
	s_mov_b64 s[2:3], -1
                                        ; implicit-def: $vgpr5
.LBB175_880:
	s_and_b64 vcc, exec, s[2:3]
	s_cbranch_vccz .LBB175_882
; %bb.881:
	global_load_ubyte v3, v[1:2], off
	s_mov_b32 s2, 0x7f800000
	s_waitcnt vmcnt(0)
	v_lshlrev_b32_e32 v3, 24, v3
	v_and_b32_e32 v4, 0x7f000000, v3
	v_ffbh_u32_e32 v5, v4
	v_min_u32_e32 v5, 32, v5
	v_sub_u32_e64 v5, v5, 4 clamp
	v_lshlrev_b32_e32 v7, v5, v4
	v_lshlrev_b32_e32 v5, 23, v5
	v_lshrrev_b32_e32 v7, 4, v7
	v_add_u32_e32 v6, 0x1000000, v4
	v_sub_u32_e32 v5, v7, v5
	v_ashrrev_i32_e32 v6, 8, v6
	v_add_u32_e32 v5, 0x3c000000, v5
	v_and_or_b32 v5, v6, s2, v5
	v_cmp_ne_u32_e32 vcc, 0, v4
	v_cndmask_b32_e32 v4, 0, v5, vcc
	s_brev_b32 s2, 1
	v_and_or_b32 v3, v3, s2, v4
	v_cvt_i32_f32_e32 v5, v3
.LBB175_882:
	s_mov_b64 s[2:3], 0
.LBB175_883:
	s_andn2_b64 vcc, exec, s[2:3]
	s_cbranch_vccnz .LBB175_885
; %bb.884:
	global_load_ubyte v3, v[1:2], off
	s_movk_i32 s2, 0x7f00
	s_brev_b32 s3, 16
	s_waitcnt vmcnt(0)
	v_lshlrev_b16_e32 v4, 8, v3
	v_lshlrev_b32_e32 v3, 25, v3
	v_lshrrev_b32_e32 v5, 4, v3
	v_and_or_b32 v6, v4, s2, 0.5
	v_or_b32_e32 v5, 0x70000000, v5
	v_add_f32_e32 v6, -0.5, v6
	v_mul_f32_e32 v5, 0x7800000, v5
	v_cmp_gt_u32_e32 vcc, s3, v3
	v_bfe_i32 v4, v4, 0, 16
	v_cndmask_b32_e32 v3, v5, v6, vcc
	s_brev_b32 s2, 1
	v_and_or_b32 v3, v4, s2, v3
	v_cvt_i32_f32_e32 v5, v3
.LBB175_885:
	s_mov_b64 s[2:3], 0
	s_mov_b64 s[8:9], -1
.LBB175_886:
	s_andn2_b64 vcc, exec, s[2:3]
	s_mov_b64 s[2:3], 0
	s_cbranch_vccnz .LBB175_897
; %bb.887:
	s_cmp_gt_i32 s12, 14
	s_cbranch_scc0 .LBB175_890
; %bb.888:
	s_cmp_eq_u32 s12, 15
	s_cbranch_scc0 .LBB175_893
; %bb.889:
	global_load_ushort v3, v[1:2], off
	s_mov_b64 s[0:1], 0
	s_mov_b64 s[8:9], -1
	s_waitcnt vmcnt(0)
	v_lshlrev_b32_e32 v3, 16, v3
	v_cvt_i32_f32_e32 v5, v3
	s_branch .LBB175_894
.LBB175_890:
	s_mov_b64 s[10:11], -1
                                        ; implicit-def: $vgpr5
	s_branch .LBB175_895
.LBB175_891:
	s_andn2_saveexec_b64 s[2:3], s[2:3]
	s_cbranch_execz .LBB175_872
.LBB175_892:
	v_cmp_ne_u16_e32 vcc, 0, v3
	s_andn2_b64 s[8:9], s[8:9], exec
	s_and_b64 s[10:11], vcc, exec
	s_or_b64 s[8:9], s[8:9], s[10:11]
	s_or_b64 exec, exec, s[2:3]
	v_mov_b32_e32 v5, 0
	s_and_saveexec_b64 s[2:3], s[8:9]
	s_cbranch_execnz .LBB175_873
	s_branch .LBB175_874
.LBB175_893:
	s_mov_b64 s[0:1], -1
                                        ; implicit-def: $vgpr5
.LBB175_894:
	s_mov_b64 s[10:11], 0
.LBB175_895:
	s_and_b64 vcc, exec, s[10:11]
	s_cbranch_vccz .LBB175_897
; %bb.896:
	s_cmp_lg_u32 s12, 11
	s_cselect_b64 s[10:11], -1, 0
	s_andn2_b64 s[0:1], s[0:1], exec
	s_and_b64 s[10:11], s[10:11], exec
	s_mov_b64 s[2:3], -1
	s_or_b64 s[0:1], s[0:1], s[10:11]
.LBB175_897:
	s_mov_b64 s[12:13], 0
.LBB175_898:
	s_and_b64 s[10:11], s[8:9], exec
	s_and_b64 s[8:9], s[12:13], exec
	s_andn2_b64 s[12:13], s[68:69], exec
	s_and_b64 s[0:1], s[0:1], exec
	s_and_b64 s[2:3], s[2:3], exec
	s_or_b64 s[12:13], s[12:13], s[0:1]
.LBB175_899:
	s_or_b64 exec, exec, s[72:73]
	s_and_b64 s[0:1], s[2:3], exec
	s_andn2_b64 s[2:3], s[68:69], exec
	s_and_b64 s[12:13], s[12:13], exec
	s_and_b64 s[10:11], s[10:11], exec
	;; [unrolled: 1-line block ×3, first 2 shown]
	s_or_b64 s[68:69], s[2:3], s[12:13]
.LBB175_900:
	s_or_b64 exec, exec, s[66:67]
	s_andn2_b64 s[2:3], s[62:63], exec
	s_and_b64 s[12:13], s[70:71], exec
	s_or_b64 s[62:63], s[2:3], s[12:13]
	s_and_b64 s[2:3], s[0:1], exec
	s_andn2_b64 s[0:1], s[60:61], exec
	s_and_b64 s[12:13], s[68:69], exec
	s_and_b64 s[10:11], s[10:11], exec
	s_and_b64 s[8:9], s[8:9], exec
	s_or_b64 s[60:61], s[0:1], s[12:13]
.LBB175_901:
	s_or_b64 exec, exec, s[64:65]
	s_andn2_b64 s[0:1], s[54:55], exec
	s_and_b64 s[12:13], s[62:63], exec
	s_or_b64 s[54:55], s[0:1], s[12:13]
	s_and_b64 s[0:1], s[10:11], exec
	s_and_b64 s[10:11], s[8:9], exec
	;; [unrolled: 1-line block ×3, first 2 shown]
	s_andn2_b64 s[2:3], s[56:57], exec
	s_and_b64 s[8:9], s[60:61], exec
	s_or_b64 s[56:57], s[2:3], s[8:9]
	s_or_b64 exec, exec, s[58:59]
	s_mov_b64 s[2:3], 0
	s_and_saveexec_b64 s[8:9], s[56:57]
	s_cbranch_execz .LBB175_270
.LBB175_902:
	s_mov_b64 s[2:3], exec
	s_andn2_b64 s[62:63], s[62:63], exec
	s_trap 2
	s_or_b64 exec, exec, s[8:9]
	s_and_saveexec_b64 s[8:9], s[62:63]
	s_xor_b64 s[8:9], exec, s[8:9]
	s_cbranch_execnz .LBB175_271
.LBB175_903:
	s_or_b64 exec, exec, s[8:9]
	s_and_saveexec_b64 s[8:9], s[10:11]
	s_cbranch_execz .LBB175_949
.LBB175_904:
	s_sext_i32_i16 s10, s75
	s_cmp_lt_i32 s10, 5
	s_cbranch_scc1 .LBB175_909
; %bb.905:
	s_cmp_lt_i32 s10, 8
	s_cbranch_scc1 .LBB175_910
; %bb.906:
	;; [unrolled: 3-line block ×3, first 2 shown]
	s_cmp_gt_i32 s10, 9
	s_cbranch_scc0 .LBB175_912
; %bb.908:
	global_load_dwordx2 v[3:4], v[1:2], off
	s_mov_b64 s[10:11], 0
	s_waitcnt vmcnt(0)
	v_cvt_i32_f64_e32 v5, v[3:4]
	s_branch .LBB175_913
.LBB175_909:
                                        ; implicit-def: $vgpr5
	s_branch .LBB175_930
.LBB175_910:
                                        ; implicit-def: $vgpr5
	s_branch .LBB175_919
.LBB175_911:
	s_mov_b64 s[10:11], -1
                                        ; implicit-def: $vgpr5
	s_branch .LBB175_916
.LBB175_912:
	s_mov_b64 s[10:11], -1
                                        ; implicit-def: $vgpr5
.LBB175_913:
	s_andn2_b64 vcc, exec, s[10:11]
	s_cbranch_vccnz .LBB175_915
; %bb.914:
	global_load_dword v3, v[1:2], off
	s_waitcnt vmcnt(0)
	v_cvt_i32_f32_e32 v5, v3
.LBB175_915:
	s_mov_b64 s[10:11], 0
.LBB175_916:
	s_andn2_b64 vcc, exec, s[10:11]
	s_cbranch_vccnz .LBB175_918
; %bb.917:
	global_load_dword v3, v[1:2], off
	s_waitcnt vmcnt(0)
	v_cvt_f32_f16_e32 v3, v3
	v_cvt_i32_f32_e32 v5, v3
.LBB175_918:
	s_cbranch_execnz .LBB175_929
.LBB175_919:
	s_sext_i32_i16 s10, s75
	s_cmp_lt_i32 s10, 6
	s_cbranch_scc1 .LBB175_922
; %bb.920:
	s_cmp_gt_i32 s10, 6
	s_cbranch_scc0 .LBB175_923
; %bb.921:
	global_load_dwordx2 v[3:4], v[1:2], off
	s_mov_b64 s[10:11], 0
	s_waitcnt vmcnt(0)
	v_cvt_i32_f64_e32 v5, v[3:4]
	s_branch .LBB175_924
.LBB175_922:
	s_mov_b64 s[10:11], -1
                                        ; implicit-def: $vgpr5
	s_branch .LBB175_927
.LBB175_923:
	s_mov_b64 s[10:11], -1
                                        ; implicit-def: $vgpr5
.LBB175_924:
	s_andn2_b64 vcc, exec, s[10:11]
	s_cbranch_vccnz .LBB175_926
; %bb.925:
	global_load_dword v3, v[1:2], off
	s_waitcnt vmcnt(0)
	v_cvt_i32_f32_e32 v5, v3
.LBB175_926:
	s_mov_b64 s[10:11], 0
.LBB175_927:
	s_andn2_b64 vcc, exec, s[10:11]
	s_cbranch_vccnz .LBB175_929
; %bb.928:
	global_load_ushort v3, v[1:2], off
	s_waitcnt vmcnt(0)
	v_cvt_f32_f16_e32 v3, v3
	v_cvt_i32_f32_e32 v5, v3
.LBB175_929:
	s_cbranch_execnz .LBB175_948
.LBB175_930:
	s_sext_i32_i16 s10, s75
	s_cmp_lt_i32 s10, 2
	s_cbranch_scc1 .LBB175_934
; %bb.931:
	s_cmp_lt_i32 s10, 3
	s_cbranch_scc1 .LBB175_935
; %bb.932:
	s_cmp_gt_i32 s10, 3
	s_cbranch_scc0 .LBB175_936
; %bb.933:
	global_load_dword v5, v[1:2], off
	s_mov_b64 s[10:11], 0
	s_branch .LBB175_937
.LBB175_934:
                                        ; implicit-def: $vgpr5
	s_branch .LBB175_943
.LBB175_935:
	s_mov_b64 s[10:11], -1
                                        ; implicit-def: $vgpr5
	s_branch .LBB175_940
.LBB175_936:
	s_mov_b64 s[10:11], -1
                                        ; implicit-def: $vgpr5
.LBB175_937:
	s_andn2_b64 vcc, exec, s[10:11]
	s_cbranch_vccnz .LBB175_939
; %bb.938:
	global_load_dword v5, v[1:2], off
.LBB175_939:
	s_mov_b64 s[10:11], 0
.LBB175_940:
	s_andn2_b64 vcc, exec, s[10:11]
	s_cbranch_vccnz .LBB175_942
; %bb.941:
	global_load_sshort v5, v[1:2], off
.LBB175_942:
	s_cbranch_execnz .LBB175_948
.LBB175_943:
	s_sext_i32_i16 s10, s75
	s_cmp_gt_i32 s10, 0
	s_cbranch_scc0 .LBB175_945
; %bb.944:
	global_load_sbyte v5, v[1:2], off
	s_mov_b64 s[10:11], 0
	s_branch .LBB175_946
.LBB175_945:
	s_mov_b64 s[10:11], -1
                                        ; implicit-def: $vgpr5
.LBB175_946:
	s_andn2_b64 vcc, exec, s[10:11]
	s_cbranch_vccnz .LBB175_948
; %bb.947:
	global_load_ubyte v5, v[1:2], off
.LBB175_948:
	s_or_b64 s[0:1], s[0:1], exec
.LBB175_949:
	s_or_b64 exec, exec, s[8:9]
	s_mov_b64 s[12:13], 0
	s_mov_b64 s[10:11], 0
                                        ; implicit-def: $sgpr18
                                        ; implicit-def: $vgpr3_vgpr4
                                        ; implicit-def: $vgpr1
	s_and_saveexec_b64 s[8:9], s[0:1]
	s_cbranch_execz .LBB175_957
; %bb.950:
	s_waitcnt vmcnt(0)
	v_min_u32_e32 v1, 31, v5
	v_mov_b32_e32 v2, s25
	s_and_b32 s18, s45, 0xff
	v_add_co_u32_e32 v3, vcc, s24, v0
	v_ashrrev_i32_e64 v1, v1, s44
	s_cmp_lt_i32 s18, 11
	v_addc_co_u32_e32 v4, vcc, 0, v2, vcc
	s_cbranch_scc1 .LBB175_960
; %bb.951:
	s_and_b32 s19, 0xffff, s18
	s_mov_b64 s[12:13], -1
	s_cmp_gt_i32 s19, 25
	s_mov_b64 s[0:1], s[54:55]
	s_cbranch_scc0 .LBB175_988
; %bb.952:
	s_mov_b64 s[10:11], -1
	s_cmp_gt_i32 s19, 28
	s_mov_b64 s[0:1], s[54:55]
	s_cbranch_scc0 .LBB175_972
; %bb.953:
	s_cmp_gt_i32 s19, 43
	s_mov_b64 s[0:1], s[54:55]
	s_cbranch_scc0 .LBB175_968
; %bb.954:
	;; [unrolled: 4-line block ×3, first 2 shown]
	s_cmp_eq_u32 s19, 46
	s_mov_b64 s[0:1], -1
	s_cbranch_scc0 .LBB175_961
; %bb.956:
	v_cvt_f32_i32_e32 v0, v1
	s_movk_i32 s0, 0x7fff
	s_mov_b64 s[10:11], 0
	v_bfe_u32 v2, v0, 16, 1
	v_add3_u32 v0, v0, v2, s0
	v_lshrrev_b32_e32 v0, 16, v0
	global_store_dword v[3:4], v0, off
	s_mov_b64 s[0:1], 0
	s_branch .LBB175_962
.LBB175_957:
	s_or_b64 exec, exec, s[8:9]
	s_and_saveexec_b64 s[0:1], s[54:55]
	s_cbranch_execnz .LBB175_1030
.LBB175_958:
	s_or_b64 exec, exec, s[0:1]
	s_and_saveexec_b64 s[0:1], s[12:13]
	s_xor_b64 s[0:1], exec, s[0:1]
	s_cbranch_execz .LBB175_1031
.LBB175_959:
	v_cmp_ne_u32_e32 vcc, 0, v1
	v_cndmask_b32_e64 v0, 0, 1, vcc
	s_waitcnt vmcnt(0)
	global_store_byte v[3:4], v0, off
	s_or_b64 exec, exec, s[0:1]
	s_and_saveexec_b64 s[0:1], s[10:11]
	s_xor_b64 s[0:1], exec, s[0:1]
	s_cbranch_execz .LBB175_1069
	s_branch .LBB175_1032
.LBB175_960:
	s_mov_b64 s[10:11], -1
	s_mov_b64 s[0:1], s[54:55]
	s_branch .LBB175_1029
.LBB175_961:
	s_mov_b64 s[10:11], 0
.LBB175_962:
	s_and_b64 vcc, exec, s[10:11]
	s_cbranch_vccz .LBB175_967
; %bb.963:
	s_cmp_eq_u32 s19, 44
	s_mov_b64 s[0:1], -1
	s_cbranch_scc0 .LBB175_967
; %bb.964:
	v_cvt_f32_i32_e32 v0, v1
	s_movk_i32 s0, 0xff
	v_mov_b32_e32 v5, 0xff
	v_bfe_u32 v2, v0, 23, 8
	v_cmp_ne_u32_e32 vcc, s0, v2
	s_and_saveexec_b64 s[10:11], vcc
; %bb.965:
	s_mov_b32 s0, 0x3fffff
	v_lshrrev_b32_e32 v5, 23, v0
	v_and_b32_e32 v6, 0x400000, v0
	v_and_or_b32 v0, v0, s0, v2
	v_cmp_ne_u32_e32 vcc, 0, v6
	v_cmp_ne_u32_e64 s[0:1], 0, v0
	s_and_b64 s[0:1], vcc, s[0:1]
	v_cndmask_b32_e64 v0, 0, 1, s[0:1]
	v_add_u32_e32 v5, v5, v0
; %bb.966:
	s_or_b64 exec, exec, s[10:11]
	s_mov_b64 s[0:1], 0
	global_store_byte v[3:4], v5, off
.LBB175_967:
	s_mov_b64 s[10:11], 0
.LBB175_968:
	s_and_b64 vcc, exec, s[10:11]
	s_cbranch_vccz .LBB175_971
; %bb.969:
	s_cmp_eq_u32 s19, 29
	s_mov_b64 s[0:1], -1
	s_cbranch_scc0 .LBB175_971
; %bb.970:
	v_ashrrev_i32_e32 v2, 31, v1
	global_store_dwordx2 v[3:4], v[1:2], off
	s_mov_b64 s[0:1], 0
.LBB175_971:
	s_mov_b64 s[10:11], 0
.LBB175_972:
	s_and_b64 vcc, exec, s[10:11]
	s_cbranch_vccz .LBB175_987
; %bb.973:
	s_cmp_lt_i32 s19, 27
	s_mov_b64 s[10:11], -1
	s_cbranch_scc1 .LBB175_979
; %bb.974:
	s_cmp_gt_i32 s19, 27
	s_cbranch_scc0 .LBB175_976
; %bb.975:
	s_mov_b64 s[10:11], 0
	global_store_dword v[3:4], v1, off
.LBB175_976:
	s_andn2_b64 vcc, exec, s[10:11]
	s_cbranch_vccnz .LBB175_978
; %bb.977:
	global_store_short v[3:4], v1, off
.LBB175_978:
	s_mov_b64 s[10:11], 0
.LBB175_979:
	s_andn2_b64 vcc, exec, s[10:11]
	s_cbranch_vccnz .LBB175_987
; %bb.980:
	v_cvt_f32_i32_e32 v0, v1
	s_mov_b32 s10, 0x43800000
	v_mov_b32_e32 v5, 0x80
	v_and_b32_e32 v2, 0x7fffffff, v0
	v_cmp_gt_u32_e32 vcc, s10, v2
	s_and_saveexec_b64 s[10:11], vcc
	s_cbranch_execz .LBB175_986
; %bb.981:
	s_mov_b32 s12, 0x3bffffff
	v_cmp_lt_u32_e32 vcc, s12, v2
	s_mov_b64 s[12:13], 0
                                        ; implicit-def: $vgpr2
	s_and_saveexec_b64 s[14:15], vcc
	s_xor_b64 s[14:15], exec, s[14:15]
	s_cbranch_execz .LBB175_1140
; %bb.982:
	v_bfe_u32 v2, v0, 20, 1
	s_mov_b32 s16, 0x487ffff
	v_add3_u32 v2, v0, v2, s16
	s_mov_b64 s[12:13], exec
	v_lshrrev_b32_e32 v2, 20, v2
	s_andn2_saveexec_b64 s[14:15], s[14:15]
	s_cbranch_execnz .LBB175_1141
.LBB175_983:
	s_or_b64 exec, exec, s[14:15]
	v_mov_b32_e32 v5, 0
	s_and_saveexec_b64 s[14:15], s[12:13]
.LBB175_984:
	v_lshrrev_b32_e32 v0, 24, v0
	s_movk_i32 s12, 0x80
	v_and_or_b32 v5, v0, s12, v2
.LBB175_985:
	s_or_b64 exec, exec, s[14:15]
.LBB175_986:
	s_or_b64 exec, exec, s[10:11]
	global_store_byte v[3:4], v5, off
.LBB175_987:
	s_mov_b64 s[12:13], 0
.LBB175_988:
	s_mov_b64 s[10:11], 0
	s_and_b64 vcc, exec, s[12:13]
	s_cbranch_vccz .LBB175_1028
; %bb.989:
	s_cmp_gt_i32 s19, 22
	s_mov_b64 s[12:13], -1
	s_cbranch_scc0 .LBB175_1021
; %bb.990:
	s_cmp_lt_i32 s19, 24
	s_cbranch_scc1 .LBB175_1010
; %bb.991:
	s_cmp_gt_i32 s19, 24
	s_cbranch_scc0 .LBB175_999
; %bb.992:
	v_cvt_f32_i32_e32 v0, v1
	s_mov_b32 s12, 0x47800000
	v_mov_b32_e32 v5, 0x80
	v_and_b32_e32 v2, 0x7fffffff, v0
	v_cmp_gt_u32_e32 vcc, s12, v2
	s_and_saveexec_b64 s[12:13], vcc
	s_cbranch_execz .LBB175_998
; %bb.993:
	s_mov_b32 s14, 0x37ffffff
	v_cmp_lt_u32_e32 vcc, s14, v2
	s_mov_b64 s[14:15], 0
                                        ; implicit-def: $vgpr2
	s_and_saveexec_b64 s[16:17], vcc
	s_xor_b64 s[16:17], exec, s[16:17]
	s_cbranch_execz .LBB175_1260
; %bb.994:
	v_bfe_u32 v2, v0, 21, 1
	s_mov_b32 s20, 0x88fffff
	v_add3_u32 v2, v0, v2, s20
	s_mov_b64 s[14:15], exec
	v_lshrrev_b32_e32 v2, 21, v2
	s_andn2_saveexec_b64 s[16:17], s[16:17]
	s_cbranch_execnz .LBB175_1261
.LBB175_995:
	s_or_b64 exec, exec, s[16:17]
	v_mov_b32_e32 v5, 0
	s_and_saveexec_b64 s[16:17], s[14:15]
.LBB175_996:
	v_lshrrev_b32_e32 v0, 24, v0
	s_movk_i32 s14, 0x80
	v_and_or_b32 v5, v0, s14, v2
.LBB175_997:
	s_or_b64 exec, exec, s[16:17]
.LBB175_998:
	s_or_b64 exec, exec, s[12:13]
	s_mov_b64 s[12:13], 0
	global_store_byte v[3:4], v5, off
.LBB175_999:
	s_and_b64 vcc, exec, s[12:13]
	s_cbranch_vccz .LBB175_1009
; %bb.1000:
	v_cvt_f32_i32_e32 v0, v1
	s_mov_b32 s12, 0x43f00000
                                        ; implicit-def: $vgpr2
	v_and_b32_e32 v5, 0x7fffffff, v0
	v_cmp_gt_u32_e32 vcc, s12, v5
	s_and_saveexec_b64 s[12:13], vcc
	s_xor_b64 s[12:13], exec, s[12:13]
	s_cbranch_execz .LBB175_1006
; %bb.1001:
	s_mov_b32 s14, 0x3c7fffff
	v_cmp_lt_u32_e32 vcc, s14, v5
                                        ; implicit-def: $vgpr2
	s_and_saveexec_b64 s[14:15], vcc
	s_xor_b64 s[14:15], exec, s[14:15]
; %bb.1002:
	v_bfe_u32 v2, v0, 20, 1
	s_mov_b32 s16, 0x407ffff
	v_add3_u32 v2, v0, v2, s16
	v_lshrrev_b32_e32 v5, 20, v2
	v_and_b32_e32 v2, 0xff00000, v2
	s_mov_b32 s16, 0x7f00000
	v_mov_b32_e32 v6, 0x7e
	v_cmp_ne_u32_e32 vcc, s16, v2
	v_cndmask_b32_e32 v2, v6, v5, vcc
; %bb.1003:
	s_andn2_saveexec_b64 s[14:15], s[14:15]
; %bb.1004:
	s_mov_b32 s16, 0x46800000
	v_add_f32_e64 v2, |v0|, s16
; %bb.1005:
	s_or_b64 exec, exec, s[14:15]
                                        ; implicit-def: $vgpr5
.LBB175_1006:
	s_andn2_saveexec_b64 s[12:13], s[12:13]
; %bb.1007:
	s_mov_b32 s14, 0x7f800000
	v_mov_b32_e32 v2, 0x7e
	v_mov_b32_e32 v6, 0x7f
	v_cmp_lt_u32_e32 vcc, s14, v5
	v_cndmask_b32_e32 v2, v2, v6, vcc
; %bb.1008:
	s_or_b64 exec, exec, s[12:13]
	v_lshrrev_b32_e32 v0, 24, v0
	s_movk_i32 s12, 0x80
	v_and_or_b32 v0, v0, s12, v2
	global_store_byte v[3:4], v0, off
.LBB175_1009:
	s_mov_b64 s[12:13], 0
.LBB175_1010:
	s_andn2_b64 vcc, exec, s[12:13]
	s_cbranch_vccnz .LBB175_1020
; %bb.1011:
	v_cvt_f32_i32_e32 v0, v1
	s_mov_b32 s12, 0x47800000
                                        ; implicit-def: $vgpr2
	v_and_b32_e32 v5, 0x7fffffff, v0
	v_cmp_gt_u32_e32 vcc, s12, v5
	s_and_saveexec_b64 s[12:13], vcc
	s_xor_b64 s[12:13], exec, s[12:13]
	s_cbranch_execz .LBB175_1017
; %bb.1012:
	s_mov_b32 s14, 0x387fffff
	v_cmp_lt_u32_e32 vcc, s14, v5
                                        ; implicit-def: $vgpr2
	s_and_saveexec_b64 s[14:15], vcc
	s_xor_b64 s[14:15], exec, s[14:15]
; %bb.1013:
	v_bfe_u32 v2, v0, 21, 1
	s_mov_b32 s16, 0x80fffff
	v_add3_u32 v2, v0, v2, s16
	v_lshrrev_b32_e32 v2, 21, v2
; %bb.1014:
	s_andn2_saveexec_b64 s[14:15], s[14:15]
; %bb.1015:
	s_mov_b32 s16, 0x43000000
	v_add_f32_e64 v2, |v0|, s16
; %bb.1016:
	s_or_b64 exec, exec, s[14:15]
                                        ; implicit-def: $vgpr5
.LBB175_1017:
	s_andn2_saveexec_b64 s[12:13], s[12:13]
; %bb.1018:
	s_mov_b32 s14, 0x7f800000
	v_mov_b32_e32 v2, 0x7c
	v_mov_b32_e32 v6, 0x7f
	v_cmp_lt_u32_e32 vcc, s14, v5
	v_cndmask_b32_e32 v2, v2, v6, vcc
; %bb.1019:
	s_or_b64 exec, exec, s[12:13]
	v_lshrrev_b32_e32 v0, 24, v0
	s_movk_i32 s12, 0x80
	v_and_or_b32 v0, v0, s12, v2
	global_store_byte v[3:4], v0, off
.LBB175_1020:
	s_mov_b64 s[12:13], 0
.LBB175_1021:
	s_andn2_b64 vcc, exec, s[12:13]
	s_mov_b64 s[12:13], 0
	s_cbranch_vccnz .LBB175_1029
; %bb.1022:
	s_cmp_gt_i32 s19, 14
	s_mov_b64 s[14:15], -1
	s_cbranch_scc0 .LBB175_1026
; %bb.1023:
	s_cmp_eq_u32 s19, 15
	s_mov_b64 s[0:1], -1
	s_cbranch_scc0 .LBB175_1025
; %bb.1024:
	v_cvt_f32_i32_e32 v0, v1
	s_movk_i32 s0, 0x7fff
	v_bfe_u32 v2, v0, 16, 1
	v_add3_u32 v0, v0, v2, s0
	global_store_short_d16_hi v[3:4], v0, off
	s_mov_b64 s[0:1], 0
.LBB175_1025:
	s_mov_b64 s[14:15], 0
.LBB175_1026:
	s_and_b64 vcc, exec, s[14:15]
	s_cbranch_vccz .LBB175_1029
; %bb.1027:
	s_cmp_lg_u32 s19, 11
	s_cselect_b64 s[14:15], -1, 0
	s_andn2_b64 s[0:1], s[0:1], exec
	s_and_b64 s[14:15], s[14:15], exec
	s_mov_b64 s[12:13], -1
	s_or_b64 s[0:1], s[0:1], s[14:15]
	s_branch .LBB175_1029
.LBB175_1028:
	s_mov_b64 s[12:13], 0
.LBB175_1029:
	s_andn2_b64 s[14:15], s[54:55], exec
	s_and_b64 s[0:1], s[0:1], exec
	s_and_b64 s[10:11], s[10:11], exec
	s_and_b64 s[12:13], s[12:13], exec
	s_or_b64 s[54:55], s[14:15], s[0:1]
	s_or_b64 exec, exec, s[8:9]
	s_and_saveexec_b64 s[0:1], s[54:55]
	s_cbranch_execz .LBB175_958
.LBB175_1030:
	s_or_b64 s[2:3], s[2:3], exec
	s_andn2_b64 s[12:13], s[12:13], exec
	s_trap 2
	s_or_b64 exec, exec, s[0:1]
	s_and_saveexec_b64 s[0:1], s[12:13]
	s_xor_b64 s[0:1], exec, s[0:1]
	s_cbranch_execnz .LBB175_959
.LBB175_1031:
	s_or_b64 exec, exec, s[0:1]
	s_and_saveexec_b64 s[0:1], s[10:11]
	s_xor_b64 s[0:1], exec, s[0:1]
	s_cbranch_execz .LBB175_1069
.LBB175_1032:
	s_sext_i32_i16 s10, s18
	s_cmp_lt_i32 s10, 5
	s_mov_b64 s[8:9], -1
	s_cbranch_scc1 .LBB175_1053
; %bb.1033:
	s_cmp_lt_i32 s10, 8
	s_cbranch_scc1 .LBB175_1043
; %bb.1034:
	s_cmp_lt_i32 s10, 9
	s_cbranch_scc1 .LBB175_1040
; %bb.1035:
	s_cmp_gt_i32 s10, 9
	s_cbranch_scc0 .LBB175_1037
; %bb.1036:
	s_waitcnt vmcnt(0)
	v_cvt_f64_i32_e32 v[5:6], v1
	v_mov_b32_e32 v7, 0
	v_mov_b32_e32 v8, v7
	s_mov_b64 s[8:9], 0
	global_store_dwordx4 v[3:4], v[5:8], off
.LBB175_1037:
	s_andn2_b64 vcc, exec, s[8:9]
	s_cbranch_vccnz .LBB175_1039
; %bb.1038:
	s_waitcnt vmcnt(0)
	v_cvt_f32_i32_e32 v5, v1
	v_mov_b32_e32 v6, 0
	global_store_dwordx2 v[3:4], v[5:6], off
.LBB175_1039:
	s_mov_b64 s[8:9], 0
.LBB175_1040:
	s_andn2_b64 vcc, exec, s[8:9]
	s_cbranch_vccnz .LBB175_1042
; %bb.1041:
	v_cvt_f32_i32_e32 v0, v1
	v_cvt_f16_f32_e32 v0, v0
	s_waitcnt vmcnt(0)
	global_store_dword v[3:4], v0, off
.LBB175_1042:
	s_mov_b64 s[8:9], 0
.LBB175_1043:
	s_andn2_b64 vcc, exec, s[8:9]
	s_cbranch_vccnz .LBB175_1052
; %bb.1044:
	s_sext_i32_i16 s10, s18
	s_cmp_lt_i32 s10, 6
	s_mov_b64 s[8:9], -1
	s_cbranch_scc1 .LBB175_1050
; %bb.1045:
	s_cmp_gt_i32 s10, 6
	s_cbranch_scc0 .LBB175_1047
; %bb.1046:
	s_waitcnt vmcnt(0)
	v_cvt_f64_i32_e32 v[5:6], v1
	s_mov_b64 s[8:9], 0
	global_store_dwordx2 v[3:4], v[5:6], off
.LBB175_1047:
	s_andn2_b64 vcc, exec, s[8:9]
	s_cbranch_vccnz .LBB175_1049
; %bb.1048:
	v_cvt_f32_i32_e32 v0, v1
	s_waitcnt vmcnt(0)
	global_store_dword v[3:4], v0, off
.LBB175_1049:
	s_mov_b64 s[8:9], 0
.LBB175_1050:
	s_andn2_b64 vcc, exec, s[8:9]
	s_cbranch_vccnz .LBB175_1052
; %bb.1051:
	v_cvt_f32_i32_e32 v0, v1
	v_cvt_f16_f32_e32 v0, v0
	s_waitcnt vmcnt(0)
	global_store_short v[3:4], v0, off
.LBB175_1052:
	s_mov_b64 s[8:9], 0
.LBB175_1053:
	s_andn2_b64 vcc, exec, s[8:9]
	s_cbranch_vccnz .LBB175_1069
; %bb.1054:
	s_sext_i32_i16 s10, s18
	s_cmp_lt_i32 s10, 2
	s_mov_b64 s[8:9], -1
	s_cbranch_scc1 .LBB175_1064
; %bb.1055:
	s_cmp_lt_i32 s10, 3
	s_cbranch_scc1 .LBB175_1061
; %bb.1056:
	s_cmp_gt_i32 s10, 3
	s_cbranch_scc0 .LBB175_1058
; %bb.1057:
	v_ashrrev_i32_e32 v2, 31, v1
	s_mov_b64 s[8:9], 0
	s_waitcnt vmcnt(0)
	global_store_dwordx2 v[3:4], v[1:2], off
.LBB175_1058:
	s_andn2_b64 vcc, exec, s[8:9]
	s_cbranch_vccnz .LBB175_1060
; %bb.1059:
	s_waitcnt vmcnt(0)
	global_store_dword v[3:4], v1, off
.LBB175_1060:
	s_mov_b64 s[8:9], 0
.LBB175_1061:
	s_andn2_b64 vcc, exec, s[8:9]
	s_cbranch_vccnz .LBB175_1063
; %bb.1062:
	s_waitcnt vmcnt(0)
	global_store_short v[3:4], v1, off
.LBB175_1063:
	s_mov_b64 s[8:9], 0
.LBB175_1064:
	s_andn2_b64 vcc, exec, s[8:9]
	s_cbranch_vccnz .LBB175_1069
; %bb.1065:
	s_sext_i32_i16 s8, s18
	s_cmp_gt_i32 s8, 0
	s_mov_b64 s[8:9], -1
	s_cbranch_scc0 .LBB175_1067
; %bb.1066:
	s_mov_b64 s[8:9], 0
	s_waitcnt vmcnt(0)
	global_store_byte v[3:4], v1, off
.LBB175_1067:
	s_andn2_b64 vcc, exec, s[8:9]
	s_cbranch_vccnz .LBB175_1069
; %bb.1068:
	s_waitcnt vmcnt(0)
	global_store_byte v[3:4], v1, off
.LBB175_1069:
	s_or_b64 exec, exec, s[0:1]
	s_and_b64 s[28:29], s[2:3], exec
                                        ; implicit-def: $vgpr15
                                        ; implicit-def: $vgpr8
.LBB175_1070:
	s_or_saveexec_b64 s[30:31], s[42:43]
	s_mov_b64 s[0:1], 0
                                        ; implicit-def: $vgpr0_vgpr1
                                        ; implicit-def: $sgpr16
                                        ; implicit-def: $vgpr2
	s_xor_b64 exec, exec, s[30:31]
	s_cbranch_execz .LBB175_2057
; %bb.1071:
	v_cndmask_b32_e64 v0, 0, 1, s[40:41]
	v_cmp_ne_u32_e64 s[0:1], 1, v0
	s_andn2_b64 vcc, exec, s[40:41]
	s_cbranch_vccnz .LBB175_1077
; %bb.1072:
	s_cmp_lg_u32 s33, 0
	s_mov_b32 s36, 0
	s_cbranch_scc0 .LBB175_1078
; %bb.1073:
	s_min_u32 s37, s74, 15
	s_add_i32 s37, s37, 1
	s_cmp_eq_u32 s74, 2
	s_cbranch_scc1 .LBB175_1079
; %bb.1074:
	s_and_b32 s36, s37, 28
	s_add_u32 s2, s34, 0xc4
	s_addc_u32 s3, s35, 0
	v_mov_b32_e32 v13, 0
	s_mov_b32 s38, 0
	s_mov_b64 s[6:7], s[34:35]
	v_mov_b32_e32 v6, 0
	v_mov_b32_e32 v0, v8
.LBB175_1075:                           ; =>This Inner Loop Header: Depth=1
	s_load_dwordx8 s[16:23], s[6:7], 0x4
	s_load_dwordx4 s[24:27], s[6:7], 0x24
	s_load_dwordx8 s[8:15], s[2:3], 0x0
	s_add_u32 s6, s6, 48
	s_addc_u32 s7, s7, 0
	s_waitcnt lgkmcnt(0)
	v_mul_hi_u32 v1, s17, v0
	s_add_i32 s38, s38, 4
	s_add_u32 s2, s2, 32
	s_addc_u32 s3, s3, 0
	v_add_u32_e32 v1, v0, v1
	v_lshrrev_b32_e32 v1, s18, v1
	v_mul_lo_u32 v2, v1, s16
	s_waitcnt vmcnt(0)
	v_mul_hi_u32 v3, s20, v1
	s_cmp_lg_u32 s36, s38
	v_sub_u32_e32 v0, v0, v2
	v_add_u32_e32 v2, v1, v3
	v_mul_lo_u32 v3, v0, s8
	v_mul_lo_u32 v4, v0, s9
	v_lshrrev_b32_e32 v0, s21, v2
	v_mul_lo_u32 v2, v0, s19
	v_mul_hi_u32 v5, s23, v0
	v_sub_u32_e32 v1, v1, v2
	v_add_u32_e32 v2, v0, v5
	v_lshrrev_b32_e32 v2, s24, v2
	v_mul_hi_u32 v7, s26, v2
	v_mul_lo_u32 v9, v2, s22
	v_mul_lo_u32 v5, v1, s10
	;; [unrolled: 1-line block ×3, first 2 shown]
	v_sub_u32_e32 v9, v0, v9
	v_add_u32_e32 v0, v2, v7
	v_lshrrev_b32_e32 v0, s27, v0
	v_mul_lo_u32 v7, v0, s25
	v_mul_lo_u32 v10, v9, s12
	v_mul_lo_u32 v9, v9, s13
	v_add3_u32 v3, v3, v6, v5
	v_sub_u32_e32 v2, v2, v7
	v_mul_lo_u32 v7, v2, s14
	v_mul_lo_u32 v2, v2, s15
	v_add3_u32 v1, v4, v13, v1
	v_add3_u32 v6, v10, v3, v7
	;; [unrolled: 1-line block ×3, first 2 shown]
	s_cbranch_scc1 .LBB175_1075
; %bb.1076:
	s_and_b32 s8, s37, 3
	s_cmp_eq_u32 s8, 0
	s_cbranch_scc0 .LBB175_1080
	s_branch .LBB175_1082
.LBB175_1077:
                                        ; implicit-def: $vgpr6
                                        ; implicit-def: $vgpr13
	s_branch .LBB175_1083
.LBB175_1078:
	v_mov_b32_e32 v6, 0
	v_mov_b32_e32 v13, 0
	s_branch .LBB175_1082
.LBB175_1079:
	v_mov_b32_e32 v6, 0
	v_mov_b32_e32 v13, 0
	;; [unrolled: 1-line block ×3, first 2 shown]
	s_and_b32 s8, s37, 3
	s_cmp_eq_u32 s8, 0
	s_cbranch_scc1 .LBB175_1082
.LBB175_1080:
	s_lshl_b32 s2, s36, 3
	s_add_u32 s2, s34, s2
	s_addc_u32 s3, s35, 0
	s_add_u32 s2, s2, 0xc4
	s_addc_u32 s3, s3, 0
	s_mul_i32 s6, s36, 12
	s_add_u32 s6, s34, s6
	s_addc_u32 s7, s35, 0
.LBB175_1081:                           ; =>This Inner Loop Header: Depth=1
	s_load_dwordx2 s[10:11], s[6:7], 0x4
	s_load_dword s9, s[6:7], 0xc
	s_load_dwordx2 s[12:13], s[2:3], 0x0
	s_add_u32 s6, s6, 12
	s_addc_u32 s7, s7, 0
	s_waitcnt lgkmcnt(0)
	v_mul_hi_u32 v1, s11, v0
	s_add_u32 s2, s2, 8
	s_addc_u32 s3, s3, 0
	s_add_i32 s8, s8, -1
	v_add_u32_e32 v1, v0, v1
	v_lshrrev_b32_e32 v1, s9, v1
	v_mul_lo_u32 v2, v1, s10
	s_cmp_lg_u32 s8, 0
	v_sub_u32_e32 v0, v0, v2
	v_mad_u64_u32 v[6:7], s[10:11], v0, s12, v[6:7]
	v_mad_u64_u32 v[13:14], s[10:11], v0, s13, v[13:14]
	v_mov_b32_e32 v0, v1
	s_cbranch_scc1 .LBB175_1081
.LBB175_1082:
	s_cbranch_execnz .LBB175_1085
.LBB175_1083:
	s_load_dwordx4 s[8:11], s[34:35], 0x4
	s_load_dwordx2 s[2:3], s[34:35], 0xc4
	s_cmp_lt_u32 s33, 2
	s_waitcnt lgkmcnt(0)
	v_mul_hi_u32 v0, s9, v8
	v_add_u32_e32 v0, v8, v0
	v_lshrrev_b32_e32 v0, s10, v0
	v_mul_lo_u32 v1, v0, s8
	v_sub_u32_e32 v1, v8, v1
	v_mul_lo_u32 v6, v1, s2
	v_mul_lo_u32 v13, v1, s3
	s_cbranch_scc1 .LBB175_1085
; %bb.1084:
	s_load_dwordx4 s[8:11], s[34:35], 0x10
	s_load_dwordx2 s[2:3], s[34:35], 0xcc
	s_waitcnt lgkmcnt(0)
	v_mul_hi_u32 v1, s9, v0
	v_add_u32_e32 v1, v0, v1
	v_lshrrev_b32_e32 v1, s10, v1
	v_mul_lo_u32 v1, v1, s8
	v_sub_u32_e32 v0, v0, v1
	v_mad_u64_u32 v[6:7], s[6:7], v0, s2, v[6:7]
	v_mad_u64_u32 v[13:14], s[2:3], v0, s3, v[13:14]
.LBB175_1085:
	s_and_b64 vcc, exec, s[0:1]
	v_add_u32_e32 v0, 0x80, v8
	s_cbranch_vccnz .LBB175_1091
; %bb.1086:
	s_cmp_lg_u32 s33, 0
	s_mov_b32 s36, 0
	s_cbranch_scc0 .LBB175_1092
; %bb.1087:
	s_min_u32 s37, s74, 15
	s_add_i32 s37, s37, 1
	s_cmp_eq_u32 s74, 2
	s_cbranch_scc1 .LBB175_1093
; %bb.1088:
	s_and_b32 s36, s37, 28
	s_add_u32 s2, s34, 0xc4
	s_addc_u32 s3, s35, 0
	v_mov_b32_e32 v11, 0
	s_mov_b32 s38, 0
	s_mov_b64 s[6:7], s[34:35]
	v_mov_b32_e32 v4, 0
	v_mov_b32_e32 v1, v0
.LBB175_1089:                           ; =>This Inner Loop Header: Depth=1
	s_load_dwordx8 s[16:23], s[6:7], 0x4
	s_load_dwordx4 s[24:27], s[6:7], 0x24
	s_load_dwordx8 s[8:15], s[2:3], 0x0
	s_add_u32 s6, s6, 48
	s_addc_u32 s7, s7, 0
	s_waitcnt lgkmcnt(0)
	v_mul_hi_u32 v2, s17, v1
	s_add_i32 s38, s38, 4
	s_add_u32 s2, s2, 32
	s_addc_u32 s3, s3, 0
	v_add_u32_e32 v2, v1, v2
	v_lshrrev_b32_e32 v2, s18, v2
	s_waitcnt vmcnt(0)
	v_mul_lo_u32 v3, v2, s16
	v_mul_hi_u32 v5, s20, v2
	s_cmp_lg_u32 s36, s38
	v_sub_u32_e32 v1, v1, v3
	v_add_u32_e32 v3, v2, v5
	v_mul_lo_u32 v5, v1, s8
	v_mul_lo_u32 v7, v1, s9
	v_lshrrev_b32_e32 v1, s21, v3
	v_mul_lo_u32 v3, v1, s19
	v_mul_hi_u32 v9, s23, v1
	v_sub_u32_e32 v2, v2, v3
	v_add_u32_e32 v3, v1, v9
	v_lshrrev_b32_e32 v3, s24, v3
	v_mul_hi_u32 v10, s26, v3
	v_mul_lo_u32 v12, v3, s22
	v_mul_lo_u32 v9, v2, s10
	;; [unrolled: 1-line block ×3, first 2 shown]
	v_sub_u32_e32 v12, v1, v12
	v_add_u32_e32 v1, v3, v10
	v_lshrrev_b32_e32 v1, s27, v1
	v_mul_lo_u32 v10, v1, s25
	v_mul_lo_u32 v14, v12, s12
	;; [unrolled: 1-line block ×3, first 2 shown]
	v_add3_u32 v4, v5, v4, v9
	v_sub_u32_e32 v3, v3, v10
	v_mul_lo_u32 v10, v3, s14
	v_mul_lo_u32 v3, v3, s15
	v_add3_u32 v2, v7, v11, v2
	v_add3_u32 v4, v14, v4, v10
	;; [unrolled: 1-line block ×3, first 2 shown]
	s_cbranch_scc1 .LBB175_1089
; %bb.1090:
	s_and_b32 s8, s37, 3
	s_cmp_eq_u32 s8, 0
	s_cbranch_scc0 .LBB175_1094
	s_branch .LBB175_1096
.LBB175_1091:
                                        ; implicit-def: $vgpr4
                                        ; implicit-def: $vgpr11
	s_branch .LBB175_1097
.LBB175_1092:
	v_mov_b32_e32 v4, 0
	v_mov_b32_e32 v11, 0
	s_branch .LBB175_1096
.LBB175_1093:
	v_mov_b32_e32 v4, 0
	v_mov_b32_e32 v11, 0
	;; [unrolled: 1-line block ×3, first 2 shown]
	s_and_b32 s8, s37, 3
	s_cmp_eq_u32 s8, 0
	s_cbranch_scc1 .LBB175_1096
.LBB175_1094:
	s_lshl_b32 s2, s36, 3
	s_add_u32 s2, s34, s2
	s_addc_u32 s3, s35, 0
	s_add_u32 s2, s2, 0xc4
	s_addc_u32 s3, s3, 0
	s_mul_i32 s6, s36, 12
	s_add_u32 s6, s34, s6
	s_addc_u32 s7, s35, 0
.LBB175_1095:                           ; =>This Inner Loop Header: Depth=1
	s_load_dwordx2 s[10:11], s[6:7], 0x4
	s_load_dword s9, s[6:7], 0xc
	s_load_dwordx2 s[12:13], s[2:3], 0x0
	s_add_u32 s6, s6, 12
	s_addc_u32 s7, s7, 0
	s_waitcnt lgkmcnt(0)
	v_mul_hi_u32 v2, s11, v1
	s_add_u32 s2, s2, 8
	s_addc_u32 s3, s3, 0
	s_add_i32 s8, s8, -1
	v_add_u32_e32 v2, v1, v2
	v_lshrrev_b32_e32 v2, s9, v2
	s_waitcnt vmcnt(0)
	v_mul_lo_u32 v3, v2, s10
	s_cmp_lg_u32 s8, 0
	v_sub_u32_e32 v1, v1, v3
	v_mad_u64_u32 v[4:5], s[10:11], v1, s12, v[4:5]
	v_mad_u64_u32 v[11:12], s[10:11], v1, s13, v[11:12]
	v_mov_b32_e32 v1, v2
	s_cbranch_scc1 .LBB175_1095
.LBB175_1096:
	s_cbranch_execnz .LBB175_1099
.LBB175_1097:
	s_load_dwordx4 s[8:11], s[34:35], 0x4
	s_load_dwordx2 s[2:3], s[34:35], 0xc4
	s_cmp_lt_u32 s33, 2
	s_waitcnt lgkmcnt(0)
	v_mul_hi_u32 v1, s9, v0
	v_add_u32_e32 v1, v0, v1
	v_lshrrev_b32_e32 v1, s10, v1
	v_mul_lo_u32 v2, v1, s8
	v_sub_u32_e32 v0, v0, v2
	v_mul_lo_u32 v4, v0, s2
	v_mul_lo_u32 v11, v0, s3
	s_cbranch_scc1 .LBB175_1099
; %bb.1098:
	s_load_dwordx4 s[8:11], s[34:35], 0x10
	s_load_dwordx2 s[2:3], s[34:35], 0xcc
	s_waitcnt lgkmcnt(0)
	v_mul_hi_u32 v0, s9, v1
	v_add_u32_e32 v0, v1, v0
	v_lshrrev_b32_e32 v0, s10, v0
	v_mul_lo_u32 v0, v0, s8
	v_sub_u32_e32 v0, v1, v0
	s_waitcnt vmcnt(0)
	v_mad_u64_u32 v[4:5], s[6:7], v0, s2, v[4:5]
	v_mad_u64_u32 v[11:12], s[2:3], v0, s3, v[11:12]
.LBB175_1099:
	s_and_b64 vcc, exec, s[0:1]
	v_add_u32_e32 v0, 0x100, v8
	s_cbranch_vccnz .LBB175_1105
; %bb.1100:
	s_cmp_lg_u32 s33, 0
	s_mov_b32 s36, 0
	s_cbranch_scc0 .LBB175_1106
; %bb.1101:
	s_min_u32 s37, s74, 15
	s_add_i32 s37, s37, 1
	s_cmp_eq_u32 s74, 2
	s_cbranch_scc1 .LBB175_1107
; %bb.1102:
	s_and_b32 s36, s37, 28
	s_add_u32 s2, s34, 0xc4
	s_addc_u32 s3, s35, 0
	v_mov_b32_e32 v9, 0
	s_mov_b32 s38, 0
	s_mov_b64 s[6:7], s[34:35]
	v_mov_b32_e32 v2, 0
	v_mov_b32_e32 v1, v0
.LBB175_1103:                           ; =>This Inner Loop Header: Depth=1
	s_load_dwordx8 s[16:23], s[6:7], 0x4
	s_load_dwordx4 s[24:27], s[6:7], 0x24
	s_load_dwordx8 s[8:15], s[2:3], 0x0
	s_add_u32 s6, s6, 48
	s_addc_u32 s7, s7, 0
	s_waitcnt vmcnt(0) lgkmcnt(0)
	v_mul_hi_u32 v3, s17, v1
	s_add_i32 s38, s38, 4
	s_add_u32 s2, s2, 32
	s_addc_u32 s3, s3, 0
	v_add_u32_e32 v3, v1, v3
	v_lshrrev_b32_e32 v3, s18, v3
	v_mul_lo_u32 v5, v3, s16
	v_mul_hi_u32 v7, s20, v3
	s_cmp_lg_u32 s36, s38
	v_sub_u32_e32 v1, v1, v5
	v_add_u32_e32 v5, v3, v7
	v_mul_lo_u32 v7, v1, s8
	v_mul_lo_u32 v8, v1, s9
	v_lshrrev_b32_e32 v1, s21, v5
	v_mul_lo_u32 v5, v1, s19
	v_mul_hi_u32 v10, s23, v1
	v_sub_u32_e32 v3, v3, v5
	v_add_u32_e32 v5, v1, v10
	v_lshrrev_b32_e32 v5, s24, v5
	v_mul_hi_u32 v12, s26, v5
	v_mul_lo_u32 v14, v5, s22
	v_mul_lo_u32 v10, v3, s10
	;; [unrolled: 1-line block ×3, first 2 shown]
	v_sub_u32_e32 v14, v1, v14
	v_add_u32_e32 v1, v5, v12
	v_lshrrev_b32_e32 v1, s27, v1
	v_mul_lo_u32 v12, v1, s25
	v_mul_lo_u32 v16, v14, s12
	;; [unrolled: 1-line block ×3, first 2 shown]
	v_add3_u32 v2, v7, v2, v10
	v_sub_u32_e32 v5, v5, v12
	v_mul_lo_u32 v12, v5, s14
	v_mul_lo_u32 v5, v5, s15
	v_add3_u32 v3, v8, v9, v3
	v_add3_u32 v2, v16, v2, v12
	;; [unrolled: 1-line block ×3, first 2 shown]
	s_cbranch_scc1 .LBB175_1103
; %bb.1104:
	s_and_b32 s8, s37, 3
	s_cmp_eq_u32 s8, 0
	s_cbranch_scc0 .LBB175_1108
	s_branch .LBB175_1110
.LBB175_1105:
                                        ; implicit-def: $vgpr2
                                        ; implicit-def: $vgpr9
	s_branch .LBB175_1111
.LBB175_1106:
	v_mov_b32_e32 v2, 0
	v_mov_b32_e32 v9, 0
	s_branch .LBB175_1110
.LBB175_1107:
	v_mov_b32_e32 v2, 0
	v_mov_b32_e32 v9, 0
	;; [unrolled: 1-line block ×3, first 2 shown]
	s_and_b32 s8, s37, 3
	s_cmp_eq_u32 s8, 0
	s_cbranch_scc1 .LBB175_1110
.LBB175_1108:
	s_lshl_b32 s2, s36, 3
	s_add_u32 s2, s34, s2
	s_addc_u32 s3, s35, 0
	s_add_u32 s2, s2, 0xc4
	s_addc_u32 s3, s3, 0
	s_mul_i32 s6, s36, 12
	s_add_u32 s6, s34, s6
	s_addc_u32 s7, s35, 0
.LBB175_1109:                           ; =>This Inner Loop Header: Depth=1
	s_load_dwordx2 s[10:11], s[6:7], 0x4
	s_load_dword s9, s[6:7], 0xc
	s_load_dwordx2 s[12:13], s[2:3], 0x0
	s_add_u32 s6, s6, 12
	s_addc_u32 s7, s7, 0
	s_waitcnt vmcnt(0) lgkmcnt(0)
	v_mul_hi_u32 v3, s11, v1
	s_add_u32 s2, s2, 8
	s_addc_u32 s3, s3, 0
	s_add_i32 s8, s8, -1
	v_add_u32_e32 v3, v1, v3
	v_lshrrev_b32_e32 v5, s9, v3
	v_mul_lo_u32 v3, v5, s10
	s_cmp_lg_u32 s8, 0
	v_sub_u32_e32 v1, v1, v3
	v_mad_u64_u32 v[2:3], s[10:11], v1, s12, v[2:3]
	v_mad_u64_u32 v[9:10], s[10:11], v1, s13, v[9:10]
	v_mov_b32_e32 v1, v5
	s_cbranch_scc1 .LBB175_1109
.LBB175_1110:
	s_cbranch_execnz .LBB175_1113
.LBB175_1111:
	s_load_dwordx4 s[8:11], s[34:35], 0x4
	s_load_dwordx2 s[2:3], s[34:35], 0xc4
	s_cmp_lt_u32 s33, 2
	s_waitcnt lgkmcnt(0)
	v_mul_hi_u32 v1, s9, v0
	v_add_u32_e32 v1, v0, v1
	v_lshrrev_b32_e32 v1, s10, v1
	v_mul_lo_u32 v2, v1, s8
	v_sub_u32_e32 v0, v0, v2
	v_mul_lo_u32 v2, v0, s2
	v_mul_lo_u32 v9, v0, s3
	s_cbranch_scc1 .LBB175_1113
; %bb.1112:
	s_load_dwordx4 s[8:11], s[34:35], 0x10
	s_load_dwordx2 s[2:3], s[34:35], 0xcc
	s_waitcnt lgkmcnt(0)
	v_mul_hi_u32 v0, s9, v1
	v_add_u32_e32 v0, v1, v0
	v_lshrrev_b32_e32 v0, s10, v0
	v_mul_lo_u32 v0, v0, s8
	v_sub_u32_e32 v0, v1, v0
	s_waitcnt vmcnt(0)
	v_mad_u64_u32 v[2:3], s[6:7], v0, s2, v[2:3]
	v_mad_u64_u32 v[9:10], s[2:3], v0, s3, v[9:10]
.LBB175_1113:
	s_and_b64 vcc, exec, s[0:1]
	s_cbranch_vccnz .LBB175_1119
; %bb.1114:
	s_cmp_lg_u32 s33, 0
	s_mov_b32 s26, 0
	s_cbranch_scc0 .LBB175_1120
; %bb.1115:
	s_min_u32 s27, s74, 15
	s_add_i32 s27, s27, 1
	s_cmp_eq_u32 s74, 2
	s_cbranch_scc1 .LBB175_1121
; %bb.1116:
	s_and_b32 s26, s27, 28
	s_add_u32 s6, s34, 0xc4
	s_addc_u32 s7, s35, 0
	v_mov_b32_e32 v7, 0
	s_mov_b32 s36, 0
	s_mov_b64 s[24:25], s[34:35]
	v_mov_b32_e32 v0, 0
	v_mov_b32_e32 v1, v15
.LBB175_1117:                           ; =>This Inner Loop Header: Depth=1
	s_load_dwordx8 s[16:23], s[24:25], 0x4
	s_load_dwordx4 s[0:3], s[24:25], 0x24
	s_load_dwordx8 s[8:15], s[6:7], 0x0
	s_add_u32 s24, s24, 48
	s_addc_u32 s25, s25, 0
	s_waitcnt vmcnt(0) lgkmcnt(0)
	v_mul_hi_u32 v3, s17, v1
	s_add_i32 s36, s36, 4
	s_add_u32 s6, s6, 32
	s_addc_u32 s7, s7, 0
	v_add_u32_e32 v3, v1, v3
	v_lshrrev_b32_e32 v3, s18, v3
	v_mul_lo_u32 v5, v3, s16
	v_mul_hi_u32 v8, s20, v3
	s_cmp_lg_u32 s26, s36
	v_sub_u32_e32 v1, v1, v5
	v_add_u32_e32 v5, v3, v8
	v_mul_lo_u32 v8, v1, s8
	v_mul_lo_u32 v10, v1, s9
	v_lshrrev_b32_e32 v1, s21, v5
	v_mul_lo_u32 v5, v1, s19
	v_mul_hi_u32 v12, s23, v1
	v_sub_u32_e32 v3, v3, v5
	v_add_u32_e32 v5, v1, v12
	v_lshrrev_b32_e32 v5, s0, v5
	v_mul_hi_u32 v14, s2, v5
	v_mul_lo_u32 v16, v5, s22
	v_mul_lo_u32 v12, v3, s10
	;; [unrolled: 1-line block ×3, first 2 shown]
	v_sub_u32_e32 v16, v1, v16
	v_add_u32_e32 v1, v5, v14
	v_lshrrev_b32_e32 v1, s3, v1
	v_mul_lo_u32 v14, v1, s1
	v_mul_lo_u32 v17, v16, s12
	;; [unrolled: 1-line block ×3, first 2 shown]
	v_add3_u32 v0, v8, v0, v12
	v_sub_u32_e32 v5, v5, v14
	v_mul_lo_u32 v14, v5, s14
	v_mul_lo_u32 v5, v5, s15
	v_add3_u32 v3, v10, v7, v3
	v_add3_u32 v0, v17, v0, v14
	;; [unrolled: 1-line block ×3, first 2 shown]
	s_cbranch_scc1 .LBB175_1117
; %bb.1118:
	s_and_b32 s6, s27, 3
	s_cmp_eq_u32 s6, 0
	s_cbranch_scc0 .LBB175_1122
	s_branch .LBB175_1124
.LBB175_1119:
                                        ; implicit-def: $vgpr0
                                        ; implicit-def: $vgpr7
	s_branch .LBB175_1125
.LBB175_1120:
	v_mov_b32_e32 v0, 0
	v_mov_b32_e32 v7, 0
	s_branch .LBB175_1124
.LBB175_1121:
	v_mov_b32_e32 v0, 0
	v_mov_b32_e32 v7, 0
	;; [unrolled: 1-line block ×3, first 2 shown]
	s_and_b32 s6, s27, 3
	s_cmp_eq_u32 s6, 0
	s_cbranch_scc1 .LBB175_1124
.LBB175_1122:
	s_lshl_b32 s0, s26, 3
	s_add_u32 s0, s34, s0
	s_addc_u32 s1, s35, 0
	s_add_u32 s0, s0, 0xc4
	s_addc_u32 s1, s1, 0
	s_mul_i32 s2, s26, 12
	s_add_u32 s2, s34, s2
	s_addc_u32 s3, s35, 0
.LBB175_1123:                           ; =>This Inner Loop Header: Depth=1
	s_load_dwordx2 s[8:9], s[2:3], 0x4
	s_load_dword s7, s[2:3], 0xc
	s_load_dwordx2 s[10:11], s[0:1], 0x0
	s_add_u32 s2, s2, 12
	s_addc_u32 s3, s3, 0
	s_waitcnt vmcnt(0) lgkmcnt(0)
	v_mul_hi_u32 v3, s9, v1
	s_add_u32 s0, s0, 8
	s_addc_u32 s1, s1, 0
	s_add_i32 s6, s6, -1
	v_add_u32_e32 v3, v1, v3
	v_lshrrev_b32_e32 v3, s7, v3
	v_mul_lo_u32 v5, v3, s8
	s_cmp_lg_u32 s6, 0
	v_sub_u32_e32 v5, v1, v5
	v_mad_u64_u32 v[0:1], s[8:9], v5, s10, v[0:1]
	v_mad_u64_u32 v[7:8], s[8:9], v5, s11, v[7:8]
	v_mov_b32_e32 v1, v3
	s_cbranch_scc1 .LBB175_1123
.LBB175_1124:
	s_cbranch_execnz .LBB175_1127
.LBB175_1125:
	s_load_dwordx4 s[0:3], s[34:35], 0x4
	s_load_dwordx2 s[6:7], s[34:35], 0xc4
	s_cmp_lt_u32 s33, 2
	s_waitcnt lgkmcnt(0)
	v_mul_hi_u32 v0, s1, v15
	v_add_u32_e32 v0, v15, v0
	v_lshrrev_b32_e32 v1, s2, v0
	v_mul_lo_u32 v0, v1, s0
	s_waitcnt vmcnt(0)
	v_sub_u32_e32 v3, v15, v0
	v_mul_lo_u32 v0, v3, s6
	v_mul_lo_u32 v7, v3, s7
	s_cbranch_scc1 .LBB175_1127
; %bb.1126:
	s_load_dwordx4 s[0:3], s[34:35], 0x10
	s_load_dwordx2 s[6:7], s[34:35], 0xcc
	s_waitcnt lgkmcnt(0)
	v_mul_hi_u32 v3, s1, v1
	v_add_u32_e32 v3, v1, v3
	v_lshrrev_b32_e32 v3, s2, v3
	v_mul_lo_u32 v3, v3, s0
	v_sub_u32_e32 v3, v1, v3
	v_mad_u64_u32 v[0:1], s[0:1], v3, s6, v[0:1]
	v_mad_u64_u32 v[7:8], s[0:1], v3, s7, v[7:8]
.LBB175_1127:
	s_load_dwordx4 s[8:11], s[34:35], 0x148
	s_load_dword s12, s[4:5], 0x168
	s_waitcnt lgkmcnt(0)
	v_mov_b32_e32 v1, s11
	s_bfe_u32 s13, s12, 0x80008
	v_add_co_u32_e32 v12, vcc, s10, v13
	s_cmp_lt_i32 s13, 11
	v_addc_co_u32_e32 v13, vcc, 0, v1, vcc
	s_cbranch_scc1 .LBB175_1134
; %bb.1128:
	s_and_b32 s14, 0xffff, s13
	s_cmp_gt_i32 s14, 25
	s_mov_b64 s[4:5], 0
	s_cbranch_scc0 .LBB175_1136
; %bb.1129:
	s_cmp_gt_i32 s14, 28
	s_cbranch_scc0 .LBB175_1137
; %bb.1130:
	s_cmp_gt_i32 s14, 43
	;; [unrolled: 3-line block ×3, first 2 shown]
	s_cbranch_scc0 .LBB175_1139
; %bb.1132:
	s_cmp_eq_u32 s14, 46
	s_mov_b64 s[2:3], 0
	s_cbranch_scc0 .LBB175_1142
; %bb.1133:
	global_load_dword v1, v[12:13], off
	s_mov_b64 s[0:1], 0
	s_mov_b64 s[6:7], -1
	s_waitcnt vmcnt(0)
	v_lshlrev_b32_e32 v1, 16, v1
	v_cvt_i32_f32_e32 v5, v1
	s_branch .LBB175_1143
.LBB175_1134:
	s_mov_b64 s[6:7], 0
                                        ; implicit-def: $vgpr5
	s_mov_b64 s[2:3], s[28:29]
	s_cbranch_execnz .LBB175_1201
.LBB175_1135:
	s_andn2_b64 vcc, exec, s[6:7]
	s_cbranch_vccz .LBB175_1246
	s_branch .LBB175_2055
.LBB175_1136:
	s_mov_b64 s[6:7], 0
	s_mov_b64 s[0:1], 0
                                        ; implicit-def: $vgpr5
	s_cbranch_execnz .LBB175_1168
	s_branch .LBB175_1197
.LBB175_1137:
	s_mov_b64 s[6:7], 0
	s_mov_b64 s[0:1], 0
                                        ; implicit-def: $vgpr5
	s_cbranch_execz .LBB175_1167
	s_branch .LBB175_1152
.LBB175_1138:
	s_mov_b64 s[6:7], 0
	s_mov_b64 s[0:1], 0
                                        ; implicit-def: $vgpr5
	s_cbranch_execnz .LBB175_1148
	s_branch .LBB175_1151
.LBB175_1139:
	s_mov_b64 s[2:3], -1
	s_mov_b64 s[6:7], 0
	s_mov_b64 s[0:1], 0
                                        ; implicit-def: $vgpr5
	s_branch .LBB175_1143
.LBB175_1140:
	s_andn2_saveexec_b64 s[14:15], s[14:15]
	s_cbranch_execz .LBB175_983
.LBB175_1141:
	s_mov_b32 s16, 0x46000000
	v_add_f32_e64 v2, |v0|, s16
	v_and_b32_e32 v2, 0xff, v2
	v_cmp_ne_u32_e32 vcc, 0, v2
	s_andn2_b64 s[12:13], s[12:13], exec
	s_and_b64 s[16:17], vcc, exec
	s_or_b64 s[12:13], s[12:13], s[16:17]
	s_or_b64 exec, exec, s[14:15]
	v_mov_b32_e32 v5, 0
	s_and_saveexec_b64 s[14:15], s[12:13]
	s_cbranch_execnz .LBB175_984
	s_branch .LBB175_985
.LBB175_1142:
	s_mov_b64 s[0:1], -1
                                        ; implicit-def: $vgpr5
	s_mov_b64 s[6:7], 0
.LBB175_1143:
	s_and_b64 vcc, exec, s[2:3]
	s_cbranch_vccz .LBB175_1146
; %bb.1144:
	s_cmp_eq_u32 s14, 44
	s_cbranch_scc0 .LBB175_1147
; %bb.1145:
	global_load_ubyte v1, v[12:13], off
	s_mov_b64 s[0:1], 0
	s_mov_b64 s[6:7], -1
	s_waitcnt vmcnt(0)
	v_lshlrev_b32_e32 v3, 23, v1
	v_cvt_i32_f32_e32 v3, v3
	v_cmp_ne_u32_e32 vcc, 0, v1
	v_cndmask_b32_e32 v5, 0, v3, vcc
.LBB175_1146:
	s_branch .LBB175_1151
.LBB175_1147:
	s_mov_b64 s[0:1], -1
                                        ; implicit-def: $vgpr5
	s_branch .LBB175_1151
.LBB175_1148:
	s_cmp_eq_u32 s14, 29
	s_cbranch_scc0 .LBB175_1150
; %bb.1149:
	global_load_dword v5, v[12:13], off
	s_mov_b64 s[0:1], 0
	s_mov_b64 s[6:7], -1
	s_branch .LBB175_1151
.LBB175_1150:
	s_mov_b64 s[0:1], -1
                                        ; implicit-def: $vgpr5
.LBB175_1151:
	s_branch .LBB175_1167
.LBB175_1152:
	s_cmp_lt_i32 s14, 27
	s_cbranch_scc1 .LBB175_1155
; %bb.1153:
	s_cmp_gt_i32 s14, 27
	s_cbranch_scc0 .LBB175_1156
; %bb.1154:
	global_load_dword v5, v[12:13], off
	s_mov_b64 s[2:3], 0
	s_branch .LBB175_1157
.LBB175_1155:
	s_mov_b64 s[2:3], -1
                                        ; implicit-def: $vgpr5
	s_branch .LBB175_1160
.LBB175_1156:
	s_mov_b64 s[2:3], -1
                                        ; implicit-def: $vgpr5
.LBB175_1157:
	s_andn2_b64 vcc, exec, s[2:3]
	s_cbranch_vccnz .LBB175_1159
; %bb.1158:
	global_load_ushort v5, v[12:13], off
.LBB175_1159:
	s_mov_b64 s[2:3], 0
.LBB175_1160:
	s_andn2_b64 vcc, exec, s[2:3]
	s_cbranch_vccnz .LBB175_1166
; %bb.1161:
	global_load_ubyte v1, v[12:13], off
	s_movk_i32 s2, 0x7f
	s_mov_b64 s[6:7], 0
	s_waitcnt vmcnt(0)
	v_cmp_lt_i16_e32 vcc, s2, v1
	s_and_saveexec_b64 s[2:3], vcc
	s_xor_b64 s[2:3], exec, s[2:3]
	s_cbranch_execz .LBB175_1177
; %bb.1162:
	s_movk_i32 s6, 0x80
	v_cmp_ne_u16_e32 vcc, s6, v1
	s_and_b64 s[6:7], vcc, exec
	s_andn2_saveexec_b64 s[2:3], s[2:3]
	s_cbranch_execnz .LBB175_1178
.LBB175_1163:
	s_or_b64 exec, exec, s[2:3]
	v_mov_b32_e32 v5, 0
	s_and_saveexec_b64 s[2:3], s[6:7]
	s_cbranch_execz .LBB175_1165
.LBB175_1164:
	v_lshlrev_b32_e32 v3, 24, v1
	v_and_b32_e32 v1, 0xffff, v1
	v_and_b32_e32 v5, 7, v1
	v_ffbh_u32_e32 v10, v5
	v_min_u32_e32 v10, 32, v10
	v_subrev_u32_e32 v14, 28, v10
	v_bfe_u32 v8, v1, 3, 4
	v_lshlrev_b32_e32 v1, v14, v1
	v_sub_u32_e32 v10, 29, v10
	v_and_b32_e32 v1, 7, v1
	v_cmp_eq_u32_e32 vcc, 0, v8
	v_cndmask_b32_e32 v8, v8, v10, vcc
	v_cndmask_b32_e32 v1, v5, v1, vcc
	v_mov_b32_e32 v5, 0x3b800000
	v_lshlrev_b32_e32 v1, 20, v1
	v_and_b32_e32 v3, 0x80000000, v3
	v_lshl_add_u32 v5, v8, 23, v5
	v_or3_b32 v1, v3, v5, v1
	v_cvt_i32_f32_e32 v5, v1
.LBB175_1165:
	s_or_b64 exec, exec, s[2:3]
.LBB175_1166:
	s_mov_b64 s[6:7], -1
.LBB175_1167:
	s_branch .LBB175_1197
.LBB175_1168:
	s_cmp_gt_i32 s14, 22
	s_cbranch_scc0 .LBB175_1176
; %bb.1169:
	s_cmp_lt_i32 s14, 24
	s_cbranch_scc1 .LBB175_1179
; %bb.1170:
	s_cmp_gt_i32 s14, 24
	s_cbranch_scc0 .LBB175_1180
; %bb.1171:
	global_load_ubyte v1, v[12:13], off
	s_movk_i32 s2, 0x7f
	s_waitcnt vmcnt(0)
	v_cmp_lt_i16_e32 vcc, s2, v1
	s_and_saveexec_b64 s[2:3], vcc
	s_xor_b64 s[2:3], exec, s[2:3]
	s_cbranch_execz .LBB175_1191
; %bb.1172:
	s_movk_i32 s4, 0x80
	v_cmp_ne_u16_e32 vcc, s4, v1
	s_and_b64 s[4:5], vcc, exec
	s_andn2_saveexec_b64 s[2:3], s[2:3]
	s_cbranch_execnz .LBB175_1192
.LBB175_1173:
	s_or_b64 exec, exec, s[2:3]
	v_mov_b32_e32 v5, 0
	s_and_saveexec_b64 s[2:3], s[4:5]
	s_cbranch_execz .LBB175_1175
.LBB175_1174:
	v_lshlrev_b32_e32 v3, 24, v1
	v_and_b32_e32 v1, 0xffff, v1
	v_and_b32_e32 v5, 3, v1
	v_ffbh_u32_e32 v10, v5
	v_min_u32_e32 v10, 32, v10
	v_subrev_u32_e32 v14, 29, v10
	v_bfe_u32 v8, v1, 2, 5
	v_lshlrev_b32_e32 v1, v14, v1
	v_sub_u32_e32 v10, 30, v10
	v_and_b32_e32 v1, 3, v1
	v_cmp_eq_u32_e32 vcc, 0, v8
	v_cndmask_b32_e32 v8, v8, v10, vcc
	v_cndmask_b32_e32 v1, v5, v1, vcc
	v_mov_b32_e32 v5, 0x37800000
	v_lshlrev_b32_e32 v1, 21, v1
	v_and_b32_e32 v3, 0x80000000, v3
	v_lshl_add_u32 v5, v8, 23, v5
	v_or3_b32 v1, v3, v5, v1
	v_cvt_i32_f32_e32 v5, v1
.LBB175_1175:
	s_or_b64 exec, exec, s[2:3]
	s_mov_b64 s[2:3], 0
	s_branch .LBB175_1181
.LBB175_1176:
                                        ; implicit-def: $vgpr5
	s_mov_b64 s[4:5], 0
	s_branch .LBB175_1187
.LBB175_1177:
	s_andn2_saveexec_b64 s[2:3], s[2:3]
	s_cbranch_execz .LBB175_1163
.LBB175_1178:
	v_cmp_ne_u16_e32 vcc, 0, v1
	s_andn2_b64 s[6:7], s[6:7], exec
	s_and_b64 s[16:17], vcc, exec
	s_or_b64 s[6:7], s[6:7], s[16:17]
	s_or_b64 exec, exec, s[2:3]
	v_mov_b32_e32 v5, 0
	s_and_saveexec_b64 s[2:3], s[6:7]
	s_cbranch_execnz .LBB175_1164
	s_branch .LBB175_1165
.LBB175_1179:
	s_mov_b64 s[2:3], -1
                                        ; implicit-def: $vgpr5
	s_branch .LBB175_1184
.LBB175_1180:
	s_mov_b64 s[2:3], -1
                                        ; implicit-def: $vgpr5
.LBB175_1181:
	s_and_b64 vcc, exec, s[2:3]
	s_cbranch_vccz .LBB175_1183
; %bb.1182:
	global_load_ubyte v1, v[12:13], off
	s_mov_b32 s2, 0x7f800000
	s_waitcnt vmcnt(0)
	v_lshlrev_b32_e32 v1, 24, v1
	v_and_b32_e32 v3, 0x7f000000, v1
	v_ffbh_u32_e32 v5, v3
	v_min_u32_e32 v5, 32, v5
	v_sub_u32_e64 v5, v5, 4 clamp
	v_lshlrev_b32_e32 v10, v5, v3
	v_lshlrev_b32_e32 v5, 23, v5
	v_lshrrev_b32_e32 v10, 4, v10
	v_add_u32_e32 v8, 0x1000000, v3
	v_sub_u32_e32 v5, v10, v5
	v_ashrrev_i32_e32 v8, 8, v8
	v_add_u32_e32 v5, 0x3c000000, v5
	v_and_or_b32 v5, v8, s2, v5
	v_cmp_ne_u32_e32 vcc, 0, v3
	v_cndmask_b32_e32 v3, 0, v5, vcc
	s_brev_b32 s2, 1
	v_and_or_b32 v1, v1, s2, v3
	v_cvt_i32_f32_e32 v5, v1
.LBB175_1183:
	s_mov_b64 s[2:3], 0
.LBB175_1184:
	s_andn2_b64 vcc, exec, s[2:3]
	s_cbranch_vccnz .LBB175_1186
; %bb.1185:
	global_load_ubyte v1, v[12:13], off
	s_movk_i32 s2, 0x7f00
	s_brev_b32 s3, 16
	s_waitcnt vmcnt(0)
	v_lshlrev_b16_e32 v3, 8, v1
	v_lshlrev_b32_e32 v1, 25, v1
	v_lshrrev_b32_e32 v5, 4, v1
	v_and_or_b32 v8, v3, s2, 0.5
	v_or_b32_e32 v5, 0x70000000, v5
	v_add_f32_e32 v8, -0.5, v8
	v_mul_f32_e32 v5, 0x7800000, v5
	v_cmp_gt_u32_e32 vcc, s3, v1
	v_bfe_i32 v3, v3, 0, 16
	v_cndmask_b32_e32 v1, v5, v8, vcc
	s_brev_b32 s2, 1
	v_and_or_b32 v1, v3, s2, v1
	v_cvt_i32_f32_e32 v5, v1
.LBB175_1186:
	s_mov_b64 s[6:7], -1
	s_mov_b64 s[4:5], 0
	s_cbranch_execnz .LBB175_1197
.LBB175_1187:
	s_cmp_gt_i32 s14, 14
	s_cbranch_scc0 .LBB175_1190
; %bb.1188:
	s_cmp_eq_u32 s14, 15
	s_cbranch_scc0 .LBB175_1193
; %bb.1189:
	global_load_ushort v1, v[12:13], off
	s_mov_b64 s[0:1], 0
	s_mov_b64 s[6:7], -1
	s_waitcnt vmcnt(0)
	v_lshlrev_b32_e32 v1, 16, v1
	v_cvt_i32_f32_e32 v5, v1
	s_branch .LBB175_1194
.LBB175_1190:
	s_mov_b64 s[2:3], -1
                                        ; implicit-def: $vgpr5
	s_branch .LBB175_1195
.LBB175_1191:
	s_andn2_saveexec_b64 s[2:3], s[2:3]
	s_cbranch_execz .LBB175_1173
.LBB175_1192:
	v_cmp_ne_u16_e32 vcc, 0, v1
	s_andn2_b64 s[4:5], s[4:5], exec
	s_and_b64 s[6:7], vcc, exec
	s_or_b64 s[4:5], s[4:5], s[6:7]
	s_or_b64 exec, exec, s[2:3]
	v_mov_b32_e32 v5, 0
	s_and_saveexec_b64 s[2:3], s[4:5]
	s_cbranch_execnz .LBB175_1174
	s_branch .LBB175_1175
.LBB175_1193:
	s_mov_b64 s[0:1], -1
                                        ; implicit-def: $vgpr5
.LBB175_1194:
	s_mov_b64 s[2:3], 0
.LBB175_1195:
	s_and_b64 vcc, exec, s[2:3]
	s_cbranch_vccz .LBB175_1197
; %bb.1196:
	s_cmp_lg_u32 s14, 11
	s_mov_b64 s[4:5], -1
	s_cselect_b64 s[0:1], -1, 0
.LBB175_1197:
	s_and_b64 vcc, exec, s[0:1]
	s_mov_b64 s[2:3], s[28:29]
	s_cbranch_vccnz .LBB175_1258
; %bb.1198:
	s_andn2_b64 vcc, exec, s[4:5]
	s_cbranch_vccnz .LBB175_1200
.LBB175_1199:
	global_load_ubyte v1, v[12:13], off
	s_mov_b64 s[6:7], -1
	s_waitcnt vmcnt(0)
	v_cmp_ne_u16_e32 vcc, 0, v1
	v_cndmask_b32_e64 v5, 0, 1, vcc
.LBB175_1200:
	s_branch .LBB175_1135
.LBB175_1201:
	s_and_b32 s4, 0xffff, s13
	s_cmp_lt_i32 s4, 5
	s_cbranch_scc1 .LBB175_1206
; %bb.1202:
	s_cmp_lt_i32 s4, 8
	s_cbranch_scc1 .LBB175_1207
; %bb.1203:
	;; [unrolled: 3-line block ×3, first 2 shown]
	s_cmp_gt_i32 s4, 9
	s_cbranch_scc0 .LBB175_1209
; %bb.1205:
	global_load_dwordx2 v[14:15], v[12:13], off
	s_mov_b64 s[0:1], 0
	s_waitcnt vmcnt(0)
	v_cvt_i32_f64_e32 v5, v[14:15]
	s_branch .LBB175_1210
.LBB175_1206:
                                        ; implicit-def: $vgpr5
	s_branch .LBB175_1227
.LBB175_1207:
                                        ; implicit-def: $vgpr5
	s_branch .LBB175_1216
.LBB175_1208:
	s_mov_b64 s[0:1], -1
                                        ; implicit-def: $vgpr5
	s_branch .LBB175_1213
.LBB175_1209:
	s_mov_b64 s[0:1], -1
                                        ; implicit-def: $vgpr5
.LBB175_1210:
	s_andn2_b64 vcc, exec, s[0:1]
	s_cbranch_vccnz .LBB175_1212
; %bb.1211:
	global_load_dword v1, v[12:13], off
	s_waitcnt vmcnt(0)
	v_cvt_i32_f32_e32 v5, v1
.LBB175_1212:
	s_mov_b64 s[0:1], 0
.LBB175_1213:
	s_andn2_b64 vcc, exec, s[0:1]
	s_cbranch_vccnz .LBB175_1215
; %bb.1214:
	global_load_dword v1, v[12:13], off
	s_waitcnt vmcnt(0)
	v_cvt_f32_f16_e32 v1, v1
	v_cvt_i32_f32_e32 v5, v1
.LBB175_1215:
	s_cbranch_execnz .LBB175_1226
.LBB175_1216:
	s_cmp_lt_i32 s4, 6
	s_cbranch_scc1 .LBB175_1219
; %bb.1217:
	s_cmp_gt_i32 s4, 6
	s_cbranch_scc0 .LBB175_1220
; %bb.1218:
	global_load_dwordx2 v[14:15], v[12:13], off
	s_mov_b64 s[0:1], 0
	s_waitcnt vmcnt(0)
	v_cvt_i32_f64_e32 v5, v[14:15]
	s_branch .LBB175_1221
.LBB175_1219:
	s_mov_b64 s[0:1], -1
                                        ; implicit-def: $vgpr5
	s_branch .LBB175_1224
.LBB175_1220:
	s_mov_b64 s[0:1], -1
                                        ; implicit-def: $vgpr5
.LBB175_1221:
	s_andn2_b64 vcc, exec, s[0:1]
	s_cbranch_vccnz .LBB175_1223
; %bb.1222:
	global_load_dword v1, v[12:13], off
	s_waitcnt vmcnt(0)
	v_cvt_i32_f32_e32 v5, v1
.LBB175_1223:
	s_mov_b64 s[0:1], 0
.LBB175_1224:
	s_andn2_b64 vcc, exec, s[0:1]
	s_cbranch_vccnz .LBB175_1226
; %bb.1225:
	global_load_ushort v1, v[12:13], off
	s_waitcnt vmcnt(0)
	v_cvt_f32_f16_e32 v1, v1
	v_cvt_i32_f32_e32 v5, v1
.LBB175_1226:
	s_cbranch_execnz .LBB175_1245
.LBB175_1227:
	s_cmp_lt_i32 s4, 2
	s_cbranch_scc1 .LBB175_1231
; %bb.1228:
	s_cmp_lt_i32 s4, 3
	s_cbranch_scc1 .LBB175_1232
; %bb.1229:
	s_cmp_gt_i32 s4, 3
	s_cbranch_scc0 .LBB175_1233
; %bb.1230:
	global_load_dword v5, v[12:13], off
	s_mov_b64 s[0:1], 0
	s_branch .LBB175_1234
.LBB175_1231:
                                        ; implicit-def: $vgpr5
	s_branch .LBB175_1240
.LBB175_1232:
	s_mov_b64 s[0:1], -1
                                        ; implicit-def: $vgpr5
	s_branch .LBB175_1237
.LBB175_1233:
	s_mov_b64 s[0:1], -1
                                        ; implicit-def: $vgpr5
.LBB175_1234:
	s_andn2_b64 vcc, exec, s[0:1]
	s_cbranch_vccnz .LBB175_1236
; %bb.1235:
	global_load_dword v5, v[12:13], off
.LBB175_1236:
	s_mov_b64 s[0:1], 0
.LBB175_1237:
	s_andn2_b64 vcc, exec, s[0:1]
	s_cbranch_vccnz .LBB175_1239
; %bb.1238:
	global_load_sshort v5, v[12:13], off
.LBB175_1239:
	s_cbranch_execnz .LBB175_1245
.LBB175_1240:
	s_cmp_gt_i32 s4, 0
	s_cbranch_scc0 .LBB175_1242
; %bb.1241:
	global_load_sbyte v5, v[12:13], off
	s_mov_b64 s[0:1], 0
	s_branch .LBB175_1243
.LBB175_1242:
	s_mov_b64 s[0:1], -1
                                        ; implicit-def: $vgpr5
.LBB175_1243:
	s_andn2_b64 vcc, exec, s[0:1]
	s_cbranch_vccnz .LBB175_1245
; %bb.1244:
	global_load_ubyte v5, v[12:13], off
.LBB175_1245:
.LBB175_1246:
	s_lshr_b32 s0, s12, 8
	v_mov_b32_e32 v1, s11
	s_and_b32 s14, s0, 0xff
	v_add_co_u32_e32 v10, vcc, s10, v11
	s_cmp_lt_i32 s14, 11
	v_addc_co_u32_e32 v11, vcc, 0, v1, vcc
	s_cbranch_scc1 .LBB175_1253
; %bb.1247:
	s_and_b32 s15, 0xffff, s14
	s_cmp_gt_i32 s15, 25
	s_mov_b64 s[4:5], 0
	s_cbranch_scc0 .LBB175_1255
; %bb.1248:
	s_cmp_gt_i32 s15, 28
	s_cbranch_scc0 .LBB175_1256
; %bb.1249:
	s_cmp_gt_i32 s15, 43
	;; [unrolled: 3-line block ×3, first 2 shown]
	s_cbranch_scc0 .LBB175_1259
; %bb.1251:
	s_cmp_eq_u32 s15, 46
	s_mov_b64 s[12:13], 0
	s_cbranch_scc0 .LBB175_1262
; %bb.1252:
	global_load_dword v1, v[10:11], off
	s_mov_b64 s[0:1], 0
	s_mov_b64 s[6:7], -1
	s_waitcnt vmcnt(0)
	v_lshlrev_b32_e32 v1, 16, v1
	v_cvt_i32_f32_e32 v3, v1
	s_branch .LBB175_1263
.LBB175_1253:
	s_mov_b64 s[6:7], 0
                                        ; implicit-def: $vgpr3
	s_cbranch_execnz .LBB175_1324
.LBB175_1254:
	s_andn2_b64 vcc, exec, s[6:7]
	s_cbranch_vccnz .LBB175_2055
	s_branch .LBB175_1371
.LBB175_1255:
	s_mov_b64 s[6:7], 0
	s_mov_b64 s[0:1], 0
                                        ; implicit-def: $vgpr3
	s_cbranch_execnz .LBB175_1290
	s_branch .LBB175_1320
.LBB175_1256:
	s_mov_b64 s[12:13], -1
	s_mov_b64 s[6:7], 0
	s_mov_b64 s[0:1], 0
                                        ; implicit-def: $vgpr3
	s_branch .LBB175_1273
.LBB175_1257:
	s_mov_b64 s[12:13], -1
	s_mov_b64 s[6:7], 0
	s_mov_b64 s[0:1], 0
                                        ; implicit-def: $vgpr3
	s_branch .LBB175_1268
.LBB175_1258:
	s_or_b64 s[2:3], s[28:29], exec
	s_trap 2
	s_cbranch_execz .LBB175_1199
	s_branch .LBB175_1200
.LBB175_1259:
	s_mov_b64 s[12:13], -1
	s_mov_b64 s[6:7], 0
	s_mov_b64 s[0:1], 0
                                        ; implicit-def: $vgpr3
	s_branch .LBB175_1263
.LBB175_1260:
	s_andn2_saveexec_b64 s[16:17], s[16:17]
	s_cbranch_execz .LBB175_995
.LBB175_1261:
	s_mov_b32 s20, 0x42800000
	v_add_f32_e64 v2, |v0|, s20
	v_and_b32_e32 v2, 0xff, v2
	v_cmp_ne_u32_e32 vcc, 0, v2
	s_andn2_b64 s[14:15], s[14:15], exec
	s_and_b64 s[20:21], vcc, exec
	s_or_b64 s[14:15], s[14:15], s[20:21]
	s_or_b64 exec, exec, s[16:17]
	v_mov_b32_e32 v5, 0
	s_and_saveexec_b64 s[16:17], s[14:15]
	s_cbranch_execnz .LBB175_996
	s_branch .LBB175_997
.LBB175_1262:
	s_mov_b64 s[0:1], -1
                                        ; implicit-def: $vgpr3
	s_mov_b64 s[6:7], 0
.LBB175_1263:
	s_and_b64 vcc, exec, s[12:13]
	s_cbranch_vccz .LBB175_1267
; %bb.1264:
	s_cmp_eq_u32 s15, 44
	s_cbranch_scc0 .LBB175_1266
; %bb.1265:
	global_load_ubyte v1, v[10:11], off
	s_mov_b64 s[0:1], 0
	s_mov_b64 s[6:7], -1
	s_waitcnt vmcnt(0)
	v_lshlrev_b32_e32 v3, 23, v1
	v_cvt_i32_f32_e32 v3, v3
	v_cmp_ne_u32_e32 vcc, 0, v1
	v_cndmask_b32_e32 v3, 0, v3, vcc
	s_branch .LBB175_1267
.LBB175_1266:
	s_mov_b64 s[0:1], -1
                                        ; implicit-def: $vgpr3
.LBB175_1267:
	s_mov_b64 s[12:13], 0
.LBB175_1268:
	s_and_b64 vcc, exec, s[12:13]
	s_cbranch_vccz .LBB175_1272
; %bb.1269:
	s_cmp_eq_u32 s15, 29
	s_cbranch_scc0 .LBB175_1271
; %bb.1270:
	global_load_dword v3, v[10:11], off
	s_mov_b64 s[0:1], 0
	s_mov_b64 s[6:7], -1
	s_branch .LBB175_1272
.LBB175_1271:
	s_mov_b64 s[0:1], -1
                                        ; implicit-def: $vgpr3
.LBB175_1272:
	s_mov_b64 s[12:13], 0
.LBB175_1273:
	s_and_b64 vcc, exec, s[12:13]
	s_cbranch_vccz .LBB175_1289
; %bb.1274:
	s_cmp_lt_i32 s15, 27
	s_cbranch_scc1 .LBB175_1277
; %bb.1275:
	s_cmp_gt_i32 s15, 27
	s_cbranch_scc0 .LBB175_1278
; %bb.1276:
	global_load_dword v3, v[10:11], off
	s_mov_b64 s[6:7], 0
	s_branch .LBB175_1279
.LBB175_1277:
	s_mov_b64 s[6:7], -1
                                        ; implicit-def: $vgpr3
	s_branch .LBB175_1282
.LBB175_1278:
	s_mov_b64 s[6:7], -1
                                        ; implicit-def: $vgpr3
.LBB175_1279:
	s_andn2_b64 vcc, exec, s[6:7]
	s_cbranch_vccnz .LBB175_1281
; %bb.1280:
	global_load_ushort v3, v[10:11], off
.LBB175_1281:
	s_mov_b64 s[6:7], 0
.LBB175_1282:
	s_andn2_b64 vcc, exec, s[6:7]
	s_cbranch_vccnz .LBB175_1288
; %bb.1283:
	global_load_ubyte v1, v[10:11], off
	s_movk_i32 s6, 0x7f
	s_mov_b64 s[12:13], 0
	s_waitcnt vmcnt(0)
	v_cmp_lt_i16_e32 vcc, s6, v1
	s_and_saveexec_b64 s[6:7], vcc
	s_xor_b64 s[6:7], exec, s[6:7]
	s_cbranch_execz .LBB175_1299
; %bb.1284:
	s_movk_i32 s12, 0x80
	v_cmp_ne_u16_e32 vcc, s12, v1
	s_and_b64 s[12:13], vcc, exec
	s_andn2_saveexec_b64 s[6:7], s[6:7]
	s_cbranch_execnz .LBB175_1300
.LBB175_1285:
	s_or_b64 exec, exec, s[6:7]
	v_mov_b32_e32 v3, 0
	s_and_saveexec_b64 s[6:7], s[12:13]
	s_cbranch_execz .LBB175_1287
.LBB175_1286:
	v_lshlrev_b32_e32 v3, 24, v1
	v_and_b32_e32 v1, 0xffff, v1
	v_and_b32_e32 v8, 7, v1
	v_ffbh_u32_e32 v13, v8
	v_min_u32_e32 v13, 32, v13
	v_subrev_u32_e32 v14, 28, v13
	v_bfe_u32 v12, v1, 3, 4
	v_lshlrev_b32_e32 v1, v14, v1
	v_sub_u32_e32 v13, 29, v13
	v_and_b32_e32 v1, 7, v1
	v_cmp_eq_u32_e32 vcc, 0, v12
	v_cndmask_b32_e32 v12, v12, v13, vcc
	v_cndmask_b32_e32 v1, v8, v1, vcc
	v_mov_b32_e32 v8, 0x3b800000
	v_lshlrev_b32_e32 v1, 20, v1
	v_and_b32_e32 v3, 0x80000000, v3
	v_lshl_add_u32 v8, v12, 23, v8
	v_or3_b32 v1, v3, v8, v1
	v_cvt_i32_f32_e32 v3, v1
.LBB175_1287:
	s_or_b64 exec, exec, s[6:7]
.LBB175_1288:
	s_mov_b64 s[6:7], -1
.LBB175_1289:
	s_branch .LBB175_1320
.LBB175_1290:
	s_cmp_gt_i32 s15, 22
	s_cbranch_scc0 .LBB175_1298
; %bb.1291:
	s_cmp_lt_i32 s15, 24
	s_cbranch_scc1 .LBB175_1301
; %bb.1292:
	s_cmp_gt_i32 s15, 24
	s_cbranch_scc0 .LBB175_1302
; %bb.1293:
	global_load_ubyte v1, v[10:11], off
	s_movk_i32 s4, 0x7f
	s_mov_b64 s[6:7], 0
	s_waitcnt vmcnt(0)
	v_cmp_lt_i16_e32 vcc, s4, v1
	s_and_saveexec_b64 s[4:5], vcc
	s_xor_b64 s[4:5], exec, s[4:5]
	s_cbranch_execz .LBB175_1314
; %bb.1294:
	s_movk_i32 s6, 0x80
	v_cmp_ne_u16_e32 vcc, s6, v1
	s_and_b64 s[6:7], vcc, exec
	s_andn2_saveexec_b64 s[4:5], s[4:5]
	s_cbranch_execnz .LBB175_1315
.LBB175_1295:
	s_or_b64 exec, exec, s[4:5]
	v_mov_b32_e32 v3, 0
	s_and_saveexec_b64 s[4:5], s[6:7]
	s_cbranch_execz .LBB175_1297
.LBB175_1296:
	v_lshlrev_b32_e32 v3, 24, v1
	v_and_b32_e32 v1, 0xffff, v1
	v_and_b32_e32 v8, 3, v1
	v_ffbh_u32_e32 v13, v8
	v_min_u32_e32 v13, 32, v13
	v_subrev_u32_e32 v14, 29, v13
	v_bfe_u32 v12, v1, 2, 5
	v_lshlrev_b32_e32 v1, v14, v1
	v_sub_u32_e32 v13, 30, v13
	v_and_b32_e32 v1, 3, v1
	v_cmp_eq_u32_e32 vcc, 0, v12
	v_cndmask_b32_e32 v12, v12, v13, vcc
	v_cndmask_b32_e32 v1, v8, v1, vcc
	v_mov_b32_e32 v8, 0x37800000
	v_lshlrev_b32_e32 v1, 21, v1
	v_and_b32_e32 v3, 0x80000000, v3
	v_lshl_add_u32 v8, v12, 23, v8
	v_or3_b32 v1, v3, v8, v1
	v_cvt_i32_f32_e32 v3, v1
.LBB175_1297:
	s_or_b64 exec, exec, s[4:5]
	s_mov_b64 s[4:5], 0
	s_branch .LBB175_1303
.LBB175_1298:
	s_mov_b64 s[4:5], -1
                                        ; implicit-def: $vgpr3
	s_branch .LBB175_1309
.LBB175_1299:
	s_andn2_saveexec_b64 s[6:7], s[6:7]
	s_cbranch_execz .LBB175_1285
.LBB175_1300:
	v_cmp_ne_u16_e32 vcc, 0, v1
	s_andn2_b64 s[12:13], s[12:13], exec
	s_and_b64 s[16:17], vcc, exec
	s_or_b64 s[12:13], s[12:13], s[16:17]
	s_or_b64 exec, exec, s[6:7]
	v_mov_b32_e32 v3, 0
	s_and_saveexec_b64 s[6:7], s[12:13]
	s_cbranch_execnz .LBB175_1286
	s_branch .LBB175_1287
.LBB175_1301:
	s_mov_b64 s[4:5], -1
                                        ; implicit-def: $vgpr3
	s_branch .LBB175_1306
.LBB175_1302:
	s_mov_b64 s[4:5], -1
                                        ; implicit-def: $vgpr3
.LBB175_1303:
	s_and_b64 vcc, exec, s[4:5]
	s_cbranch_vccz .LBB175_1305
; %bb.1304:
	global_load_ubyte v1, v[10:11], off
	s_mov_b32 s4, 0x7f800000
	s_waitcnt vmcnt(0)
	v_lshlrev_b32_e32 v1, 24, v1
	v_and_b32_e32 v3, 0x7f000000, v1
	v_ffbh_u32_e32 v8, v3
	v_min_u32_e32 v8, 32, v8
	v_sub_u32_e64 v8, v8, 4 clamp
	v_lshlrev_b32_e32 v13, v8, v3
	v_lshlrev_b32_e32 v8, 23, v8
	v_lshrrev_b32_e32 v13, 4, v13
	v_add_u32_e32 v12, 0x1000000, v3
	v_sub_u32_e32 v8, v13, v8
	v_ashrrev_i32_e32 v12, 8, v12
	v_add_u32_e32 v8, 0x3c000000, v8
	v_and_or_b32 v8, v12, s4, v8
	v_cmp_ne_u32_e32 vcc, 0, v3
	v_cndmask_b32_e32 v3, 0, v8, vcc
	s_brev_b32 s4, 1
	v_and_or_b32 v1, v1, s4, v3
	v_cvt_i32_f32_e32 v3, v1
.LBB175_1305:
	s_mov_b64 s[4:5], 0
.LBB175_1306:
	s_andn2_b64 vcc, exec, s[4:5]
	s_cbranch_vccnz .LBB175_1308
; %bb.1307:
	global_load_ubyte v1, v[10:11], off
	s_movk_i32 s4, 0x7f00
	s_brev_b32 s5, 16
	s_waitcnt vmcnt(0)
	v_lshlrev_b16_e32 v3, 8, v1
	v_lshlrev_b32_e32 v1, 25, v1
	v_lshrrev_b32_e32 v8, 4, v1
	v_and_or_b32 v12, v3, s4, 0.5
	v_or_b32_e32 v8, 0x70000000, v8
	v_add_f32_e32 v12, -0.5, v12
	v_mul_f32_e32 v8, 0x7800000, v8
	v_cmp_gt_u32_e32 vcc, s5, v1
	v_bfe_i32 v3, v3, 0, 16
	v_cndmask_b32_e32 v1, v8, v12, vcc
	s_brev_b32 s4, 1
	v_and_or_b32 v1, v3, s4, v1
	v_cvt_i32_f32_e32 v3, v1
.LBB175_1308:
	s_mov_b64 s[4:5], 0
	s_mov_b64 s[6:7], -1
.LBB175_1309:
	s_andn2_b64 vcc, exec, s[4:5]
	s_mov_b64 s[4:5], 0
	s_cbranch_vccnz .LBB175_1320
; %bb.1310:
	s_cmp_gt_i32 s15, 14
	s_cbranch_scc0 .LBB175_1313
; %bb.1311:
	s_cmp_eq_u32 s15, 15
	s_cbranch_scc0 .LBB175_1316
; %bb.1312:
	global_load_ushort v1, v[10:11], off
	s_mov_b64 s[0:1], 0
	s_mov_b64 s[6:7], -1
	s_waitcnt vmcnt(0)
	v_lshlrev_b32_e32 v1, 16, v1
	v_cvt_i32_f32_e32 v3, v1
	s_branch .LBB175_1317
.LBB175_1313:
	s_mov_b64 s[12:13], -1
                                        ; implicit-def: $vgpr3
	s_branch .LBB175_1318
.LBB175_1314:
	s_andn2_saveexec_b64 s[4:5], s[4:5]
	s_cbranch_execz .LBB175_1295
.LBB175_1315:
	v_cmp_ne_u16_e32 vcc, 0, v1
	s_andn2_b64 s[6:7], s[6:7], exec
	s_and_b64 s[12:13], vcc, exec
	s_or_b64 s[6:7], s[6:7], s[12:13]
	s_or_b64 exec, exec, s[4:5]
	v_mov_b32_e32 v3, 0
	s_and_saveexec_b64 s[4:5], s[6:7]
	s_cbranch_execnz .LBB175_1296
	s_branch .LBB175_1297
.LBB175_1316:
	s_mov_b64 s[0:1], -1
                                        ; implicit-def: $vgpr3
.LBB175_1317:
	s_mov_b64 s[12:13], 0
.LBB175_1318:
	s_and_b64 vcc, exec, s[12:13]
	s_cbranch_vccz .LBB175_1320
; %bb.1319:
	s_cmp_lg_u32 s15, 11
	s_mov_b64 s[4:5], -1
	s_cselect_b64 s[0:1], -1, 0
.LBB175_1320:
	s_and_b64 vcc, exec, s[0:1]
	s_cbranch_vccnz .LBB175_1383
; %bb.1321:
	s_andn2_b64 vcc, exec, s[4:5]
	s_cbranch_vccnz .LBB175_1323
.LBB175_1322:
	global_load_ubyte v1, v[10:11], off
	s_mov_b64 s[6:7], -1
	s_waitcnt vmcnt(0)
	v_cmp_ne_u16_e32 vcc, 0, v1
	v_cndmask_b32_e64 v3, 0, 1, vcc
.LBB175_1323:
	s_branch .LBB175_1254
.LBB175_1324:
	s_and_b32 s4, 0xffff, s14
	s_cmp_lt_i32 s4, 5
	s_cbranch_scc1 .LBB175_1329
; %bb.1325:
	s_cmp_lt_i32 s4, 8
	s_cbranch_scc1 .LBB175_1330
; %bb.1326:
	;; [unrolled: 3-line block ×3, first 2 shown]
	s_cmp_gt_i32 s4, 9
	s_cbranch_scc0 .LBB175_1332
; %bb.1328:
	global_load_dwordx2 v[12:13], v[10:11], off
	s_mov_b64 s[0:1], 0
	s_waitcnt vmcnt(0)
	v_cvt_i32_f64_e32 v3, v[12:13]
	s_branch .LBB175_1333
.LBB175_1329:
                                        ; implicit-def: $vgpr3
	s_branch .LBB175_1351
.LBB175_1330:
	s_mov_b64 s[0:1], -1
                                        ; implicit-def: $vgpr3
	s_branch .LBB175_1339
.LBB175_1331:
	s_mov_b64 s[0:1], -1
                                        ; implicit-def: $vgpr3
	s_branch .LBB175_1336
.LBB175_1332:
	s_mov_b64 s[0:1], -1
                                        ; implicit-def: $vgpr3
.LBB175_1333:
	s_andn2_b64 vcc, exec, s[0:1]
	s_cbranch_vccnz .LBB175_1335
; %bb.1334:
	global_load_dword v1, v[10:11], off
	s_waitcnt vmcnt(0)
	v_cvt_i32_f32_e32 v3, v1
.LBB175_1335:
	s_mov_b64 s[0:1], 0
.LBB175_1336:
	s_andn2_b64 vcc, exec, s[0:1]
	s_cbranch_vccnz .LBB175_1338
; %bb.1337:
	global_load_dword v1, v[10:11], off
	s_waitcnt vmcnt(0)
	v_cvt_f32_f16_e32 v1, v1
	v_cvt_i32_f32_e32 v3, v1
.LBB175_1338:
	s_mov_b64 s[0:1], 0
.LBB175_1339:
	s_andn2_b64 vcc, exec, s[0:1]
	s_cbranch_vccnz .LBB175_1350
; %bb.1340:
	s_cmp_lt_i32 s4, 6
	s_cbranch_scc1 .LBB175_1343
; %bb.1341:
	s_cmp_gt_i32 s4, 6
	s_cbranch_scc0 .LBB175_1344
; %bb.1342:
	global_load_dwordx2 v[12:13], v[10:11], off
	s_mov_b64 s[0:1], 0
	s_waitcnt vmcnt(0)
	v_cvt_i32_f64_e32 v3, v[12:13]
	s_branch .LBB175_1345
.LBB175_1343:
	s_mov_b64 s[0:1], -1
                                        ; implicit-def: $vgpr3
	s_branch .LBB175_1348
.LBB175_1344:
	s_mov_b64 s[0:1], -1
                                        ; implicit-def: $vgpr3
.LBB175_1345:
	s_andn2_b64 vcc, exec, s[0:1]
	s_cbranch_vccnz .LBB175_1347
; %bb.1346:
	global_load_dword v1, v[10:11], off
	s_waitcnt vmcnt(0)
	v_cvt_i32_f32_e32 v3, v1
.LBB175_1347:
	s_mov_b64 s[0:1], 0
.LBB175_1348:
	s_andn2_b64 vcc, exec, s[0:1]
	s_cbranch_vccnz .LBB175_1350
; %bb.1349:
	global_load_ushort v1, v[10:11], off
	s_waitcnt vmcnt(0)
	v_cvt_f32_f16_e32 v1, v1
	v_cvt_i32_f32_e32 v3, v1
.LBB175_1350:
	s_cbranch_execnz .LBB175_1370
.LBB175_1351:
	s_cmp_lt_i32 s4, 2
	s_cbranch_scc1 .LBB175_1355
; %bb.1352:
	s_cmp_lt_i32 s4, 3
	s_cbranch_scc1 .LBB175_1356
; %bb.1353:
	s_cmp_gt_i32 s4, 3
	s_cbranch_scc0 .LBB175_1357
; %bb.1354:
	global_load_dword v3, v[10:11], off
	s_mov_b64 s[0:1], 0
	s_branch .LBB175_1358
.LBB175_1355:
	s_mov_b64 s[0:1], -1
                                        ; implicit-def: $vgpr3
	s_branch .LBB175_1364
.LBB175_1356:
	s_mov_b64 s[0:1], -1
                                        ; implicit-def: $vgpr3
	s_branch .LBB175_1361
.LBB175_1357:
	s_mov_b64 s[0:1], -1
                                        ; implicit-def: $vgpr3
.LBB175_1358:
	s_andn2_b64 vcc, exec, s[0:1]
	s_cbranch_vccnz .LBB175_1360
; %bb.1359:
	global_load_dword v3, v[10:11], off
.LBB175_1360:
	s_mov_b64 s[0:1], 0
.LBB175_1361:
	s_andn2_b64 vcc, exec, s[0:1]
	s_cbranch_vccnz .LBB175_1363
; %bb.1362:
	global_load_sshort v3, v[10:11], off
.LBB175_1363:
	s_mov_b64 s[0:1], 0
.LBB175_1364:
	s_andn2_b64 vcc, exec, s[0:1]
	s_cbranch_vccnz .LBB175_1370
; %bb.1365:
	s_cmp_gt_i32 s4, 0
	s_cbranch_scc0 .LBB175_1367
; %bb.1366:
	global_load_sbyte v3, v[10:11], off
	s_mov_b64 s[0:1], 0
	s_branch .LBB175_1368
.LBB175_1367:
	s_mov_b64 s[0:1], -1
                                        ; implicit-def: $vgpr3
.LBB175_1368:
	s_andn2_b64 vcc, exec, s[0:1]
	s_cbranch_vccnz .LBB175_1370
; %bb.1369:
	global_load_ubyte v3, v[10:11], off
.LBB175_1370:
.LBB175_1371:
	v_mov_b32_e32 v1, s11
	v_add_co_u32_e32 v8, vcc, s10, v9
	s_cmp_lt_i32 s14, 11
	v_addc_co_u32_e32 v9, vcc, 0, v1, vcc
	s_cbranch_scc1 .LBB175_1378
; %bb.1372:
	s_and_b32 s15, 0xffff, s14
	s_cmp_gt_i32 s15, 25
	s_mov_b64 s[4:5], 0
	s_cbranch_scc0 .LBB175_1380
; %bb.1373:
	s_cmp_gt_i32 s15, 28
	s_cbranch_scc0 .LBB175_1381
; %bb.1374:
	s_cmp_gt_i32 s15, 43
	;; [unrolled: 3-line block ×3, first 2 shown]
	s_cbranch_scc0 .LBB175_1384
; %bb.1376:
	s_cmp_eq_u32 s15, 46
	s_mov_b64 s[12:13], 0
	s_cbranch_scc0 .LBB175_1385
; %bb.1377:
	global_load_dword v1, v[8:9], off
	s_mov_b64 s[0:1], 0
	s_mov_b64 s[6:7], -1
	s_waitcnt vmcnt(0)
	v_lshlrev_b32_e32 v1, 16, v1
	v_cvt_i32_f32_e32 v1, v1
	s_branch .LBB175_1386
.LBB175_1378:
	s_mov_b64 s[6:7], 0
                                        ; implicit-def: $vgpr1
	s_cbranch_execnz .LBB175_1448
.LBB175_1379:
	s_andn2_b64 vcc, exec, s[6:7]
	s_cbranch_vccnz .LBB175_2055
	s_branch .LBB175_1496
.LBB175_1380:
	s_mov_b64 s[12:13], -1
	s_mov_b64 s[6:7], 0
	s_mov_b64 s[0:1], 0
                                        ; implicit-def: $vgpr1
	s_branch .LBB175_1413
.LBB175_1381:
	s_mov_b64 s[12:13], -1
	s_mov_b64 s[6:7], 0
	s_mov_b64 s[0:1], 0
                                        ; implicit-def: $vgpr1
	s_branch .LBB175_1396
.LBB175_1382:
	s_mov_b64 s[12:13], -1
	s_mov_b64 s[6:7], 0
	s_mov_b64 s[0:1], 0
                                        ; implicit-def: $vgpr1
	s_branch .LBB175_1391
.LBB175_1383:
	s_trap 2
	s_or_b64 s[2:3], s[2:3], exec
	s_cbranch_execz .LBB175_1322
	s_branch .LBB175_1323
.LBB175_1384:
	s_mov_b64 s[12:13], -1
	s_mov_b64 s[6:7], 0
	s_mov_b64 s[0:1], 0
                                        ; implicit-def: $vgpr1
	s_branch .LBB175_1386
.LBB175_1385:
	s_mov_b64 s[0:1], -1
                                        ; implicit-def: $vgpr1
	s_mov_b64 s[6:7], 0
.LBB175_1386:
	s_and_b64 vcc, exec, s[12:13]
	s_cbranch_vccz .LBB175_1390
; %bb.1387:
	s_cmp_eq_u32 s15, 44
	s_cbranch_scc0 .LBB175_1389
; %bb.1388:
	global_load_ubyte v1, v[8:9], off
	s_mov_b64 s[0:1], 0
	s_mov_b64 s[6:7], -1
	s_waitcnt vmcnt(0)
	v_lshlrev_b32_e32 v10, 23, v1
	v_cvt_i32_f32_e32 v10, v10
	v_cmp_ne_u32_e32 vcc, 0, v1
	v_cndmask_b32_e32 v1, 0, v10, vcc
	s_branch .LBB175_1390
.LBB175_1389:
	s_mov_b64 s[0:1], -1
                                        ; implicit-def: $vgpr1
.LBB175_1390:
	s_mov_b64 s[12:13], 0
.LBB175_1391:
	s_and_b64 vcc, exec, s[12:13]
	s_cbranch_vccz .LBB175_1395
; %bb.1392:
	s_cmp_eq_u32 s15, 29
	s_cbranch_scc0 .LBB175_1394
; %bb.1393:
	global_load_dword v1, v[8:9], off
	s_mov_b64 s[0:1], 0
	s_mov_b64 s[6:7], -1
	s_branch .LBB175_1395
.LBB175_1394:
	s_mov_b64 s[0:1], -1
                                        ; implicit-def: $vgpr1
.LBB175_1395:
	s_mov_b64 s[12:13], 0
.LBB175_1396:
	s_and_b64 vcc, exec, s[12:13]
	s_cbranch_vccz .LBB175_1412
; %bb.1397:
	s_cmp_lt_i32 s15, 27
	s_cbranch_scc1 .LBB175_1400
; %bb.1398:
	s_cmp_gt_i32 s15, 27
	s_cbranch_scc0 .LBB175_1401
; %bb.1399:
	global_load_dword v1, v[8:9], off
	s_mov_b64 s[6:7], 0
	s_branch .LBB175_1402
.LBB175_1400:
	s_mov_b64 s[6:7], -1
                                        ; implicit-def: $vgpr1
	s_branch .LBB175_1405
.LBB175_1401:
	s_mov_b64 s[6:7], -1
                                        ; implicit-def: $vgpr1
.LBB175_1402:
	s_andn2_b64 vcc, exec, s[6:7]
	s_cbranch_vccnz .LBB175_1404
; %bb.1403:
	global_load_ushort v1, v[8:9], off
.LBB175_1404:
	s_mov_b64 s[6:7], 0
.LBB175_1405:
	s_andn2_b64 vcc, exec, s[6:7]
	s_cbranch_vccnz .LBB175_1411
; %bb.1406:
	global_load_ubyte v10, v[8:9], off
	s_movk_i32 s6, 0x7f
	s_mov_b64 s[12:13], 0
	s_waitcnt vmcnt(0)
	v_cmp_lt_i16_e32 vcc, s6, v10
	s_and_saveexec_b64 s[6:7], vcc
	s_xor_b64 s[6:7], exec, s[6:7]
	s_cbranch_execz .LBB175_1423
; %bb.1407:
	s_movk_i32 s12, 0x80
	v_cmp_ne_u16_e32 vcc, s12, v10
	s_and_b64 s[12:13], vcc, exec
	s_andn2_saveexec_b64 s[6:7], s[6:7]
	s_cbranch_execnz .LBB175_1424
.LBB175_1408:
	s_or_b64 exec, exec, s[6:7]
	v_mov_b32_e32 v1, 0
	s_and_saveexec_b64 s[6:7], s[12:13]
	s_cbranch_execz .LBB175_1410
.LBB175_1409:
	v_lshlrev_b32_e32 v1, 24, v10
	v_and_b32_e32 v10, 0xffff, v10
	v_and_b32_e32 v11, 7, v10
	v_ffbh_u32_e32 v13, v11
	v_min_u32_e32 v13, 32, v13
	v_subrev_u32_e32 v14, 28, v13
	v_bfe_u32 v12, v10, 3, 4
	v_lshlrev_b32_e32 v10, v14, v10
	v_sub_u32_e32 v13, 29, v13
	v_and_b32_e32 v10, 7, v10
	v_cmp_eq_u32_e32 vcc, 0, v12
	v_cndmask_b32_e32 v12, v12, v13, vcc
	v_cndmask_b32_e32 v10, v11, v10, vcc
	v_mov_b32_e32 v11, 0x3b800000
	v_lshlrev_b32_e32 v10, 20, v10
	v_and_b32_e32 v1, 0x80000000, v1
	v_lshl_add_u32 v11, v12, 23, v11
	v_or3_b32 v1, v1, v11, v10
	v_cvt_i32_f32_e32 v1, v1
.LBB175_1410:
	s_or_b64 exec, exec, s[6:7]
.LBB175_1411:
	s_mov_b64 s[6:7], -1
.LBB175_1412:
	s_mov_b64 s[12:13], 0
.LBB175_1413:
	s_and_b64 vcc, exec, s[12:13]
	s_cbranch_vccz .LBB175_1444
; %bb.1414:
	s_cmp_gt_i32 s15, 22
	s_cbranch_scc0 .LBB175_1422
; %bb.1415:
	s_cmp_lt_i32 s15, 24
	s_cbranch_scc1 .LBB175_1425
; %bb.1416:
	s_cmp_gt_i32 s15, 24
	s_cbranch_scc0 .LBB175_1426
; %bb.1417:
	global_load_ubyte v10, v[8:9], off
	s_movk_i32 s4, 0x7f
	s_mov_b64 s[6:7], 0
	s_waitcnt vmcnt(0)
	v_cmp_lt_i16_e32 vcc, s4, v10
	s_and_saveexec_b64 s[4:5], vcc
	s_xor_b64 s[4:5], exec, s[4:5]
	s_cbranch_execz .LBB175_1438
; %bb.1418:
	s_movk_i32 s6, 0x80
	v_cmp_ne_u16_e32 vcc, s6, v10
	s_and_b64 s[6:7], vcc, exec
	s_andn2_saveexec_b64 s[4:5], s[4:5]
	s_cbranch_execnz .LBB175_1439
.LBB175_1419:
	s_or_b64 exec, exec, s[4:5]
	v_mov_b32_e32 v1, 0
	s_and_saveexec_b64 s[4:5], s[6:7]
	s_cbranch_execz .LBB175_1421
.LBB175_1420:
	v_lshlrev_b32_e32 v1, 24, v10
	v_and_b32_e32 v10, 0xffff, v10
	v_and_b32_e32 v11, 3, v10
	v_ffbh_u32_e32 v13, v11
	v_min_u32_e32 v13, 32, v13
	v_subrev_u32_e32 v14, 29, v13
	v_bfe_u32 v12, v10, 2, 5
	v_lshlrev_b32_e32 v10, v14, v10
	v_sub_u32_e32 v13, 30, v13
	v_and_b32_e32 v10, 3, v10
	v_cmp_eq_u32_e32 vcc, 0, v12
	v_cndmask_b32_e32 v12, v12, v13, vcc
	v_cndmask_b32_e32 v10, v11, v10, vcc
	v_mov_b32_e32 v11, 0x37800000
	v_lshlrev_b32_e32 v10, 21, v10
	v_and_b32_e32 v1, 0x80000000, v1
	v_lshl_add_u32 v11, v12, 23, v11
	v_or3_b32 v1, v1, v11, v10
	v_cvt_i32_f32_e32 v1, v1
.LBB175_1421:
	s_or_b64 exec, exec, s[4:5]
	s_mov_b64 s[4:5], 0
	s_branch .LBB175_1427
.LBB175_1422:
	s_mov_b64 s[4:5], -1
                                        ; implicit-def: $vgpr1
	s_branch .LBB175_1433
.LBB175_1423:
	s_andn2_saveexec_b64 s[6:7], s[6:7]
	s_cbranch_execz .LBB175_1408
.LBB175_1424:
	v_cmp_ne_u16_e32 vcc, 0, v10
	s_andn2_b64 s[12:13], s[12:13], exec
	s_and_b64 s[16:17], vcc, exec
	s_or_b64 s[12:13], s[12:13], s[16:17]
	s_or_b64 exec, exec, s[6:7]
	v_mov_b32_e32 v1, 0
	s_and_saveexec_b64 s[6:7], s[12:13]
	s_cbranch_execnz .LBB175_1409
	s_branch .LBB175_1410
.LBB175_1425:
	s_mov_b64 s[4:5], -1
                                        ; implicit-def: $vgpr1
	s_branch .LBB175_1430
.LBB175_1426:
	s_mov_b64 s[4:5], -1
                                        ; implicit-def: $vgpr1
.LBB175_1427:
	s_and_b64 vcc, exec, s[4:5]
	s_cbranch_vccz .LBB175_1429
; %bb.1428:
	global_load_ubyte v1, v[8:9], off
	s_mov_b32 s4, 0x7f800000
	s_waitcnt vmcnt(0)
	v_lshlrev_b32_e32 v1, 24, v1
	v_and_b32_e32 v10, 0x7f000000, v1
	v_ffbh_u32_e32 v11, v10
	v_min_u32_e32 v11, 32, v11
	v_sub_u32_e64 v11, v11, 4 clamp
	v_lshlrev_b32_e32 v13, v11, v10
	v_lshlrev_b32_e32 v11, 23, v11
	v_lshrrev_b32_e32 v13, 4, v13
	v_add_u32_e32 v12, 0x1000000, v10
	v_sub_u32_e32 v11, v13, v11
	v_ashrrev_i32_e32 v12, 8, v12
	v_add_u32_e32 v11, 0x3c000000, v11
	v_and_or_b32 v11, v12, s4, v11
	v_cmp_ne_u32_e32 vcc, 0, v10
	v_cndmask_b32_e32 v10, 0, v11, vcc
	s_brev_b32 s4, 1
	v_and_or_b32 v1, v1, s4, v10
	v_cvt_i32_f32_e32 v1, v1
.LBB175_1429:
	s_mov_b64 s[4:5], 0
.LBB175_1430:
	s_andn2_b64 vcc, exec, s[4:5]
	s_cbranch_vccnz .LBB175_1432
; %bb.1431:
	global_load_ubyte v1, v[8:9], off
	s_movk_i32 s4, 0x7f00
	s_brev_b32 s5, 16
	s_waitcnt vmcnt(0)
	v_lshlrev_b16_e32 v10, 8, v1
	v_lshlrev_b32_e32 v1, 25, v1
	v_lshrrev_b32_e32 v11, 4, v1
	v_and_or_b32 v12, v10, s4, 0.5
	v_or_b32_e32 v11, 0x70000000, v11
	v_add_f32_e32 v12, -0.5, v12
	v_mul_f32_e32 v11, 0x7800000, v11
	v_cmp_gt_u32_e32 vcc, s5, v1
	v_bfe_i32 v10, v10, 0, 16
	v_cndmask_b32_e32 v1, v11, v12, vcc
	s_brev_b32 s4, 1
	v_and_or_b32 v1, v10, s4, v1
	v_cvt_i32_f32_e32 v1, v1
.LBB175_1432:
	s_mov_b64 s[4:5], 0
	s_mov_b64 s[6:7], -1
.LBB175_1433:
	s_andn2_b64 vcc, exec, s[4:5]
	s_mov_b64 s[4:5], 0
	s_cbranch_vccnz .LBB175_1444
; %bb.1434:
	s_cmp_gt_i32 s15, 14
	s_cbranch_scc0 .LBB175_1437
; %bb.1435:
	s_cmp_eq_u32 s15, 15
	s_cbranch_scc0 .LBB175_1440
; %bb.1436:
	global_load_ushort v1, v[8:9], off
	s_mov_b64 s[0:1], 0
	s_mov_b64 s[6:7], -1
	s_waitcnt vmcnt(0)
	v_lshlrev_b32_e32 v1, 16, v1
	v_cvt_i32_f32_e32 v1, v1
	s_branch .LBB175_1441
.LBB175_1437:
	s_mov_b64 s[12:13], -1
                                        ; implicit-def: $vgpr1
	s_branch .LBB175_1442
.LBB175_1438:
	s_andn2_saveexec_b64 s[4:5], s[4:5]
	s_cbranch_execz .LBB175_1419
.LBB175_1439:
	v_cmp_ne_u16_e32 vcc, 0, v10
	s_andn2_b64 s[6:7], s[6:7], exec
	s_and_b64 s[12:13], vcc, exec
	s_or_b64 s[6:7], s[6:7], s[12:13]
	s_or_b64 exec, exec, s[4:5]
	v_mov_b32_e32 v1, 0
	s_and_saveexec_b64 s[4:5], s[6:7]
	s_cbranch_execnz .LBB175_1420
	s_branch .LBB175_1421
.LBB175_1440:
	s_mov_b64 s[0:1], -1
                                        ; implicit-def: $vgpr1
.LBB175_1441:
	s_mov_b64 s[12:13], 0
.LBB175_1442:
	s_and_b64 vcc, exec, s[12:13]
	s_cbranch_vccz .LBB175_1444
; %bb.1443:
	s_cmp_lg_u32 s15, 11
	s_mov_b64 s[4:5], -1
	s_cselect_b64 s[0:1], -1, 0
.LBB175_1444:
	s_and_b64 vcc, exec, s[0:1]
	s_cbranch_vccnz .LBB175_1507
; %bb.1445:
	s_andn2_b64 vcc, exec, s[4:5]
	s_cbranch_vccnz .LBB175_1447
.LBB175_1446:
	global_load_ubyte v1, v[8:9], off
	s_mov_b64 s[6:7], -1
	s_waitcnt vmcnt(0)
	v_cmp_ne_u16_e32 vcc, 0, v1
	v_cndmask_b32_e64 v1, 0, 1, vcc
.LBB175_1447:
	s_branch .LBB175_1379
.LBB175_1448:
	s_and_b32 s4, 0xffff, s14
	s_cmp_lt_i32 s4, 5
	s_cbranch_scc1 .LBB175_1453
; %bb.1449:
	s_cmp_lt_i32 s4, 8
	s_cbranch_scc1 .LBB175_1454
; %bb.1450:
	;; [unrolled: 3-line block ×3, first 2 shown]
	s_cmp_gt_i32 s4, 9
	s_cbranch_scc0 .LBB175_1456
; %bb.1452:
	global_load_dwordx2 v[10:11], v[8:9], off
	s_mov_b64 s[0:1], 0
	s_waitcnt vmcnt(0)
	v_cvt_i32_f64_e32 v1, v[10:11]
	s_branch .LBB175_1457
.LBB175_1453:
	s_mov_b64 s[0:1], -1
                                        ; implicit-def: $vgpr1
	s_branch .LBB175_1475
.LBB175_1454:
	s_mov_b64 s[0:1], -1
                                        ; implicit-def: $vgpr1
	s_branch .LBB175_1463
.LBB175_1455:
	s_mov_b64 s[0:1], -1
                                        ; implicit-def: $vgpr1
	s_branch .LBB175_1460
.LBB175_1456:
	s_mov_b64 s[0:1], -1
                                        ; implicit-def: $vgpr1
.LBB175_1457:
	s_andn2_b64 vcc, exec, s[0:1]
	s_cbranch_vccnz .LBB175_1459
; %bb.1458:
	global_load_dword v1, v[8:9], off
	s_waitcnt vmcnt(0)
	v_cvt_i32_f32_e32 v1, v1
.LBB175_1459:
	s_mov_b64 s[0:1], 0
.LBB175_1460:
	s_andn2_b64 vcc, exec, s[0:1]
	s_cbranch_vccnz .LBB175_1462
; %bb.1461:
	global_load_dword v1, v[8:9], off
	s_waitcnt vmcnt(0)
	v_cvt_f32_f16_e32 v1, v1
	v_cvt_i32_f32_e32 v1, v1
.LBB175_1462:
	s_mov_b64 s[0:1], 0
.LBB175_1463:
	s_andn2_b64 vcc, exec, s[0:1]
	s_cbranch_vccnz .LBB175_1474
; %bb.1464:
	s_cmp_lt_i32 s4, 6
	s_cbranch_scc1 .LBB175_1467
; %bb.1465:
	s_cmp_gt_i32 s4, 6
	s_cbranch_scc0 .LBB175_1468
; %bb.1466:
	global_load_dwordx2 v[10:11], v[8:9], off
	s_mov_b64 s[0:1], 0
	s_waitcnt vmcnt(0)
	v_cvt_i32_f64_e32 v1, v[10:11]
	s_branch .LBB175_1469
.LBB175_1467:
	s_mov_b64 s[0:1], -1
                                        ; implicit-def: $vgpr1
	s_branch .LBB175_1472
.LBB175_1468:
	s_mov_b64 s[0:1], -1
                                        ; implicit-def: $vgpr1
.LBB175_1469:
	s_andn2_b64 vcc, exec, s[0:1]
	s_cbranch_vccnz .LBB175_1471
; %bb.1470:
	global_load_dword v1, v[8:9], off
	s_waitcnt vmcnt(0)
	v_cvt_i32_f32_e32 v1, v1
.LBB175_1471:
	s_mov_b64 s[0:1], 0
.LBB175_1472:
	s_andn2_b64 vcc, exec, s[0:1]
	s_cbranch_vccnz .LBB175_1474
; %bb.1473:
	global_load_ushort v1, v[8:9], off
	s_waitcnt vmcnt(0)
	v_cvt_f32_f16_e32 v1, v1
	v_cvt_i32_f32_e32 v1, v1
.LBB175_1474:
	s_mov_b64 s[0:1], 0
.LBB175_1475:
	s_andn2_b64 vcc, exec, s[0:1]
	s_cbranch_vccnz .LBB175_1495
; %bb.1476:
	s_cmp_lt_i32 s4, 2
	s_cbranch_scc1 .LBB175_1480
; %bb.1477:
	s_cmp_lt_i32 s4, 3
	s_cbranch_scc1 .LBB175_1481
; %bb.1478:
	s_cmp_gt_i32 s4, 3
	s_cbranch_scc0 .LBB175_1482
; %bb.1479:
	global_load_dword v1, v[8:9], off
	s_mov_b64 s[0:1], 0
	s_branch .LBB175_1483
.LBB175_1480:
	s_mov_b64 s[0:1], -1
                                        ; implicit-def: $vgpr1
	s_branch .LBB175_1489
.LBB175_1481:
	s_mov_b64 s[0:1], -1
                                        ; implicit-def: $vgpr1
	s_branch .LBB175_1486
.LBB175_1482:
	s_mov_b64 s[0:1], -1
                                        ; implicit-def: $vgpr1
.LBB175_1483:
	s_andn2_b64 vcc, exec, s[0:1]
	s_cbranch_vccnz .LBB175_1485
; %bb.1484:
	global_load_dword v1, v[8:9], off
.LBB175_1485:
	s_mov_b64 s[0:1], 0
.LBB175_1486:
	s_andn2_b64 vcc, exec, s[0:1]
	s_cbranch_vccnz .LBB175_1488
; %bb.1487:
	global_load_sshort v1, v[8:9], off
.LBB175_1488:
	s_mov_b64 s[0:1], 0
.LBB175_1489:
	s_andn2_b64 vcc, exec, s[0:1]
	s_cbranch_vccnz .LBB175_1495
; %bb.1490:
	s_cmp_gt_i32 s4, 0
	s_cbranch_scc0 .LBB175_1492
; %bb.1491:
	global_load_sbyte v1, v[8:9], off
	s_mov_b64 s[0:1], 0
	s_branch .LBB175_1493
.LBB175_1492:
	s_mov_b64 s[0:1], -1
                                        ; implicit-def: $vgpr1
.LBB175_1493:
	s_andn2_b64 vcc, exec, s[0:1]
	s_cbranch_vccnz .LBB175_1495
; %bb.1494:
	global_load_ubyte v1, v[8:9], off
.LBB175_1495:
.LBB175_1496:
	v_mov_b32_e32 v8, s11
	v_add_co_u32_e32 v7, vcc, s10, v7
	s_cmp_lt_i32 s14, 11
	v_addc_co_u32_e32 v8, vcc, 0, v8, vcc
	s_cbranch_scc1 .LBB175_1503
; %bb.1497:
	s_and_b32 s12, 0xffff, s14
	s_cmp_gt_i32 s12, 25
	s_mov_b64 s[4:5], 0
	s_cbranch_scc0 .LBB175_1504
; %bb.1498:
	s_cmp_gt_i32 s12, 28
	s_cbranch_scc0 .LBB175_1505
; %bb.1499:
	s_cmp_gt_i32 s12, 43
	;; [unrolled: 3-line block ×3, first 2 shown]
	s_cbranch_scc0 .LBB175_1508
; %bb.1501:
	s_cmp_eq_u32 s12, 46
	s_mov_b64 s[10:11], 0
	s_cbranch_scc0 .LBB175_1509
; %bb.1502:
	global_load_dword v9, v[7:8], off
	s_mov_b64 s[0:1], 0
	s_mov_b64 s[6:7], -1
	s_waitcnt vmcnt(0)
	v_lshlrev_b32_e32 v9, 16, v9
	v_cvt_i32_f32_e32 v9, v9
	s_branch .LBB175_1510
.LBB175_1503:
	s_mov_b64 s[0:1], -1
	s_mov_b64 s[6:7], 0
                                        ; implicit-def: $vgpr9
	s_branch .LBB175_1572
.LBB175_1504:
	s_mov_b64 s[10:11], -1
	s_mov_b64 s[6:7], 0
	s_mov_b64 s[0:1], 0
                                        ; implicit-def: $vgpr9
	s_branch .LBB175_1537
.LBB175_1505:
	s_mov_b64 s[10:11], -1
	s_mov_b64 s[6:7], 0
	s_mov_b64 s[0:1], 0
                                        ; implicit-def: $vgpr9
	s_branch .LBB175_1520
.LBB175_1506:
	s_mov_b64 s[10:11], -1
	s_mov_b64 s[6:7], 0
	s_mov_b64 s[0:1], 0
                                        ; implicit-def: $vgpr9
	s_branch .LBB175_1515
.LBB175_1507:
	s_trap 2
	s_or_b64 s[2:3], s[2:3], exec
	s_cbranch_execz .LBB175_1446
	s_branch .LBB175_1447
.LBB175_1508:
	s_mov_b64 s[10:11], -1
	s_mov_b64 s[6:7], 0
	s_mov_b64 s[0:1], 0
                                        ; implicit-def: $vgpr9
	s_branch .LBB175_1510
.LBB175_1509:
	s_mov_b64 s[0:1], -1
                                        ; implicit-def: $vgpr9
	s_mov_b64 s[6:7], 0
.LBB175_1510:
	s_and_b64 vcc, exec, s[10:11]
	s_cbranch_vccz .LBB175_1514
; %bb.1511:
	s_cmp_eq_u32 s12, 44
	s_cbranch_scc0 .LBB175_1513
; %bb.1512:
	global_load_ubyte v9, v[7:8], off
	s_mov_b64 s[0:1], 0
	s_mov_b64 s[6:7], -1
	s_waitcnt vmcnt(0)
	v_lshlrev_b32_e32 v10, 23, v9
	v_cvt_i32_f32_e32 v10, v10
	v_cmp_ne_u32_e32 vcc, 0, v9
	v_cndmask_b32_e32 v9, 0, v10, vcc
	s_branch .LBB175_1514
.LBB175_1513:
	s_mov_b64 s[0:1], -1
                                        ; implicit-def: $vgpr9
.LBB175_1514:
	s_mov_b64 s[10:11], 0
.LBB175_1515:
	s_and_b64 vcc, exec, s[10:11]
	s_cbranch_vccz .LBB175_1519
; %bb.1516:
	s_cmp_eq_u32 s12, 29
	s_cbranch_scc0 .LBB175_1518
; %bb.1517:
	global_load_dword v9, v[7:8], off
	s_mov_b64 s[0:1], 0
	s_mov_b64 s[6:7], -1
	s_branch .LBB175_1519
.LBB175_1518:
	s_mov_b64 s[0:1], -1
                                        ; implicit-def: $vgpr9
.LBB175_1519:
	s_mov_b64 s[10:11], 0
.LBB175_1520:
	s_and_b64 vcc, exec, s[10:11]
	s_cbranch_vccz .LBB175_1536
; %bb.1521:
	s_cmp_lt_i32 s12, 27
	s_cbranch_scc1 .LBB175_1524
; %bb.1522:
	s_cmp_gt_i32 s12, 27
	s_cbranch_scc0 .LBB175_1525
; %bb.1523:
	global_load_dword v9, v[7:8], off
	s_mov_b64 s[6:7], 0
	s_branch .LBB175_1526
.LBB175_1524:
	s_mov_b64 s[6:7], -1
                                        ; implicit-def: $vgpr9
	s_branch .LBB175_1529
.LBB175_1525:
	s_mov_b64 s[6:7], -1
                                        ; implicit-def: $vgpr9
.LBB175_1526:
	s_andn2_b64 vcc, exec, s[6:7]
	s_cbranch_vccnz .LBB175_1528
; %bb.1527:
	global_load_ushort v9, v[7:8], off
.LBB175_1528:
	s_mov_b64 s[6:7], 0
.LBB175_1529:
	s_andn2_b64 vcc, exec, s[6:7]
	s_cbranch_vccnz .LBB175_1535
; %bb.1530:
	global_load_ubyte v10, v[7:8], off
	s_movk_i32 s6, 0x7f
	s_mov_b64 s[10:11], 0
	s_waitcnt vmcnt(0)
	v_cmp_lt_i16_e32 vcc, s6, v10
	s_and_saveexec_b64 s[6:7], vcc
	s_xor_b64 s[6:7], exec, s[6:7]
	s_cbranch_execz .LBB175_1547
; %bb.1531:
	s_movk_i32 s10, 0x80
	v_cmp_ne_u16_e32 vcc, s10, v10
	s_and_b64 s[10:11], vcc, exec
	s_andn2_saveexec_b64 s[6:7], s[6:7]
	s_cbranch_execnz .LBB175_1548
.LBB175_1532:
	s_or_b64 exec, exec, s[6:7]
	v_mov_b32_e32 v9, 0
	s_and_saveexec_b64 s[6:7], s[10:11]
	s_cbranch_execz .LBB175_1534
.LBB175_1533:
	v_lshlrev_b32_e32 v9, 24, v10
	v_and_b32_e32 v10, 0xffff, v10
	v_and_b32_e32 v11, 7, v10
	v_ffbh_u32_e32 v13, v11
	v_min_u32_e32 v13, 32, v13
	v_subrev_u32_e32 v14, 28, v13
	v_bfe_u32 v12, v10, 3, 4
	v_lshlrev_b32_e32 v10, v14, v10
	v_sub_u32_e32 v13, 29, v13
	v_and_b32_e32 v10, 7, v10
	v_cmp_eq_u32_e32 vcc, 0, v12
	v_cndmask_b32_e32 v12, v12, v13, vcc
	v_cndmask_b32_e32 v10, v11, v10, vcc
	v_mov_b32_e32 v11, 0x3b800000
	v_lshlrev_b32_e32 v10, 20, v10
	v_and_b32_e32 v9, 0x80000000, v9
	v_lshl_add_u32 v11, v12, 23, v11
	v_or3_b32 v9, v9, v11, v10
	v_cvt_i32_f32_e32 v9, v9
.LBB175_1534:
	s_or_b64 exec, exec, s[6:7]
.LBB175_1535:
	s_mov_b64 s[6:7], -1
.LBB175_1536:
	s_mov_b64 s[10:11], 0
.LBB175_1537:
	s_and_b64 vcc, exec, s[10:11]
	s_cbranch_vccz .LBB175_1568
; %bb.1538:
	s_cmp_gt_i32 s12, 22
	s_cbranch_scc0 .LBB175_1546
; %bb.1539:
	s_cmp_lt_i32 s12, 24
	s_cbranch_scc1 .LBB175_1549
; %bb.1540:
	s_cmp_gt_i32 s12, 24
	s_cbranch_scc0 .LBB175_1550
; %bb.1541:
	global_load_ubyte v10, v[7:8], off
	s_movk_i32 s4, 0x7f
	s_mov_b64 s[6:7], 0
	s_waitcnt vmcnt(0)
	v_cmp_lt_i16_e32 vcc, s4, v10
	s_and_saveexec_b64 s[4:5], vcc
	s_xor_b64 s[4:5], exec, s[4:5]
	s_cbranch_execz .LBB175_1562
; %bb.1542:
	s_movk_i32 s6, 0x80
	v_cmp_ne_u16_e32 vcc, s6, v10
	s_and_b64 s[6:7], vcc, exec
	s_andn2_saveexec_b64 s[4:5], s[4:5]
	s_cbranch_execnz .LBB175_1563
.LBB175_1543:
	s_or_b64 exec, exec, s[4:5]
	v_mov_b32_e32 v9, 0
	s_and_saveexec_b64 s[4:5], s[6:7]
	s_cbranch_execz .LBB175_1545
.LBB175_1544:
	v_lshlrev_b32_e32 v9, 24, v10
	v_and_b32_e32 v10, 0xffff, v10
	v_and_b32_e32 v11, 3, v10
	v_ffbh_u32_e32 v13, v11
	v_min_u32_e32 v13, 32, v13
	v_subrev_u32_e32 v14, 29, v13
	v_bfe_u32 v12, v10, 2, 5
	v_lshlrev_b32_e32 v10, v14, v10
	v_sub_u32_e32 v13, 30, v13
	v_and_b32_e32 v10, 3, v10
	v_cmp_eq_u32_e32 vcc, 0, v12
	v_cndmask_b32_e32 v12, v12, v13, vcc
	v_cndmask_b32_e32 v10, v11, v10, vcc
	v_mov_b32_e32 v11, 0x37800000
	v_lshlrev_b32_e32 v10, 21, v10
	v_and_b32_e32 v9, 0x80000000, v9
	v_lshl_add_u32 v11, v12, 23, v11
	v_or3_b32 v9, v9, v11, v10
	v_cvt_i32_f32_e32 v9, v9
.LBB175_1545:
	s_or_b64 exec, exec, s[4:5]
	s_mov_b64 s[4:5], 0
	s_branch .LBB175_1551
.LBB175_1546:
	s_mov_b64 s[4:5], -1
                                        ; implicit-def: $vgpr9
	s_branch .LBB175_1557
.LBB175_1547:
	s_andn2_saveexec_b64 s[6:7], s[6:7]
	s_cbranch_execz .LBB175_1532
.LBB175_1548:
	v_cmp_ne_u16_e32 vcc, 0, v10
	s_andn2_b64 s[10:11], s[10:11], exec
	s_and_b64 s[16:17], vcc, exec
	s_or_b64 s[10:11], s[10:11], s[16:17]
	s_or_b64 exec, exec, s[6:7]
	v_mov_b32_e32 v9, 0
	s_and_saveexec_b64 s[6:7], s[10:11]
	s_cbranch_execnz .LBB175_1533
	s_branch .LBB175_1534
.LBB175_1549:
	s_mov_b64 s[4:5], -1
                                        ; implicit-def: $vgpr9
	s_branch .LBB175_1554
.LBB175_1550:
	s_mov_b64 s[4:5], -1
                                        ; implicit-def: $vgpr9
.LBB175_1551:
	s_and_b64 vcc, exec, s[4:5]
	s_cbranch_vccz .LBB175_1553
; %bb.1552:
	global_load_ubyte v9, v[7:8], off
	s_mov_b32 s4, 0x7f800000
	s_waitcnt vmcnt(0)
	v_lshlrev_b32_e32 v9, 24, v9
	v_and_b32_e32 v10, 0x7f000000, v9
	v_ffbh_u32_e32 v11, v10
	v_min_u32_e32 v11, 32, v11
	v_sub_u32_e64 v11, v11, 4 clamp
	v_lshlrev_b32_e32 v13, v11, v10
	v_lshlrev_b32_e32 v11, 23, v11
	v_lshrrev_b32_e32 v13, 4, v13
	v_add_u32_e32 v12, 0x1000000, v10
	v_sub_u32_e32 v11, v13, v11
	v_ashrrev_i32_e32 v12, 8, v12
	v_add_u32_e32 v11, 0x3c000000, v11
	v_and_or_b32 v11, v12, s4, v11
	v_cmp_ne_u32_e32 vcc, 0, v10
	v_cndmask_b32_e32 v10, 0, v11, vcc
	s_brev_b32 s4, 1
	v_and_or_b32 v9, v9, s4, v10
	v_cvt_i32_f32_e32 v9, v9
.LBB175_1553:
	s_mov_b64 s[4:5], 0
.LBB175_1554:
	s_andn2_b64 vcc, exec, s[4:5]
	s_cbranch_vccnz .LBB175_1556
; %bb.1555:
	global_load_ubyte v9, v[7:8], off
	s_movk_i32 s4, 0x7f00
	s_brev_b32 s5, 16
	s_waitcnt vmcnt(0)
	v_lshlrev_b16_e32 v10, 8, v9
	v_lshlrev_b32_e32 v9, 25, v9
	v_lshrrev_b32_e32 v11, 4, v9
	v_and_or_b32 v12, v10, s4, 0.5
	v_or_b32_e32 v11, 0x70000000, v11
	v_add_f32_e32 v12, -0.5, v12
	v_mul_f32_e32 v11, 0x7800000, v11
	v_cmp_gt_u32_e32 vcc, s5, v9
	v_bfe_i32 v10, v10, 0, 16
	v_cndmask_b32_e32 v9, v11, v12, vcc
	s_brev_b32 s4, 1
	v_and_or_b32 v9, v10, s4, v9
	v_cvt_i32_f32_e32 v9, v9
.LBB175_1556:
	s_mov_b64 s[4:5], 0
	s_mov_b64 s[6:7], -1
.LBB175_1557:
	s_andn2_b64 vcc, exec, s[4:5]
	s_mov_b64 s[4:5], 0
	s_cbranch_vccnz .LBB175_1568
; %bb.1558:
	s_cmp_gt_i32 s12, 14
	s_cbranch_scc0 .LBB175_1561
; %bb.1559:
	s_cmp_eq_u32 s12, 15
	s_cbranch_scc0 .LBB175_1564
; %bb.1560:
	global_load_ushort v9, v[7:8], off
	s_mov_b64 s[0:1], 0
	s_mov_b64 s[6:7], -1
	s_waitcnt vmcnt(0)
	v_lshlrev_b32_e32 v9, 16, v9
	v_cvt_i32_f32_e32 v9, v9
	s_branch .LBB175_1565
.LBB175_1561:
	s_mov_b64 s[10:11], -1
                                        ; implicit-def: $vgpr9
	s_branch .LBB175_1566
.LBB175_1562:
	s_andn2_saveexec_b64 s[4:5], s[4:5]
	s_cbranch_execz .LBB175_1543
.LBB175_1563:
	v_cmp_ne_u16_e32 vcc, 0, v10
	s_andn2_b64 s[6:7], s[6:7], exec
	s_and_b64 s[10:11], vcc, exec
	s_or_b64 s[6:7], s[6:7], s[10:11]
	s_or_b64 exec, exec, s[4:5]
	v_mov_b32_e32 v9, 0
	s_and_saveexec_b64 s[4:5], s[6:7]
	s_cbranch_execnz .LBB175_1544
	s_branch .LBB175_1545
.LBB175_1564:
	s_mov_b64 s[0:1], -1
                                        ; implicit-def: $vgpr9
.LBB175_1565:
	s_mov_b64 s[10:11], 0
.LBB175_1566:
	s_and_b64 vcc, exec, s[10:11]
	s_cbranch_vccz .LBB175_1568
; %bb.1567:
	s_cmp_lg_u32 s12, 11
	s_mov_b64 s[4:5], -1
	s_cselect_b64 s[0:1], -1, 0
.LBB175_1568:
	s_and_b64 vcc, exec, s[0:1]
	s_cbranch_vccnz .LBB175_2101
; %bb.1569:
	s_andn2_b64 vcc, exec, s[4:5]
	s_cbranch_vccnz .LBB175_1571
.LBB175_1570:
	global_load_ubyte v9, v[7:8], off
	s_mov_b64 s[6:7], -1
	s_waitcnt vmcnt(0)
	v_cmp_ne_u16_e32 vcc, 0, v9
	v_cndmask_b32_e64 v9, 0, 1, vcc
.LBB175_1571:
	s_mov_b64 s[0:1], 0
.LBB175_1572:
	s_and_b64 vcc, exec, s[0:1]
	s_cbranch_vccz .LBB175_1621
; %bb.1573:
	s_and_b32 s4, 0xffff, s14
	s_cmp_lt_i32 s4, 5
	s_cbranch_scc1 .LBB175_1578
; %bb.1574:
	s_cmp_lt_i32 s4, 8
	s_cbranch_scc1 .LBB175_1579
; %bb.1575:
	;; [unrolled: 3-line block ×3, first 2 shown]
	s_cmp_gt_i32 s4, 9
	s_cbranch_scc0 .LBB175_1581
; %bb.1577:
	global_load_dwordx2 v[9:10], v[7:8], off
	s_mov_b64 s[0:1], 0
	s_waitcnt vmcnt(0)
	v_cvt_i32_f64_e32 v9, v[9:10]
	s_branch .LBB175_1582
.LBB175_1578:
	s_mov_b64 s[0:1], -1
                                        ; implicit-def: $vgpr9
	s_branch .LBB175_1600
.LBB175_1579:
	s_mov_b64 s[0:1], -1
                                        ; implicit-def: $vgpr9
	s_branch .LBB175_1588
.LBB175_1580:
	s_mov_b64 s[0:1], -1
                                        ; implicit-def: $vgpr9
	s_branch .LBB175_1585
.LBB175_1581:
	s_mov_b64 s[0:1], -1
                                        ; implicit-def: $vgpr9
.LBB175_1582:
	s_andn2_b64 vcc, exec, s[0:1]
	s_cbranch_vccnz .LBB175_1584
; %bb.1583:
	global_load_dword v9, v[7:8], off
	s_waitcnt vmcnt(0)
	v_cvt_i32_f32_e32 v9, v9
.LBB175_1584:
	s_mov_b64 s[0:1], 0
.LBB175_1585:
	s_andn2_b64 vcc, exec, s[0:1]
	s_cbranch_vccnz .LBB175_1587
; %bb.1586:
	global_load_dword v9, v[7:8], off
	s_waitcnt vmcnt(0)
	v_cvt_f32_f16_e32 v9, v9
	v_cvt_i32_f32_e32 v9, v9
.LBB175_1587:
	s_mov_b64 s[0:1], 0
.LBB175_1588:
	s_andn2_b64 vcc, exec, s[0:1]
	s_cbranch_vccnz .LBB175_1599
; %bb.1589:
	s_cmp_lt_i32 s4, 6
	s_cbranch_scc1 .LBB175_1592
; %bb.1590:
	s_cmp_gt_i32 s4, 6
	s_cbranch_scc0 .LBB175_1593
; %bb.1591:
	global_load_dwordx2 v[9:10], v[7:8], off
	s_mov_b64 s[0:1], 0
	s_waitcnt vmcnt(0)
	v_cvt_i32_f64_e32 v9, v[9:10]
	s_branch .LBB175_1594
.LBB175_1592:
	s_mov_b64 s[0:1], -1
                                        ; implicit-def: $vgpr9
	s_branch .LBB175_1597
.LBB175_1593:
	s_mov_b64 s[0:1], -1
                                        ; implicit-def: $vgpr9
.LBB175_1594:
	s_andn2_b64 vcc, exec, s[0:1]
	s_cbranch_vccnz .LBB175_1596
; %bb.1595:
	global_load_dword v9, v[7:8], off
	s_waitcnt vmcnt(0)
	v_cvt_i32_f32_e32 v9, v9
.LBB175_1596:
	s_mov_b64 s[0:1], 0
.LBB175_1597:
	s_andn2_b64 vcc, exec, s[0:1]
	s_cbranch_vccnz .LBB175_1599
; %bb.1598:
	global_load_ushort v9, v[7:8], off
	s_waitcnt vmcnt(0)
	v_cvt_f32_f16_e32 v9, v9
	v_cvt_i32_f32_e32 v9, v9
.LBB175_1599:
	s_mov_b64 s[0:1], 0
.LBB175_1600:
	s_andn2_b64 vcc, exec, s[0:1]
	s_cbranch_vccnz .LBB175_1620
; %bb.1601:
	s_cmp_lt_i32 s4, 2
	s_cbranch_scc1 .LBB175_1605
; %bb.1602:
	s_cmp_lt_i32 s4, 3
	s_cbranch_scc1 .LBB175_1606
; %bb.1603:
	s_cmp_gt_i32 s4, 3
	s_cbranch_scc0 .LBB175_1607
; %bb.1604:
	global_load_dword v9, v[7:8], off
	s_mov_b64 s[0:1], 0
	s_branch .LBB175_1608
.LBB175_1605:
	s_mov_b64 s[0:1], -1
                                        ; implicit-def: $vgpr9
	s_branch .LBB175_1614
.LBB175_1606:
	s_mov_b64 s[0:1], -1
                                        ; implicit-def: $vgpr9
	s_branch .LBB175_1611
.LBB175_1607:
	s_mov_b64 s[0:1], -1
                                        ; implicit-def: $vgpr9
.LBB175_1608:
	s_andn2_b64 vcc, exec, s[0:1]
	s_cbranch_vccnz .LBB175_1610
; %bb.1609:
	global_load_dword v9, v[7:8], off
.LBB175_1610:
	s_mov_b64 s[0:1], 0
.LBB175_1611:
	s_andn2_b64 vcc, exec, s[0:1]
	s_cbranch_vccnz .LBB175_1613
; %bb.1612:
	global_load_sshort v9, v[7:8], off
.LBB175_1613:
	s_mov_b64 s[0:1], 0
.LBB175_1614:
	s_andn2_b64 vcc, exec, s[0:1]
	s_cbranch_vccnz .LBB175_1620
; %bb.1615:
	s_cmp_gt_i32 s4, 0
	s_cbranch_scc0 .LBB175_1617
; %bb.1616:
	global_load_sbyte v9, v[7:8], off
	s_mov_b64 s[0:1], 0
	s_branch .LBB175_1618
.LBB175_1617:
	s_mov_b64 s[0:1], -1
                                        ; implicit-def: $vgpr9
.LBB175_1618:
	s_andn2_b64 vcc, exec, s[0:1]
	s_cbranch_vccnz .LBB175_1620
; %bb.1619:
	global_load_ubyte v9, v[7:8], off
.LBB175_1620:
	s_mov_b64 s[6:7], -1
.LBB175_1621:
	s_andn2_b64 vcc, exec, s[6:7]
	s_cbranch_vccnz .LBB175_2055
; %bb.1622:
	s_load_dwordx2 s[4:5], s[34:35], 0x15c
	s_waitcnt vmcnt(0)
	v_min_u32_e32 v5, 31, v5
	v_mov_b32_e32 v8, s9
	v_add_co_u32_e32 v7, vcc, s8, v6
	s_waitcnt lgkmcnt(0)
	s_and_b32 s16, s5, 0xff
	v_ashrrev_i32_e64 v5, v5, s4
	s_cmp_lt_i32 s16, 11
	v_addc_co_u32_e32 v8, vcc, 0, v8, vcc
	s_cbranch_scc1 .LBB175_1700
; %bb.1623:
	s_and_b32 s5, 0xffff, s16
	s_mov_b64 s[12:13], -1
	s_mov_b64 s[6:7], 0
	s_cmp_gt_i32 s5, 25
	s_mov_b64 s[10:11], 0
	s_mov_b64 s[0:1], 0
	s_cbranch_scc0 .LBB175_1656
; %bb.1624:
	s_cmp_gt_i32 s5, 28
	s_cbranch_scc0 .LBB175_1639
; %bb.1625:
	s_cmp_gt_i32 s5, 43
	;; [unrolled: 3-line block ×3, first 2 shown]
	s_cbranch_scc0 .LBB175_1629
; %bb.1627:
	s_mov_b64 s[0:1], -1
	s_mov_b64 s[12:13], 0
	s_cmp_eq_u32 s5, 46
	s_cbranch_scc0 .LBB175_1629
; %bb.1628:
	v_cvt_f32_i32_e32 v6, v5
	s_movk_i32 s10, 0x7fff
	s_mov_b64 s[0:1], 0
	v_bfe_u32 v10, v6, 16, 1
	v_add3_u32 v6, v6, v10, s10
	v_lshrrev_b32_e32 v6, 16, v6
	global_store_dword v[7:8], v6, off
	s_mov_b64 s[10:11], -1
.LBB175_1629:
	s_and_b64 vcc, exec, s[12:13]
	s_cbranch_vccz .LBB175_1634
; %bb.1630:
	s_cmp_eq_u32 s5, 44
	s_mov_b64 s[0:1], -1
	s_cbranch_scc0 .LBB175_1634
; %bb.1631:
	v_cvt_f32_i32_e32 v6, v5
	s_movk_i32 s0, 0xff
	v_mov_b32_e32 v11, 0xff
	v_bfe_u32 v10, v6, 23, 8
	v_cmp_ne_u32_e32 vcc, s0, v10
	s_and_saveexec_b64 s[10:11], vcc
; %bb.1632:
	s_mov_b32 s0, 0x3fffff
	v_lshrrev_b32_e32 v11, 23, v6
	v_and_b32_e32 v12, 0x400000, v6
	v_and_or_b32 v6, v6, s0, v10
	v_cmp_ne_u32_e32 vcc, 0, v12
	v_cmp_ne_u32_e64 s[0:1], 0, v6
	s_and_b64 s[0:1], vcc, s[0:1]
	v_cndmask_b32_e64 v6, 0, 1, s[0:1]
	v_add_u32_e32 v11, v11, v6
; %bb.1633:
	s_or_b64 exec, exec, s[10:11]
	s_mov_b64 s[0:1], 0
	s_mov_b64 s[10:11], -1
	global_store_byte v[7:8], v11, off
.LBB175_1634:
	s_mov_b64 s[12:13], 0
.LBB175_1635:
	s_and_b64 vcc, exec, s[12:13]
	s_cbranch_vccz .LBB175_1638
; %bb.1636:
	s_cmp_eq_u32 s5, 29
	s_mov_b64 s[0:1], -1
	s_cbranch_scc0 .LBB175_1638
; %bb.1637:
	v_ashrrev_i32_e32 v6, 31, v5
	global_store_dwordx2 v[7:8], v[5:6], off
	s_mov_b64 s[0:1], 0
	s_mov_b64 s[10:11], -1
.LBB175_1638:
	s_mov_b64 s[12:13], 0
.LBB175_1639:
	s_and_b64 vcc, exec, s[12:13]
	s_cbranch_vccz .LBB175_1655
; %bb.1640:
	s_cmp_lt_i32 s5, 27
	s_mov_b64 s[10:11], -1
	s_cbranch_scc1 .LBB175_1646
; %bb.1641:
	s_cmp_gt_i32 s5, 27
	s_cbranch_scc0 .LBB175_1643
; %bb.1642:
	s_mov_b64 s[10:11], 0
	global_store_dword v[7:8], v5, off
.LBB175_1643:
	s_andn2_b64 vcc, exec, s[10:11]
	s_cbranch_vccnz .LBB175_1645
; %bb.1644:
	global_store_short v[7:8], v5, off
.LBB175_1645:
	s_mov_b64 s[10:11], 0
.LBB175_1646:
	s_andn2_b64 vcc, exec, s[10:11]
	s_cbranch_vccnz .LBB175_1654
; %bb.1647:
	v_cvt_f32_i32_e32 v6, v5
	s_mov_b32 s10, 0x43800000
	v_mov_b32_e32 v11, 0x80
	v_and_b32_e32 v10, 0x7fffffff, v6
	v_cmp_gt_u32_e32 vcc, s10, v10
	s_and_saveexec_b64 s[10:11], vcc
	s_cbranch_execz .LBB175_1653
; %bb.1648:
	s_mov_b32 s12, 0x3bffffff
	v_cmp_lt_u32_e32 vcc, s12, v10
	s_mov_b64 s[12:13], 0
                                        ; implicit-def: $vgpr10
	s_and_saveexec_b64 s[14:15], vcc
	s_xor_b64 s[14:15], exec, s[14:15]
	s_cbranch_execz .LBB175_2102
; %bb.1649:
	v_bfe_u32 v10, v6, 20, 1
	s_mov_b32 s17, 0x487ffff
	v_add3_u32 v10, v6, v10, s17
	s_mov_b64 s[12:13], exec
	v_lshrrev_b32_e32 v10, 20, v10
	s_andn2_saveexec_b64 s[14:15], s[14:15]
	s_cbranch_execnz .LBB175_2103
.LBB175_1650:
	s_or_b64 exec, exec, s[14:15]
	v_mov_b32_e32 v11, 0
	s_and_saveexec_b64 s[14:15], s[12:13]
.LBB175_1651:
	v_lshrrev_b32_e32 v6, 24, v6
	s_movk_i32 s12, 0x80
	v_and_or_b32 v11, v6, s12, v10
.LBB175_1652:
	s_or_b64 exec, exec, s[14:15]
.LBB175_1653:
	s_or_b64 exec, exec, s[10:11]
	global_store_byte v[7:8], v11, off
.LBB175_1654:
	s_mov_b64 s[10:11], -1
.LBB175_1655:
	s_mov_b64 s[12:13], 0
.LBB175_1656:
	s_and_b64 vcc, exec, s[12:13]
	s_cbranch_vccz .LBB175_1696
; %bb.1657:
	s_cmp_gt_i32 s5, 22
	s_mov_b64 s[6:7], -1
	s_cbranch_scc0 .LBB175_1689
; %bb.1658:
	s_cmp_lt_i32 s5, 24
	s_cbranch_scc1 .LBB175_1678
; %bb.1659:
	s_cmp_gt_i32 s5, 24
	s_cbranch_scc0 .LBB175_1667
; %bb.1660:
	v_cvt_f32_i32_e32 v6, v5
	s_mov_b32 s6, 0x47800000
	v_mov_b32_e32 v11, 0x80
	v_and_b32_e32 v10, 0x7fffffff, v6
	v_cmp_gt_u32_e32 vcc, s6, v10
	s_and_saveexec_b64 s[6:7], vcc
	s_cbranch_execz .LBB175_1666
; %bb.1661:
	s_mov_b32 s10, 0x37ffffff
	v_cmp_lt_u32_e32 vcc, s10, v10
	s_mov_b64 s[10:11], 0
                                        ; implicit-def: $vgpr10
	s_and_saveexec_b64 s[12:13], vcc
	s_xor_b64 s[12:13], exec, s[12:13]
	s_cbranch_execz .LBB175_2105
; %bb.1662:
	v_bfe_u32 v10, v6, 21, 1
	s_mov_b32 s14, 0x88fffff
	v_add3_u32 v10, v6, v10, s14
	s_mov_b64 s[10:11], exec
	v_lshrrev_b32_e32 v10, 21, v10
	s_andn2_saveexec_b64 s[12:13], s[12:13]
	s_cbranch_execnz .LBB175_2106
.LBB175_1663:
	s_or_b64 exec, exec, s[12:13]
	v_mov_b32_e32 v11, 0
	s_and_saveexec_b64 s[12:13], s[10:11]
.LBB175_1664:
	v_lshrrev_b32_e32 v6, 24, v6
	s_movk_i32 s10, 0x80
	v_and_or_b32 v11, v6, s10, v10
.LBB175_1665:
	s_or_b64 exec, exec, s[12:13]
.LBB175_1666:
	s_or_b64 exec, exec, s[6:7]
	s_mov_b64 s[6:7], 0
	global_store_byte v[7:8], v11, off
.LBB175_1667:
	s_and_b64 vcc, exec, s[6:7]
	s_cbranch_vccz .LBB175_1677
; %bb.1668:
	v_cvt_f32_i32_e32 v6, v5
	s_mov_b32 s6, 0x43f00000
                                        ; implicit-def: $vgpr10
	v_and_b32_e32 v11, 0x7fffffff, v6
	v_cmp_gt_u32_e32 vcc, s6, v11
	s_and_saveexec_b64 s[6:7], vcc
	s_xor_b64 s[6:7], exec, s[6:7]
	s_cbranch_execz .LBB175_1674
; %bb.1669:
	s_mov_b32 s10, 0x3c7fffff
	v_cmp_lt_u32_e32 vcc, s10, v11
                                        ; implicit-def: $vgpr10
	s_and_saveexec_b64 s[10:11], vcc
	s_xor_b64 s[10:11], exec, s[10:11]
; %bb.1670:
	v_bfe_u32 v10, v6, 20, 1
	s_mov_b32 s12, 0x407ffff
	v_add3_u32 v10, v6, v10, s12
	v_lshrrev_b32_e32 v11, 20, v10
	v_and_b32_e32 v10, 0xff00000, v10
	s_mov_b32 s12, 0x7f00000
	v_mov_b32_e32 v12, 0x7e
	v_cmp_ne_u32_e32 vcc, s12, v10
	v_cndmask_b32_e32 v10, v12, v11, vcc
; %bb.1671:
	s_andn2_saveexec_b64 s[10:11], s[10:11]
; %bb.1672:
	s_mov_b32 s12, 0x46800000
	v_add_f32_e64 v10, |v6|, s12
; %bb.1673:
	s_or_b64 exec, exec, s[10:11]
                                        ; implicit-def: $vgpr11
.LBB175_1674:
	s_andn2_saveexec_b64 s[6:7], s[6:7]
; %bb.1675:
	s_mov_b32 s10, 0x7f800000
	v_mov_b32_e32 v10, 0x7e
	v_mov_b32_e32 v12, 0x7f
	v_cmp_lt_u32_e32 vcc, s10, v11
	v_cndmask_b32_e32 v10, v10, v12, vcc
; %bb.1676:
	s_or_b64 exec, exec, s[6:7]
	v_lshrrev_b32_e32 v6, 24, v6
	s_movk_i32 s6, 0x80
	v_and_or_b32 v6, v6, s6, v10
	global_store_byte v[7:8], v6, off
.LBB175_1677:
	s_mov_b64 s[6:7], 0
.LBB175_1678:
	s_andn2_b64 vcc, exec, s[6:7]
	s_cbranch_vccnz .LBB175_1688
; %bb.1679:
	v_cvt_f32_i32_e32 v6, v5
	s_mov_b32 s6, 0x47800000
                                        ; implicit-def: $vgpr10
	v_and_b32_e32 v11, 0x7fffffff, v6
	v_cmp_gt_u32_e32 vcc, s6, v11
	s_and_saveexec_b64 s[6:7], vcc
	s_xor_b64 s[6:7], exec, s[6:7]
	s_cbranch_execz .LBB175_1685
; %bb.1680:
	s_mov_b32 s10, 0x387fffff
	v_cmp_lt_u32_e32 vcc, s10, v11
                                        ; implicit-def: $vgpr10
	s_and_saveexec_b64 s[10:11], vcc
	s_xor_b64 s[10:11], exec, s[10:11]
; %bb.1681:
	v_bfe_u32 v10, v6, 21, 1
	s_mov_b32 s12, 0x80fffff
	v_add3_u32 v10, v6, v10, s12
	v_lshrrev_b32_e32 v10, 21, v10
; %bb.1682:
	s_andn2_saveexec_b64 s[10:11], s[10:11]
; %bb.1683:
	s_mov_b32 s12, 0x43000000
	v_add_f32_e64 v10, |v6|, s12
; %bb.1684:
	s_or_b64 exec, exec, s[10:11]
                                        ; implicit-def: $vgpr11
.LBB175_1685:
	s_andn2_saveexec_b64 s[6:7], s[6:7]
; %bb.1686:
	s_mov_b32 s10, 0x7f800000
	v_mov_b32_e32 v10, 0x7c
	v_mov_b32_e32 v12, 0x7f
	v_cmp_lt_u32_e32 vcc, s10, v11
	v_cndmask_b32_e32 v10, v10, v12, vcc
; %bb.1687:
	s_or_b64 exec, exec, s[6:7]
	v_lshrrev_b32_e32 v6, 24, v6
	s_movk_i32 s6, 0x80
	v_and_or_b32 v6, v6, s6, v10
	global_store_byte v[7:8], v6, off
.LBB175_1688:
	s_mov_b64 s[6:7], 0
	s_mov_b64 s[10:11], -1
.LBB175_1689:
	s_andn2_b64 vcc, exec, s[6:7]
	s_mov_b64 s[6:7], 0
	s_cbranch_vccnz .LBB175_1696
; %bb.1690:
	s_cmp_gt_i32 s5, 14
	s_mov_b64 s[12:13], -1
	s_cbranch_scc0 .LBB175_1694
; %bb.1691:
	s_cmp_eq_u32 s5, 15
	s_mov_b64 s[0:1], -1
	s_cbranch_scc0 .LBB175_1693
; %bb.1692:
	v_cvt_f32_i32_e32 v6, v5
	s_movk_i32 s6, 0x7fff
	s_mov_b64 s[0:1], 0
	s_mov_b64 s[10:11], -1
	v_bfe_u32 v10, v6, 16, 1
	v_add3_u32 v6, v6, v10, s6
	global_store_short_d16_hi v[7:8], v6, off
.LBB175_1693:
	s_mov_b64 s[12:13], 0
.LBB175_1694:
	s_mov_b64 s[6:7], 0
	s_and_b64 vcc, exec, s[12:13]
	s_cbranch_vccz .LBB175_1696
; %bb.1695:
	s_cmp_lg_u32 s5, 11
	s_mov_b64 s[6:7], -1
	s_cselect_b64 s[0:1], -1, 0
.LBB175_1696:
	s_and_b64 vcc, exec, s[0:1]
	s_cbranch_vccnz .LBB175_2104
; %bb.1697:
	s_andn2_b64 vcc, exec, s[6:7]
	s_cbranch_vccnz .LBB175_1699
.LBB175_1698:
	v_cmp_ne_u32_e32 vcc, 0, v5
	v_cndmask_b32_e64 v6, 0, 1, vcc
	s_mov_b64 s[10:11], -1
	global_store_byte v[7:8], v6, off
.LBB175_1699:
	s_mov_b64 s[0:1], 0
	s_branch .LBB175_1701
.LBB175_1700:
	s_mov_b64 s[0:1], -1
	s_mov_b64 s[10:11], 0
.LBB175_1701:
	s_and_b64 vcc, exec, s[0:1]
	s_cbranch_vccz .LBB175_1740
; %bb.1702:
	s_and_b32 s5, 0xffff, s16
	s_cmp_lt_i32 s5, 5
	s_mov_b64 s[0:1], -1
	s_cbranch_scc1 .LBB175_1723
; %bb.1703:
	s_cmp_lt_i32 s5, 8
	s_cbranch_scc1 .LBB175_1713
; %bb.1704:
	s_cmp_lt_i32 s5, 9
	s_cbranch_scc1 .LBB175_1710
; %bb.1705:
	s_cmp_gt_i32 s5, 9
	s_cbranch_scc0 .LBB175_1707
; %bb.1706:
	v_cvt_f64_i32_e32 v[10:11], v5
	v_mov_b32_e32 v12, 0
	v_mov_b32_e32 v13, v12
	s_mov_b64 s[0:1], 0
	global_store_dwordx4 v[7:8], v[10:13], off
.LBB175_1707:
	s_andn2_b64 vcc, exec, s[0:1]
	s_cbranch_vccnz .LBB175_1709
; %bb.1708:
	v_cvt_f32_i32_e32 v10, v5
	v_mov_b32_e32 v11, 0
	global_store_dwordx2 v[7:8], v[10:11], off
.LBB175_1709:
	s_mov_b64 s[0:1], 0
.LBB175_1710:
	s_andn2_b64 vcc, exec, s[0:1]
	s_cbranch_vccnz .LBB175_1712
; %bb.1711:
	v_cvt_f32_i32_e32 v6, v5
	v_cvt_f16_f32_e32 v6, v6
	global_store_dword v[7:8], v6, off
.LBB175_1712:
	s_mov_b64 s[0:1], 0
.LBB175_1713:
	s_andn2_b64 vcc, exec, s[0:1]
	s_cbranch_vccnz .LBB175_1722
; %bb.1714:
	s_cmp_lt_i32 s5, 6
	s_mov_b64 s[0:1], -1
	s_cbranch_scc1 .LBB175_1720
; %bb.1715:
	s_cmp_gt_i32 s5, 6
	s_cbranch_scc0 .LBB175_1717
; %bb.1716:
	v_cvt_f64_i32_e32 v[10:11], v5
	s_mov_b64 s[0:1], 0
	global_store_dwordx2 v[7:8], v[10:11], off
.LBB175_1717:
	s_andn2_b64 vcc, exec, s[0:1]
	s_cbranch_vccnz .LBB175_1719
; %bb.1718:
	v_cvt_f32_i32_e32 v6, v5
	global_store_dword v[7:8], v6, off
.LBB175_1719:
	s_mov_b64 s[0:1], 0
.LBB175_1720:
	s_andn2_b64 vcc, exec, s[0:1]
	s_cbranch_vccnz .LBB175_1722
; %bb.1721:
	v_cvt_f32_i32_e32 v6, v5
	v_cvt_f16_f32_e32 v6, v6
	global_store_short v[7:8], v6, off
.LBB175_1722:
	s_mov_b64 s[0:1], 0
.LBB175_1723:
	s_andn2_b64 vcc, exec, s[0:1]
	s_cbranch_vccnz .LBB175_1739
; %bb.1724:
	s_cmp_lt_i32 s5, 2
	s_mov_b64 s[0:1], -1
	s_cbranch_scc1 .LBB175_1734
; %bb.1725:
	s_cmp_lt_i32 s5, 3
	s_cbranch_scc1 .LBB175_1731
; %bb.1726:
	s_cmp_gt_i32 s5, 3
	s_cbranch_scc0 .LBB175_1728
; %bb.1727:
	v_ashrrev_i32_e32 v6, 31, v5
	global_store_dwordx2 v[7:8], v[5:6], off
	s_mov_b64 s[0:1], 0
.LBB175_1728:
	s_andn2_b64 vcc, exec, s[0:1]
	s_cbranch_vccnz .LBB175_1730
; %bb.1729:
	global_store_dword v[7:8], v5, off
.LBB175_1730:
	s_mov_b64 s[0:1], 0
.LBB175_1731:
	s_andn2_b64 vcc, exec, s[0:1]
	s_cbranch_vccnz .LBB175_1733
; %bb.1732:
	global_store_short v[7:8], v5, off
.LBB175_1733:
	s_mov_b64 s[0:1], 0
.LBB175_1734:
	s_andn2_b64 vcc, exec, s[0:1]
	s_cbranch_vccnz .LBB175_1739
; %bb.1735:
	s_cmp_gt_i32 s5, 0
	s_mov_b64 s[0:1], -1
	s_cbranch_scc0 .LBB175_1737
; %bb.1736:
	global_store_byte v[7:8], v5, off
	s_mov_b64 s[0:1], 0
.LBB175_1737:
	s_andn2_b64 vcc, exec, s[0:1]
	s_cbranch_vccnz .LBB175_1739
; %bb.1738:
	global_store_byte v[7:8], v5, off
.LBB175_1739:
	s_mov_b64 s[10:11], -1
.LBB175_1740:
	s_andn2_b64 vcc, exec, s[10:11]
	s_cbranch_vccnz .LBB175_2055
; %bb.1741:
	v_min_u32_e32 v3, 31, v3
	v_mov_b32_e32 v6, s9
	s_and_b32 s17, 0xffff, s16
	v_add_co_u32_e32 v5, vcc, s8, v4
	v_ashrrev_i32_e64 v3, v3, s4
	s_cmp_lt_i32 s17, 11
	v_addc_co_u32_e32 v6, vcc, 0, v6, vcc
	s_cbranch_scc1 .LBB175_1819
; %bb.1742:
	s_mov_b64 s[12:13], -1
	s_mov_b64 s[6:7], 0
	s_cmp_gt_i32 s17, 25
	s_mov_b64 s[10:11], 0
	s_mov_b64 s[0:1], 0
	s_cbranch_scc0 .LBB175_1775
; %bb.1743:
	s_cmp_gt_i32 s17, 28
	s_cbranch_scc0 .LBB175_1758
; %bb.1744:
	s_cmp_gt_i32 s17, 43
	;; [unrolled: 3-line block ×3, first 2 shown]
	s_cbranch_scc0 .LBB175_1748
; %bb.1746:
	s_mov_b64 s[0:1], -1
	s_mov_b64 s[12:13], 0
	s_cmp_eq_u32 s17, 46
	s_cbranch_scc0 .LBB175_1748
; %bb.1747:
	v_cvt_f32_i32_e32 v4, v3
	s_movk_i32 s5, 0x7fff
	s_mov_b64 s[0:1], 0
	s_mov_b64 s[10:11], -1
	v_bfe_u32 v7, v4, 16, 1
	v_add3_u32 v4, v4, v7, s5
	v_lshrrev_b32_e32 v4, 16, v4
	global_store_dword v[5:6], v4, off
.LBB175_1748:
	s_and_b64 vcc, exec, s[12:13]
	s_cbranch_vccz .LBB175_1753
; %bb.1749:
	s_cmp_eq_u32 s17, 44
	s_mov_b64 s[0:1], -1
	s_cbranch_scc0 .LBB175_1753
; %bb.1750:
	v_cvt_f32_i32_e32 v4, v3
	s_movk_i32 s0, 0xff
	v_mov_b32_e32 v8, 0xff
	v_bfe_u32 v7, v4, 23, 8
	v_cmp_ne_u32_e32 vcc, s0, v7
	s_and_saveexec_b64 s[10:11], vcc
; %bb.1751:
	s_mov_b32 s0, 0x3fffff
	v_lshrrev_b32_e32 v8, 23, v4
	v_and_b32_e32 v10, 0x400000, v4
	v_and_or_b32 v4, v4, s0, v7
	v_cmp_ne_u32_e32 vcc, 0, v10
	v_cmp_ne_u32_e64 s[0:1], 0, v4
	s_and_b64 s[0:1], vcc, s[0:1]
	v_cndmask_b32_e64 v4, 0, 1, s[0:1]
	v_add_u32_e32 v8, v8, v4
; %bb.1752:
	s_or_b64 exec, exec, s[10:11]
	s_mov_b64 s[0:1], 0
	s_mov_b64 s[10:11], -1
	global_store_byte v[5:6], v8, off
.LBB175_1753:
	s_mov_b64 s[12:13], 0
.LBB175_1754:
	s_and_b64 vcc, exec, s[12:13]
	s_cbranch_vccz .LBB175_1757
; %bb.1755:
	s_cmp_eq_u32 s17, 29
	s_mov_b64 s[0:1], -1
	s_cbranch_scc0 .LBB175_1757
; %bb.1756:
	v_ashrrev_i32_e32 v4, 31, v3
	global_store_dwordx2 v[5:6], v[3:4], off
	s_mov_b64 s[0:1], 0
	s_mov_b64 s[10:11], -1
.LBB175_1757:
	s_mov_b64 s[12:13], 0
.LBB175_1758:
	s_and_b64 vcc, exec, s[12:13]
	s_cbranch_vccz .LBB175_1774
; %bb.1759:
	s_cmp_lt_i32 s17, 27
	s_mov_b64 s[10:11], -1
	s_cbranch_scc1 .LBB175_1765
; %bb.1760:
	s_cmp_gt_i32 s17, 27
	s_cbranch_scc0 .LBB175_1762
; %bb.1761:
	s_mov_b64 s[10:11], 0
	global_store_dword v[5:6], v3, off
.LBB175_1762:
	s_andn2_b64 vcc, exec, s[10:11]
	s_cbranch_vccnz .LBB175_1764
; %bb.1763:
	global_store_short v[5:6], v3, off
.LBB175_1764:
	s_mov_b64 s[10:11], 0
.LBB175_1765:
	s_andn2_b64 vcc, exec, s[10:11]
	s_cbranch_vccnz .LBB175_1773
; %bb.1766:
	v_cvt_f32_i32_e32 v4, v3
	s_mov_b32 s5, 0x43800000
	v_mov_b32_e32 v8, 0x80
	v_and_b32_e32 v7, 0x7fffffff, v4
	v_cmp_gt_u32_e32 vcc, s5, v7
	s_and_saveexec_b64 s[10:11], vcc
	s_cbranch_execz .LBB175_1772
; %bb.1767:
	s_mov_b32 s5, 0x3bffffff
	v_cmp_lt_u32_e32 vcc, s5, v7
	s_mov_b64 s[12:13], 0
                                        ; implicit-def: $vgpr7
	s_and_saveexec_b64 s[14:15], vcc
	s_xor_b64 s[14:15], exec, s[14:15]
	s_cbranch_execz .LBB175_2107
; %bb.1768:
	v_bfe_u32 v7, v4, 20, 1
	s_mov_b32 s5, 0x487ffff
	v_add3_u32 v7, v4, v7, s5
	s_mov_b64 s[12:13], exec
	v_lshrrev_b32_e32 v7, 20, v7
	s_andn2_saveexec_b64 s[14:15], s[14:15]
	s_cbranch_execnz .LBB175_2108
.LBB175_1769:
	s_or_b64 exec, exec, s[14:15]
	v_mov_b32_e32 v8, 0
	s_and_saveexec_b64 s[14:15], s[12:13]
.LBB175_1770:
	v_lshrrev_b32_e32 v4, 24, v4
	s_movk_i32 s5, 0x80
	v_and_or_b32 v8, v4, s5, v7
.LBB175_1771:
	s_or_b64 exec, exec, s[14:15]
.LBB175_1772:
	s_or_b64 exec, exec, s[10:11]
	global_store_byte v[5:6], v8, off
.LBB175_1773:
	s_mov_b64 s[10:11], -1
.LBB175_1774:
	s_mov_b64 s[12:13], 0
.LBB175_1775:
	s_and_b64 vcc, exec, s[12:13]
	s_cbranch_vccz .LBB175_1815
; %bb.1776:
	s_cmp_gt_i32 s17, 22
	s_mov_b64 s[6:7], -1
	s_cbranch_scc0 .LBB175_1808
; %bb.1777:
	s_cmp_lt_i32 s17, 24
	s_cbranch_scc1 .LBB175_1797
; %bb.1778:
	s_cmp_gt_i32 s17, 24
	s_cbranch_scc0 .LBB175_1786
; %bb.1779:
	v_cvt_f32_i32_e32 v4, v3
	s_mov_b32 s5, 0x47800000
	v_mov_b32_e32 v8, 0x80
	v_and_b32_e32 v7, 0x7fffffff, v4
	v_cmp_gt_u32_e32 vcc, s5, v7
	s_and_saveexec_b64 s[6:7], vcc
	s_cbranch_execz .LBB175_1785
; %bb.1780:
	s_mov_b32 s5, 0x37ffffff
	v_cmp_lt_u32_e32 vcc, s5, v7
	s_mov_b64 s[10:11], 0
                                        ; implicit-def: $vgpr7
	s_and_saveexec_b64 s[12:13], vcc
	s_xor_b64 s[12:13], exec, s[12:13]
	s_cbranch_execz .LBB175_2110
; %bb.1781:
	v_bfe_u32 v7, v4, 21, 1
	s_mov_b32 s5, 0x88fffff
	v_add3_u32 v7, v4, v7, s5
	s_mov_b64 s[10:11], exec
	v_lshrrev_b32_e32 v7, 21, v7
	s_andn2_saveexec_b64 s[12:13], s[12:13]
	s_cbranch_execnz .LBB175_2111
.LBB175_1782:
	s_or_b64 exec, exec, s[12:13]
	v_mov_b32_e32 v8, 0
	s_and_saveexec_b64 s[12:13], s[10:11]
.LBB175_1783:
	v_lshrrev_b32_e32 v4, 24, v4
	s_movk_i32 s5, 0x80
	v_and_or_b32 v8, v4, s5, v7
.LBB175_1784:
	s_or_b64 exec, exec, s[12:13]
.LBB175_1785:
	s_or_b64 exec, exec, s[6:7]
	s_mov_b64 s[6:7], 0
	global_store_byte v[5:6], v8, off
.LBB175_1786:
	s_and_b64 vcc, exec, s[6:7]
	s_cbranch_vccz .LBB175_1796
; %bb.1787:
	v_cvt_f32_i32_e32 v4, v3
	s_mov_b32 s5, 0x43f00000
                                        ; implicit-def: $vgpr7
	v_and_b32_e32 v8, 0x7fffffff, v4
	v_cmp_gt_u32_e32 vcc, s5, v8
	s_and_saveexec_b64 s[6:7], vcc
	s_xor_b64 s[6:7], exec, s[6:7]
	s_cbranch_execz .LBB175_1793
; %bb.1788:
	s_mov_b32 s5, 0x3c7fffff
	v_cmp_lt_u32_e32 vcc, s5, v8
                                        ; implicit-def: $vgpr7
	s_and_saveexec_b64 s[10:11], vcc
	s_xor_b64 s[10:11], exec, s[10:11]
; %bb.1789:
	v_bfe_u32 v7, v4, 20, 1
	s_mov_b32 s5, 0x407ffff
	v_add3_u32 v7, v4, v7, s5
	v_lshrrev_b32_e32 v8, 20, v7
	v_and_b32_e32 v7, 0xff00000, v7
	s_mov_b32 s5, 0x7f00000
	v_mov_b32_e32 v10, 0x7e
	v_cmp_ne_u32_e32 vcc, s5, v7
	v_cndmask_b32_e32 v7, v10, v8, vcc
; %bb.1790:
	s_andn2_saveexec_b64 s[10:11], s[10:11]
; %bb.1791:
	s_mov_b32 s5, 0x46800000
	v_add_f32_e64 v7, |v4|, s5
; %bb.1792:
	s_or_b64 exec, exec, s[10:11]
                                        ; implicit-def: $vgpr8
.LBB175_1793:
	s_andn2_saveexec_b64 s[6:7], s[6:7]
; %bb.1794:
	s_mov_b32 s5, 0x7f800000
	v_mov_b32_e32 v7, 0x7e
	v_mov_b32_e32 v10, 0x7f
	v_cmp_lt_u32_e32 vcc, s5, v8
	v_cndmask_b32_e32 v7, v7, v10, vcc
; %bb.1795:
	s_or_b64 exec, exec, s[6:7]
	v_lshrrev_b32_e32 v4, 24, v4
	s_movk_i32 s5, 0x80
	v_and_or_b32 v4, v4, s5, v7
	global_store_byte v[5:6], v4, off
.LBB175_1796:
	s_mov_b64 s[6:7], 0
.LBB175_1797:
	s_andn2_b64 vcc, exec, s[6:7]
	s_cbranch_vccnz .LBB175_1807
; %bb.1798:
	v_cvt_f32_i32_e32 v4, v3
	s_mov_b32 s5, 0x47800000
                                        ; implicit-def: $vgpr7
	v_and_b32_e32 v8, 0x7fffffff, v4
	v_cmp_gt_u32_e32 vcc, s5, v8
	s_and_saveexec_b64 s[6:7], vcc
	s_xor_b64 s[6:7], exec, s[6:7]
	s_cbranch_execz .LBB175_1804
; %bb.1799:
	s_mov_b32 s5, 0x387fffff
	v_cmp_lt_u32_e32 vcc, s5, v8
                                        ; implicit-def: $vgpr7
	s_and_saveexec_b64 s[10:11], vcc
	s_xor_b64 s[10:11], exec, s[10:11]
; %bb.1800:
	v_bfe_u32 v7, v4, 21, 1
	s_mov_b32 s5, 0x80fffff
	v_add3_u32 v7, v4, v7, s5
	v_lshrrev_b32_e32 v7, 21, v7
; %bb.1801:
	s_andn2_saveexec_b64 s[10:11], s[10:11]
; %bb.1802:
	s_mov_b32 s5, 0x43000000
	v_add_f32_e64 v7, |v4|, s5
; %bb.1803:
	s_or_b64 exec, exec, s[10:11]
                                        ; implicit-def: $vgpr8
.LBB175_1804:
	s_andn2_saveexec_b64 s[6:7], s[6:7]
; %bb.1805:
	s_mov_b32 s5, 0x7f800000
	v_mov_b32_e32 v7, 0x7c
	v_mov_b32_e32 v10, 0x7f
	v_cmp_lt_u32_e32 vcc, s5, v8
	v_cndmask_b32_e32 v7, v7, v10, vcc
; %bb.1806:
	s_or_b64 exec, exec, s[6:7]
	v_lshrrev_b32_e32 v4, 24, v4
	s_movk_i32 s5, 0x80
	v_and_or_b32 v4, v4, s5, v7
	global_store_byte v[5:6], v4, off
.LBB175_1807:
	s_mov_b64 s[6:7], 0
	s_mov_b64 s[10:11], -1
.LBB175_1808:
	s_andn2_b64 vcc, exec, s[6:7]
	s_mov_b64 s[6:7], 0
	s_cbranch_vccnz .LBB175_1815
; %bb.1809:
	s_cmp_gt_i32 s17, 14
	s_mov_b64 s[12:13], -1
	s_cbranch_scc0 .LBB175_1813
; %bb.1810:
	s_cmp_eq_u32 s17, 15
	s_mov_b64 s[0:1], -1
	s_cbranch_scc0 .LBB175_1812
; %bb.1811:
	v_cvt_f32_i32_e32 v4, v3
	s_movk_i32 s5, 0x7fff
	s_mov_b64 s[0:1], 0
	s_mov_b64 s[10:11], -1
	v_bfe_u32 v7, v4, 16, 1
	v_add3_u32 v4, v4, v7, s5
	global_store_short_d16_hi v[5:6], v4, off
.LBB175_1812:
	s_mov_b64 s[12:13], 0
.LBB175_1813:
	s_and_b64 vcc, exec, s[12:13]
	s_cbranch_vccz .LBB175_1815
; %bb.1814:
	s_cmp_lg_u32 s17, 11
	s_mov_b64 s[6:7], -1
	s_cselect_b64 s[0:1], -1, 0
.LBB175_1815:
	s_and_b64 vcc, exec, s[0:1]
	s_cbranch_vccnz .LBB175_2109
; %bb.1816:
	s_andn2_b64 vcc, exec, s[6:7]
	s_cbranch_vccnz .LBB175_1818
.LBB175_1817:
	v_cmp_ne_u32_e32 vcc, 0, v3
	v_cndmask_b32_e64 v4, 0, 1, vcc
	s_mov_b64 s[10:11], -1
	global_store_byte v[5:6], v4, off
.LBB175_1818:
	s_mov_b64 s[0:1], 0
	s_branch .LBB175_1820
.LBB175_1819:
	s_mov_b64 s[0:1], -1
	s_mov_b64 s[10:11], 0
.LBB175_1820:
	s_and_b64 vcc, exec, s[0:1]
	s_cbranch_vccz .LBB175_1859
; %bb.1821:
	s_cmp_lt_i32 s17, 5
	s_mov_b64 s[0:1], -1
	s_cbranch_scc1 .LBB175_1842
; %bb.1822:
	s_cmp_lt_i32 s17, 8
	s_cbranch_scc1 .LBB175_1832
; %bb.1823:
	s_cmp_lt_i32 s17, 9
	s_cbranch_scc1 .LBB175_1829
; %bb.1824:
	s_cmp_gt_i32 s17, 9
	s_cbranch_scc0 .LBB175_1826
; %bb.1825:
	v_cvt_f64_i32_e32 v[10:11], v3
	v_mov_b32_e32 v12, 0
	v_mov_b32_e32 v13, v12
	s_mov_b64 s[0:1], 0
	global_store_dwordx4 v[5:6], v[10:13], off
.LBB175_1826:
	s_andn2_b64 vcc, exec, s[0:1]
	s_cbranch_vccnz .LBB175_1828
; %bb.1827:
	v_cvt_f32_i32_e32 v7, v3
	v_mov_b32_e32 v8, 0
	global_store_dwordx2 v[5:6], v[7:8], off
.LBB175_1828:
	s_mov_b64 s[0:1], 0
.LBB175_1829:
	s_andn2_b64 vcc, exec, s[0:1]
	s_cbranch_vccnz .LBB175_1831
; %bb.1830:
	v_cvt_f32_i32_e32 v4, v3
	v_cvt_f16_f32_e32 v4, v4
	global_store_dword v[5:6], v4, off
.LBB175_1831:
	s_mov_b64 s[0:1], 0
.LBB175_1832:
	s_andn2_b64 vcc, exec, s[0:1]
	s_cbranch_vccnz .LBB175_1841
; %bb.1833:
	s_cmp_lt_i32 s17, 6
	s_mov_b64 s[0:1], -1
	s_cbranch_scc1 .LBB175_1839
; %bb.1834:
	s_cmp_gt_i32 s17, 6
	s_cbranch_scc0 .LBB175_1836
; %bb.1835:
	v_cvt_f64_i32_e32 v[7:8], v3
	s_mov_b64 s[0:1], 0
	global_store_dwordx2 v[5:6], v[7:8], off
.LBB175_1836:
	s_andn2_b64 vcc, exec, s[0:1]
	s_cbranch_vccnz .LBB175_1838
; %bb.1837:
	v_cvt_f32_i32_e32 v4, v3
	global_store_dword v[5:6], v4, off
.LBB175_1838:
	s_mov_b64 s[0:1], 0
.LBB175_1839:
	s_andn2_b64 vcc, exec, s[0:1]
	s_cbranch_vccnz .LBB175_1841
; %bb.1840:
	v_cvt_f32_i32_e32 v4, v3
	v_cvt_f16_f32_e32 v4, v4
	global_store_short v[5:6], v4, off
.LBB175_1841:
	s_mov_b64 s[0:1], 0
.LBB175_1842:
	s_andn2_b64 vcc, exec, s[0:1]
	s_cbranch_vccnz .LBB175_1858
; %bb.1843:
	s_cmp_lt_i32 s17, 2
	s_mov_b64 s[0:1], -1
	s_cbranch_scc1 .LBB175_1853
; %bb.1844:
	s_cmp_lt_i32 s17, 3
	s_cbranch_scc1 .LBB175_1850
; %bb.1845:
	s_cmp_gt_i32 s17, 3
	s_cbranch_scc0 .LBB175_1847
; %bb.1846:
	v_ashrrev_i32_e32 v4, 31, v3
	global_store_dwordx2 v[5:6], v[3:4], off
	s_mov_b64 s[0:1], 0
.LBB175_1847:
	s_andn2_b64 vcc, exec, s[0:1]
	s_cbranch_vccnz .LBB175_1849
; %bb.1848:
	global_store_dword v[5:6], v3, off
.LBB175_1849:
	s_mov_b64 s[0:1], 0
.LBB175_1850:
	s_andn2_b64 vcc, exec, s[0:1]
	s_cbranch_vccnz .LBB175_1852
; %bb.1851:
	global_store_short v[5:6], v3, off
.LBB175_1852:
	s_mov_b64 s[0:1], 0
.LBB175_1853:
	s_andn2_b64 vcc, exec, s[0:1]
	s_cbranch_vccnz .LBB175_1858
; %bb.1854:
	s_cmp_gt_i32 s17, 0
	s_mov_b64 s[0:1], -1
	s_cbranch_scc0 .LBB175_1856
; %bb.1855:
	global_store_byte v[5:6], v3, off
	s_mov_b64 s[0:1], 0
.LBB175_1856:
	s_andn2_b64 vcc, exec, s[0:1]
	s_cbranch_vccnz .LBB175_1858
; %bb.1857:
	global_store_byte v[5:6], v3, off
.LBB175_1858:
	s_mov_b64 s[10:11], -1
.LBB175_1859:
	s_andn2_b64 vcc, exec, s[10:11]
	s_cbranch_vccnz .LBB175_2055
; %bb.1860:
	v_min_u32_e32 v1, 31, v1
	v_mov_b32_e32 v4, s9
	v_add_co_u32_e32 v3, vcc, s8, v2
	v_ashrrev_i32_e64 v1, v1, s4
	s_cmp_lt_i32 s17, 11
	v_addc_co_u32_e32 v4, vcc, 0, v4, vcc
	s_cbranch_scc1 .LBB175_1938
; %bb.1861:
	s_mov_b64 s[12:13], -1
	s_mov_b64 s[6:7], 0
	s_cmp_gt_i32 s17, 25
	s_mov_b64 s[10:11], 0
	s_mov_b64 s[0:1], 0
	s_cbranch_scc0 .LBB175_1894
; %bb.1862:
	s_cmp_gt_i32 s17, 28
	s_cbranch_scc0 .LBB175_1877
; %bb.1863:
	s_cmp_gt_i32 s17, 43
	;; [unrolled: 3-line block ×3, first 2 shown]
	s_cbranch_scc0 .LBB175_1867
; %bb.1865:
	s_mov_b64 s[0:1], -1
	s_mov_b64 s[12:13], 0
	s_cmp_eq_u32 s17, 46
	s_cbranch_scc0 .LBB175_1867
; %bb.1866:
	v_cvt_f32_i32_e32 v2, v1
	s_movk_i32 s5, 0x7fff
	s_mov_b64 s[0:1], 0
	s_mov_b64 s[10:11], -1
	v_bfe_u32 v5, v2, 16, 1
	v_add3_u32 v2, v2, v5, s5
	v_lshrrev_b32_e32 v2, 16, v2
	global_store_dword v[3:4], v2, off
.LBB175_1867:
	s_and_b64 vcc, exec, s[12:13]
	s_cbranch_vccz .LBB175_1872
; %bb.1868:
	s_cmp_eq_u32 s17, 44
	s_mov_b64 s[0:1], -1
	s_cbranch_scc0 .LBB175_1872
; %bb.1869:
	v_cvt_f32_i32_e32 v2, v1
	s_movk_i32 s0, 0xff
	v_mov_b32_e32 v6, 0xff
	v_bfe_u32 v5, v2, 23, 8
	v_cmp_ne_u32_e32 vcc, s0, v5
	s_and_saveexec_b64 s[10:11], vcc
; %bb.1870:
	s_mov_b32 s0, 0x3fffff
	v_lshrrev_b32_e32 v6, 23, v2
	v_and_b32_e32 v7, 0x400000, v2
	v_and_or_b32 v2, v2, s0, v5
	v_cmp_ne_u32_e32 vcc, 0, v7
	v_cmp_ne_u32_e64 s[0:1], 0, v2
	s_and_b64 s[0:1], vcc, s[0:1]
	v_cndmask_b32_e64 v2, 0, 1, s[0:1]
	v_add_u32_e32 v6, v6, v2
; %bb.1871:
	s_or_b64 exec, exec, s[10:11]
	s_mov_b64 s[0:1], 0
	s_mov_b64 s[10:11], -1
	global_store_byte v[3:4], v6, off
.LBB175_1872:
	s_mov_b64 s[12:13], 0
.LBB175_1873:
	s_and_b64 vcc, exec, s[12:13]
	s_cbranch_vccz .LBB175_1876
; %bb.1874:
	s_cmp_eq_u32 s17, 29
	s_mov_b64 s[0:1], -1
	s_cbranch_scc0 .LBB175_1876
; %bb.1875:
	v_ashrrev_i32_e32 v2, 31, v1
	global_store_dwordx2 v[3:4], v[1:2], off
	s_mov_b64 s[0:1], 0
	s_mov_b64 s[10:11], -1
.LBB175_1876:
	s_mov_b64 s[12:13], 0
.LBB175_1877:
	s_and_b64 vcc, exec, s[12:13]
	s_cbranch_vccz .LBB175_1893
; %bb.1878:
	s_cmp_lt_i32 s17, 27
	s_mov_b64 s[10:11], -1
	s_cbranch_scc1 .LBB175_1884
; %bb.1879:
	s_cmp_gt_i32 s17, 27
	s_cbranch_scc0 .LBB175_1881
; %bb.1880:
	s_mov_b64 s[10:11], 0
	global_store_dword v[3:4], v1, off
.LBB175_1881:
	s_andn2_b64 vcc, exec, s[10:11]
	s_cbranch_vccnz .LBB175_1883
; %bb.1882:
	global_store_short v[3:4], v1, off
.LBB175_1883:
	s_mov_b64 s[10:11], 0
.LBB175_1884:
	s_andn2_b64 vcc, exec, s[10:11]
	s_cbranch_vccnz .LBB175_1892
; %bb.1885:
	v_cvt_f32_i32_e32 v2, v1
	s_mov_b32 s5, 0x43800000
	v_mov_b32_e32 v6, 0x80
	v_and_b32_e32 v5, 0x7fffffff, v2
	v_cmp_gt_u32_e32 vcc, s5, v5
	s_and_saveexec_b64 s[10:11], vcc
	s_cbranch_execz .LBB175_1891
; %bb.1886:
	s_mov_b32 s5, 0x3bffffff
	v_cmp_lt_u32_e32 vcc, s5, v5
	s_mov_b64 s[12:13], 0
                                        ; implicit-def: $vgpr5
	s_and_saveexec_b64 s[14:15], vcc
	s_xor_b64 s[14:15], exec, s[14:15]
	s_cbranch_execz .LBB175_2112
; %bb.1887:
	v_bfe_u32 v5, v2, 20, 1
	s_mov_b32 s5, 0x487ffff
	v_add3_u32 v5, v2, v5, s5
	s_mov_b64 s[12:13], exec
	v_lshrrev_b32_e32 v5, 20, v5
	s_andn2_saveexec_b64 s[14:15], s[14:15]
	s_cbranch_execnz .LBB175_2113
.LBB175_1888:
	s_or_b64 exec, exec, s[14:15]
	v_mov_b32_e32 v6, 0
	s_and_saveexec_b64 s[14:15], s[12:13]
.LBB175_1889:
	v_lshrrev_b32_e32 v2, 24, v2
	s_movk_i32 s5, 0x80
	v_and_or_b32 v6, v2, s5, v5
.LBB175_1890:
	s_or_b64 exec, exec, s[14:15]
.LBB175_1891:
	s_or_b64 exec, exec, s[10:11]
	global_store_byte v[3:4], v6, off
.LBB175_1892:
	s_mov_b64 s[10:11], -1
.LBB175_1893:
	s_mov_b64 s[12:13], 0
.LBB175_1894:
	s_and_b64 vcc, exec, s[12:13]
	s_cbranch_vccz .LBB175_1934
; %bb.1895:
	s_cmp_gt_i32 s17, 22
	s_mov_b64 s[6:7], -1
	s_cbranch_scc0 .LBB175_1927
; %bb.1896:
	s_cmp_lt_i32 s17, 24
	s_cbranch_scc1 .LBB175_1916
; %bb.1897:
	s_cmp_gt_i32 s17, 24
	s_cbranch_scc0 .LBB175_1905
; %bb.1898:
	v_cvt_f32_i32_e32 v2, v1
	s_mov_b32 s5, 0x47800000
	v_mov_b32_e32 v6, 0x80
	v_and_b32_e32 v5, 0x7fffffff, v2
	v_cmp_gt_u32_e32 vcc, s5, v5
	s_and_saveexec_b64 s[6:7], vcc
	s_cbranch_execz .LBB175_1904
; %bb.1899:
	s_mov_b32 s5, 0x37ffffff
	v_cmp_lt_u32_e32 vcc, s5, v5
	s_mov_b64 s[10:11], 0
                                        ; implicit-def: $vgpr5
	s_and_saveexec_b64 s[12:13], vcc
	s_xor_b64 s[12:13], exec, s[12:13]
	s_cbranch_execz .LBB175_2115
; %bb.1900:
	v_bfe_u32 v5, v2, 21, 1
	s_mov_b32 s5, 0x88fffff
	v_add3_u32 v5, v2, v5, s5
	s_mov_b64 s[10:11], exec
	v_lshrrev_b32_e32 v5, 21, v5
	s_andn2_saveexec_b64 s[12:13], s[12:13]
	s_cbranch_execnz .LBB175_2116
.LBB175_1901:
	s_or_b64 exec, exec, s[12:13]
	v_mov_b32_e32 v6, 0
	s_and_saveexec_b64 s[12:13], s[10:11]
.LBB175_1902:
	v_lshrrev_b32_e32 v2, 24, v2
	s_movk_i32 s5, 0x80
	v_and_or_b32 v6, v2, s5, v5
.LBB175_1903:
	s_or_b64 exec, exec, s[12:13]
.LBB175_1904:
	s_or_b64 exec, exec, s[6:7]
	s_mov_b64 s[6:7], 0
	global_store_byte v[3:4], v6, off
.LBB175_1905:
	s_and_b64 vcc, exec, s[6:7]
	s_cbranch_vccz .LBB175_1915
; %bb.1906:
	v_cvt_f32_i32_e32 v2, v1
	s_mov_b32 s5, 0x43f00000
                                        ; implicit-def: $vgpr5
	v_and_b32_e32 v6, 0x7fffffff, v2
	v_cmp_gt_u32_e32 vcc, s5, v6
	s_and_saveexec_b64 s[6:7], vcc
	s_xor_b64 s[6:7], exec, s[6:7]
	s_cbranch_execz .LBB175_1912
; %bb.1907:
	s_mov_b32 s5, 0x3c7fffff
	v_cmp_lt_u32_e32 vcc, s5, v6
                                        ; implicit-def: $vgpr5
	s_and_saveexec_b64 s[10:11], vcc
	s_xor_b64 s[10:11], exec, s[10:11]
; %bb.1908:
	v_bfe_u32 v5, v2, 20, 1
	s_mov_b32 s5, 0x407ffff
	v_add3_u32 v5, v2, v5, s5
	v_lshrrev_b32_e32 v6, 20, v5
	v_and_b32_e32 v5, 0xff00000, v5
	s_mov_b32 s5, 0x7f00000
	v_mov_b32_e32 v7, 0x7e
	v_cmp_ne_u32_e32 vcc, s5, v5
	v_cndmask_b32_e32 v5, v7, v6, vcc
; %bb.1909:
	s_andn2_saveexec_b64 s[10:11], s[10:11]
; %bb.1910:
	s_mov_b32 s5, 0x46800000
	v_add_f32_e64 v5, |v2|, s5
; %bb.1911:
	s_or_b64 exec, exec, s[10:11]
                                        ; implicit-def: $vgpr6
.LBB175_1912:
	s_andn2_saveexec_b64 s[6:7], s[6:7]
; %bb.1913:
	s_mov_b32 s5, 0x7f800000
	v_mov_b32_e32 v5, 0x7e
	v_mov_b32_e32 v7, 0x7f
	v_cmp_lt_u32_e32 vcc, s5, v6
	v_cndmask_b32_e32 v5, v5, v7, vcc
; %bb.1914:
	s_or_b64 exec, exec, s[6:7]
	v_lshrrev_b32_e32 v2, 24, v2
	s_movk_i32 s5, 0x80
	v_and_or_b32 v2, v2, s5, v5
	global_store_byte v[3:4], v2, off
.LBB175_1915:
	s_mov_b64 s[6:7], 0
.LBB175_1916:
	s_andn2_b64 vcc, exec, s[6:7]
	s_cbranch_vccnz .LBB175_1926
; %bb.1917:
	v_cvt_f32_i32_e32 v2, v1
	s_mov_b32 s5, 0x47800000
                                        ; implicit-def: $vgpr5
	v_and_b32_e32 v6, 0x7fffffff, v2
	v_cmp_gt_u32_e32 vcc, s5, v6
	s_and_saveexec_b64 s[6:7], vcc
	s_xor_b64 s[6:7], exec, s[6:7]
	s_cbranch_execz .LBB175_1923
; %bb.1918:
	s_mov_b32 s5, 0x387fffff
	v_cmp_lt_u32_e32 vcc, s5, v6
                                        ; implicit-def: $vgpr5
	s_and_saveexec_b64 s[10:11], vcc
	s_xor_b64 s[10:11], exec, s[10:11]
; %bb.1919:
	v_bfe_u32 v5, v2, 21, 1
	s_mov_b32 s5, 0x80fffff
	v_add3_u32 v5, v2, v5, s5
	v_lshrrev_b32_e32 v5, 21, v5
; %bb.1920:
	s_andn2_saveexec_b64 s[10:11], s[10:11]
; %bb.1921:
	s_mov_b32 s5, 0x43000000
	v_add_f32_e64 v5, |v2|, s5
; %bb.1922:
	s_or_b64 exec, exec, s[10:11]
                                        ; implicit-def: $vgpr6
.LBB175_1923:
	s_andn2_saveexec_b64 s[6:7], s[6:7]
; %bb.1924:
	s_mov_b32 s5, 0x7f800000
	v_mov_b32_e32 v5, 0x7c
	v_mov_b32_e32 v7, 0x7f
	v_cmp_lt_u32_e32 vcc, s5, v6
	v_cndmask_b32_e32 v5, v5, v7, vcc
; %bb.1925:
	s_or_b64 exec, exec, s[6:7]
	v_lshrrev_b32_e32 v2, 24, v2
	s_movk_i32 s5, 0x80
	v_and_or_b32 v2, v2, s5, v5
	global_store_byte v[3:4], v2, off
.LBB175_1926:
	s_mov_b64 s[6:7], 0
	s_mov_b64 s[10:11], -1
.LBB175_1927:
	s_andn2_b64 vcc, exec, s[6:7]
	s_mov_b64 s[6:7], 0
	s_cbranch_vccnz .LBB175_1934
; %bb.1928:
	s_cmp_gt_i32 s17, 14
	s_mov_b64 s[12:13], -1
	s_cbranch_scc0 .LBB175_1932
; %bb.1929:
	s_cmp_eq_u32 s17, 15
	s_mov_b64 s[0:1], -1
	s_cbranch_scc0 .LBB175_1931
; %bb.1930:
	v_cvt_f32_i32_e32 v2, v1
	s_movk_i32 s5, 0x7fff
	s_mov_b64 s[0:1], 0
	s_mov_b64 s[10:11], -1
	v_bfe_u32 v5, v2, 16, 1
	v_add3_u32 v2, v2, v5, s5
	global_store_short_d16_hi v[3:4], v2, off
.LBB175_1931:
	s_mov_b64 s[12:13], 0
.LBB175_1932:
	s_and_b64 vcc, exec, s[12:13]
	s_cbranch_vccz .LBB175_1934
; %bb.1933:
	s_cmp_lg_u32 s17, 11
	s_mov_b64 s[6:7], -1
	s_cselect_b64 s[0:1], -1, 0
.LBB175_1934:
	s_and_b64 vcc, exec, s[0:1]
	s_cbranch_vccnz .LBB175_2114
; %bb.1935:
	s_andn2_b64 vcc, exec, s[6:7]
	s_cbranch_vccnz .LBB175_1937
.LBB175_1936:
	v_cmp_ne_u32_e32 vcc, 0, v1
	v_cndmask_b32_e64 v2, 0, 1, vcc
	s_mov_b64 s[10:11], -1
	global_store_byte v[3:4], v2, off
.LBB175_1937:
	s_mov_b64 s[0:1], 0
	s_branch .LBB175_1939
.LBB175_1938:
	s_mov_b64 s[0:1], -1
	s_mov_b64 s[10:11], 0
.LBB175_1939:
	s_and_b64 vcc, exec, s[0:1]
	s_cbranch_vccz .LBB175_1978
; %bb.1940:
	s_cmp_lt_i32 s17, 5
	s_mov_b64 s[0:1], -1
	s_cbranch_scc1 .LBB175_1961
; %bb.1941:
	s_cmp_lt_i32 s17, 8
	s_cbranch_scc1 .LBB175_1951
; %bb.1942:
	s_cmp_lt_i32 s17, 9
	s_cbranch_scc1 .LBB175_1948
; %bb.1943:
	s_cmp_gt_i32 s17, 9
	s_cbranch_scc0 .LBB175_1945
; %bb.1944:
	v_cvt_f64_i32_e32 v[5:6], v1
	v_mov_b32_e32 v7, 0
	v_mov_b32_e32 v8, v7
	s_mov_b64 s[0:1], 0
	global_store_dwordx4 v[3:4], v[5:8], off
.LBB175_1945:
	s_andn2_b64 vcc, exec, s[0:1]
	s_cbranch_vccnz .LBB175_1947
; %bb.1946:
	v_cvt_f32_i32_e32 v5, v1
	v_mov_b32_e32 v6, 0
	global_store_dwordx2 v[3:4], v[5:6], off
.LBB175_1947:
	s_mov_b64 s[0:1], 0
.LBB175_1948:
	s_andn2_b64 vcc, exec, s[0:1]
	s_cbranch_vccnz .LBB175_1950
; %bb.1949:
	v_cvt_f32_i32_e32 v2, v1
	v_cvt_f16_f32_e32 v2, v2
	global_store_dword v[3:4], v2, off
.LBB175_1950:
	s_mov_b64 s[0:1], 0
.LBB175_1951:
	s_andn2_b64 vcc, exec, s[0:1]
	s_cbranch_vccnz .LBB175_1960
; %bb.1952:
	s_cmp_lt_i32 s17, 6
	s_mov_b64 s[0:1], -1
	s_cbranch_scc1 .LBB175_1958
; %bb.1953:
	s_cmp_gt_i32 s17, 6
	s_cbranch_scc0 .LBB175_1955
; %bb.1954:
	v_cvt_f64_i32_e32 v[5:6], v1
	s_mov_b64 s[0:1], 0
	global_store_dwordx2 v[3:4], v[5:6], off
.LBB175_1955:
	s_andn2_b64 vcc, exec, s[0:1]
	s_cbranch_vccnz .LBB175_1957
; %bb.1956:
	v_cvt_f32_i32_e32 v2, v1
	global_store_dword v[3:4], v2, off
.LBB175_1957:
	s_mov_b64 s[0:1], 0
.LBB175_1958:
	s_andn2_b64 vcc, exec, s[0:1]
	s_cbranch_vccnz .LBB175_1960
; %bb.1959:
	v_cvt_f32_i32_e32 v2, v1
	v_cvt_f16_f32_e32 v2, v2
	global_store_short v[3:4], v2, off
.LBB175_1960:
	s_mov_b64 s[0:1], 0
.LBB175_1961:
	s_andn2_b64 vcc, exec, s[0:1]
	s_cbranch_vccnz .LBB175_1977
; %bb.1962:
	s_cmp_lt_i32 s17, 2
	s_mov_b64 s[0:1], -1
	s_cbranch_scc1 .LBB175_1972
; %bb.1963:
	s_cmp_lt_i32 s17, 3
	s_cbranch_scc1 .LBB175_1969
; %bb.1964:
	s_cmp_gt_i32 s17, 3
	s_cbranch_scc0 .LBB175_1966
; %bb.1965:
	v_ashrrev_i32_e32 v2, 31, v1
	global_store_dwordx2 v[3:4], v[1:2], off
	s_mov_b64 s[0:1], 0
.LBB175_1966:
	s_andn2_b64 vcc, exec, s[0:1]
	s_cbranch_vccnz .LBB175_1968
; %bb.1967:
	global_store_dword v[3:4], v1, off
.LBB175_1968:
	s_mov_b64 s[0:1], 0
.LBB175_1969:
	s_andn2_b64 vcc, exec, s[0:1]
	s_cbranch_vccnz .LBB175_1971
; %bb.1970:
	global_store_short v[3:4], v1, off
.LBB175_1971:
	s_mov_b64 s[0:1], 0
.LBB175_1972:
	s_andn2_b64 vcc, exec, s[0:1]
	s_cbranch_vccnz .LBB175_1977
; %bb.1973:
	s_cmp_gt_i32 s17, 0
	s_mov_b64 s[0:1], -1
	s_cbranch_scc0 .LBB175_1975
; %bb.1974:
	global_store_byte v[3:4], v1, off
	s_mov_b64 s[0:1], 0
.LBB175_1975:
	s_andn2_b64 vcc, exec, s[0:1]
	s_cbranch_vccnz .LBB175_1977
; %bb.1976:
	global_store_byte v[3:4], v1, off
.LBB175_1977:
	s_mov_b64 s[10:11], -1
.LBB175_1978:
	s_andn2_b64 vcc, exec, s[10:11]
	s_cbranch_vccnz .LBB175_2055
; %bb.1979:
	v_min_u32_e32 v1, 31, v9
	v_ashrrev_i32_e64 v2, v1, s4
	v_mov_b32_e32 v1, s9
	v_add_co_u32_e32 v0, vcc, s8, v0
	s_cmp_lt_i32 s17, 11
	v_addc_co_u32_e32 v1, vcc, 0, v1, vcc
	s_cbranch_scc1 .LBB175_2100
; %bb.1980:
	s_mov_b64 s[6:7], -1
	s_mov_b64 s[4:5], 0
	s_cmp_gt_i32 s17, 25
	s_mov_b64 s[0:1], 0
	s_cbranch_scc0 .LBB175_2013
; %bb.1981:
	s_cmp_gt_i32 s17, 28
	s_cbranch_scc0 .LBB175_1997
; %bb.1982:
	s_cmp_gt_i32 s17, 43
	;; [unrolled: 3-line block ×3, first 2 shown]
	s_cbranch_scc0 .LBB175_1987
; %bb.1984:
	s_cmp_eq_u32 s17, 46
	s_mov_b64 s[0:1], -1
	s_cbranch_scc0 .LBB175_1986
; %bb.1985:
	v_cvt_f32_i32_e32 v3, v2
	s_movk_i32 s0, 0x7fff
	v_bfe_u32 v4, v3, 16, 1
	v_add3_u32 v3, v3, v4, s0
	v_lshrrev_b32_e32 v3, 16, v3
	global_store_dword v[0:1], v3, off
	s_mov_b64 s[0:1], 0
.LBB175_1986:
	s_mov_b64 s[6:7], 0
.LBB175_1987:
	s_and_b64 vcc, exec, s[6:7]
	s_cbranch_vccz .LBB175_1992
; %bb.1988:
	s_cmp_eq_u32 s17, 44
	s_mov_b64 s[0:1], -1
	s_cbranch_scc0 .LBB175_1992
; %bb.1989:
	v_cvt_f32_i32_e32 v3, v2
	s_movk_i32 s0, 0xff
	v_mov_b32_e32 v5, 0xff
	v_bfe_u32 v4, v3, 23, 8
	v_cmp_ne_u32_e32 vcc, s0, v4
	s_and_saveexec_b64 s[6:7], vcc
; %bb.1990:
	s_mov_b32 s0, 0x3fffff
	v_lshrrev_b32_e32 v5, 23, v3
	v_and_b32_e32 v6, 0x400000, v3
	v_and_or_b32 v3, v3, s0, v4
	v_cmp_ne_u32_e32 vcc, 0, v6
	v_cmp_ne_u32_e64 s[0:1], 0, v3
	s_and_b64 s[0:1], vcc, s[0:1]
	v_cndmask_b32_e64 v3, 0, 1, s[0:1]
	v_add_u32_e32 v5, v5, v3
; %bb.1991:
	s_or_b64 exec, exec, s[6:7]
	s_mov_b64 s[0:1], 0
	global_store_byte v[0:1], v5, off
.LBB175_1992:
	s_mov_b64 s[6:7], 0
.LBB175_1993:
	s_and_b64 vcc, exec, s[6:7]
	s_cbranch_vccz .LBB175_1996
; %bb.1994:
	s_cmp_eq_u32 s17, 29
	s_mov_b64 s[0:1], -1
	s_cbranch_scc0 .LBB175_1996
; %bb.1995:
	v_ashrrev_i32_e32 v3, 31, v2
	global_store_dwordx2 v[0:1], v[2:3], off
	s_mov_b64 s[0:1], 0
.LBB175_1996:
	s_mov_b64 s[6:7], 0
.LBB175_1997:
	s_and_b64 vcc, exec, s[6:7]
	s_cbranch_vccz .LBB175_2012
; %bb.1998:
	s_cmp_lt_i32 s17, 27
	s_mov_b64 s[6:7], -1
	s_cbranch_scc1 .LBB175_2004
; %bb.1999:
	s_cmp_gt_i32 s17, 27
	s_cbranch_scc0 .LBB175_2001
; %bb.2000:
	global_store_dword v[0:1], v2, off
	s_mov_b64 s[6:7], 0
.LBB175_2001:
	s_andn2_b64 vcc, exec, s[6:7]
	s_cbranch_vccnz .LBB175_2003
; %bb.2002:
	global_store_short v[0:1], v2, off
.LBB175_2003:
	s_mov_b64 s[6:7], 0
.LBB175_2004:
	s_andn2_b64 vcc, exec, s[6:7]
	s_cbranch_vccnz .LBB175_2012
; %bb.2005:
	v_cvt_f32_i32_e32 v3, v2
	s_mov_b32 s6, 0x43800000
	v_mov_b32_e32 v5, 0x80
	v_and_b32_e32 v4, 0x7fffffff, v3
	v_cmp_gt_u32_e32 vcc, s6, v4
	s_and_saveexec_b64 s[6:7], vcc
	s_cbranch_execz .LBB175_2011
; %bb.2006:
	s_mov_b32 s8, 0x3bffffff
	v_cmp_lt_u32_e32 vcc, s8, v4
	s_mov_b64 s[8:9], 0
                                        ; implicit-def: $vgpr4
	s_and_saveexec_b64 s[10:11], vcc
	s_xor_b64 s[10:11], exec, s[10:11]
	s_cbranch_execz .LBB175_2117
; %bb.2007:
	v_bfe_u32 v4, v3, 20, 1
	s_mov_b32 s12, 0x487ffff
	v_add3_u32 v4, v3, v4, s12
	s_mov_b64 s[8:9], exec
	v_lshrrev_b32_e32 v4, 20, v4
	s_andn2_saveexec_b64 s[10:11], s[10:11]
	s_cbranch_execnz .LBB175_2118
.LBB175_2008:
	s_or_b64 exec, exec, s[10:11]
	v_mov_b32_e32 v5, 0
	s_and_saveexec_b64 s[10:11], s[8:9]
.LBB175_2009:
	v_lshrrev_b32_e32 v3, 24, v3
	s_movk_i32 s8, 0x80
	v_and_or_b32 v5, v3, s8, v4
.LBB175_2010:
	s_or_b64 exec, exec, s[10:11]
.LBB175_2011:
	s_or_b64 exec, exec, s[6:7]
	global_store_byte v[0:1], v5, off
.LBB175_2012:
	s_mov_b64 s[6:7], 0
.LBB175_2013:
	s_and_b64 vcc, exec, s[6:7]
	s_cbranch_vccz .LBB175_2053
; %bb.2014:
	s_cmp_gt_i32 s17, 22
	s_mov_b64 s[4:5], -1
	s_cbranch_scc0 .LBB175_2046
; %bb.2015:
	s_cmp_lt_i32 s17, 24
	s_cbranch_scc1 .LBB175_2035
; %bb.2016:
	s_cmp_gt_i32 s17, 24
	s_cbranch_scc0 .LBB175_2024
; %bb.2017:
	v_cvt_f32_i32_e32 v3, v2
	s_mov_b32 s4, 0x47800000
	v_mov_b32_e32 v5, 0x80
	v_and_b32_e32 v4, 0x7fffffff, v3
	v_cmp_gt_u32_e32 vcc, s4, v4
	s_and_saveexec_b64 s[4:5], vcc
	s_cbranch_execz .LBB175_2023
; %bb.2018:
	s_mov_b32 s6, 0x37ffffff
	v_cmp_lt_u32_e32 vcc, s6, v4
	s_mov_b64 s[6:7], 0
                                        ; implicit-def: $vgpr4
	s_and_saveexec_b64 s[8:9], vcc
	s_xor_b64 s[8:9], exec, s[8:9]
	s_cbranch_execz .LBB175_2120
; %bb.2019:
	v_bfe_u32 v4, v3, 21, 1
	s_mov_b32 s10, 0x88fffff
	v_add3_u32 v4, v3, v4, s10
	s_mov_b64 s[6:7], exec
	v_lshrrev_b32_e32 v4, 21, v4
	s_andn2_saveexec_b64 s[8:9], s[8:9]
	s_cbranch_execnz .LBB175_2121
.LBB175_2020:
	s_or_b64 exec, exec, s[8:9]
	v_mov_b32_e32 v5, 0
	s_and_saveexec_b64 s[8:9], s[6:7]
.LBB175_2021:
	v_lshrrev_b32_e32 v3, 24, v3
	s_movk_i32 s6, 0x80
	v_and_or_b32 v5, v3, s6, v4
.LBB175_2022:
	s_or_b64 exec, exec, s[8:9]
.LBB175_2023:
	s_or_b64 exec, exec, s[4:5]
	s_mov_b64 s[4:5], 0
	global_store_byte v[0:1], v5, off
.LBB175_2024:
	s_and_b64 vcc, exec, s[4:5]
	s_cbranch_vccz .LBB175_2034
; %bb.2025:
	v_cvt_f32_i32_e32 v3, v2
	s_mov_b32 s4, 0x43f00000
                                        ; implicit-def: $vgpr4
	v_and_b32_e32 v5, 0x7fffffff, v3
	v_cmp_gt_u32_e32 vcc, s4, v5
	s_and_saveexec_b64 s[4:5], vcc
	s_xor_b64 s[4:5], exec, s[4:5]
	s_cbranch_execz .LBB175_2031
; %bb.2026:
	s_mov_b32 s6, 0x3c7fffff
	v_cmp_lt_u32_e32 vcc, s6, v5
                                        ; implicit-def: $vgpr4
	s_and_saveexec_b64 s[6:7], vcc
	s_xor_b64 s[6:7], exec, s[6:7]
; %bb.2027:
	v_bfe_u32 v4, v3, 20, 1
	s_mov_b32 s8, 0x407ffff
	v_add3_u32 v4, v3, v4, s8
	v_lshrrev_b32_e32 v5, 20, v4
	v_and_b32_e32 v4, 0xff00000, v4
	s_mov_b32 s8, 0x7f00000
	v_mov_b32_e32 v6, 0x7e
	v_cmp_ne_u32_e32 vcc, s8, v4
	v_cndmask_b32_e32 v4, v6, v5, vcc
; %bb.2028:
	s_andn2_saveexec_b64 s[6:7], s[6:7]
; %bb.2029:
	s_mov_b32 s8, 0x46800000
	v_add_f32_e64 v4, |v3|, s8
; %bb.2030:
	s_or_b64 exec, exec, s[6:7]
                                        ; implicit-def: $vgpr5
.LBB175_2031:
	s_andn2_saveexec_b64 s[4:5], s[4:5]
; %bb.2032:
	s_mov_b32 s6, 0x7f800000
	v_mov_b32_e32 v4, 0x7e
	v_mov_b32_e32 v6, 0x7f
	v_cmp_lt_u32_e32 vcc, s6, v5
	v_cndmask_b32_e32 v4, v4, v6, vcc
; %bb.2033:
	s_or_b64 exec, exec, s[4:5]
	v_lshrrev_b32_e32 v3, 24, v3
	s_movk_i32 s4, 0x80
	v_and_or_b32 v3, v3, s4, v4
	global_store_byte v[0:1], v3, off
.LBB175_2034:
	s_mov_b64 s[4:5], 0
.LBB175_2035:
	s_andn2_b64 vcc, exec, s[4:5]
	s_cbranch_vccnz .LBB175_2045
; %bb.2036:
	v_cvt_f32_i32_e32 v3, v2
	s_mov_b32 s4, 0x47800000
                                        ; implicit-def: $vgpr4
	v_and_b32_e32 v5, 0x7fffffff, v3
	v_cmp_gt_u32_e32 vcc, s4, v5
	s_and_saveexec_b64 s[4:5], vcc
	s_xor_b64 s[4:5], exec, s[4:5]
	s_cbranch_execz .LBB175_2042
; %bb.2037:
	s_mov_b32 s6, 0x387fffff
	v_cmp_lt_u32_e32 vcc, s6, v5
                                        ; implicit-def: $vgpr4
	s_and_saveexec_b64 s[6:7], vcc
	s_xor_b64 s[6:7], exec, s[6:7]
; %bb.2038:
	v_bfe_u32 v4, v3, 21, 1
	s_mov_b32 s8, 0x80fffff
	v_add3_u32 v4, v3, v4, s8
	v_lshrrev_b32_e32 v4, 21, v4
; %bb.2039:
	s_andn2_saveexec_b64 s[6:7], s[6:7]
; %bb.2040:
	s_mov_b32 s8, 0x43000000
	v_add_f32_e64 v4, |v3|, s8
; %bb.2041:
	s_or_b64 exec, exec, s[6:7]
                                        ; implicit-def: $vgpr5
.LBB175_2042:
	s_andn2_saveexec_b64 s[4:5], s[4:5]
; %bb.2043:
	s_mov_b32 s6, 0x7f800000
	v_mov_b32_e32 v4, 0x7c
	v_mov_b32_e32 v6, 0x7f
	v_cmp_lt_u32_e32 vcc, s6, v5
	v_cndmask_b32_e32 v4, v4, v6, vcc
; %bb.2044:
	s_or_b64 exec, exec, s[4:5]
	v_lshrrev_b32_e32 v3, 24, v3
	s_movk_i32 s4, 0x80
	v_and_or_b32 v3, v3, s4, v4
	global_store_byte v[0:1], v3, off
.LBB175_2045:
	s_mov_b64 s[4:5], 0
.LBB175_2046:
	s_andn2_b64 vcc, exec, s[4:5]
	s_mov_b64 s[4:5], 0
	s_cbranch_vccnz .LBB175_2053
; %bb.2047:
	s_cmp_gt_i32 s17, 14
	s_mov_b64 s[6:7], -1
	s_cbranch_scc0 .LBB175_2051
; %bb.2048:
	s_cmp_eq_u32 s17, 15
	s_mov_b64 s[0:1], -1
	s_cbranch_scc0 .LBB175_2050
; %bb.2049:
	v_cvt_f32_i32_e32 v3, v2
	s_movk_i32 s0, 0x7fff
	v_bfe_u32 v4, v3, 16, 1
	v_add3_u32 v3, v3, v4, s0
	global_store_short_d16_hi v[0:1], v3, off
	s_mov_b64 s[0:1], 0
.LBB175_2050:
	s_mov_b64 s[6:7], 0
.LBB175_2051:
	s_and_b64 vcc, exec, s[6:7]
	s_cbranch_vccz .LBB175_2053
; %bb.2052:
	s_cmp_lg_u32 s17, 11
	s_mov_b64 s[4:5], -1
	s_cselect_b64 s[0:1], -1, 0
.LBB175_2053:
	s_and_b64 vcc, exec, s[0:1]
	s_cbranch_vccnz .LBB175_2119
.LBB175_2054:
	s_mov_b64 s[0:1], 0
	s_branch .LBB175_2056
.LBB175_2055:
	s_mov_b64 s[0:1], 0
	s_mov_b64 s[4:5], 0
                                        ; implicit-def: $vgpr0_vgpr1
                                        ; implicit-def: $sgpr16
                                        ; implicit-def: $vgpr2
.LBB175_2056:
	s_and_b64 s[6:7], s[4:5], exec
	s_andn2_b64 s[4:5], s[28:29], exec
	s_and_b64 s[2:3], s[2:3], exec
	s_and_b64 s[0:1], s[0:1], exec
	s_or_b64 s[28:29], s[4:5], s[2:3]
.LBB175_2057:
	s_or_b64 exec, exec, s[30:31]
	s_and_saveexec_b64 s[2:3], s[28:29]
	s_cbranch_execz .LBB175_2060
; %bb.2058:
	; divergent unreachable
	s_or_b64 exec, exec, s[2:3]
	s_and_saveexec_b64 s[2:3], s[6:7]
	s_xor_b64 s[2:3], exec, s[2:3]
	s_cbranch_execnz .LBB175_2061
.LBB175_2059:
	s_or_b64 exec, exec, s[2:3]
	s_and_saveexec_b64 s[2:3], s[0:1]
	s_cbranch_execnz .LBB175_2062
	s_branch .LBB175_2099
.LBB175_2060:
	s_or_b64 exec, exec, s[2:3]
	s_and_saveexec_b64 s[2:3], s[6:7]
	s_xor_b64 s[2:3], exec, s[2:3]
	s_cbranch_execz .LBB175_2059
.LBB175_2061:
	v_cmp_ne_u32_e32 vcc, 0, v2
	s_waitcnt vmcnt(0)
	v_cndmask_b32_e64 v3, 0, 1, vcc
	global_store_byte v[0:1], v3, off
	s_or_b64 exec, exec, s[2:3]
	s_and_saveexec_b64 s[2:3], s[0:1]
	s_cbranch_execz .LBB175_2099
.LBB175_2062:
	s_sext_i32_i16 s2, s16
	s_cmp_lt_i32 s2, 5
	s_mov_b64 s[0:1], -1
	s_cbranch_scc1 .LBB175_2083
; %bb.2063:
	s_cmp_lt_i32 s2, 8
	s_cbranch_scc1 .LBB175_2073
; %bb.2064:
	s_cmp_lt_i32 s2, 9
	s_cbranch_scc1 .LBB175_2070
; %bb.2065:
	s_cmp_gt_i32 s2, 9
	s_cbranch_scc0 .LBB175_2067
; %bb.2066:
	s_waitcnt vmcnt(0)
	v_cvt_f64_i32_e32 v[3:4], v2
	v_mov_b32_e32 v5, 0
	v_mov_b32_e32 v6, v5
	s_mov_b64 s[0:1], 0
	global_store_dwordx4 v[0:1], v[3:6], off
.LBB175_2067:
	s_andn2_b64 vcc, exec, s[0:1]
	s_cbranch_vccnz .LBB175_2069
; %bb.2068:
	s_waitcnt vmcnt(0)
	v_cvt_f32_i32_e32 v3, v2
	v_mov_b32_e32 v4, 0
	global_store_dwordx2 v[0:1], v[3:4], off
.LBB175_2069:
	s_mov_b64 s[0:1], 0
.LBB175_2070:
	s_andn2_b64 vcc, exec, s[0:1]
	s_cbranch_vccnz .LBB175_2072
; %bb.2071:
	s_waitcnt vmcnt(0)
	v_cvt_f32_i32_e32 v3, v2
	v_cvt_f16_f32_e32 v3, v3
	global_store_dword v[0:1], v3, off
.LBB175_2072:
	s_mov_b64 s[0:1], 0
.LBB175_2073:
	s_andn2_b64 vcc, exec, s[0:1]
	s_cbranch_vccnz .LBB175_2082
; %bb.2074:
	s_sext_i32_i16 s2, s16
	s_cmp_lt_i32 s2, 6
	s_mov_b64 s[0:1], -1
	s_cbranch_scc1 .LBB175_2080
; %bb.2075:
	s_cmp_gt_i32 s2, 6
	s_cbranch_scc0 .LBB175_2077
; %bb.2076:
	s_waitcnt vmcnt(0)
	v_cvt_f64_i32_e32 v[3:4], v2
	s_mov_b64 s[0:1], 0
	global_store_dwordx2 v[0:1], v[3:4], off
.LBB175_2077:
	s_andn2_b64 vcc, exec, s[0:1]
	s_cbranch_vccnz .LBB175_2079
; %bb.2078:
	s_waitcnt vmcnt(0)
	v_cvt_f32_i32_e32 v3, v2
	global_store_dword v[0:1], v3, off
.LBB175_2079:
	s_mov_b64 s[0:1], 0
.LBB175_2080:
	s_andn2_b64 vcc, exec, s[0:1]
	s_cbranch_vccnz .LBB175_2082
; %bb.2081:
	s_waitcnt vmcnt(0)
	v_cvt_f32_i32_e32 v3, v2
	v_cvt_f16_f32_e32 v3, v3
	global_store_short v[0:1], v3, off
.LBB175_2082:
	s_mov_b64 s[0:1], 0
.LBB175_2083:
	s_andn2_b64 vcc, exec, s[0:1]
	s_cbranch_vccnz .LBB175_2099
; %bb.2084:
	s_sext_i32_i16 s2, s16
	s_cmp_lt_i32 s2, 2
	s_mov_b64 s[0:1], -1
	s_cbranch_scc1 .LBB175_2094
; %bb.2085:
	s_cmp_lt_i32 s2, 3
	s_cbranch_scc1 .LBB175_2091
; %bb.2086:
	s_cmp_gt_i32 s2, 3
	s_cbranch_scc0 .LBB175_2088
; %bb.2087:
	s_waitcnt vmcnt(0)
	v_ashrrev_i32_e32 v3, 31, v2
	global_store_dwordx2 v[0:1], v[2:3], off
	s_mov_b64 s[0:1], 0
.LBB175_2088:
	s_andn2_b64 vcc, exec, s[0:1]
	s_cbranch_vccnz .LBB175_2090
; %bb.2089:
	s_waitcnt vmcnt(0)
	global_store_dword v[0:1], v2, off
.LBB175_2090:
	s_mov_b64 s[0:1], 0
.LBB175_2091:
	s_andn2_b64 vcc, exec, s[0:1]
	s_cbranch_vccnz .LBB175_2093
; %bb.2092:
	s_waitcnt vmcnt(0)
	global_store_short v[0:1], v2, off
.LBB175_2093:
	s_mov_b64 s[0:1], 0
.LBB175_2094:
	s_andn2_b64 vcc, exec, s[0:1]
	s_cbranch_vccnz .LBB175_2099
; %bb.2095:
	s_sext_i32_i16 s0, s16
	s_cmp_gt_i32 s0, 0
	s_mov_b64 s[0:1], -1
	s_cbranch_scc0 .LBB175_2097
; %bb.2096:
	s_waitcnt vmcnt(0)
	global_store_byte v[0:1], v2, off
	s_mov_b64 s[0:1], 0
.LBB175_2097:
	s_andn2_b64 vcc, exec, s[0:1]
	s_cbranch_vccnz .LBB175_2099
; %bb.2098:
	s_waitcnt vmcnt(0)
	global_store_byte v[0:1], v2, off
	s_endpgm
.LBB175_2099:
	s_endpgm
.LBB175_2100:
	s_mov_b64 s[4:5], 0
	s_mov_b64 s[0:1], -1
	s_branch .LBB175_2056
.LBB175_2101:
	s_trap 2
	s_or_b64 s[2:3], s[2:3], exec
	s_cbranch_execz .LBB175_1570
	s_branch .LBB175_1571
.LBB175_2102:
	s_andn2_saveexec_b64 s[14:15], s[14:15]
	s_cbranch_execz .LBB175_1650
.LBB175_2103:
	s_mov_b32 s17, 0x46000000
	v_add_f32_e64 v10, |v6|, s17
	v_and_b32_e32 v10, 0xff, v10
	v_cmp_ne_u32_e32 vcc, 0, v10
	s_andn2_b64 s[12:13], s[12:13], exec
	s_and_b64 s[18:19], vcc, exec
	s_or_b64 s[12:13], s[12:13], s[18:19]
	s_or_b64 exec, exec, s[14:15]
	v_mov_b32_e32 v11, 0
	s_and_saveexec_b64 s[14:15], s[12:13]
	s_cbranch_execnz .LBB175_1651
	s_branch .LBB175_1652
.LBB175_2104:
	s_trap 2
	s_or_b64 s[2:3], s[2:3], exec
	s_cbranch_execz .LBB175_1698
	s_branch .LBB175_1699
.LBB175_2105:
	s_andn2_saveexec_b64 s[12:13], s[12:13]
	s_cbranch_execz .LBB175_1663
.LBB175_2106:
	s_mov_b32 s14, 0x42800000
	v_add_f32_e64 v10, |v6|, s14
	v_and_b32_e32 v10, 0xff, v10
	v_cmp_ne_u32_e32 vcc, 0, v10
	s_andn2_b64 s[10:11], s[10:11], exec
	s_and_b64 s[14:15], vcc, exec
	s_or_b64 s[10:11], s[10:11], s[14:15]
	s_or_b64 exec, exec, s[12:13]
	v_mov_b32_e32 v11, 0
	s_and_saveexec_b64 s[12:13], s[10:11]
	s_cbranch_execnz .LBB175_1664
	s_branch .LBB175_1665
.LBB175_2107:
	s_andn2_saveexec_b64 s[14:15], s[14:15]
	s_cbranch_execz .LBB175_1769
.LBB175_2108:
	s_mov_b32 s5, 0x46000000
	v_add_f32_e64 v7, |v4|, s5
	v_and_b32_e32 v7, 0xff, v7
	v_cmp_ne_u32_e32 vcc, 0, v7
	s_andn2_b64 s[12:13], s[12:13], exec
	s_and_b64 s[18:19], vcc, exec
	s_or_b64 s[12:13], s[12:13], s[18:19]
	s_or_b64 exec, exec, s[14:15]
	v_mov_b32_e32 v8, 0
	s_and_saveexec_b64 s[14:15], s[12:13]
	s_cbranch_execnz .LBB175_1770
	s_branch .LBB175_1771
.LBB175_2109:
	s_trap 2
	s_or_b64 s[2:3], s[2:3], exec
	s_cbranch_execz .LBB175_1817
	s_branch .LBB175_1818
.LBB175_2110:
	s_andn2_saveexec_b64 s[12:13], s[12:13]
	s_cbranch_execz .LBB175_1782
.LBB175_2111:
	s_mov_b32 s5, 0x42800000
	v_add_f32_e64 v7, |v4|, s5
	v_and_b32_e32 v7, 0xff, v7
	v_cmp_ne_u32_e32 vcc, 0, v7
	s_andn2_b64 s[10:11], s[10:11], exec
	s_and_b64 s[14:15], vcc, exec
	s_or_b64 s[10:11], s[10:11], s[14:15]
	s_or_b64 exec, exec, s[12:13]
	v_mov_b32_e32 v8, 0
	s_and_saveexec_b64 s[12:13], s[10:11]
	s_cbranch_execnz .LBB175_1783
	s_branch .LBB175_1784
.LBB175_2112:
	s_andn2_saveexec_b64 s[14:15], s[14:15]
	s_cbranch_execz .LBB175_1888
.LBB175_2113:
	s_mov_b32 s5, 0x46000000
	v_add_f32_e64 v5, |v2|, s5
	v_and_b32_e32 v5, 0xff, v5
	v_cmp_ne_u32_e32 vcc, 0, v5
	s_andn2_b64 s[12:13], s[12:13], exec
	s_and_b64 s[18:19], vcc, exec
	s_or_b64 s[12:13], s[12:13], s[18:19]
	s_or_b64 exec, exec, s[14:15]
	v_mov_b32_e32 v6, 0
	s_and_saveexec_b64 s[14:15], s[12:13]
	s_cbranch_execnz .LBB175_1889
	s_branch .LBB175_1890
.LBB175_2114:
	s_trap 2
	s_or_b64 s[2:3], s[2:3], exec
	s_cbranch_execz .LBB175_1936
	s_branch .LBB175_1937
.LBB175_2115:
	s_andn2_saveexec_b64 s[12:13], s[12:13]
	s_cbranch_execz .LBB175_1901
.LBB175_2116:
	s_mov_b32 s5, 0x42800000
	v_add_f32_e64 v5, |v2|, s5
	v_and_b32_e32 v5, 0xff, v5
	v_cmp_ne_u32_e32 vcc, 0, v5
	s_andn2_b64 s[10:11], s[10:11], exec
	s_and_b64 s[14:15], vcc, exec
	s_or_b64 s[10:11], s[10:11], s[14:15]
	s_or_b64 exec, exec, s[12:13]
	v_mov_b32_e32 v6, 0
	s_and_saveexec_b64 s[12:13], s[10:11]
	s_cbranch_execnz .LBB175_1902
	s_branch .LBB175_1903
.LBB175_2117:
	s_andn2_saveexec_b64 s[10:11], s[10:11]
	s_cbranch_execz .LBB175_2008
.LBB175_2118:
	s_mov_b32 s12, 0x46000000
	v_add_f32_e64 v4, |v3|, s12
	v_and_b32_e32 v4, 0xff, v4
	v_cmp_ne_u32_e32 vcc, 0, v4
	s_andn2_b64 s[8:9], s[8:9], exec
	s_and_b64 s[12:13], vcc, exec
	s_or_b64 s[8:9], s[8:9], s[12:13]
	s_or_b64 exec, exec, s[10:11]
	v_mov_b32_e32 v5, 0
	s_and_saveexec_b64 s[10:11], s[8:9]
	s_cbranch_execnz .LBB175_2009
	s_branch .LBB175_2010
.LBB175_2119:
	s_mov_b64 s[4:5], 0
	s_or_b64 s[2:3], s[2:3], exec
	s_trap 2
	s_branch .LBB175_2054
.LBB175_2120:
	s_andn2_saveexec_b64 s[8:9], s[8:9]
	s_cbranch_execz .LBB175_2020
.LBB175_2121:
	s_mov_b32 s10, 0x42800000
	v_add_f32_e64 v4, |v3|, s10
	v_and_b32_e32 v4, 0xff, v4
	v_cmp_ne_u32_e32 vcc, 0, v4
	s_andn2_b64 s[6:7], s[6:7], exec
	s_and_b64 s[10:11], vcc, exec
	s_or_b64 s[6:7], s[6:7], s[10:11]
	s_or_b64 exec, exec, s[8:9]
	v_mov_b32_e32 v5, 0
	s_and_saveexec_b64 s[8:9], s[6:7]
	s_cbranch_execnz .LBB175_2021
	s_branch .LBB175_2022
	.section	.rodata,"a",@progbits
	.p2align	6, 0x0
	.amdhsa_kernel _ZN2at6native32elementwise_kernel_manual_unrollILi128ELi4EZNS0_15gpu_kernel_implINS0_13AUnaryFunctorIiiiZZZNS0_18rshift_kernel_cudaERNS_18TensorIteratorBaseEENKUlvE_clEvENKUlvE1_clEvEUliiE_EEEEvS5_RKT_EUlibE0_EEviT1_
		.amdhsa_group_segment_fixed_size 0
		.amdhsa_private_segment_fixed_size 0
		.amdhsa_kernarg_size 368
		.amdhsa_user_sgpr_count 6
		.amdhsa_user_sgpr_private_segment_buffer 1
		.amdhsa_user_sgpr_dispatch_ptr 0
		.amdhsa_user_sgpr_queue_ptr 0
		.amdhsa_user_sgpr_kernarg_segment_ptr 1
		.amdhsa_user_sgpr_dispatch_id 0
		.amdhsa_user_sgpr_flat_scratch_init 0
		.amdhsa_user_sgpr_private_segment_size 0
		.amdhsa_uses_dynamic_stack 0
		.amdhsa_system_sgpr_private_segment_wavefront_offset 0
		.amdhsa_system_sgpr_workgroup_id_x 1
		.amdhsa_system_sgpr_workgroup_id_y 0
		.amdhsa_system_sgpr_workgroup_id_z 0
		.amdhsa_system_sgpr_workgroup_info 0
		.amdhsa_system_vgpr_workitem_id 0
		.amdhsa_next_free_vgpr 18
		.amdhsa_next_free_sgpr 79
		.amdhsa_reserve_vcc 1
		.amdhsa_reserve_flat_scratch 0
		.amdhsa_float_round_mode_32 0
		.amdhsa_float_round_mode_16_64 0
		.amdhsa_float_denorm_mode_32 3
		.amdhsa_float_denorm_mode_16_64 3
		.amdhsa_dx10_clamp 1
		.amdhsa_ieee_mode 1
		.amdhsa_fp16_overflow 0
		.amdhsa_exception_fp_ieee_invalid_op 0
		.amdhsa_exception_fp_denorm_src 0
		.amdhsa_exception_fp_ieee_div_zero 0
		.amdhsa_exception_fp_ieee_overflow 0
		.amdhsa_exception_fp_ieee_underflow 0
		.amdhsa_exception_fp_ieee_inexact 0
		.amdhsa_exception_int_div_zero 0
	.end_amdhsa_kernel
	.section	.text._ZN2at6native32elementwise_kernel_manual_unrollILi128ELi4EZNS0_15gpu_kernel_implINS0_13AUnaryFunctorIiiiZZZNS0_18rshift_kernel_cudaERNS_18TensorIteratorBaseEENKUlvE_clEvENKUlvE1_clEvEUliiE_EEEEvS5_RKT_EUlibE0_EEviT1_,"axG",@progbits,_ZN2at6native32elementwise_kernel_manual_unrollILi128ELi4EZNS0_15gpu_kernel_implINS0_13AUnaryFunctorIiiiZZZNS0_18rshift_kernel_cudaERNS_18TensorIteratorBaseEENKUlvE_clEvENKUlvE1_clEvEUliiE_EEEEvS5_RKT_EUlibE0_EEviT1_,comdat
.Lfunc_end175:
	.size	_ZN2at6native32elementwise_kernel_manual_unrollILi128ELi4EZNS0_15gpu_kernel_implINS0_13AUnaryFunctorIiiiZZZNS0_18rshift_kernel_cudaERNS_18TensorIteratorBaseEENKUlvE_clEvENKUlvE1_clEvEUliiE_EEEEvS5_RKT_EUlibE0_EEviT1_, .Lfunc_end175-_ZN2at6native32elementwise_kernel_manual_unrollILi128ELi4EZNS0_15gpu_kernel_implINS0_13AUnaryFunctorIiiiZZZNS0_18rshift_kernel_cudaERNS_18TensorIteratorBaseEENKUlvE_clEvENKUlvE1_clEvEUliiE_EEEEvS5_RKT_EUlibE0_EEviT1_
                                        ; -- End function
	.set _ZN2at6native32elementwise_kernel_manual_unrollILi128ELi4EZNS0_15gpu_kernel_implINS0_13AUnaryFunctorIiiiZZZNS0_18rshift_kernel_cudaERNS_18TensorIteratorBaseEENKUlvE_clEvENKUlvE1_clEvEUliiE_EEEEvS5_RKT_EUlibE0_EEviT1_.num_vgpr, 18
	.set _ZN2at6native32elementwise_kernel_manual_unrollILi128ELi4EZNS0_15gpu_kernel_implINS0_13AUnaryFunctorIiiiZZZNS0_18rshift_kernel_cudaERNS_18TensorIteratorBaseEENKUlvE_clEvENKUlvE1_clEvEUliiE_EEEEvS5_RKT_EUlibE0_EEviT1_.num_agpr, 0
	.set _ZN2at6native32elementwise_kernel_manual_unrollILi128ELi4EZNS0_15gpu_kernel_implINS0_13AUnaryFunctorIiiiZZZNS0_18rshift_kernel_cudaERNS_18TensorIteratorBaseEENKUlvE_clEvENKUlvE1_clEvEUliiE_EEEEvS5_RKT_EUlibE0_EEviT1_.numbered_sgpr, 79
	.set _ZN2at6native32elementwise_kernel_manual_unrollILi128ELi4EZNS0_15gpu_kernel_implINS0_13AUnaryFunctorIiiiZZZNS0_18rshift_kernel_cudaERNS_18TensorIteratorBaseEENKUlvE_clEvENKUlvE1_clEvEUliiE_EEEEvS5_RKT_EUlibE0_EEviT1_.num_named_barrier, 0
	.set _ZN2at6native32elementwise_kernel_manual_unrollILi128ELi4EZNS0_15gpu_kernel_implINS0_13AUnaryFunctorIiiiZZZNS0_18rshift_kernel_cudaERNS_18TensorIteratorBaseEENKUlvE_clEvENKUlvE1_clEvEUliiE_EEEEvS5_RKT_EUlibE0_EEviT1_.private_seg_size, 0
	.set _ZN2at6native32elementwise_kernel_manual_unrollILi128ELi4EZNS0_15gpu_kernel_implINS0_13AUnaryFunctorIiiiZZZNS0_18rshift_kernel_cudaERNS_18TensorIteratorBaseEENKUlvE_clEvENKUlvE1_clEvEUliiE_EEEEvS5_RKT_EUlibE0_EEviT1_.uses_vcc, 1
	.set _ZN2at6native32elementwise_kernel_manual_unrollILi128ELi4EZNS0_15gpu_kernel_implINS0_13AUnaryFunctorIiiiZZZNS0_18rshift_kernel_cudaERNS_18TensorIteratorBaseEENKUlvE_clEvENKUlvE1_clEvEUliiE_EEEEvS5_RKT_EUlibE0_EEviT1_.uses_flat_scratch, 0
	.set _ZN2at6native32elementwise_kernel_manual_unrollILi128ELi4EZNS0_15gpu_kernel_implINS0_13AUnaryFunctorIiiiZZZNS0_18rshift_kernel_cudaERNS_18TensorIteratorBaseEENKUlvE_clEvENKUlvE1_clEvEUliiE_EEEEvS5_RKT_EUlibE0_EEviT1_.has_dyn_sized_stack, 0
	.set _ZN2at6native32elementwise_kernel_manual_unrollILi128ELi4EZNS0_15gpu_kernel_implINS0_13AUnaryFunctorIiiiZZZNS0_18rshift_kernel_cudaERNS_18TensorIteratorBaseEENKUlvE_clEvENKUlvE1_clEvEUliiE_EEEEvS5_RKT_EUlibE0_EEviT1_.has_recursion, 0
	.set _ZN2at6native32elementwise_kernel_manual_unrollILi128ELi4EZNS0_15gpu_kernel_implINS0_13AUnaryFunctorIiiiZZZNS0_18rshift_kernel_cudaERNS_18TensorIteratorBaseEENKUlvE_clEvENKUlvE1_clEvEUliiE_EEEEvS5_RKT_EUlibE0_EEviT1_.has_indirect_call, 0
	.section	.AMDGPU.csdata,"",@progbits
; Kernel info:
; codeLenInByte = 34636
; TotalNumSgprs: 83
; NumVgprs: 18
; ScratchSize: 0
; MemoryBound: 1
; FloatMode: 240
; IeeeMode: 1
; LDSByteSize: 0 bytes/workgroup (compile time only)
; SGPRBlocks: 10
; VGPRBlocks: 4
; NumSGPRsForWavesPerEU: 83
; NumVGPRsForWavesPerEU: 18
; Occupancy: 9
; WaveLimiterHint : 1
; COMPUTE_PGM_RSRC2:SCRATCH_EN: 0
; COMPUTE_PGM_RSRC2:USER_SGPR: 6
; COMPUTE_PGM_RSRC2:TRAP_HANDLER: 0
; COMPUTE_PGM_RSRC2:TGID_X_EN: 1
; COMPUTE_PGM_RSRC2:TGID_Y_EN: 0
; COMPUTE_PGM_RSRC2:TGID_Z_EN: 0
; COMPUTE_PGM_RSRC2:TIDIG_COMP_CNT: 0
	.section	.text._ZN2at6native29vectorized_elementwise_kernelILi16ENS0_13BUnaryFunctorIiiiZZZNS0_18rshift_kernel_cudaERNS_18TensorIteratorBaseEENKUlvE_clEvENKUlvE1_clEvEUliiE_EESt5arrayIPcLm2EEEEviT0_T1_,"axG",@progbits,_ZN2at6native29vectorized_elementwise_kernelILi16ENS0_13BUnaryFunctorIiiiZZZNS0_18rshift_kernel_cudaERNS_18TensorIteratorBaseEENKUlvE_clEvENKUlvE1_clEvEUliiE_EESt5arrayIPcLm2EEEEviT0_T1_,comdat
	.globl	_ZN2at6native29vectorized_elementwise_kernelILi16ENS0_13BUnaryFunctorIiiiZZZNS0_18rshift_kernel_cudaERNS_18TensorIteratorBaseEENKUlvE_clEvENKUlvE1_clEvEUliiE_EESt5arrayIPcLm2EEEEviT0_T1_ ; -- Begin function _ZN2at6native29vectorized_elementwise_kernelILi16ENS0_13BUnaryFunctorIiiiZZZNS0_18rshift_kernel_cudaERNS_18TensorIteratorBaseEENKUlvE_clEvENKUlvE1_clEvEUliiE_EESt5arrayIPcLm2EEEEviT0_T1_
	.p2align	8
	.type	_ZN2at6native29vectorized_elementwise_kernelILi16ENS0_13BUnaryFunctorIiiiZZZNS0_18rshift_kernel_cudaERNS_18TensorIteratorBaseEENKUlvE_clEvENKUlvE1_clEvEUliiE_EESt5arrayIPcLm2EEEEviT0_T1_,@function
_ZN2at6native29vectorized_elementwise_kernelILi16ENS0_13BUnaryFunctorIiiiZZZNS0_18rshift_kernel_cudaERNS_18TensorIteratorBaseEENKUlvE_clEvENKUlvE1_clEvEUliiE_EESt5arrayIPcLm2EEEEviT0_T1_: ; @_ZN2at6native29vectorized_elementwise_kernelILi16ENS0_13BUnaryFunctorIiiiZZZNS0_18rshift_kernel_cudaERNS_18TensorIteratorBaseEENKUlvE_clEvENKUlvE1_clEvEUliiE_EESt5arrayIPcLm2EEEEviT0_T1_
; %bb.0:
	s_load_dword s0, s[4:5], 0x0
	s_load_dword s15, s[4:5], 0x8
	s_load_dwordx4 s[8:11], s[4:5], 0x10
	s_lshl_b32 s2, s6, 10
	s_waitcnt lgkmcnt(0)
	s_sub_i32 s14, s0, s2
	s_cmpk_gt_i32 s14, 0x3ff
	s_mov_b64 s[0:1], -1
	s_cbranch_scc0 .LBB176_2
; %bb.1:
	s_ashr_i32 s3, s2, 31
	s_lshl_b64 s[0:1], s[2:3], 2
	s_add_u32 s4, s10, s0
	s_addc_u32 s5, s11, s1
	v_lshlrev_b32_e32 v5, 4, v0
	global_load_dwordx4 v[1:4], v5, s[4:5]
	s_min_u32 s3, s15, 31
	s_add_u32 s0, s8, s0
	s_addc_u32 s1, s9, s1
	s_waitcnt vmcnt(0)
	v_ashrrev_i32_e32 v1, s3, v1
	v_ashrrev_i32_e32 v2, s3, v2
	;; [unrolled: 1-line block ×4, first 2 shown]
	global_store_dwordx4 v5, v[1:4], s[0:1]
	s_mov_b64 s[0:1], 0
.LBB176_2:
	s_andn2_b64 vcc, exec, s[0:1]
	s_cbranch_vccnz .LBB176_16
; %bb.3:
	v_cmp_gt_i32_e32 vcc, s14, v0
	v_or_b32_e32 v6, 0x100, v0
	v_mov_b32_e32 v8, 0
	v_or_b32_e32 v1, s2, v0
	v_mov_b32_e32 v3, 0
	v_mov_b32_e32 v2, 0
	;; [unrolled: 1-line block ×3, first 2 shown]
	s_and_saveexec_b64 s[4:5], vcc
	s_cbranch_execz .LBB176_11
; %bb.4:
	v_mov_b32_e32 v2, 0
	v_lshlrev_b64 v[3:4], 2, v[1:2]
	v_mov_b32_e32 v5, s11
	v_add_co_u32_e64 v3, s[0:1], s10, v3
	v_addc_co_u32_e64 v4, s[0:1], v5, v4, s[0:1]
	global_load_dword v7, v[3:4], off
	v_cmp_gt_u32_e64 s[0:1], s14, v6
	v_mov_b32_e32 v3, v2
	v_mov_b32_e32 v8, v2
	s_and_saveexec_b64 s[6:7], s[0:1]
	s_cbranch_execz .LBB176_10
; %bb.5:
	v_add_u32_e32 v2, s2, v0
	v_mov_b32_e32 v3, 0
	v_lshlrev_b64 v[4:5], 2, v[2:3]
	v_mov_b32_e32 v2, s11
	v_add_co_u32_e64 v4, s[0:1], s10, v4
	v_addc_co_u32_e64 v5, s[0:1], v2, v5, s[0:1]
	global_load_dword v2, v[4:5], off offset:1024
	v_or_b32_e32 v8, 0x200, v0
	v_cmp_gt_u32_e64 s[0:1], s14, v8
	v_mov_b32_e32 v8, v3
	s_and_saveexec_b64 s[10:11], s[0:1]
	s_cbranch_execz .LBB176_9
; %bb.6:
	global_load_dword v3, v[4:5], off offset:2048
	v_or_b32_e32 v8, 0x300, v0
	v_cmp_gt_u32_e64 s[0:1], s14, v8
	v_mov_b32_e32 v8, 0
	s_and_saveexec_b64 s[12:13], s[0:1]
	s_cbranch_execz .LBB176_8
; %bb.7:
	global_load_dword v8, v[4:5], off offset:3072
.LBB176_8:
	s_or_b64 exec, exec, s[12:13]
.LBB176_9:
	s_or_b64 exec, exec, s[10:11]
.LBB176_10:
	s_or_b64 exec, exec, s[6:7]
.LBB176_11:
	s_or_b64 exec, exec, s[4:5]
	s_min_u32 s3, s15, 31
	s_waitcnt vmcnt(0)
	v_ashrrev_i32_e32 v2, s3, v2
	v_cmp_gt_i32_e64 s[0:1], s14, v6
	v_cndmask_b32_e64 v5, 0, v2, s[0:1]
	v_or_b32_e32 v2, 0x200, v0
	v_ashrrev_i32_e32 v4, s3, v7
	v_ashrrev_i32_e32 v3, s3, v3
	v_cmp_gt_i32_e64 s[0:1], s14, v2
	v_or_b32_e32 v2, 0x300, v0
	v_cndmask_b32_e32 v7, 0, v4, vcc
	v_cndmask_b32_e64 v4, 0, v3, s[0:1]
	v_ashrrev_i32_e32 v3, s3, v8
	v_cmp_gt_i32_e64 s[0:1], s14, v2
	v_cndmask_b32_e64 v3, 0, v3, s[0:1]
	s_and_saveexec_b64 s[0:1], vcc
	s_cbranch_execnz .LBB176_17
; %bb.12:
	s_or_b64 exec, exec, s[0:1]
	v_cmp_gt_i32_e32 vcc, s14, v0
	s_and_saveexec_b64 s[0:1], vcc
	s_cbranch_execnz .LBB176_18
.LBB176_13:
	s_or_b64 exec, exec, s[0:1]
	v_cmp_gt_i32_e32 vcc, s14, v0
	s_and_saveexec_b64 s[0:1], vcc
	s_cbranch_execnz .LBB176_19
.LBB176_14:
	s_or_b64 exec, exec, s[0:1]
	v_cmp_gt_i32_e32 vcc, s14, v0
	s_and_saveexec_b64 s[0:1], vcc
	s_cbranch_execz .LBB176_16
.LBB176_15:
	v_add_u32_e32 v0, s2, v0
	v_mov_b32_e32 v1, 0
	v_lshlrev_b64 v[0:1], 2, v[0:1]
	v_mov_b32_e32 v2, s9
	v_add_co_u32_e32 v0, vcc, s8, v0
	v_addc_co_u32_e32 v1, vcc, v2, v1, vcc
	global_store_dword v[0:1], v3, off
.LBB176_16:
	s_endpgm
.LBB176_17:
	v_mov_b32_e32 v2, 0
	v_lshlrev_b64 v[0:1], 2, v[1:2]
	v_mov_b32_e32 v2, s9
	v_add_co_u32_e32 v0, vcc, s8, v0
	v_addc_co_u32_e32 v1, vcc, v2, v1, vcc
	global_store_dword v[0:1], v7, off
	v_mov_b32_e32 v0, v6
	s_or_b64 exec, exec, s[0:1]
	v_cmp_gt_i32_e32 vcc, s14, v0
	s_and_saveexec_b64 s[0:1], vcc
	s_cbranch_execz .LBB176_13
.LBB176_18:
	v_add_u32_e32 v1, s2, v0
	v_mov_b32_e32 v2, 0
	v_lshlrev_b64 v[1:2], 2, v[1:2]
	v_mov_b32_e32 v6, s9
	v_add_co_u32_e32 v1, vcc, s8, v1
	v_addc_co_u32_e32 v2, vcc, v6, v2, vcc
	v_add_u32_e32 v0, 0x100, v0
	global_store_dword v[1:2], v5, off
	s_or_b64 exec, exec, s[0:1]
	v_cmp_gt_i32_e32 vcc, s14, v0
	s_and_saveexec_b64 s[0:1], vcc
	s_cbranch_execz .LBB176_14
.LBB176_19:
	v_add_u32_e32 v1, s2, v0
	v_mov_b32_e32 v2, 0
	v_lshlrev_b64 v[1:2], 2, v[1:2]
	v_mov_b32_e32 v5, s9
	v_add_co_u32_e32 v1, vcc, s8, v1
	v_addc_co_u32_e32 v2, vcc, v5, v2, vcc
	v_add_u32_e32 v0, 0x100, v0
	global_store_dword v[1:2], v4, off
	s_or_b64 exec, exec, s[0:1]
	v_cmp_gt_i32_e32 vcc, s14, v0
	s_and_saveexec_b64 s[0:1], vcc
	s_cbranch_execnz .LBB176_15
	s_branch .LBB176_16
	.section	.rodata,"a",@progbits
	.p2align	6, 0x0
	.amdhsa_kernel _ZN2at6native29vectorized_elementwise_kernelILi16ENS0_13BUnaryFunctorIiiiZZZNS0_18rshift_kernel_cudaERNS_18TensorIteratorBaseEENKUlvE_clEvENKUlvE1_clEvEUliiE_EESt5arrayIPcLm2EEEEviT0_T1_
		.amdhsa_group_segment_fixed_size 0
		.amdhsa_private_segment_fixed_size 0
		.amdhsa_kernarg_size 32
		.amdhsa_user_sgpr_count 6
		.amdhsa_user_sgpr_private_segment_buffer 1
		.amdhsa_user_sgpr_dispatch_ptr 0
		.amdhsa_user_sgpr_queue_ptr 0
		.amdhsa_user_sgpr_kernarg_segment_ptr 1
		.amdhsa_user_sgpr_dispatch_id 0
		.amdhsa_user_sgpr_flat_scratch_init 0
		.amdhsa_user_sgpr_private_segment_size 0
		.amdhsa_uses_dynamic_stack 0
		.amdhsa_system_sgpr_private_segment_wavefront_offset 0
		.amdhsa_system_sgpr_workgroup_id_x 1
		.amdhsa_system_sgpr_workgroup_id_y 0
		.amdhsa_system_sgpr_workgroup_id_z 0
		.amdhsa_system_sgpr_workgroup_info 0
		.amdhsa_system_vgpr_workitem_id 0
		.amdhsa_next_free_vgpr 9
		.amdhsa_next_free_sgpr 16
		.amdhsa_reserve_vcc 1
		.amdhsa_reserve_flat_scratch 0
		.amdhsa_float_round_mode_32 0
		.amdhsa_float_round_mode_16_64 0
		.amdhsa_float_denorm_mode_32 3
		.amdhsa_float_denorm_mode_16_64 3
		.amdhsa_dx10_clamp 1
		.amdhsa_ieee_mode 1
		.amdhsa_fp16_overflow 0
		.amdhsa_exception_fp_ieee_invalid_op 0
		.amdhsa_exception_fp_denorm_src 0
		.amdhsa_exception_fp_ieee_div_zero 0
		.amdhsa_exception_fp_ieee_overflow 0
		.amdhsa_exception_fp_ieee_underflow 0
		.amdhsa_exception_fp_ieee_inexact 0
		.amdhsa_exception_int_div_zero 0
	.end_amdhsa_kernel
	.section	.text._ZN2at6native29vectorized_elementwise_kernelILi16ENS0_13BUnaryFunctorIiiiZZZNS0_18rshift_kernel_cudaERNS_18TensorIteratorBaseEENKUlvE_clEvENKUlvE1_clEvEUliiE_EESt5arrayIPcLm2EEEEviT0_T1_,"axG",@progbits,_ZN2at6native29vectorized_elementwise_kernelILi16ENS0_13BUnaryFunctorIiiiZZZNS0_18rshift_kernel_cudaERNS_18TensorIteratorBaseEENKUlvE_clEvENKUlvE1_clEvEUliiE_EESt5arrayIPcLm2EEEEviT0_T1_,comdat
.Lfunc_end176:
	.size	_ZN2at6native29vectorized_elementwise_kernelILi16ENS0_13BUnaryFunctorIiiiZZZNS0_18rshift_kernel_cudaERNS_18TensorIteratorBaseEENKUlvE_clEvENKUlvE1_clEvEUliiE_EESt5arrayIPcLm2EEEEviT0_T1_, .Lfunc_end176-_ZN2at6native29vectorized_elementwise_kernelILi16ENS0_13BUnaryFunctorIiiiZZZNS0_18rshift_kernel_cudaERNS_18TensorIteratorBaseEENKUlvE_clEvENKUlvE1_clEvEUliiE_EESt5arrayIPcLm2EEEEviT0_T1_
                                        ; -- End function
	.set _ZN2at6native29vectorized_elementwise_kernelILi16ENS0_13BUnaryFunctorIiiiZZZNS0_18rshift_kernel_cudaERNS_18TensorIteratorBaseEENKUlvE_clEvENKUlvE1_clEvEUliiE_EESt5arrayIPcLm2EEEEviT0_T1_.num_vgpr, 9
	.set _ZN2at6native29vectorized_elementwise_kernelILi16ENS0_13BUnaryFunctorIiiiZZZNS0_18rshift_kernel_cudaERNS_18TensorIteratorBaseEENKUlvE_clEvENKUlvE1_clEvEUliiE_EESt5arrayIPcLm2EEEEviT0_T1_.num_agpr, 0
	.set _ZN2at6native29vectorized_elementwise_kernelILi16ENS0_13BUnaryFunctorIiiiZZZNS0_18rshift_kernel_cudaERNS_18TensorIteratorBaseEENKUlvE_clEvENKUlvE1_clEvEUliiE_EESt5arrayIPcLm2EEEEviT0_T1_.numbered_sgpr, 16
	.set _ZN2at6native29vectorized_elementwise_kernelILi16ENS0_13BUnaryFunctorIiiiZZZNS0_18rshift_kernel_cudaERNS_18TensorIteratorBaseEENKUlvE_clEvENKUlvE1_clEvEUliiE_EESt5arrayIPcLm2EEEEviT0_T1_.num_named_barrier, 0
	.set _ZN2at6native29vectorized_elementwise_kernelILi16ENS0_13BUnaryFunctorIiiiZZZNS0_18rshift_kernel_cudaERNS_18TensorIteratorBaseEENKUlvE_clEvENKUlvE1_clEvEUliiE_EESt5arrayIPcLm2EEEEviT0_T1_.private_seg_size, 0
	.set _ZN2at6native29vectorized_elementwise_kernelILi16ENS0_13BUnaryFunctorIiiiZZZNS0_18rshift_kernel_cudaERNS_18TensorIteratorBaseEENKUlvE_clEvENKUlvE1_clEvEUliiE_EESt5arrayIPcLm2EEEEviT0_T1_.uses_vcc, 1
	.set _ZN2at6native29vectorized_elementwise_kernelILi16ENS0_13BUnaryFunctorIiiiZZZNS0_18rshift_kernel_cudaERNS_18TensorIteratorBaseEENKUlvE_clEvENKUlvE1_clEvEUliiE_EESt5arrayIPcLm2EEEEviT0_T1_.uses_flat_scratch, 0
	.set _ZN2at6native29vectorized_elementwise_kernelILi16ENS0_13BUnaryFunctorIiiiZZZNS0_18rshift_kernel_cudaERNS_18TensorIteratorBaseEENKUlvE_clEvENKUlvE1_clEvEUliiE_EESt5arrayIPcLm2EEEEviT0_T1_.has_dyn_sized_stack, 0
	.set _ZN2at6native29vectorized_elementwise_kernelILi16ENS0_13BUnaryFunctorIiiiZZZNS0_18rshift_kernel_cudaERNS_18TensorIteratorBaseEENKUlvE_clEvENKUlvE1_clEvEUliiE_EESt5arrayIPcLm2EEEEviT0_T1_.has_recursion, 0
	.set _ZN2at6native29vectorized_elementwise_kernelILi16ENS0_13BUnaryFunctorIiiiZZZNS0_18rshift_kernel_cudaERNS_18TensorIteratorBaseEENKUlvE_clEvENKUlvE1_clEvEUliiE_EESt5arrayIPcLm2EEEEviT0_T1_.has_indirect_call, 0
	.section	.AMDGPU.csdata,"",@progbits
; Kernel info:
; codeLenInByte = 728
; TotalNumSgprs: 20
; NumVgprs: 9
; ScratchSize: 0
; MemoryBound: 0
; FloatMode: 240
; IeeeMode: 1
; LDSByteSize: 0 bytes/workgroup (compile time only)
; SGPRBlocks: 2
; VGPRBlocks: 2
; NumSGPRsForWavesPerEU: 20
; NumVGPRsForWavesPerEU: 9
; Occupancy: 10
; WaveLimiterHint : 0
; COMPUTE_PGM_RSRC2:SCRATCH_EN: 0
; COMPUTE_PGM_RSRC2:USER_SGPR: 6
; COMPUTE_PGM_RSRC2:TRAP_HANDLER: 0
; COMPUTE_PGM_RSRC2:TGID_X_EN: 1
; COMPUTE_PGM_RSRC2:TGID_Y_EN: 0
; COMPUTE_PGM_RSRC2:TGID_Z_EN: 0
; COMPUTE_PGM_RSRC2:TIDIG_COMP_CNT: 0
	.section	.text._ZN2at6native29vectorized_elementwise_kernelILi8ENS0_13BUnaryFunctorIiiiZZZNS0_18rshift_kernel_cudaERNS_18TensorIteratorBaseEENKUlvE_clEvENKUlvE1_clEvEUliiE_EESt5arrayIPcLm2EEEEviT0_T1_,"axG",@progbits,_ZN2at6native29vectorized_elementwise_kernelILi8ENS0_13BUnaryFunctorIiiiZZZNS0_18rshift_kernel_cudaERNS_18TensorIteratorBaseEENKUlvE_clEvENKUlvE1_clEvEUliiE_EESt5arrayIPcLm2EEEEviT0_T1_,comdat
	.globl	_ZN2at6native29vectorized_elementwise_kernelILi8ENS0_13BUnaryFunctorIiiiZZZNS0_18rshift_kernel_cudaERNS_18TensorIteratorBaseEENKUlvE_clEvENKUlvE1_clEvEUliiE_EESt5arrayIPcLm2EEEEviT0_T1_ ; -- Begin function _ZN2at6native29vectorized_elementwise_kernelILi8ENS0_13BUnaryFunctorIiiiZZZNS0_18rshift_kernel_cudaERNS_18TensorIteratorBaseEENKUlvE_clEvENKUlvE1_clEvEUliiE_EESt5arrayIPcLm2EEEEviT0_T1_
	.p2align	8
	.type	_ZN2at6native29vectorized_elementwise_kernelILi8ENS0_13BUnaryFunctorIiiiZZZNS0_18rshift_kernel_cudaERNS_18TensorIteratorBaseEENKUlvE_clEvENKUlvE1_clEvEUliiE_EESt5arrayIPcLm2EEEEviT0_T1_,@function
_ZN2at6native29vectorized_elementwise_kernelILi8ENS0_13BUnaryFunctorIiiiZZZNS0_18rshift_kernel_cudaERNS_18TensorIteratorBaseEENKUlvE_clEvENKUlvE1_clEvEUliiE_EESt5arrayIPcLm2EEEEviT0_T1_: ; @_ZN2at6native29vectorized_elementwise_kernelILi8ENS0_13BUnaryFunctorIiiiZZZNS0_18rshift_kernel_cudaERNS_18TensorIteratorBaseEENKUlvE_clEvENKUlvE1_clEvEUliiE_EESt5arrayIPcLm2EEEEviT0_T1_
; %bb.0:
	s_load_dword s0, s[4:5], 0x0
	s_load_dword s15, s[4:5], 0x8
	s_load_dwordx4 s[8:11], s[4:5], 0x10
	s_lshl_b32 s2, s6, 10
	s_waitcnt lgkmcnt(0)
	s_sub_i32 s14, s0, s2
	s_cmpk_gt_i32 s14, 0x3ff
	s_mov_b64 s[0:1], -1
	s_cbranch_scc0 .LBB177_2
; %bb.1:
	s_ashr_i32 s3, s2, 31
	s_lshl_b64 s[0:1], s[2:3], 2
	s_add_u32 s4, s10, s0
	s_addc_u32 s5, s11, s1
	v_lshlrev_b32_e32 v5, 4, v0
	global_load_dwordx4 v[1:4], v5, s[4:5]
	s_min_u32 s3, s15, 31
	s_add_u32 s0, s8, s0
	s_addc_u32 s1, s9, s1
	s_waitcnt vmcnt(0)
	v_ashrrev_i32_e32 v1, s3, v1
	v_ashrrev_i32_e32 v2, s3, v2
	;; [unrolled: 1-line block ×4, first 2 shown]
	global_store_dwordx4 v5, v[1:4], s[0:1]
	s_mov_b64 s[0:1], 0
.LBB177_2:
	s_andn2_b64 vcc, exec, s[0:1]
	s_cbranch_vccnz .LBB177_16
; %bb.3:
	v_cmp_gt_i32_e32 vcc, s14, v0
	v_or_b32_e32 v6, 0x100, v0
	v_mov_b32_e32 v8, 0
	v_or_b32_e32 v1, s2, v0
	v_mov_b32_e32 v3, 0
	v_mov_b32_e32 v2, 0
	;; [unrolled: 1-line block ×3, first 2 shown]
	s_and_saveexec_b64 s[4:5], vcc
	s_cbranch_execz .LBB177_11
; %bb.4:
	v_mov_b32_e32 v2, 0
	v_lshlrev_b64 v[3:4], 2, v[1:2]
	v_mov_b32_e32 v5, s11
	v_add_co_u32_e64 v3, s[0:1], s10, v3
	v_addc_co_u32_e64 v4, s[0:1], v5, v4, s[0:1]
	global_load_dword v7, v[3:4], off
	v_cmp_gt_u32_e64 s[0:1], s14, v6
	v_mov_b32_e32 v3, v2
	v_mov_b32_e32 v8, v2
	s_and_saveexec_b64 s[6:7], s[0:1]
	s_cbranch_execz .LBB177_10
; %bb.5:
	v_add_u32_e32 v2, s2, v0
	v_mov_b32_e32 v3, 0
	v_lshlrev_b64 v[4:5], 2, v[2:3]
	v_mov_b32_e32 v2, s11
	v_add_co_u32_e64 v4, s[0:1], s10, v4
	v_addc_co_u32_e64 v5, s[0:1], v2, v5, s[0:1]
	global_load_dword v2, v[4:5], off offset:1024
	v_or_b32_e32 v8, 0x200, v0
	v_cmp_gt_u32_e64 s[0:1], s14, v8
	v_mov_b32_e32 v8, v3
	s_and_saveexec_b64 s[10:11], s[0:1]
	s_cbranch_execz .LBB177_9
; %bb.6:
	global_load_dword v3, v[4:5], off offset:2048
	v_or_b32_e32 v8, 0x300, v0
	v_cmp_gt_u32_e64 s[0:1], s14, v8
	v_mov_b32_e32 v8, 0
	s_and_saveexec_b64 s[12:13], s[0:1]
	s_cbranch_execz .LBB177_8
; %bb.7:
	global_load_dword v8, v[4:5], off offset:3072
.LBB177_8:
	s_or_b64 exec, exec, s[12:13]
.LBB177_9:
	s_or_b64 exec, exec, s[10:11]
.LBB177_10:
	s_or_b64 exec, exec, s[6:7]
.LBB177_11:
	s_or_b64 exec, exec, s[4:5]
	s_min_u32 s3, s15, 31
	s_waitcnt vmcnt(0)
	v_ashrrev_i32_e32 v2, s3, v2
	v_cmp_gt_i32_e64 s[0:1], s14, v6
	v_cndmask_b32_e64 v5, 0, v2, s[0:1]
	v_or_b32_e32 v2, 0x200, v0
	v_ashrrev_i32_e32 v4, s3, v7
	v_ashrrev_i32_e32 v3, s3, v3
	v_cmp_gt_i32_e64 s[0:1], s14, v2
	v_or_b32_e32 v2, 0x300, v0
	v_cndmask_b32_e32 v7, 0, v4, vcc
	v_cndmask_b32_e64 v4, 0, v3, s[0:1]
	v_ashrrev_i32_e32 v3, s3, v8
	v_cmp_gt_i32_e64 s[0:1], s14, v2
	v_cndmask_b32_e64 v3, 0, v3, s[0:1]
	s_and_saveexec_b64 s[0:1], vcc
	s_cbranch_execnz .LBB177_17
; %bb.12:
	s_or_b64 exec, exec, s[0:1]
	v_cmp_gt_i32_e32 vcc, s14, v0
	s_and_saveexec_b64 s[0:1], vcc
	s_cbranch_execnz .LBB177_18
.LBB177_13:
	s_or_b64 exec, exec, s[0:1]
	v_cmp_gt_i32_e32 vcc, s14, v0
	s_and_saveexec_b64 s[0:1], vcc
	s_cbranch_execnz .LBB177_19
.LBB177_14:
	s_or_b64 exec, exec, s[0:1]
	v_cmp_gt_i32_e32 vcc, s14, v0
	s_and_saveexec_b64 s[0:1], vcc
	s_cbranch_execz .LBB177_16
.LBB177_15:
	v_add_u32_e32 v0, s2, v0
	v_mov_b32_e32 v1, 0
	v_lshlrev_b64 v[0:1], 2, v[0:1]
	v_mov_b32_e32 v2, s9
	v_add_co_u32_e32 v0, vcc, s8, v0
	v_addc_co_u32_e32 v1, vcc, v2, v1, vcc
	global_store_dword v[0:1], v3, off
.LBB177_16:
	s_endpgm
.LBB177_17:
	v_mov_b32_e32 v2, 0
	v_lshlrev_b64 v[0:1], 2, v[1:2]
	v_mov_b32_e32 v2, s9
	v_add_co_u32_e32 v0, vcc, s8, v0
	v_addc_co_u32_e32 v1, vcc, v2, v1, vcc
	global_store_dword v[0:1], v7, off
	v_mov_b32_e32 v0, v6
	s_or_b64 exec, exec, s[0:1]
	v_cmp_gt_i32_e32 vcc, s14, v0
	s_and_saveexec_b64 s[0:1], vcc
	s_cbranch_execz .LBB177_13
.LBB177_18:
	v_add_u32_e32 v1, s2, v0
	v_mov_b32_e32 v2, 0
	v_lshlrev_b64 v[1:2], 2, v[1:2]
	v_mov_b32_e32 v6, s9
	v_add_co_u32_e32 v1, vcc, s8, v1
	v_addc_co_u32_e32 v2, vcc, v6, v2, vcc
	v_add_u32_e32 v0, 0x100, v0
	global_store_dword v[1:2], v5, off
	s_or_b64 exec, exec, s[0:1]
	v_cmp_gt_i32_e32 vcc, s14, v0
	s_and_saveexec_b64 s[0:1], vcc
	s_cbranch_execz .LBB177_14
.LBB177_19:
	v_add_u32_e32 v1, s2, v0
	v_mov_b32_e32 v2, 0
	v_lshlrev_b64 v[1:2], 2, v[1:2]
	v_mov_b32_e32 v5, s9
	v_add_co_u32_e32 v1, vcc, s8, v1
	v_addc_co_u32_e32 v2, vcc, v5, v2, vcc
	v_add_u32_e32 v0, 0x100, v0
	global_store_dword v[1:2], v4, off
	s_or_b64 exec, exec, s[0:1]
	v_cmp_gt_i32_e32 vcc, s14, v0
	s_and_saveexec_b64 s[0:1], vcc
	s_cbranch_execnz .LBB177_15
	s_branch .LBB177_16
	.section	.rodata,"a",@progbits
	.p2align	6, 0x0
	.amdhsa_kernel _ZN2at6native29vectorized_elementwise_kernelILi8ENS0_13BUnaryFunctorIiiiZZZNS0_18rshift_kernel_cudaERNS_18TensorIteratorBaseEENKUlvE_clEvENKUlvE1_clEvEUliiE_EESt5arrayIPcLm2EEEEviT0_T1_
		.amdhsa_group_segment_fixed_size 0
		.amdhsa_private_segment_fixed_size 0
		.amdhsa_kernarg_size 32
		.amdhsa_user_sgpr_count 6
		.amdhsa_user_sgpr_private_segment_buffer 1
		.amdhsa_user_sgpr_dispatch_ptr 0
		.amdhsa_user_sgpr_queue_ptr 0
		.amdhsa_user_sgpr_kernarg_segment_ptr 1
		.amdhsa_user_sgpr_dispatch_id 0
		.amdhsa_user_sgpr_flat_scratch_init 0
		.amdhsa_user_sgpr_private_segment_size 0
		.amdhsa_uses_dynamic_stack 0
		.amdhsa_system_sgpr_private_segment_wavefront_offset 0
		.amdhsa_system_sgpr_workgroup_id_x 1
		.amdhsa_system_sgpr_workgroup_id_y 0
		.amdhsa_system_sgpr_workgroup_id_z 0
		.amdhsa_system_sgpr_workgroup_info 0
		.amdhsa_system_vgpr_workitem_id 0
		.amdhsa_next_free_vgpr 9
		.amdhsa_next_free_sgpr 16
		.amdhsa_reserve_vcc 1
		.amdhsa_reserve_flat_scratch 0
		.amdhsa_float_round_mode_32 0
		.amdhsa_float_round_mode_16_64 0
		.amdhsa_float_denorm_mode_32 3
		.amdhsa_float_denorm_mode_16_64 3
		.amdhsa_dx10_clamp 1
		.amdhsa_ieee_mode 1
		.amdhsa_fp16_overflow 0
		.amdhsa_exception_fp_ieee_invalid_op 0
		.amdhsa_exception_fp_denorm_src 0
		.amdhsa_exception_fp_ieee_div_zero 0
		.amdhsa_exception_fp_ieee_overflow 0
		.amdhsa_exception_fp_ieee_underflow 0
		.amdhsa_exception_fp_ieee_inexact 0
		.amdhsa_exception_int_div_zero 0
	.end_amdhsa_kernel
	.section	.text._ZN2at6native29vectorized_elementwise_kernelILi8ENS0_13BUnaryFunctorIiiiZZZNS0_18rshift_kernel_cudaERNS_18TensorIteratorBaseEENKUlvE_clEvENKUlvE1_clEvEUliiE_EESt5arrayIPcLm2EEEEviT0_T1_,"axG",@progbits,_ZN2at6native29vectorized_elementwise_kernelILi8ENS0_13BUnaryFunctorIiiiZZZNS0_18rshift_kernel_cudaERNS_18TensorIteratorBaseEENKUlvE_clEvENKUlvE1_clEvEUliiE_EESt5arrayIPcLm2EEEEviT0_T1_,comdat
.Lfunc_end177:
	.size	_ZN2at6native29vectorized_elementwise_kernelILi8ENS0_13BUnaryFunctorIiiiZZZNS0_18rshift_kernel_cudaERNS_18TensorIteratorBaseEENKUlvE_clEvENKUlvE1_clEvEUliiE_EESt5arrayIPcLm2EEEEviT0_T1_, .Lfunc_end177-_ZN2at6native29vectorized_elementwise_kernelILi8ENS0_13BUnaryFunctorIiiiZZZNS0_18rshift_kernel_cudaERNS_18TensorIteratorBaseEENKUlvE_clEvENKUlvE1_clEvEUliiE_EESt5arrayIPcLm2EEEEviT0_T1_
                                        ; -- End function
	.set _ZN2at6native29vectorized_elementwise_kernelILi8ENS0_13BUnaryFunctorIiiiZZZNS0_18rshift_kernel_cudaERNS_18TensorIteratorBaseEENKUlvE_clEvENKUlvE1_clEvEUliiE_EESt5arrayIPcLm2EEEEviT0_T1_.num_vgpr, 9
	.set _ZN2at6native29vectorized_elementwise_kernelILi8ENS0_13BUnaryFunctorIiiiZZZNS0_18rshift_kernel_cudaERNS_18TensorIteratorBaseEENKUlvE_clEvENKUlvE1_clEvEUliiE_EESt5arrayIPcLm2EEEEviT0_T1_.num_agpr, 0
	.set _ZN2at6native29vectorized_elementwise_kernelILi8ENS0_13BUnaryFunctorIiiiZZZNS0_18rshift_kernel_cudaERNS_18TensorIteratorBaseEENKUlvE_clEvENKUlvE1_clEvEUliiE_EESt5arrayIPcLm2EEEEviT0_T1_.numbered_sgpr, 16
	.set _ZN2at6native29vectorized_elementwise_kernelILi8ENS0_13BUnaryFunctorIiiiZZZNS0_18rshift_kernel_cudaERNS_18TensorIteratorBaseEENKUlvE_clEvENKUlvE1_clEvEUliiE_EESt5arrayIPcLm2EEEEviT0_T1_.num_named_barrier, 0
	.set _ZN2at6native29vectorized_elementwise_kernelILi8ENS0_13BUnaryFunctorIiiiZZZNS0_18rshift_kernel_cudaERNS_18TensorIteratorBaseEENKUlvE_clEvENKUlvE1_clEvEUliiE_EESt5arrayIPcLm2EEEEviT0_T1_.private_seg_size, 0
	.set _ZN2at6native29vectorized_elementwise_kernelILi8ENS0_13BUnaryFunctorIiiiZZZNS0_18rshift_kernel_cudaERNS_18TensorIteratorBaseEENKUlvE_clEvENKUlvE1_clEvEUliiE_EESt5arrayIPcLm2EEEEviT0_T1_.uses_vcc, 1
	.set _ZN2at6native29vectorized_elementwise_kernelILi8ENS0_13BUnaryFunctorIiiiZZZNS0_18rshift_kernel_cudaERNS_18TensorIteratorBaseEENKUlvE_clEvENKUlvE1_clEvEUliiE_EESt5arrayIPcLm2EEEEviT0_T1_.uses_flat_scratch, 0
	.set _ZN2at6native29vectorized_elementwise_kernelILi8ENS0_13BUnaryFunctorIiiiZZZNS0_18rshift_kernel_cudaERNS_18TensorIteratorBaseEENKUlvE_clEvENKUlvE1_clEvEUliiE_EESt5arrayIPcLm2EEEEviT0_T1_.has_dyn_sized_stack, 0
	.set _ZN2at6native29vectorized_elementwise_kernelILi8ENS0_13BUnaryFunctorIiiiZZZNS0_18rshift_kernel_cudaERNS_18TensorIteratorBaseEENKUlvE_clEvENKUlvE1_clEvEUliiE_EESt5arrayIPcLm2EEEEviT0_T1_.has_recursion, 0
	.set _ZN2at6native29vectorized_elementwise_kernelILi8ENS0_13BUnaryFunctorIiiiZZZNS0_18rshift_kernel_cudaERNS_18TensorIteratorBaseEENKUlvE_clEvENKUlvE1_clEvEUliiE_EESt5arrayIPcLm2EEEEviT0_T1_.has_indirect_call, 0
	.section	.AMDGPU.csdata,"",@progbits
; Kernel info:
; codeLenInByte = 728
; TotalNumSgprs: 20
; NumVgprs: 9
; ScratchSize: 0
; MemoryBound: 0
; FloatMode: 240
; IeeeMode: 1
; LDSByteSize: 0 bytes/workgroup (compile time only)
; SGPRBlocks: 2
; VGPRBlocks: 2
; NumSGPRsForWavesPerEU: 20
; NumVGPRsForWavesPerEU: 9
; Occupancy: 10
; WaveLimiterHint : 0
; COMPUTE_PGM_RSRC2:SCRATCH_EN: 0
; COMPUTE_PGM_RSRC2:USER_SGPR: 6
; COMPUTE_PGM_RSRC2:TRAP_HANDLER: 0
; COMPUTE_PGM_RSRC2:TGID_X_EN: 1
; COMPUTE_PGM_RSRC2:TGID_Y_EN: 0
; COMPUTE_PGM_RSRC2:TGID_Z_EN: 0
; COMPUTE_PGM_RSRC2:TIDIG_COMP_CNT: 0
	.section	.text._ZN2at6native29vectorized_elementwise_kernelILi4ENS0_13BUnaryFunctorIiiiZZZNS0_18rshift_kernel_cudaERNS_18TensorIteratorBaseEENKUlvE_clEvENKUlvE1_clEvEUliiE_EESt5arrayIPcLm2EEEEviT0_T1_,"axG",@progbits,_ZN2at6native29vectorized_elementwise_kernelILi4ENS0_13BUnaryFunctorIiiiZZZNS0_18rshift_kernel_cudaERNS_18TensorIteratorBaseEENKUlvE_clEvENKUlvE1_clEvEUliiE_EESt5arrayIPcLm2EEEEviT0_T1_,comdat
	.globl	_ZN2at6native29vectorized_elementwise_kernelILi4ENS0_13BUnaryFunctorIiiiZZZNS0_18rshift_kernel_cudaERNS_18TensorIteratorBaseEENKUlvE_clEvENKUlvE1_clEvEUliiE_EESt5arrayIPcLm2EEEEviT0_T1_ ; -- Begin function _ZN2at6native29vectorized_elementwise_kernelILi4ENS0_13BUnaryFunctorIiiiZZZNS0_18rshift_kernel_cudaERNS_18TensorIteratorBaseEENKUlvE_clEvENKUlvE1_clEvEUliiE_EESt5arrayIPcLm2EEEEviT0_T1_
	.p2align	8
	.type	_ZN2at6native29vectorized_elementwise_kernelILi4ENS0_13BUnaryFunctorIiiiZZZNS0_18rshift_kernel_cudaERNS_18TensorIteratorBaseEENKUlvE_clEvENKUlvE1_clEvEUliiE_EESt5arrayIPcLm2EEEEviT0_T1_,@function
_ZN2at6native29vectorized_elementwise_kernelILi4ENS0_13BUnaryFunctorIiiiZZZNS0_18rshift_kernel_cudaERNS_18TensorIteratorBaseEENKUlvE_clEvENKUlvE1_clEvEUliiE_EESt5arrayIPcLm2EEEEviT0_T1_: ; @_ZN2at6native29vectorized_elementwise_kernelILi4ENS0_13BUnaryFunctorIiiiZZZNS0_18rshift_kernel_cudaERNS_18TensorIteratorBaseEENKUlvE_clEvENKUlvE1_clEvEUliiE_EESt5arrayIPcLm2EEEEviT0_T1_
; %bb.0:
	s_load_dword s0, s[4:5], 0x0
	s_load_dword s15, s[4:5], 0x8
	s_load_dwordx4 s[8:11], s[4:5], 0x10
	s_lshl_b32 s2, s6, 10
	s_waitcnt lgkmcnt(0)
	s_sub_i32 s14, s0, s2
	s_cmpk_gt_i32 s14, 0x3ff
	s_mov_b64 s[0:1], -1
	s_cbranch_scc0 .LBB178_2
; %bb.1:
	s_ashr_i32 s3, s2, 31
	s_lshl_b64 s[0:1], s[2:3], 2
	s_add_u32 s4, s10, s0
	s_addc_u32 s5, s11, s1
	v_lshlrev_b32_e32 v5, 4, v0
	global_load_dwordx4 v[1:4], v5, s[4:5]
	s_min_u32 s3, s15, 31
	s_add_u32 s0, s8, s0
	s_addc_u32 s1, s9, s1
	s_waitcnt vmcnt(0)
	v_ashrrev_i32_e32 v1, s3, v1
	v_ashrrev_i32_e32 v2, s3, v2
	;; [unrolled: 1-line block ×4, first 2 shown]
	global_store_dwordx4 v5, v[1:4], s[0:1]
	s_mov_b64 s[0:1], 0
.LBB178_2:
	s_andn2_b64 vcc, exec, s[0:1]
	s_cbranch_vccnz .LBB178_16
; %bb.3:
	v_cmp_gt_i32_e32 vcc, s14, v0
	v_or_b32_e32 v6, 0x100, v0
	v_mov_b32_e32 v8, 0
	v_or_b32_e32 v1, s2, v0
	v_mov_b32_e32 v3, 0
	v_mov_b32_e32 v2, 0
	;; [unrolled: 1-line block ×3, first 2 shown]
	s_and_saveexec_b64 s[4:5], vcc
	s_cbranch_execz .LBB178_11
; %bb.4:
	v_mov_b32_e32 v2, 0
	v_lshlrev_b64 v[3:4], 2, v[1:2]
	v_mov_b32_e32 v5, s11
	v_add_co_u32_e64 v3, s[0:1], s10, v3
	v_addc_co_u32_e64 v4, s[0:1], v5, v4, s[0:1]
	global_load_dword v7, v[3:4], off
	v_cmp_gt_u32_e64 s[0:1], s14, v6
	v_mov_b32_e32 v3, v2
	v_mov_b32_e32 v8, v2
	s_and_saveexec_b64 s[6:7], s[0:1]
	s_cbranch_execz .LBB178_10
; %bb.5:
	v_add_u32_e32 v2, s2, v0
	v_mov_b32_e32 v3, 0
	v_lshlrev_b64 v[4:5], 2, v[2:3]
	v_mov_b32_e32 v2, s11
	v_add_co_u32_e64 v4, s[0:1], s10, v4
	v_addc_co_u32_e64 v5, s[0:1], v2, v5, s[0:1]
	global_load_dword v2, v[4:5], off offset:1024
	v_or_b32_e32 v8, 0x200, v0
	v_cmp_gt_u32_e64 s[0:1], s14, v8
	v_mov_b32_e32 v8, v3
	s_and_saveexec_b64 s[10:11], s[0:1]
	s_cbranch_execz .LBB178_9
; %bb.6:
	global_load_dword v3, v[4:5], off offset:2048
	v_or_b32_e32 v8, 0x300, v0
	v_cmp_gt_u32_e64 s[0:1], s14, v8
	v_mov_b32_e32 v8, 0
	s_and_saveexec_b64 s[12:13], s[0:1]
	s_cbranch_execz .LBB178_8
; %bb.7:
	global_load_dword v8, v[4:5], off offset:3072
.LBB178_8:
	s_or_b64 exec, exec, s[12:13]
.LBB178_9:
	s_or_b64 exec, exec, s[10:11]
.LBB178_10:
	s_or_b64 exec, exec, s[6:7]
.LBB178_11:
	s_or_b64 exec, exec, s[4:5]
	s_min_u32 s3, s15, 31
	s_waitcnt vmcnt(0)
	v_ashrrev_i32_e32 v2, s3, v2
	v_cmp_gt_i32_e64 s[0:1], s14, v6
	v_cndmask_b32_e64 v5, 0, v2, s[0:1]
	v_or_b32_e32 v2, 0x200, v0
	v_ashrrev_i32_e32 v4, s3, v7
	v_ashrrev_i32_e32 v3, s3, v3
	v_cmp_gt_i32_e64 s[0:1], s14, v2
	v_or_b32_e32 v2, 0x300, v0
	v_cndmask_b32_e32 v7, 0, v4, vcc
	v_cndmask_b32_e64 v4, 0, v3, s[0:1]
	v_ashrrev_i32_e32 v3, s3, v8
	v_cmp_gt_i32_e64 s[0:1], s14, v2
	v_cndmask_b32_e64 v3, 0, v3, s[0:1]
	s_and_saveexec_b64 s[0:1], vcc
	s_cbranch_execnz .LBB178_17
; %bb.12:
	s_or_b64 exec, exec, s[0:1]
	v_cmp_gt_i32_e32 vcc, s14, v0
	s_and_saveexec_b64 s[0:1], vcc
	s_cbranch_execnz .LBB178_18
.LBB178_13:
	s_or_b64 exec, exec, s[0:1]
	v_cmp_gt_i32_e32 vcc, s14, v0
	s_and_saveexec_b64 s[0:1], vcc
	s_cbranch_execnz .LBB178_19
.LBB178_14:
	s_or_b64 exec, exec, s[0:1]
	v_cmp_gt_i32_e32 vcc, s14, v0
	s_and_saveexec_b64 s[0:1], vcc
	s_cbranch_execz .LBB178_16
.LBB178_15:
	v_add_u32_e32 v0, s2, v0
	v_mov_b32_e32 v1, 0
	v_lshlrev_b64 v[0:1], 2, v[0:1]
	v_mov_b32_e32 v2, s9
	v_add_co_u32_e32 v0, vcc, s8, v0
	v_addc_co_u32_e32 v1, vcc, v2, v1, vcc
	global_store_dword v[0:1], v3, off
.LBB178_16:
	s_endpgm
.LBB178_17:
	v_mov_b32_e32 v2, 0
	v_lshlrev_b64 v[0:1], 2, v[1:2]
	v_mov_b32_e32 v2, s9
	v_add_co_u32_e32 v0, vcc, s8, v0
	v_addc_co_u32_e32 v1, vcc, v2, v1, vcc
	global_store_dword v[0:1], v7, off
	v_mov_b32_e32 v0, v6
	s_or_b64 exec, exec, s[0:1]
	v_cmp_gt_i32_e32 vcc, s14, v0
	s_and_saveexec_b64 s[0:1], vcc
	s_cbranch_execz .LBB178_13
.LBB178_18:
	v_add_u32_e32 v1, s2, v0
	v_mov_b32_e32 v2, 0
	v_lshlrev_b64 v[1:2], 2, v[1:2]
	v_mov_b32_e32 v6, s9
	v_add_co_u32_e32 v1, vcc, s8, v1
	v_addc_co_u32_e32 v2, vcc, v6, v2, vcc
	v_add_u32_e32 v0, 0x100, v0
	global_store_dword v[1:2], v5, off
	s_or_b64 exec, exec, s[0:1]
	v_cmp_gt_i32_e32 vcc, s14, v0
	s_and_saveexec_b64 s[0:1], vcc
	s_cbranch_execz .LBB178_14
.LBB178_19:
	v_add_u32_e32 v1, s2, v0
	v_mov_b32_e32 v2, 0
	v_lshlrev_b64 v[1:2], 2, v[1:2]
	v_mov_b32_e32 v5, s9
	v_add_co_u32_e32 v1, vcc, s8, v1
	v_addc_co_u32_e32 v2, vcc, v5, v2, vcc
	v_add_u32_e32 v0, 0x100, v0
	global_store_dword v[1:2], v4, off
	s_or_b64 exec, exec, s[0:1]
	v_cmp_gt_i32_e32 vcc, s14, v0
	s_and_saveexec_b64 s[0:1], vcc
	s_cbranch_execnz .LBB178_15
	s_branch .LBB178_16
	.section	.rodata,"a",@progbits
	.p2align	6, 0x0
	.amdhsa_kernel _ZN2at6native29vectorized_elementwise_kernelILi4ENS0_13BUnaryFunctorIiiiZZZNS0_18rshift_kernel_cudaERNS_18TensorIteratorBaseEENKUlvE_clEvENKUlvE1_clEvEUliiE_EESt5arrayIPcLm2EEEEviT0_T1_
		.amdhsa_group_segment_fixed_size 0
		.amdhsa_private_segment_fixed_size 0
		.amdhsa_kernarg_size 32
		.amdhsa_user_sgpr_count 6
		.amdhsa_user_sgpr_private_segment_buffer 1
		.amdhsa_user_sgpr_dispatch_ptr 0
		.amdhsa_user_sgpr_queue_ptr 0
		.amdhsa_user_sgpr_kernarg_segment_ptr 1
		.amdhsa_user_sgpr_dispatch_id 0
		.amdhsa_user_sgpr_flat_scratch_init 0
		.amdhsa_user_sgpr_private_segment_size 0
		.amdhsa_uses_dynamic_stack 0
		.amdhsa_system_sgpr_private_segment_wavefront_offset 0
		.amdhsa_system_sgpr_workgroup_id_x 1
		.amdhsa_system_sgpr_workgroup_id_y 0
		.amdhsa_system_sgpr_workgroup_id_z 0
		.amdhsa_system_sgpr_workgroup_info 0
		.amdhsa_system_vgpr_workitem_id 0
		.amdhsa_next_free_vgpr 9
		.amdhsa_next_free_sgpr 16
		.amdhsa_reserve_vcc 1
		.amdhsa_reserve_flat_scratch 0
		.amdhsa_float_round_mode_32 0
		.amdhsa_float_round_mode_16_64 0
		.amdhsa_float_denorm_mode_32 3
		.amdhsa_float_denorm_mode_16_64 3
		.amdhsa_dx10_clamp 1
		.amdhsa_ieee_mode 1
		.amdhsa_fp16_overflow 0
		.amdhsa_exception_fp_ieee_invalid_op 0
		.amdhsa_exception_fp_denorm_src 0
		.amdhsa_exception_fp_ieee_div_zero 0
		.amdhsa_exception_fp_ieee_overflow 0
		.amdhsa_exception_fp_ieee_underflow 0
		.amdhsa_exception_fp_ieee_inexact 0
		.amdhsa_exception_int_div_zero 0
	.end_amdhsa_kernel
	.section	.text._ZN2at6native29vectorized_elementwise_kernelILi4ENS0_13BUnaryFunctorIiiiZZZNS0_18rshift_kernel_cudaERNS_18TensorIteratorBaseEENKUlvE_clEvENKUlvE1_clEvEUliiE_EESt5arrayIPcLm2EEEEviT0_T1_,"axG",@progbits,_ZN2at6native29vectorized_elementwise_kernelILi4ENS0_13BUnaryFunctorIiiiZZZNS0_18rshift_kernel_cudaERNS_18TensorIteratorBaseEENKUlvE_clEvENKUlvE1_clEvEUliiE_EESt5arrayIPcLm2EEEEviT0_T1_,comdat
.Lfunc_end178:
	.size	_ZN2at6native29vectorized_elementwise_kernelILi4ENS0_13BUnaryFunctorIiiiZZZNS0_18rshift_kernel_cudaERNS_18TensorIteratorBaseEENKUlvE_clEvENKUlvE1_clEvEUliiE_EESt5arrayIPcLm2EEEEviT0_T1_, .Lfunc_end178-_ZN2at6native29vectorized_elementwise_kernelILi4ENS0_13BUnaryFunctorIiiiZZZNS0_18rshift_kernel_cudaERNS_18TensorIteratorBaseEENKUlvE_clEvENKUlvE1_clEvEUliiE_EESt5arrayIPcLm2EEEEviT0_T1_
                                        ; -- End function
	.set _ZN2at6native29vectorized_elementwise_kernelILi4ENS0_13BUnaryFunctorIiiiZZZNS0_18rshift_kernel_cudaERNS_18TensorIteratorBaseEENKUlvE_clEvENKUlvE1_clEvEUliiE_EESt5arrayIPcLm2EEEEviT0_T1_.num_vgpr, 9
	.set _ZN2at6native29vectorized_elementwise_kernelILi4ENS0_13BUnaryFunctorIiiiZZZNS0_18rshift_kernel_cudaERNS_18TensorIteratorBaseEENKUlvE_clEvENKUlvE1_clEvEUliiE_EESt5arrayIPcLm2EEEEviT0_T1_.num_agpr, 0
	.set _ZN2at6native29vectorized_elementwise_kernelILi4ENS0_13BUnaryFunctorIiiiZZZNS0_18rshift_kernel_cudaERNS_18TensorIteratorBaseEENKUlvE_clEvENKUlvE1_clEvEUliiE_EESt5arrayIPcLm2EEEEviT0_T1_.numbered_sgpr, 16
	.set _ZN2at6native29vectorized_elementwise_kernelILi4ENS0_13BUnaryFunctorIiiiZZZNS0_18rshift_kernel_cudaERNS_18TensorIteratorBaseEENKUlvE_clEvENKUlvE1_clEvEUliiE_EESt5arrayIPcLm2EEEEviT0_T1_.num_named_barrier, 0
	.set _ZN2at6native29vectorized_elementwise_kernelILi4ENS0_13BUnaryFunctorIiiiZZZNS0_18rshift_kernel_cudaERNS_18TensorIteratorBaseEENKUlvE_clEvENKUlvE1_clEvEUliiE_EESt5arrayIPcLm2EEEEviT0_T1_.private_seg_size, 0
	.set _ZN2at6native29vectorized_elementwise_kernelILi4ENS0_13BUnaryFunctorIiiiZZZNS0_18rshift_kernel_cudaERNS_18TensorIteratorBaseEENKUlvE_clEvENKUlvE1_clEvEUliiE_EESt5arrayIPcLm2EEEEviT0_T1_.uses_vcc, 1
	.set _ZN2at6native29vectorized_elementwise_kernelILi4ENS0_13BUnaryFunctorIiiiZZZNS0_18rshift_kernel_cudaERNS_18TensorIteratorBaseEENKUlvE_clEvENKUlvE1_clEvEUliiE_EESt5arrayIPcLm2EEEEviT0_T1_.uses_flat_scratch, 0
	.set _ZN2at6native29vectorized_elementwise_kernelILi4ENS0_13BUnaryFunctorIiiiZZZNS0_18rshift_kernel_cudaERNS_18TensorIteratorBaseEENKUlvE_clEvENKUlvE1_clEvEUliiE_EESt5arrayIPcLm2EEEEviT0_T1_.has_dyn_sized_stack, 0
	.set _ZN2at6native29vectorized_elementwise_kernelILi4ENS0_13BUnaryFunctorIiiiZZZNS0_18rshift_kernel_cudaERNS_18TensorIteratorBaseEENKUlvE_clEvENKUlvE1_clEvEUliiE_EESt5arrayIPcLm2EEEEviT0_T1_.has_recursion, 0
	.set _ZN2at6native29vectorized_elementwise_kernelILi4ENS0_13BUnaryFunctorIiiiZZZNS0_18rshift_kernel_cudaERNS_18TensorIteratorBaseEENKUlvE_clEvENKUlvE1_clEvEUliiE_EESt5arrayIPcLm2EEEEviT0_T1_.has_indirect_call, 0
	.section	.AMDGPU.csdata,"",@progbits
; Kernel info:
; codeLenInByte = 728
; TotalNumSgprs: 20
; NumVgprs: 9
; ScratchSize: 0
; MemoryBound: 0
; FloatMode: 240
; IeeeMode: 1
; LDSByteSize: 0 bytes/workgroup (compile time only)
; SGPRBlocks: 2
; VGPRBlocks: 2
; NumSGPRsForWavesPerEU: 20
; NumVGPRsForWavesPerEU: 9
; Occupancy: 10
; WaveLimiterHint : 0
; COMPUTE_PGM_RSRC2:SCRATCH_EN: 0
; COMPUTE_PGM_RSRC2:USER_SGPR: 6
; COMPUTE_PGM_RSRC2:TRAP_HANDLER: 0
; COMPUTE_PGM_RSRC2:TGID_X_EN: 1
; COMPUTE_PGM_RSRC2:TGID_Y_EN: 0
; COMPUTE_PGM_RSRC2:TGID_Z_EN: 0
; COMPUTE_PGM_RSRC2:TIDIG_COMP_CNT: 0
	.section	.text._ZN2at6native29vectorized_elementwise_kernelILi2ENS0_13BUnaryFunctorIiiiZZZNS0_18rshift_kernel_cudaERNS_18TensorIteratorBaseEENKUlvE_clEvENKUlvE1_clEvEUliiE_EESt5arrayIPcLm2EEEEviT0_T1_,"axG",@progbits,_ZN2at6native29vectorized_elementwise_kernelILi2ENS0_13BUnaryFunctorIiiiZZZNS0_18rshift_kernel_cudaERNS_18TensorIteratorBaseEENKUlvE_clEvENKUlvE1_clEvEUliiE_EESt5arrayIPcLm2EEEEviT0_T1_,comdat
	.globl	_ZN2at6native29vectorized_elementwise_kernelILi2ENS0_13BUnaryFunctorIiiiZZZNS0_18rshift_kernel_cudaERNS_18TensorIteratorBaseEENKUlvE_clEvENKUlvE1_clEvEUliiE_EESt5arrayIPcLm2EEEEviT0_T1_ ; -- Begin function _ZN2at6native29vectorized_elementwise_kernelILi2ENS0_13BUnaryFunctorIiiiZZZNS0_18rshift_kernel_cudaERNS_18TensorIteratorBaseEENKUlvE_clEvENKUlvE1_clEvEUliiE_EESt5arrayIPcLm2EEEEviT0_T1_
	.p2align	8
	.type	_ZN2at6native29vectorized_elementwise_kernelILi2ENS0_13BUnaryFunctorIiiiZZZNS0_18rshift_kernel_cudaERNS_18TensorIteratorBaseEENKUlvE_clEvENKUlvE1_clEvEUliiE_EESt5arrayIPcLm2EEEEviT0_T1_,@function
_ZN2at6native29vectorized_elementwise_kernelILi2ENS0_13BUnaryFunctorIiiiZZZNS0_18rshift_kernel_cudaERNS_18TensorIteratorBaseEENKUlvE_clEvENKUlvE1_clEvEUliiE_EESt5arrayIPcLm2EEEEviT0_T1_: ; @_ZN2at6native29vectorized_elementwise_kernelILi2ENS0_13BUnaryFunctorIiiiZZZNS0_18rshift_kernel_cudaERNS_18TensorIteratorBaseEENKUlvE_clEvENKUlvE1_clEvEUliiE_EESt5arrayIPcLm2EEEEviT0_T1_
; %bb.0:
	s_load_dword s0, s[4:5], 0x0
	s_load_dword s15, s[4:5], 0x8
	s_load_dwordx4 s[8:11], s[4:5], 0x10
	s_lshl_b32 s2, s6, 10
	s_waitcnt lgkmcnt(0)
	s_sub_i32 s14, s0, s2
	s_cmpk_gt_i32 s14, 0x3ff
	s_mov_b64 s[0:1], -1
	s_cbranch_scc0 .LBB179_2
; %bb.1:
	s_ashr_i32 s3, s2, 31
	s_lshl_b64 s[0:1], s[2:3], 2
	s_add_u32 s4, s10, s0
	s_addc_u32 s5, s11, s1
	v_lshlrev_b32_e32 v5, 3, v0
	global_load_dwordx2 v[1:2], v5, s[4:5]
	global_load_dwordx2 v[3:4], v5, s[4:5] offset:2048
	s_min_u32 s3, s15, 31
	s_add_u32 s0, s8, s0
	s_addc_u32 s1, s9, s1
	s_waitcnt vmcnt(1)
	v_ashrrev_i32_e32 v1, s3, v1
	v_ashrrev_i32_e32 v2, s3, v2
	s_waitcnt vmcnt(0)
	v_ashrrev_i32_e32 v3, s3, v3
	v_ashrrev_i32_e32 v4, s3, v4
	global_store_dwordx2 v5, v[1:2], s[0:1]
	global_store_dwordx2 v5, v[3:4], s[0:1] offset:2048
	s_mov_b64 s[0:1], 0
.LBB179_2:
	s_andn2_b64 vcc, exec, s[0:1]
	s_cbranch_vccnz .LBB179_16
; %bb.3:
	v_cmp_gt_i32_e32 vcc, s14, v0
	v_or_b32_e32 v6, 0x100, v0
	v_mov_b32_e32 v8, 0
	v_or_b32_e32 v1, s2, v0
	v_mov_b32_e32 v3, 0
	v_mov_b32_e32 v2, 0
	v_mov_b32_e32 v7, 0
	s_and_saveexec_b64 s[4:5], vcc
	s_cbranch_execz .LBB179_11
; %bb.4:
	v_mov_b32_e32 v2, 0
	v_lshlrev_b64 v[3:4], 2, v[1:2]
	v_mov_b32_e32 v5, s11
	v_add_co_u32_e64 v3, s[0:1], s10, v3
	v_addc_co_u32_e64 v4, s[0:1], v5, v4, s[0:1]
	global_load_dword v7, v[3:4], off
	v_cmp_gt_u32_e64 s[0:1], s14, v6
	v_mov_b32_e32 v3, v2
	v_mov_b32_e32 v8, v2
	s_and_saveexec_b64 s[6:7], s[0:1]
	s_cbranch_execz .LBB179_10
; %bb.5:
	v_add_u32_e32 v2, s2, v0
	v_mov_b32_e32 v3, 0
	v_lshlrev_b64 v[4:5], 2, v[2:3]
	v_mov_b32_e32 v2, s11
	v_add_co_u32_e64 v4, s[0:1], s10, v4
	v_addc_co_u32_e64 v5, s[0:1], v2, v5, s[0:1]
	global_load_dword v2, v[4:5], off offset:1024
	v_or_b32_e32 v8, 0x200, v0
	v_cmp_gt_u32_e64 s[0:1], s14, v8
	v_mov_b32_e32 v8, v3
	s_and_saveexec_b64 s[10:11], s[0:1]
	s_cbranch_execz .LBB179_9
; %bb.6:
	global_load_dword v3, v[4:5], off offset:2048
	v_or_b32_e32 v8, 0x300, v0
	v_cmp_gt_u32_e64 s[0:1], s14, v8
	v_mov_b32_e32 v8, 0
	s_and_saveexec_b64 s[12:13], s[0:1]
	s_cbranch_execz .LBB179_8
; %bb.7:
	global_load_dword v8, v[4:5], off offset:3072
.LBB179_8:
	s_or_b64 exec, exec, s[12:13]
.LBB179_9:
	s_or_b64 exec, exec, s[10:11]
.LBB179_10:
	s_or_b64 exec, exec, s[6:7]
.LBB179_11:
	s_or_b64 exec, exec, s[4:5]
	s_min_u32 s3, s15, 31
	s_waitcnt vmcnt(0)
	v_ashrrev_i32_e32 v2, s3, v2
	v_cmp_gt_i32_e64 s[0:1], s14, v6
	v_cndmask_b32_e64 v5, 0, v2, s[0:1]
	v_or_b32_e32 v2, 0x200, v0
	v_ashrrev_i32_e32 v4, s3, v7
	v_ashrrev_i32_e32 v3, s3, v3
	v_cmp_gt_i32_e64 s[0:1], s14, v2
	v_or_b32_e32 v2, 0x300, v0
	v_cndmask_b32_e32 v7, 0, v4, vcc
	v_cndmask_b32_e64 v4, 0, v3, s[0:1]
	v_ashrrev_i32_e32 v3, s3, v8
	v_cmp_gt_i32_e64 s[0:1], s14, v2
	v_cndmask_b32_e64 v3, 0, v3, s[0:1]
	s_and_saveexec_b64 s[0:1], vcc
	s_cbranch_execnz .LBB179_17
; %bb.12:
	s_or_b64 exec, exec, s[0:1]
	v_cmp_gt_i32_e32 vcc, s14, v0
	s_and_saveexec_b64 s[0:1], vcc
	s_cbranch_execnz .LBB179_18
.LBB179_13:
	s_or_b64 exec, exec, s[0:1]
	v_cmp_gt_i32_e32 vcc, s14, v0
	s_and_saveexec_b64 s[0:1], vcc
	s_cbranch_execnz .LBB179_19
.LBB179_14:
	s_or_b64 exec, exec, s[0:1]
	v_cmp_gt_i32_e32 vcc, s14, v0
	s_and_saveexec_b64 s[0:1], vcc
	s_cbranch_execz .LBB179_16
.LBB179_15:
	v_add_u32_e32 v0, s2, v0
	v_mov_b32_e32 v1, 0
	v_lshlrev_b64 v[0:1], 2, v[0:1]
	v_mov_b32_e32 v2, s9
	v_add_co_u32_e32 v0, vcc, s8, v0
	v_addc_co_u32_e32 v1, vcc, v2, v1, vcc
	global_store_dword v[0:1], v3, off
.LBB179_16:
	s_endpgm
.LBB179_17:
	v_mov_b32_e32 v2, 0
	v_lshlrev_b64 v[0:1], 2, v[1:2]
	v_mov_b32_e32 v2, s9
	v_add_co_u32_e32 v0, vcc, s8, v0
	v_addc_co_u32_e32 v1, vcc, v2, v1, vcc
	global_store_dword v[0:1], v7, off
	v_mov_b32_e32 v0, v6
	s_or_b64 exec, exec, s[0:1]
	v_cmp_gt_i32_e32 vcc, s14, v0
	s_and_saveexec_b64 s[0:1], vcc
	s_cbranch_execz .LBB179_13
.LBB179_18:
	v_add_u32_e32 v1, s2, v0
	v_mov_b32_e32 v2, 0
	v_lshlrev_b64 v[1:2], 2, v[1:2]
	v_mov_b32_e32 v6, s9
	v_add_co_u32_e32 v1, vcc, s8, v1
	v_addc_co_u32_e32 v2, vcc, v6, v2, vcc
	v_add_u32_e32 v0, 0x100, v0
	global_store_dword v[1:2], v5, off
	s_or_b64 exec, exec, s[0:1]
	v_cmp_gt_i32_e32 vcc, s14, v0
	s_and_saveexec_b64 s[0:1], vcc
	s_cbranch_execz .LBB179_14
.LBB179_19:
	v_add_u32_e32 v1, s2, v0
	v_mov_b32_e32 v2, 0
	v_lshlrev_b64 v[1:2], 2, v[1:2]
	v_mov_b32_e32 v5, s9
	v_add_co_u32_e32 v1, vcc, s8, v1
	v_addc_co_u32_e32 v2, vcc, v5, v2, vcc
	v_add_u32_e32 v0, 0x100, v0
	global_store_dword v[1:2], v4, off
	s_or_b64 exec, exec, s[0:1]
	v_cmp_gt_i32_e32 vcc, s14, v0
	s_and_saveexec_b64 s[0:1], vcc
	s_cbranch_execnz .LBB179_15
	s_branch .LBB179_16
	.section	.rodata,"a",@progbits
	.p2align	6, 0x0
	.amdhsa_kernel _ZN2at6native29vectorized_elementwise_kernelILi2ENS0_13BUnaryFunctorIiiiZZZNS0_18rshift_kernel_cudaERNS_18TensorIteratorBaseEENKUlvE_clEvENKUlvE1_clEvEUliiE_EESt5arrayIPcLm2EEEEviT0_T1_
		.amdhsa_group_segment_fixed_size 0
		.amdhsa_private_segment_fixed_size 0
		.amdhsa_kernarg_size 32
		.amdhsa_user_sgpr_count 6
		.amdhsa_user_sgpr_private_segment_buffer 1
		.amdhsa_user_sgpr_dispatch_ptr 0
		.amdhsa_user_sgpr_queue_ptr 0
		.amdhsa_user_sgpr_kernarg_segment_ptr 1
		.amdhsa_user_sgpr_dispatch_id 0
		.amdhsa_user_sgpr_flat_scratch_init 0
		.amdhsa_user_sgpr_private_segment_size 0
		.amdhsa_uses_dynamic_stack 0
		.amdhsa_system_sgpr_private_segment_wavefront_offset 0
		.amdhsa_system_sgpr_workgroup_id_x 1
		.amdhsa_system_sgpr_workgroup_id_y 0
		.amdhsa_system_sgpr_workgroup_id_z 0
		.amdhsa_system_sgpr_workgroup_info 0
		.amdhsa_system_vgpr_workitem_id 0
		.amdhsa_next_free_vgpr 9
		.amdhsa_next_free_sgpr 16
		.amdhsa_reserve_vcc 1
		.amdhsa_reserve_flat_scratch 0
		.amdhsa_float_round_mode_32 0
		.amdhsa_float_round_mode_16_64 0
		.amdhsa_float_denorm_mode_32 3
		.amdhsa_float_denorm_mode_16_64 3
		.amdhsa_dx10_clamp 1
		.amdhsa_ieee_mode 1
		.amdhsa_fp16_overflow 0
		.amdhsa_exception_fp_ieee_invalid_op 0
		.amdhsa_exception_fp_denorm_src 0
		.amdhsa_exception_fp_ieee_div_zero 0
		.amdhsa_exception_fp_ieee_overflow 0
		.amdhsa_exception_fp_ieee_underflow 0
		.amdhsa_exception_fp_ieee_inexact 0
		.amdhsa_exception_int_div_zero 0
	.end_amdhsa_kernel
	.section	.text._ZN2at6native29vectorized_elementwise_kernelILi2ENS0_13BUnaryFunctorIiiiZZZNS0_18rshift_kernel_cudaERNS_18TensorIteratorBaseEENKUlvE_clEvENKUlvE1_clEvEUliiE_EESt5arrayIPcLm2EEEEviT0_T1_,"axG",@progbits,_ZN2at6native29vectorized_elementwise_kernelILi2ENS0_13BUnaryFunctorIiiiZZZNS0_18rshift_kernel_cudaERNS_18TensorIteratorBaseEENKUlvE_clEvENKUlvE1_clEvEUliiE_EESt5arrayIPcLm2EEEEviT0_T1_,comdat
.Lfunc_end179:
	.size	_ZN2at6native29vectorized_elementwise_kernelILi2ENS0_13BUnaryFunctorIiiiZZZNS0_18rshift_kernel_cudaERNS_18TensorIteratorBaseEENKUlvE_clEvENKUlvE1_clEvEUliiE_EESt5arrayIPcLm2EEEEviT0_T1_, .Lfunc_end179-_ZN2at6native29vectorized_elementwise_kernelILi2ENS0_13BUnaryFunctorIiiiZZZNS0_18rshift_kernel_cudaERNS_18TensorIteratorBaseEENKUlvE_clEvENKUlvE1_clEvEUliiE_EESt5arrayIPcLm2EEEEviT0_T1_
                                        ; -- End function
	.set _ZN2at6native29vectorized_elementwise_kernelILi2ENS0_13BUnaryFunctorIiiiZZZNS0_18rshift_kernel_cudaERNS_18TensorIteratorBaseEENKUlvE_clEvENKUlvE1_clEvEUliiE_EESt5arrayIPcLm2EEEEviT0_T1_.num_vgpr, 9
	.set _ZN2at6native29vectorized_elementwise_kernelILi2ENS0_13BUnaryFunctorIiiiZZZNS0_18rshift_kernel_cudaERNS_18TensorIteratorBaseEENKUlvE_clEvENKUlvE1_clEvEUliiE_EESt5arrayIPcLm2EEEEviT0_T1_.num_agpr, 0
	.set _ZN2at6native29vectorized_elementwise_kernelILi2ENS0_13BUnaryFunctorIiiiZZZNS0_18rshift_kernel_cudaERNS_18TensorIteratorBaseEENKUlvE_clEvENKUlvE1_clEvEUliiE_EESt5arrayIPcLm2EEEEviT0_T1_.numbered_sgpr, 16
	.set _ZN2at6native29vectorized_elementwise_kernelILi2ENS0_13BUnaryFunctorIiiiZZZNS0_18rshift_kernel_cudaERNS_18TensorIteratorBaseEENKUlvE_clEvENKUlvE1_clEvEUliiE_EESt5arrayIPcLm2EEEEviT0_T1_.num_named_barrier, 0
	.set _ZN2at6native29vectorized_elementwise_kernelILi2ENS0_13BUnaryFunctorIiiiZZZNS0_18rshift_kernel_cudaERNS_18TensorIteratorBaseEENKUlvE_clEvENKUlvE1_clEvEUliiE_EESt5arrayIPcLm2EEEEviT0_T1_.private_seg_size, 0
	.set _ZN2at6native29vectorized_elementwise_kernelILi2ENS0_13BUnaryFunctorIiiiZZZNS0_18rshift_kernel_cudaERNS_18TensorIteratorBaseEENKUlvE_clEvENKUlvE1_clEvEUliiE_EESt5arrayIPcLm2EEEEviT0_T1_.uses_vcc, 1
	.set _ZN2at6native29vectorized_elementwise_kernelILi2ENS0_13BUnaryFunctorIiiiZZZNS0_18rshift_kernel_cudaERNS_18TensorIteratorBaseEENKUlvE_clEvENKUlvE1_clEvEUliiE_EESt5arrayIPcLm2EEEEviT0_T1_.uses_flat_scratch, 0
	.set _ZN2at6native29vectorized_elementwise_kernelILi2ENS0_13BUnaryFunctorIiiiZZZNS0_18rshift_kernel_cudaERNS_18TensorIteratorBaseEENKUlvE_clEvENKUlvE1_clEvEUliiE_EESt5arrayIPcLm2EEEEviT0_T1_.has_dyn_sized_stack, 0
	.set _ZN2at6native29vectorized_elementwise_kernelILi2ENS0_13BUnaryFunctorIiiiZZZNS0_18rshift_kernel_cudaERNS_18TensorIteratorBaseEENKUlvE_clEvENKUlvE1_clEvEUliiE_EESt5arrayIPcLm2EEEEviT0_T1_.has_recursion, 0
	.set _ZN2at6native29vectorized_elementwise_kernelILi2ENS0_13BUnaryFunctorIiiiZZZNS0_18rshift_kernel_cudaERNS_18TensorIteratorBaseEENKUlvE_clEvENKUlvE1_clEvEUliiE_EESt5arrayIPcLm2EEEEviT0_T1_.has_indirect_call, 0
	.section	.AMDGPU.csdata,"",@progbits
; Kernel info:
; codeLenInByte = 748
; TotalNumSgprs: 20
; NumVgprs: 9
; ScratchSize: 0
; MemoryBound: 0
; FloatMode: 240
; IeeeMode: 1
; LDSByteSize: 0 bytes/workgroup (compile time only)
; SGPRBlocks: 2
; VGPRBlocks: 2
; NumSGPRsForWavesPerEU: 20
; NumVGPRsForWavesPerEU: 9
; Occupancy: 10
; WaveLimiterHint : 1
; COMPUTE_PGM_RSRC2:SCRATCH_EN: 0
; COMPUTE_PGM_RSRC2:USER_SGPR: 6
; COMPUTE_PGM_RSRC2:TRAP_HANDLER: 0
; COMPUTE_PGM_RSRC2:TGID_X_EN: 1
; COMPUTE_PGM_RSRC2:TGID_Y_EN: 0
; COMPUTE_PGM_RSRC2:TGID_Z_EN: 0
; COMPUTE_PGM_RSRC2:TIDIG_COMP_CNT: 0
	.section	.text._ZN2at6native27unrolled_elementwise_kernelINS0_13BUnaryFunctorIiiiZZZNS0_18rshift_kernel_cudaERNS_18TensorIteratorBaseEENKUlvE_clEvENKUlvE1_clEvEUliiE_EESt5arrayIPcLm2EELi4E23TrivialOffsetCalculatorILi1EjESD_NS0_6memory15LoadWithoutCastENSE_16StoreWithoutCastEEEviT_T0_T2_T3_T4_T5_,"axG",@progbits,_ZN2at6native27unrolled_elementwise_kernelINS0_13BUnaryFunctorIiiiZZZNS0_18rshift_kernel_cudaERNS_18TensorIteratorBaseEENKUlvE_clEvENKUlvE1_clEvEUliiE_EESt5arrayIPcLm2EELi4E23TrivialOffsetCalculatorILi1EjESD_NS0_6memory15LoadWithoutCastENSE_16StoreWithoutCastEEEviT_T0_T2_T3_T4_T5_,comdat
	.globl	_ZN2at6native27unrolled_elementwise_kernelINS0_13BUnaryFunctorIiiiZZZNS0_18rshift_kernel_cudaERNS_18TensorIteratorBaseEENKUlvE_clEvENKUlvE1_clEvEUliiE_EESt5arrayIPcLm2EELi4E23TrivialOffsetCalculatorILi1EjESD_NS0_6memory15LoadWithoutCastENSE_16StoreWithoutCastEEEviT_T0_T2_T3_T4_T5_ ; -- Begin function _ZN2at6native27unrolled_elementwise_kernelINS0_13BUnaryFunctorIiiiZZZNS0_18rshift_kernel_cudaERNS_18TensorIteratorBaseEENKUlvE_clEvENKUlvE1_clEvEUliiE_EESt5arrayIPcLm2EELi4E23TrivialOffsetCalculatorILi1EjESD_NS0_6memory15LoadWithoutCastENSE_16StoreWithoutCastEEEviT_T0_T2_T3_T4_T5_
	.p2align	8
	.type	_ZN2at6native27unrolled_elementwise_kernelINS0_13BUnaryFunctorIiiiZZZNS0_18rshift_kernel_cudaERNS_18TensorIteratorBaseEENKUlvE_clEvENKUlvE1_clEvEUliiE_EESt5arrayIPcLm2EELi4E23TrivialOffsetCalculatorILi1EjESD_NS0_6memory15LoadWithoutCastENSE_16StoreWithoutCastEEEviT_T0_T2_T3_T4_T5_,@function
_ZN2at6native27unrolled_elementwise_kernelINS0_13BUnaryFunctorIiiiZZZNS0_18rshift_kernel_cudaERNS_18TensorIteratorBaseEENKUlvE_clEvENKUlvE1_clEvEUliiE_EESt5arrayIPcLm2EELi4E23TrivialOffsetCalculatorILi1EjESD_NS0_6memory15LoadWithoutCastENSE_16StoreWithoutCastEEEviT_T0_T2_T3_T4_T5_: ; @_ZN2at6native27unrolled_elementwise_kernelINS0_13BUnaryFunctorIiiiZZZNS0_18rshift_kernel_cudaERNS_18TensorIteratorBaseEENKUlvE_clEvENKUlvE1_clEvEUliiE_EESt5arrayIPcLm2EELi4E23TrivialOffsetCalculatorILi1EjESD_NS0_6memory15LoadWithoutCastENSE_16StoreWithoutCastEEEviT_T0_T2_T3_T4_T5_
; %bb.0:
	s_load_dword s0, s[4:5], 0x0
	s_load_dword s16, s[4:5], 0x8
	s_load_dwordx4 s[8:11], s[4:5], 0x10
	s_lshl_b32 s14, s6, 10
	v_mov_b32_e32 v4, 0
	s_waitcnt lgkmcnt(0)
	s_sub_i32 s15, s0, s14
	v_cmp_gt_i32_e32 vcc, s15, v0
	v_or_b32_e32 v5, 0x100, v0
	v_or_b32_e32 v1, s14, v0
	v_mov_b32_e32 v3, 0
	v_mov_b32_e32 v2, v4
	;; [unrolled: 1-line block ×3, first 2 shown]
	s_and_saveexec_b64 s[2:3], vcc
	s_cbranch_execz .LBB180_8
; %bb.1:
	v_mov_b32_e32 v2, 0
	v_lshlrev_b64 v[3:4], 2, v[1:2]
	v_mov_b32_e32 v6, s11
	v_add_co_u32_e64 v3, s[0:1], s10, v3
	v_addc_co_u32_e64 v4, s[0:1], v6, v4, s[0:1]
	global_load_dword v6, v[3:4], off
	v_cmp_gt_u32_e64 s[0:1], s15, v5
	v_mov_b32_e32 v3, v2
	v_mov_b32_e32 v4, v2
	s_and_saveexec_b64 s[4:5], s[0:1]
	s_cbranch_execz .LBB180_7
; %bb.2:
	v_add_u32_e32 v2, s14, v5
	v_mov_b32_e32 v3, 0
	v_lshlrev_b64 v[7:8], 2, v[2:3]
	v_mov_b32_e32 v2, s11
	v_add_co_u32_e64 v7, s[0:1], s10, v7
	v_addc_co_u32_e64 v8, s[0:1], v2, v8, s[0:1]
	global_load_dword v2, v[7:8], off
	v_or_b32_e32 v7, 0x200, v0
	v_cmp_gt_u32_e64 s[0:1], s15, v7
	v_mov_b32_e32 v4, v3
	s_and_saveexec_b64 s[6:7], s[0:1]
	s_cbranch_execz .LBB180_6
; %bb.3:
	v_add_u32_e32 v3, s14, v7
	v_mov_b32_e32 v4, 0
	v_lshlrev_b64 v[7:8], 2, v[3:4]
	v_mov_b32_e32 v3, s11
	v_add_co_u32_e64 v7, s[0:1], s10, v7
	v_addc_co_u32_e64 v8, s[0:1], v3, v8, s[0:1]
	global_load_dword v3, v[7:8], off
	v_or_b32_e32 v7, 0x300, v0
	v_cmp_gt_u32_e64 s[0:1], s15, v7
	s_and_saveexec_b64 s[12:13], s[0:1]
	s_cbranch_execz .LBB180_5
; %bb.4:
	v_add_u32_e32 v7, s14, v7
	v_mov_b32_e32 v8, 0
	v_lshlrev_b64 v[7:8], 2, v[7:8]
	v_mov_b32_e32 v4, s11
	v_add_co_u32_e64 v7, s[0:1], s10, v7
	v_addc_co_u32_e64 v8, s[0:1], v4, v8, s[0:1]
	global_load_dword v4, v[7:8], off
.LBB180_5:
	s_or_b64 exec, exec, s[12:13]
.LBB180_6:
	s_or_b64 exec, exec, s[6:7]
.LBB180_7:
	s_or_b64 exec, exec, s[4:5]
.LBB180_8:
	s_or_b64 exec, exec, s[2:3]
	s_min_u32 s2, s16, 31
	s_waitcnt vmcnt(0)
	v_ashrrev_i32_e32 v2, s2, v2
	v_cmp_gt_i32_e64 s[0:1], s15, v5
	v_cndmask_b32_e64 v7, 0, v2, s[0:1]
	v_or_b32_e32 v2, 0x200, v0
	v_ashrrev_i32_e32 v6, s2, v6
	v_ashrrev_i32_e32 v3, s2, v3
	v_cmp_gt_i32_e64 s[0:1], s15, v2
	v_or_b32_e32 v2, 0x300, v0
	v_cndmask_b32_e32 v8, 0, v6, vcc
	v_cndmask_b32_e64 v6, 0, v3, s[0:1]
	v_ashrrev_i32_e32 v3, s2, v4
	v_cmp_gt_i32_e64 s[0:1], s15, v2
	v_cndmask_b32_e64 v3, 0, v3, s[0:1]
	s_and_saveexec_b64 s[0:1], vcc
	s_cbranch_execnz .LBB180_13
; %bb.9:
	s_or_b64 exec, exec, s[0:1]
	v_cmp_gt_i32_e32 vcc, s15, v0
	s_and_saveexec_b64 s[0:1], vcc
	s_cbranch_execnz .LBB180_14
.LBB180_10:
	s_or_b64 exec, exec, s[0:1]
	v_cmp_gt_i32_e32 vcc, s15, v0
	s_and_saveexec_b64 s[0:1], vcc
	s_cbranch_execnz .LBB180_15
.LBB180_11:
	s_or_b64 exec, exec, s[0:1]
	v_cmp_gt_i32_e32 vcc, s15, v0
	s_and_saveexec_b64 s[0:1], vcc
	s_cbranch_execnz .LBB180_16
.LBB180_12:
	s_endpgm
.LBB180_13:
	v_mov_b32_e32 v2, 0
	v_lshlrev_b64 v[0:1], 2, v[1:2]
	v_mov_b32_e32 v2, s9
	v_add_co_u32_e32 v0, vcc, s8, v0
	v_addc_co_u32_e32 v1, vcc, v2, v1, vcc
	global_store_dword v[0:1], v8, off
	v_mov_b32_e32 v0, v5
	s_or_b64 exec, exec, s[0:1]
	v_cmp_gt_i32_e32 vcc, s15, v0
	s_and_saveexec_b64 s[0:1], vcc
	s_cbranch_execz .LBB180_10
.LBB180_14:
	v_add_u32_e32 v2, 0x100, v0
	v_add_u32_e32 v0, s14, v0
	v_mov_b32_e32 v1, 0
	v_lshlrev_b64 v[0:1], 2, v[0:1]
	v_mov_b32_e32 v4, s9
	v_add_co_u32_e32 v0, vcc, s8, v0
	v_addc_co_u32_e32 v1, vcc, v4, v1, vcc
	global_store_dword v[0:1], v7, off
	v_mov_b32_e32 v0, v2
	s_or_b64 exec, exec, s[0:1]
	v_cmp_gt_i32_e32 vcc, s15, v0
	s_and_saveexec_b64 s[0:1], vcc
	s_cbranch_execz .LBB180_11
.LBB180_15:
	v_add_u32_e32 v2, 0x100, v0
	v_add_u32_e32 v0, s14, v0
	v_mov_b32_e32 v1, 0
	v_lshlrev_b64 v[0:1], 2, v[0:1]
	v_mov_b32_e32 v4, s9
	v_add_co_u32_e32 v0, vcc, s8, v0
	v_addc_co_u32_e32 v1, vcc, v4, v1, vcc
	global_store_dword v[0:1], v6, off
	v_mov_b32_e32 v0, v2
	s_or_b64 exec, exec, s[0:1]
	v_cmp_gt_i32_e32 vcc, s15, v0
	s_and_saveexec_b64 s[0:1], vcc
	s_cbranch_execz .LBB180_12
.LBB180_16:
	v_add_u32_e32 v0, s14, v0
	v_mov_b32_e32 v1, 0
	v_lshlrev_b64 v[0:1], 2, v[0:1]
	v_mov_b32_e32 v2, s9
	v_add_co_u32_e32 v0, vcc, s8, v0
	v_addc_co_u32_e32 v1, vcc, v2, v1, vcc
	global_store_dword v[0:1], v3, off
	s_endpgm
	.section	.rodata,"a",@progbits
	.p2align	6, 0x0
	.amdhsa_kernel _ZN2at6native27unrolled_elementwise_kernelINS0_13BUnaryFunctorIiiiZZZNS0_18rshift_kernel_cudaERNS_18TensorIteratorBaseEENKUlvE_clEvENKUlvE1_clEvEUliiE_EESt5arrayIPcLm2EELi4E23TrivialOffsetCalculatorILi1EjESD_NS0_6memory15LoadWithoutCastENSE_16StoreWithoutCastEEEviT_T0_T2_T3_T4_T5_
		.amdhsa_group_segment_fixed_size 0
		.amdhsa_private_segment_fixed_size 0
		.amdhsa_kernarg_size 36
		.amdhsa_user_sgpr_count 6
		.amdhsa_user_sgpr_private_segment_buffer 1
		.amdhsa_user_sgpr_dispatch_ptr 0
		.amdhsa_user_sgpr_queue_ptr 0
		.amdhsa_user_sgpr_kernarg_segment_ptr 1
		.amdhsa_user_sgpr_dispatch_id 0
		.amdhsa_user_sgpr_flat_scratch_init 0
		.amdhsa_user_sgpr_private_segment_size 0
		.amdhsa_uses_dynamic_stack 0
		.amdhsa_system_sgpr_private_segment_wavefront_offset 0
		.amdhsa_system_sgpr_workgroup_id_x 1
		.amdhsa_system_sgpr_workgroup_id_y 0
		.amdhsa_system_sgpr_workgroup_id_z 0
		.amdhsa_system_sgpr_workgroup_info 0
		.amdhsa_system_vgpr_workitem_id 0
		.amdhsa_next_free_vgpr 9
		.amdhsa_next_free_sgpr 17
		.amdhsa_reserve_vcc 1
		.amdhsa_reserve_flat_scratch 0
		.amdhsa_float_round_mode_32 0
		.amdhsa_float_round_mode_16_64 0
		.amdhsa_float_denorm_mode_32 3
		.amdhsa_float_denorm_mode_16_64 3
		.amdhsa_dx10_clamp 1
		.amdhsa_ieee_mode 1
		.amdhsa_fp16_overflow 0
		.amdhsa_exception_fp_ieee_invalid_op 0
		.amdhsa_exception_fp_denorm_src 0
		.amdhsa_exception_fp_ieee_div_zero 0
		.amdhsa_exception_fp_ieee_overflow 0
		.amdhsa_exception_fp_ieee_underflow 0
		.amdhsa_exception_fp_ieee_inexact 0
		.amdhsa_exception_int_div_zero 0
	.end_amdhsa_kernel
	.section	.text._ZN2at6native27unrolled_elementwise_kernelINS0_13BUnaryFunctorIiiiZZZNS0_18rshift_kernel_cudaERNS_18TensorIteratorBaseEENKUlvE_clEvENKUlvE1_clEvEUliiE_EESt5arrayIPcLm2EELi4E23TrivialOffsetCalculatorILi1EjESD_NS0_6memory15LoadWithoutCastENSE_16StoreWithoutCastEEEviT_T0_T2_T3_T4_T5_,"axG",@progbits,_ZN2at6native27unrolled_elementwise_kernelINS0_13BUnaryFunctorIiiiZZZNS0_18rshift_kernel_cudaERNS_18TensorIteratorBaseEENKUlvE_clEvENKUlvE1_clEvEUliiE_EESt5arrayIPcLm2EELi4E23TrivialOffsetCalculatorILi1EjESD_NS0_6memory15LoadWithoutCastENSE_16StoreWithoutCastEEEviT_T0_T2_T3_T4_T5_,comdat
.Lfunc_end180:
	.size	_ZN2at6native27unrolled_elementwise_kernelINS0_13BUnaryFunctorIiiiZZZNS0_18rshift_kernel_cudaERNS_18TensorIteratorBaseEENKUlvE_clEvENKUlvE1_clEvEUliiE_EESt5arrayIPcLm2EELi4E23TrivialOffsetCalculatorILi1EjESD_NS0_6memory15LoadWithoutCastENSE_16StoreWithoutCastEEEviT_T0_T2_T3_T4_T5_, .Lfunc_end180-_ZN2at6native27unrolled_elementwise_kernelINS0_13BUnaryFunctorIiiiZZZNS0_18rshift_kernel_cudaERNS_18TensorIteratorBaseEENKUlvE_clEvENKUlvE1_clEvEUliiE_EESt5arrayIPcLm2EELi4E23TrivialOffsetCalculatorILi1EjESD_NS0_6memory15LoadWithoutCastENSE_16StoreWithoutCastEEEviT_T0_T2_T3_T4_T5_
                                        ; -- End function
	.set _ZN2at6native27unrolled_elementwise_kernelINS0_13BUnaryFunctorIiiiZZZNS0_18rshift_kernel_cudaERNS_18TensorIteratorBaseEENKUlvE_clEvENKUlvE1_clEvEUliiE_EESt5arrayIPcLm2EELi4E23TrivialOffsetCalculatorILi1EjESD_NS0_6memory15LoadWithoutCastENSE_16StoreWithoutCastEEEviT_T0_T2_T3_T4_T5_.num_vgpr, 9
	.set _ZN2at6native27unrolled_elementwise_kernelINS0_13BUnaryFunctorIiiiZZZNS0_18rshift_kernel_cudaERNS_18TensorIteratorBaseEENKUlvE_clEvENKUlvE1_clEvEUliiE_EESt5arrayIPcLm2EELi4E23TrivialOffsetCalculatorILi1EjESD_NS0_6memory15LoadWithoutCastENSE_16StoreWithoutCastEEEviT_T0_T2_T3_T4_T5_.num_agpr, 0
	.set _ZN2at6native27unrolled_elementwise_kernelINS0_13BUnaryFunctorIiiiZZZNS0_18rshift_kernel_cudaERNS_18TensorIteratorBaseEENKUlvE_clEvENKUlvE1_clEvEUliiE_EESt5arrayIPcLm2EELi4E23TrivialOffsetCalculatorILi1EjESD_NS0_6memory15LoadWithoutCastENSE_16StoreWithoutCastEEEviT_T0_T2_T3_T4_T5_.numbered_sgpr, 17
	.set _ZN2at6native27unrolled_elementwise_kernelINS0_13BUnaryFunctorIiiiZZZNS0_18rshift_kernel_cudaERNS_18TensorIteratorBaseEENKUlvE_clEvENKUlvE1_clEvEUliiE_EESt5arrayIPcLm2EELi4E23TrivialOffsetCalculatorILi1EjESD_NS0_6memory15LoadWithoutCastENSE_16StoreWithoutCastEEEviT_T0_T2_T3_T4_T5_.num_named_barrier, 0
	.set _ZN2at6native27unrolled_elementwise_kernelINS0_13BUnaryFunctorIiiiZZZNS0_18rshift_kernel_cudaERNS_18TensorIteratorBaseEENKUlvE_clEvENKUlvE1_clEvEUliiE_EESt5arrayIPcLm2EELi4E23TrivialOffsetCalculatorILi1EjESD_NS0_6memory15LoadWithoutCastENSE_16StoreWithoutCastEEEviT_T0_T2_T3_T4_T5_.private_seg_size, 0
	.set _ZN2at6native27unrolled_elementwise_kernelINS0_13BUnaryFunctorIiiiZZZNS0_18rshift_kernel_cudaERNS_18TensorIteratorBaseEENKUlvE_clEvENKUlvE1_clEvEUliiE_EESt5arrayIPcLm2EELi4E23TrivialOffsetCalculatorILi1EjESD_NS0_6memory15LoadWithoutCastENSE_16StoreWithoutCastEEEviT_T0_T2_T3_T4_T5_.uses_vcc, 1
	.set _ZN2at6native27unrolled_elementwise_kernelINS0_13BUnaryFunctorIiiiZZZNS0_18rshift_kernel_cudaERNS_18TensorIteratorBaseEENKUlvE_clEvENKUlvE1_clEvEUliiE_EESt5arrayIPcLm2EELi4E23TrivialOffsetCalculatorILi1EjESD_NS0_6memory15LoadWithoutCastENSE_16StoreWithoutCastEEEviT_T0_T2_T3_T4_T5_.uses_flat_scratch, 0
	.set _ZN2at6native27unrolled_elementwise_kernelINS0_13BUnaryFunctorIiiiZZZNS0_18rshift_kernel_cudaERNS_18TensorIteratorBaseEENKUlvE_clEvENKUlvE1_clEvEUliiE_EESt5arrayIPcLm2EELi4E23TrivialOffsetCalculatorILi1EjESD_NS0_6memory15LoadWithoutCastENSE_16StoreWithoutCastEEEviT_T0_T2_T3_T4_T5_.has_dyn_sized_stack, 0
	.set _ZN2at6native27unrolled_elementwise_kernelINS0_13BUnaryFunctorIiiiZZZNS0_18rshift_kernel_cudaERNS_18TensorIteratorBaseEENKUlvE_clEvENKUlvE1_clEvEUliiE_EESt5arrayIPcLm2EELi4E23TrivialOffsetCalculatorILi1EjESD_NS0_6memory15LoadWithoutCastENSE_16StoreWithoutCastEEEviT_T0_T2_T3_T4_T5_.has_recursion, 0
	.set _ZN2at6native27unrolled_elementwise_kernelINS0_13BUnaryFunctorIiiiZZZNS0_18rshift_kernel_cudaERNS_18TensorIteratorBaseEENKUlvE_clEvENKUlvE1_clEvEUliiE_EESt5arrayIPcLm2EELi4E23TrivialOffsetCalculatorILi1EjESD_NS0_6memory15LoadWithoutCastENSE_16StoreWithoutCastEEEviT_T0_T2_T3_T4_T5_.has_indirect_call, 0
	.section	.AMDGPU.csdata,"",@progbits
; Kernel info:
; codeLenInByte = 712
; TotalNumSgprs: 21
; NumVgprs: 9
; ScratchSize: 0
; MemoryBound: 0
; FloatMode: 240
; IeeeMode: 1
; LDSByteSize: 0 bytes/workgroup (compile time only)
; SGPRBlocks: 2
; VGPRBlocks: 2
; NumSGPRsForWavesPerEU: 21
; NumVGPRsForWavesPerEU: 9
; Occupancy: 10
; WaveLimiterHint : 0
; COMPUTE_PGM_RSRC2:SCRATCH_EN: 0
; COMPUTE_PGM_RSRC2:USER_SGPR: 6
; COMPUTE_PGM_RSRC2:TRAP_HANDLER: 0
; COMPUTE_PGM_RSRC2:TGID_X_EN: 1
; COMPUTE_PGM_RSRC2:TGID_Y_EN: 0
; COMPUTE_PGM_RSRC2:TGID_Z_EN: 0
; COMPUTE_PGM_RSRC2:TIDIG_COMP_CNT: 0
	.section	.text._ZN2at6native32elementwise_kernel_manual_unrollILi128ELi4EZNS0_22gpu_kernel_impl_nocastINS0_13BUnaryFunctorIiiiZZZNS0_18rshift_kernel_cudaERNS_18TensorIteratorBaseEENKUlvE_clEvENKUlvE1_clEvEUliiE_EEEEvS5_RKT_EUlibE_EEviT1_,"axG",@progbits,_ZN2at6native32elementwise_kernel_manual_unrollILi128ELi4EZNS0_22gpu_kernel_impl_nocastINS0_13BUnaryFunctorIiiiZZZNS0_18rshift_kernel_cudaERNS_18TensorIteratorBaseEENKUlvE_clEvENKUlvE1_clEvEUliiE_EEEEvS5_RKT_EUlibE_EEviT1_,comdat
	.globl	_ZN2at6native32elementwise_kernel_manual_unrollILi128ELi4EZNS0_22gpu_kernel_impl_nocastINS0_13BUnaryFunctorIiiiZZZNS0_18rshift_kernel_cudaERNS_18TensorIteratorBaseEENKUlvE_clEvENKUlvE1_clEvEUliiE_EEEEvS5_RKT_EUlibE_EEviT1_ ; -- Begin function _ZN2at6native32elementwise_kernel_manual_unrollILi128ELi4EZNS0_22gpu_kernel_impl_nocastINS0_13BUnaryFunctorIiiiZZZNS0_18rshift_kernel_cudaERNS_18TensorIteratorBaseEENKUlvE_clEvENKUlvE1_clEvEUliiE_EEEEvS5_RKT_EUlibE_EEviT1_
	.p2align	8
	.type	_ZN2at6native32elementwise_kernel_manual_unrollILi128ELi4EZNS0_22gpu_kernel_impl_nocastINS0_13BUnaryFunctorIiiiZZZNS0_18rshift_kernel_cudaERNS_18TensorIteratorBaseEENKUlvE_clEvENKUlvE1_clEvEUliiE_EEEEvS5_RKT_EUlibE_EEviT1_,@function
_ZN2at6native32elementwise_kernel_manual_unrollILi128ELi4EZNS0_22gpu_kernel_impl_nocastINS0_13BUnaryFunctorIiiiZZZNS0_18rshift_kernel_cudaERNS_18TensorIteratorBaseEENKUlvE_clEvENKUlvE1_clEvEUliiE_EEEEvS5_RKT_EUlibE_EEviT1_: ; @_ZN2at6native32elementwise_kernel_manual_unrollILi128ELi4EZNS0_22gpu_kernel_impl_nocastINS0_13BUnaryFunctorIiiiZZZNS0_18rshift_kernel_cudaERNS_18TensorIteratorBaseEENKUlvE_clEvENKUlvE1_clEvEUliiE_EEEEvS5_RKT_EUlibE_EEviT1_
; %bb.0:
	s_load_dword s56, s[4:5], 0x0
	s_load_dword s33, s[4:5], 0x8
	s_add_u32 s34, s4, 8
	s_addc_u32 s35, s5, 0
	v_lshl_or_b32 v7, s6, 9, v0
	v_or_b32_e32 v13, 0x180, v7
	s_waitcnt lgkmcnt(0)
	s_add_i32 s54, s33, -1
	s_cmp_gt_u32 s54, 1
	v_cmp_le_i32_e32 vcc, s56, v13
	s_cselect_b64 s[36:37], -1, 0
	s_and_saveexec_b64 s[0:1], vcc
	s_xor_b64 s[38:39], exec, s[0:1]
	s_cbranch_execz .LBB181_7
; %bb.1:
	s_cmp_lg_u32 s33, 0
	s_cselect_b64 s[46:47], -1, 0
	s_add_u32 s44, s34, 0xc4
	s_load_dwordx4 s[20:23], s[34:35], 0x4
	s_load_dwordx2 s[40:41], s[34:35], 0x14
	s_load_dword s0, s[34:35], 0x15c
	s_load_dwordx4 s[24:27], s[34:35], 0xc4
	s_load_dwordx4 s[16:19], s[34:35], 0x148
	s_addc_u32 s45, s35, 0
	s_min_u32 s57, s54, 15
	s_cmp_gt_u32 s33, 1
	s_cselect_b64 s[42:43], -1, 0
	s_waitcnt lgkmcnt(0)
	s_min_u32 s55, s0, 31
	v_cmp_gt_i32_e32 vcc, s56, v7
	s_and_saveexec_b64 s[48:49], vcc
	s_cbranch_execz .LBB181_14
; %bb.2:
	s_andn2_b64 vcc, exec, s[36:37]
	s_cbranch_vccnz .LBB181_21
; %bb.3:
	s_andn2_b64 vcc, exec, s[46:47]
	s_cbranch_vccnz .LBB181_73
; %bb.4:
	s_add_i32 s59, s57, 1
	s_cmp_eq_u32 s54, 2
	s_cbranch_scc1 .LBB181_75
; %bb.5:
	s_and_b32 s58, s59, 28
	v_mov_b32_e32 v2, 0
	s_mov_b32 s60, 0
	s_mov_b64 s[50:51], s[34:35]
	s_mov_b64 s[52:53], s[44:45]
	v_mov_b32_e32 v0, 0
	v_mov_b32_e32 v1, v7
.LBB181_6:                              ; =>This Inner Loop Header: Depth=1
	s_load_dwordx8 s[8:15], s[50:51], 0x4
	s_load_dwordx4 s[28:31], s[50:51], 0x24
	s_load_dwordx8 s[0:7], s[52:53], 0x0
	s_add_u32 s50, s50, 48
	s_addc_u32 s51, s51, 0
	s_waitcnt lgkmcnt(0)
	v_mul_hi_u32 v3, s9, v1
	s_add_i32 s60, s60, 4
	s_add_u32 s52, s52, 32
	s_addc_u32 s53, s53, 0
	v_add_u32_e32 v3, v1, v3
	v_lshrrev_b32_e32 v3, s10, v3
	v_mul_lo_u32 v4, v3, s8
	v_mul_hi_u32 v5, s12, v3
	s_cmp_lg_u32 s58, s60
	v_sub_u32_e32 v1, v1, v4
	v_add_u32_e32 v4, v3, v5
	v_mul_lo_u32 v5, v1, s0
	v_mul_lo_u32 v6, v1, s1
	v_lshrrev_b32_e32 v1, s13, v4
	v_mul_lo_u32 v4, v1, s11
	v_mul_hi_u32 v8, s15, v1
	v_sub_u32_e32 v3, v3, v4
	v_add_u32_e32 v4, v1, v8
	v_lshrrev_b32_e32 v4, s28, v4
	v_mul_hi_u32 v9, s30, v4
	v_mul_lo_u32 v10, v4, s14
	v_mul_lo_u32 v8, v3, s2
	;; [unrolled: 1-line block ×3, first 2 shown]
	v_sub_u32_e32 v10, v1, v10
	v_add_u32_e32 v1, v4, v9
	v_lshrrev_b32_e32 v1, s31, v1
	v_mul_lo_u32 v9, v1, s29
	v_mul_lo_u32 v11, v10, s4
	;; [unrolled: 1-line block ×3, first 2 shown]
	v_add3_u32 v0, v5, v0, v8
	v_sub_u32_e32 v4, v4, v9
	v_mul_lo_u32 v9, v4, s6
	v_mul_lo_u32 v4, v4, s7
	v_add3_u32 v2, v6, v2, v3
	v_add3_u32 v0, v11, v0, v9
	;; [unrolled: 1-line block ×3, first 2 shown]
	s_cbranch_scc1 .LBB181_6
	s_branch .LBB181_76
.LBB181_7:
	s_andn2_saveexec_b64 s[0:1], s[38:39]
	s_cbranch_execz .LBB181_101
.LBB181_8:
	v_cndmask_b32_e64 v0, 0, 1, s[36:37]
	v_cmp_ne_u32_e64 s[0:1], 1, v0
	s_andn2_b64 vcc, exec, s[36:37]
	s_cbranch_vccnz .LBB181_20
; %bb.9:
	s_cmp_lg_u32 s33, 0
	s_mov_b32 s26, 0
	s_cbranch_scc0 .LBB181_23
; %bb.10:
	s_min_u32 s27, s54, 15
	s_add_i32 s27, s27, 1
	s_cmp_eq_u32 s54, 2
	s_cbranch_scc1 .LBB181_24
; %bb.11:
	s_and_b32 s26, s27, 28
	s_add_u32 s2, s34, 0xc4
	s_addc_u32 s3, s35, 0
	v_mov_b32_e32 v2, 0
	s_mov_b32 s28, 0
	s_mov_b64 s[24:25], s[34:35]
	v_mov_b32_e32 v0, 0
	v_mov_b32_e32 v1, v7
.LBB181_12:                             ; =>This Inner Loop Header: Depth=1
	s_load_dwordx8 s[12:19], s[24:25], 0x4
	s_load_dwordx4 s[20:23], s[24:25], 0x24
	s_load_dwordx8 s[4:11], s[2:3], 0x0
	s_add_u32 s24, s24, 48
	s_addc_u32 s25, s25, 0
	s_waitcnt lgkmcnt(0)
	v_mul_hi_u32 v3, s13, v1
	s_add_i32 s28, s28, 4
	s_add_u32 s2, s2, 32
	s_addc_u32 s3, s3, 0
	v_add_u32_e32 v3, v1, v3
	v_lshrrev_b32_e32 v3, s14, v3
	v_mul_lo_u32 v4, v3, s12
	v_mul_hi_u32 v5, s16, v3
	s_cmp_lg_u32 s26, s28
	v_sub_u32_e32 v1, v1, v4
	v_add_u32_e32 v4, v3, v5
	v_mul_lo_u32 v5, v1, s4
	v_mul_lo_u32 v6, v1, s5
	v_lshrrev_b32_e32 v1, s17, v4
	v_mul_lo_u32 v4, v1, s15
	v_mul_hi_u32 v8, s19, v1
	v_sub_u32_e32 v3, v3, v4
	v_add_u32_e32 v4, v1, v8
	v_lshrrev_b32_e32 v4, s20, v4
	v_mul_hi_u32 v9, s22, v4
	v_mul_lo_u32 v10, v4, s18
	v_mul_lo_u32 v8, v3, s6
	v_mul_lo_u32 v3, v3, s7
	v_sub_u32_e32 v10, v1, v10
	v_add_u32_e32 v1, v4, v9
	v_lshrrev_b32_e32 v1, s23, v1
	v_mul_lo_u32 v9, v1, s21
	v_mul_lo_u32 v11, v10, s8
	v_mul_lo_u32 v10, v10, s9
	v_add3_u32 v0, v5, v0, v8
	v_sub_u32_e32 v4, v4, v9
	v_mul_lo_u32 v9, v4, s10
	v_mul_lo_u32 v4, v4, s11
	v_add3_u32 v2, v6, v2, v3
	v_add3_u32 v0, v11, v0, v9
	;; [unrolled: 1-line block ×3, first 2 shown]
	s_cbranch_scc1 .LBB181_12
; %bb.13:
	s_and_b32 s6, s27, 3
	s_cmp_eq_u32 s6, 0
	s_cbranch_scc0 .LBB181_25
	s_branch .LBB181_27
.LBB181_14:
	s_or_b64 exec, exec, s[48:49]
	v_cmp_gt_i32_e32 vcc, s56, v7
	s_and_saveexec_b64 s[48:49], vcc
	s_cbranch_execz .LBB181_83
.LBB181_15:
	s_andn2_b64 vcc, exec, s[36:37]
	s_cbranch_vccnz .LBB181_22
; %bb.16:
	s_andn2_b64 vcc, exec, s[46:47]
	s_cbranch_vccnz .LBB181_74
; %bb.17:
	s_add_i32 s59, s57, 1
	s_cmp_eq_u32 s54, 2
	s_cbranch_scc1 .LBB181_91
; %bb.18:
	s_and_b32 s58, s59, 28
	v_mov_b32_e32 v2, 0
	s_mov_b32 s60, 0
	s_mov_b64 s[50:51], s[34:35]
	s_mov_b64 s[52:53], s[44:45]
	v_mov_b32_e32 v0, 0
	v_mov_b32_e32 v1, v7
.LBB181_19:                             ; =>This Inner Loop Header: Depth=1
	s_load_dwordx8 s[8:15], s[50:51], 0x4
	s_load_dwordx4 s[28:31], s[50:51], 0x24
	s_load_dwordx8 s[0:7], s[52:53], 0x0
	s_add_u32 s50, s50, 48
	s_addc_u32 s51, s51, 0
	s_waitcnt lgkmcnt(0)
	v_mul_hi_u32 v3, s9, v1
	s_add_i32 s60, s60, 4
	s_add_u32 s52, s52, 32
	s_addc_u32 s53, s53, 0
	v_add_u32_e32 v3, v1, v3
	v_lshrrev_b32_e32 v3, s10, v3
	v_mul_lo_u32 v4, v3, s8
	v_mul_hi_u32 v5, s12, v3
	s_cmp_eq_u32 s58, s60
	v_sub_u32_e32 v1, v1, v4
	v_add_u32_e32 v4, v3, v5
	v_mul_lo_u32 v5, v1, s0
	v_mul_lo_u32 v6, v1, s1
	v_lshrrev_b32_e32 v1, s13, v4
	v_mul_lo_u32 v4, v1, s11
	v_mul_hi_u32 v8, s15, v1
	v_sub_u32_e32 v3, v3, v4
	v_add_u32_e32 v4, v1, v8
	v_lshrrev_b32_e32 v4, s28, v4
	v_mul_hi_u32 v9, s30, v4
	v_mul_lo_u32 v10, v4, s14
	v_mul_lo_u32 v8, v3, s2
	;; [unrolled: 1-line block ×3, first 2 shown]
	v_sub_u32_e32 v10, v1, v10
	v_add_u32_e32 v1, v4, v9
	v_lshrrev_b32_e32 v1, s31, v1
	v_mul_lo_u32 v9, v1, s29
	v_mul_lo_u32 v11, v10, s4
	v_mul_lo_u32 v10, v10, s5
	v_add3_u32 v0, v5, v0, v8
	v_sub_u32_e32 v4, v4, v9
	v_mul_lo_u32 v9, v4, s6
	v_mul_lo_u32 v4, v4, s7
	v_add3_u32 v2, v6, v2, v3
	v_add3_u32 v0, v11, v0, v9
	;; [unrolled: 1-line block ×3, first 2 shown]
	s_cbranch_scc0 .LBB181_19
	s_branch .LBB181_92
.LBB181_20:
                                        ; implicit-def: $vgpr0
                                        ; implicit-def: $vgpr2
	s_branch .LBB181_28
.LBB181_21:
                                        ; implicit-def: $vgpr0
                                        ; implicit-def: $vgpr2
	s_branch .LBB181_80
.LBB181_22:
                                        ; implicit-def: $vgpr0
                                        ; implicit-def: $vgpr2
	s_branch .LBB181_96
.LBB181_23:
	v_mov_b32_e32 v0, 0
	v_mov_b32_e32 v2, 0
	s_branch .LBB181_27
.LBB181_24:
	v_mov_b32_e32 v0, 0
	v_mov_b32_e32 v2, 0
	;; [unrolled: 1-line block ×3, first 2 shown]
	s_and_b32 s6, s27, 3
	s_cmp_eq_u32 s6, 0
	s_cbranch_scc1 .LBB181_27
.LBB181_25:
	s_lshl_b32 s2, s26, 3
	s_add_u32 s2, s34, s2
	s_addc_u32 s3, s35, 0
	s_add_u32 s2, s2, 0xc4
	s_addc_u32 s3, s3, 0
	s_mul_i32 s4, s26, 12
	s_add_u32 s4, s34, s4
	s_addc_u32 s5, s35, 0
.LBB181_26:                             ; =>This Inner Loop Header: Depth=1
	s_load_dwordx2 s[8:9], s[4:5], 0x4
	s_load_dword s7, s[4:5], 0xc
	s_load_dwordx2 s[10:11], s[2:3], 0x0
	s_add_u32 s4, s4, 12
	s_addc_u32 s5, s5, 0
	s_waitcnt lgkmcnt(0)
	v_mul_hi_u32 v4, s9, v1
	s_add_u32 s2, s2, 8
	s_addc_u32 s3, s3, 0
	s_add_i32 s6, s6, -1
	v_add_u32_e32 v4, v1, v4
	v_lshrrev_b32_e32 v4, s7, v4
	v_mul_lo_u32 v5, v4, s8
	s_cmp_lg_u32 s6, 0
	v_sub_u32_e32 v5, v1, v5
	v_mad_u64_u32 v[0:1], s[8:9], v5, s10, v[0:1]
	v_mad_u64_u32 v[2:3], s[8:9], v5, s11, v[2:3]
	v_mov_b32_e32 v1, v4
	s_cbranch_scc1 .LBB181_26
.LBB181_27:
	s_cbranch_execnz .LBB181_30
.LBB181_28:
	s_load_dwordx4 s[4:7], s[34:35], 0x4
	s_load_dwordx2 s[2:3], s[34:35], 0xc4
	s_cmp_lt_u32 s33, 2
	s_waitcnt lgkmcnt(0)
	v_mul_hi_u32 v0, s5, v7
	v_add_u32_e32 v0, v7, v0
	v_lshrrev_b32_e32 v1, s6, v0
	v_mul_lo_u32 v0, v1, s4
	v_sub_u32_e32 v2, v7, v0
	v_mul_lo_u32 v0, v2, s2
	v_mul_lo_u32 v2, v2, s3
	s_cbranch_scc1 .LBB181_30
; %bb.29:
	s_load_dwordx4 s[4:7], s[34:35], 0x10
	s_load_dwordx2 s[2:3], s[34:35], 0xcc
	s_waitcnt lgkmcnt(0)
	v_mul_hi_u32 v3, s5, v1
	v_add_u32_e32 v3, v1, v3
	v_lshrrev_b32_e32 v3, s6, v3
	v_mul_lo_u32 v3, v3, s4
	v_sub_u32_e32 v3, v1, v3
	v_mad_u64_u32 v[0:1], s[4:5], v3, s2, v[0:1]
	v_mad_u64_u32 v[2:3], s[2:3], v3, s3, v[2:3]
.LBB181_30:
	s_and_b64 vcc, exec, s[0:1]
	v_add_u32_e32 v1, 0x80, v7
	s_cbranch_vccnz .LBB181_36
; %bb.31:
	s_cmp_lg_u32 s33, 0
	s_mov_b32 s26, 0
	s_cbranch_scc0 .LBB181_37
; %bb.32:
	s_min_u32 s27, s54, 15
	s_add_i32 s27, s27, 1
	s_cmp_eq_u32 s54, 2
	s_cbranch_scc1 .LBB181_38
; %bb.33:
	s_and_b32 s26, s27, 28
	s_add_u32 s2, s34, 0xc4
	s_addc_u32 s3, s35, 0
	v_mov_b32_e32 v5, 0
	s_mov_b32 s28, 0
	s_mov_b64 s[24:25], s[34:35]
	v_mov_b32_e32 v3, 0
	v_mov_b32_e32 v4, v1
.LBB181_34:                             ; =>This Inner Loop Header: Depth=1
	s_load_dwordx8 s[12:19], s[24:25], 0x4
	s_load_dwordx4 s[20:23], s[24:25], 0x24
	s_load_dwordx8 s[4:11], s[2:3], 0x0
	s_add_u32 s24, s24, 48
	s_addc_u32 s25, s25, 0
	s_waitcnt lgkmcnt(0)
	v_mul_hi_u32 v6, s13, v4
	s_add_i32 s28, s28, 4
	s_add_u32 s2, s2, 32
	s_addc_u32 s3, s3, 0
	v_add_u32_e32 v6, v4, v6
	v_lshrrev_b32_e32 v6, s14, v6
	v_mul_lo_u32 v8, v6, s12
	v_mul_hi_u32 v9, s16, v6
	s_cmp_lg_u32 s26, s28
	v_sub_u32_e32 v4, v4, v8
	v_add_u32_e32 v8, v6, v9
	v_mul_lo_u32 v9, v4, s4
	v_mul_lo_u32 v10, v4, s5
	v_lshrrev_b32_e32 v4, s17, v8
	v_mul_lo_u32 v8, v4, s15
	v_mul_hi_u32 v11, s19, v4
	v_sub_u32_e32 v6, v6, v8
	v_add_u32_e32 v8, v4, v11
	v_lshrrev_b32_e32 v8, s20, v8
	v_mul_hi_u32 v12, s22, v8
	v_mul_lo_u32 v14, v8, s18
	v_mul_lo_u32 v11, v6, s6
	;; [unrolled: 1-line block ×3, first 2 shown]
	v_sub_u32_e32 v14, v4, v14
	v_add_u32_e32 v4, v8, v12
	v_lshrrev_b32_e32 v4, s23, v4
	v_mul_lo_u32 v12, v4, s21
	v_mul_lo_u32 v15, v14, s8
	;; [unrolled: 1-line block ×3, first 2 shown]
	v_add3_u32 v3, v9, v3, v11
	v_sub_u32_e32 v8, v8, v12
	v_mul_lo_u32 v12, v8, s10
	v_mul_lo_u32 v8, v8, s11
	v_add3_u32 v5, v10, v5, v6
	v_add3_u32 v3, v15, v3, v12
	v_add3_u32 v5, v14, v5, v8
	s_cbranch_scc1 .LBB181_34
; %bb.35:
	s_and_b32 s6, s27, 3
	s_cmp_eq_u32 s6, 0
	s_cbranch_scc0 .LBB181_39
	s_branch .LBB181_41
.LBB181_36:
                                        ; implicit-def: $vgpr3
                                        ; implicit-def: $vgpr5
	s_branch .LBB181_42
.LBB181_37:
	v_mov_b32_e32 v3, 0
	v_mov_b32_e32 v5, 0
	s_branch .LBB181_41
.LBB181_38:
	v_mov_b32_e32 v3, 0
	v_mov_b32_e32 v5, 0
	;; [unrolled: 1-line block ×3, first 2 shown]
	s_and_b32 s6, s27, 3
	s_cmp_eq_u32 s6, 0
	s_cbranch_scc1 .LBB181_41
.LBB181_39:
	s_lshl_b32 s2, s26, 3
	s_add_u32 s2, s34, s2
	s_addc_u32 s3, s35, 0
	s_add_u32 s2, s2, 0xc4
	s_addc_u32 s3, s3, 0
	s_mul_i32 s4, s26, 12
	s_add_u32 s4, s34, s4
	s_addc_u32 s5, s35, 0
.LBB181_40:                             ; =>This Inner Loop Header: Depth=1
	s_load_dwordx2 s[8:9], s[4:5], 0x4
	s_load_dword s7, s[4:5], 0xc
	s_load_dwordx2 s[10:11], s[2:3], 0x0
	s_add_u32 s4, s4, 12
	s_addc_u32 s5, s5, 0
	s_waitcnt lgkmcnt(0)
	v_mul_hi_u32 v8, s9, v4
	s_add_u32 s2, s2, 8
	s_addc_u32 s3, s3, 0
	s_add_i32 s6, s6, -1
	v_add_u32_e32 v8, v4, v8
	v_lshrrev_b32_e32 v8, s7, v8
	v_mul_lo_u32 v9, v8, s8
	s_cmp_lg_u32 s6, 0
	v_sub_u32_e32 v9, v4, v9
	v_mad_u64_u32 v[3:4], s[8:9], v9, s10, v[3:4]
	v_mad_u64_u32 v[5:6], s[8:9], v9, s11, v[5:6]
	v_mov_b32_e32 v4, v8
	s_cbranch_scc1 .LBB181_40
.LBB181_41:
	s_cbranch_execnz .LBB181_44
.LBB181_42:
	s_load_dwordx4 s[4:7], s[34:35], 0x4
	s_load_dwordx2 s[2:3], s[34:35], 0xc4
	s_cmp_lt_u32 s33, 2
	s_waitcnt lgkmcnt(0)
	v_mul_hi_u32 v3, s5, v1
	v_add_u32_e32 v3, v1, v3
	v_lshrrev_b32_e32 v4, s6, v3
	v_mul_lo_u32 v3, v4, s4
	v_sub_u32_e32 v1, v1, v3
	v_mul_lo_u32 v3, v1, s2
	v_mul_lo_u32 v5, v1, s3
	s_cbranch_scc1 .LBB181_44
; %bb.43:
	s_load_dwordx4 s[4:7], s[34:35], 0x10
	s_load_dwordx2 s[2:3], s[34:35], 0xcc
	s_waitcnt lgkmcnt(0)
	v_mul_hi_u32 v1, s5, v4
	v_add_u32_e32 v1, v4, v1
	v_lshrrev_b32_e32 v1, s6, v1
	v_mul_lo_u32 v1, v1, s4
	v_sub_u32_e32 v1, v4, v1
	v_mad_u64_u32 v[3:4], s[4:5], v1, s2, v[3:4]
	v_mad_u64_u32 v[5:6], s[2:3], v1, s3, v[5:6]
.LBB181_44:
	s_and_b64 vcc, exec, s[0:1]
	v_add_u32_e32 v1, 0x100, v7
	s_cbranch_vccnz .LBB181_50
; %bb.45:
	s_cmp_lg_u32 s33, 0
	s_mov_b32 s26, 0
	s_cbranch_scc0 .LBB181_51
; %bb.46:
	s_min_u32 s27, s54, 15
	s_add_i32 s27, s27, 1
	s_cmp_eq_u32 s54, 2
	s_cbranch_scc1 .LBB181_52
; %bb.47:
	s_and_b32 s26, s27, 28
	s_add_u32 s2, s34, 0xc4
	s_addc_u32 s3, s35, 0
	v_mov_b32_e32 v8, 0
	s_mov_b32 s28, 0
	s_mov_b64 s[24:25], s[34:35]
	v_mov_b32_e32 v6, 0
	v_mov_b32_e32 v4, v1
.LBB181_48:                             ; =>This Inner Loop Header: Depth=1
	s_load_dwordx8 s[12:19], s[24:25], 0x4
	s_load_dwordx4 s[20:23], s[24:25], 0x24
	s_load_dwordx8 s[4:11], s[2:3], 0x0
	s_add_u32 s24, s24, 48
	s_addc_u32 s25, s25, 0
	s_waitcnt lgkmcnt(0)
	v_mul_hi_u32 v7, s13, v4
	s_add_i32 s28, s28, 4
	s_add_u32 s2, s2, 32
	s_addc_u32 s3, s3, 0
	v_add_u32_e32 v7, v4, v7
	v_lshrrev_b32_e32 v7, s14, v7
	v_mul_lo_u32 v9, v7, s12
	v_mul_hi_u32 v10, s16, v7
	s_cmp_lg_u32 s26, s28
	v_sub_u32_e32 v4, v4, v9
	v_add_u32_e32 v9, v7, v10
	v_mul_lo_u32 v10, v4, s4
	v_mul_lo_u32 v11, v4, s5
	v_lshrrev_b32_e32 v4, s17, v9
	v_mul_lo_u32 v9, v4, s15
	v_mul_hi_u32 v12, s19, v4
	v_sub_u32_e32 v7, v7, v9
	v_add_u32_e32 v9, v4, v12
	v_lshrrev_b32_e32 v9, s20, v9
	v_mul_hi_u32 v14, s22, v9
	v_mul_lo_u32 v15, v9, s18
	v_mul_lo_u32 v12, v7, s6
	v_mul_lo_u32 v7, v7, s7
	v_sub_u32_e32 v15, v4, v15
	v_add_u32_e32 v4, v9, v14
	v_lshrrev_b32_e32 v4, s23, v4
	v_mul_lo_u32 v14, v4, s21
	v_mul_lo_u32 v16, v15, s8
	;; [unrolled: 1-line block ×3, first 2 shown]
	v_add3_u32 v6, v10, v6, v12
	v_sub_u32_e32 v9, v9, v14
	v_mul_lo_u32 v14, v9, s10
	v_mul_lo_u32 v9, v9, s11
	v_add3_u32 v7, v11, v8, v7
	v_add3_u32 v6, v16, v6, v14
	;; [unrolled: 1-line block ×3, first 2 shown]
	s_cbranch_scc1 .LBB181_48
; %bb.49:
	s_and_b32 s6, s27, 3
	s_cmp_eq_u32 s6, 0
	s_cbranch_scc0 .LBB181_53
	s_branch .LBB181_55
.LBB181_50:
                                        ; implicit-def: $vgpr6
                                        ; implicit-def: $vgpr8
	s_branch .LBB181_56
.LBB181_51:
	v_mov_b32_e32 v6, 0
	v_mov_b32_e32 v8, 0
	s_branch .LBB181_55
.LBB181_52:
	v_mov_b32_e32 v6, 0
	v_mov_b32_e32 v8, 0
	;; [unrolled: 1-line block ×3, first 2 shown]
	s_and_b32 s6, s27, 3
	s_cmp_eq_u32 s6, 0
	s_cbranch_scc1 .LBB181_55
.LBB181_53:
	s_lshl_b32 s2, s26, 3
	s_add_u32 s2, s34, s2
	s_addc_u32 s3, s35, 0
	s_add_u32 s2, s2, 0xc4
	s_addc_u32 s3, s3, 0
	s_mul_i32 s4, s26, 12
	s_add_u32 s4, s34, s4
	s_addc_u32 s5, s35, 0
.LBB181_54:                             ; =>This Inner Loop Header: Depth=1
	s_load_dwordx2 s[8:9], s[4:5], 0x4
	s_load_dword s7, s[4:5], 0xc
	s_load_dwordx2 s[10:11], s[2:3], 0x0
	s_add_u32 s4, s4, 12
	s_addc_u32 s5, s5, 0
	s_waitcnt lgkmcnt(0)
	v_mul_hi_u32 v7, s9, v4
	s_add_u32 s2, s2, 8
	s_addc_u32 s3, s3, 0
	s_add_i32 s6, s6, -1
	v_add_u32_e32 v7, v4, v7
	v_lshrrev_b32_e32 v10, s7, v7
	v_mul_lo_u32 v7, v10, s8
	s_cmp_lg_u32 s6, 0
	v_sub_u32_e32 v4, v4, v7
	v_mad_u64_u32 v[6:7], s[8:9], v4, s10, v[6:7]
	v_mad_u64_u32 v[8:9], s[8:9], v4, s11, v[8:9]
	v_mov_b32_e32 v4, v10
	s_cbranch_scc1 .LBB181_54
.LBB181_55:
	s_cbranch_execnz .LBB181_58
.LBB181_56:
	s_load_dwordx4 s[4:7], s[34:35], 0x4
	s_load_dwordx2 s[2:3], s[34:35], 0xc4
	s_cmp_lt_u32 s33, 2
	s_waitcnt lgkmcnt(0)
	v_mul_hi_u32 v4, s5, v1
	v_add_u32_e32 v4, v1, v4
	v_lshrrev_b32_e32 v4, s6, v4
	v_mul_lo_u32 v6, v4, s4
	v_sub_u32_e32 v1, v1, v6
	v_mul_lo_u32 v6, v1, s2
	v_mul_lo_u32 v8, v1, s3
	s_cbranch_scc1 .LBB181_58
; %bb.57:
	s_load_dwordx4 s[4:7], s[34:35], 0x10
	s_load_dwordx2 s[2:3], s[34:35], 0xcc
	s_waitcnt lgkmcnt(0)
	v_mul_hi_u32 v1, s5, v4
	v_add_u32_e32 v1, v4, v1
	v_lshrrev_b32_e32 v1, s6, v1
	v_mul_lo_u32 v1, v1, s4
	v_sub_u32_e32 v1, v4, v1
	v_mad_u64_u32 v[6:7], s[4:5], v1, s2, v[6:7]
	v_mad_u64_u32 v[8:9], s[2:3], v1, s3, v[8:9]
.LBB181_58:
	s_and_b64 vcc, exec, s[0:1]
	s_cbranch_vccnz .LBB181_64
; %bb.59:
	s_cmp_lg_u32 s33, 0
	s_mov_b32 s24, 0
	s_cbranch_scc0 .LBB181_65
; %bb.60:
	s_min_u32 s25, s54, 15
	s_add_i32 s25, s25, 1
	s_cmp_eq_u32 s54, 2
	s_cbranch_scc1 .LBB181_66
; %bb.61:
	s_and_b32 s24, s25, 28
	s_add_u32 s20, s34, 0xc4
	s_addc_u32 s21, s35, 0
	v_mov_b32_e32 v11, 0
	s_mov_b32 s26, 0
	s_mov_b64 s[22:23], s[34:35]
	v_mov_b32_e32 v9, 0
	v_mov_b32_e32 v1, v13
.LBB181_62:                             ; =>This Inner Loop Header: Depth=1
	s_load_dwordx8 s[8:15], s[22:23], 0x4
	s_load_dwordx4 s[16:19], s[22:23], 0x24
	s_load_dwordx8 s[0:7], s[20:21], 0x0
	s_add_u32 s22, s22, 48
	s_addc_u32 s23, s23, 0
	s_waitcnt lgkmcnt(0)
	v_mul_hi_u32 v4, s9, v1
	s_add_i32 s26, s26, 4
	s_add_u32 s20, s20, 32
	s_addc_u32 s21, s21, 0
	v_add_u32_e32 v4, v1, v4
	v_lshrrev_b32_e32 v4, s10, v4
	v_mul_lo_u32 v7, v4, s8
	v_mul_hi_u32 v10, s12, v4
	s_cmp_lg_u32 s24, s26
	v_sub_u32_e32 v1, v1, v7
	v_add_u32_e32 v7, v4, v10
	v_mul_lo_u32 v10, v1, s0
	v_mul_lo_u32 v12, v1, s1
	v_lshrrev_b32_e32 v1, s13, v7
	v_mul_lo_u32 v7, v1, s11
	v_mul_hi_u32 v14, s15, v1
	v_sub_u32_e32 v4, v4, v7
	v_add_u32_e32 v7, v1, v14
	v_lshrrev_b32_e32 v7, s16, v7
	v_mul_hi_u32 v15, s18, v7
	v_mul_lo_u32 v16, v7, s14
	v_mul_lo_u32 v14, v4, s2
	;; [unrolled: 1-line block ×3, first 2 shown]
	v_sub_u32_e32 v16, v1, v16
	v_add_u32_e32 v1, v7, v15
	v_lshrrev_b32_e32 v1, s19, v1
	v_mul_lo_u32 v15, v1, s17
	v_mul_lo_u32 v17, v16, s4
	v_mul_lo_u32 v16, v16, s5
	v_add3_u32 v9, v10, v9, v14
	v_sub_u32_e32 v7, v7, v15
	v_mul_lo_u32 v15, v7, s6
	v_mul_lo_u32 v7, v7, s7
	v_add3_u32 v4, v12, v11, v4
	v_add3_u32 v9, v17, v9, v15
	;; [unrolled: 1-line block ×3, first 2 shown]
	s_cbranch_scc1 .LBB181_62
; %bb.63:
	s_and_b32 s4, s25, 3
	s_cmp_eq_u32 s4, 0
	s_cbranch_scc0 .LBB181_67
	s_branch .LBB181_69
.LBB181_64:
                                        ; implicit-def: $vgpr9
                                        ; implicit-def: $vgpr11
	s_branch .LBB181_70
.LBB181_65:
	v_mov_b32_e32 v9, 0
	v_mov_b32_e32 v11, 0
	s_branch .LBB181_69
.LBB181_66:
	v_mov_b32_e32 v9, 0
	v_mov_b32_e32 v11, 0
	;; [unrolled: 1-line block ×3, first 2 shown]
	s_and_b32 s4, s25, 3
	s_cmp_eq_u32 s4, 0
	s_cbranch_scc1 .LBB181_69
.LBB181_67:
	s_lshl_b32 s0, s24, 3
	s_add_u32 s0, s34, s0
	s_addc_u32 s1, s35, 0
	s_add_u32 s0, s0, 0xc4
	s_addc_u32 s1, s1, 0
	s_mul_i32 s2, s24, 12
	s_add_u32 s2, s34, s2
	s_addc_u32 s3, s35, 0
.LBB181_68:                             ; =>This Inner Loop Header: Depth=1
	s_load_dwordx2 s[6:7], s[2:3], 0x4
	s_load_dword s5, s[2:3], 0xc
	s_load_dwordx2 s[8:9], s[0:1], 0x0
	s_add_u32 s2, s2, 12
	s_addc_u32 s3, s3, 0
	s_waitcnt lgkmcnt(0)
	v_mul_hi_u32 v4, s7, v1
	s_add_u32 s0, s0, 8
	s_addc_u32 s1, s1, 0
	s_add_i32 s4, s4, -1
	v_add_u32_e32 v4, v1, v4
	v_lshrrev_b32_e32 v4, s5, v4
	v_mul_lo_u32 v7, v4, s6
	s_cmp_lg_u32 s4, 0
	v_sub_u32_e32 v1, v1, v7
	v_mad_u64_u32 v[9:10], s[6:7], v1, s8, v[9:10]
	v_mad_u64_u32 v[11:12], s[6:7], v1, s9, v[11:12]
	v_mov_b32_e32 v1, v4
	s_cbranch_scc1 .LBB181_68
.LBB181_69:
	s_cbranch_execnz .LBB181_72
.LBB181_70:
	s_load_dwordx4 s[0:3], s[34:35], 0x4
	s_load_dwordx2 s[4:5], s[34:35], 0xc4
	s_cmp_lt_u32 s33, 2
	s_waitcnt lgkmcnt(0)
	v_mul_hi_u32 v1, s1, v13
	v_add_u32_e32 v1, v13, v1
	v_lshrrev_b32_e32 v1, s2, v1
	v_mul_lo_u32 v4, v1, s0
	v_sub_u32_e32 v4, v13, v4
	v_mul_lo_u32 v9, v4, s4
	v_mul_lo_u32 v11, v4, s5
	s_cbranch_scc1 .LBB181_72
; %bb.71:
	s_load_dwordx4 s[0:3], s[34:35], 0x10
	s_load_dwordx2 s[4:5], s[34:35], 0xcc
	s_waitcnt lgkmcnt(0)
	v_mul_hi_u32 v4, s1, v1
	v_add_u32_e32 v4, v1, v4
	v_lshrrev_b32_e32 v4, s2, v4
	v_mul_lo_u32 v4, v4, s0
	v_sub_u32_e32 v1, v1, v4
	v_mad_u64_u32 v[9:10], s[0:1], v1, s4, v[9:10]
	v_mad_u64_u32 v[11:12], s[0:1], v1, s5, v[11:12]
.LBB181_72:
	s_load_dwordx4 s[0:3], s[34:35], 0x148
	s_load_dword s4, s[34:35], 0x15c
	s_waitcnt lgkmcnt(0)
	global_load_dword v1, v2, s[2:3]
	global_load_dword v4, v5, s[2:3]
	;; [unrolled: 1-line block ×4, first 2 shown]
	s_min_u32 s2, s4, 31
	s_waitcnt vmcnt(3)
	v_ashrrev_i32_e32 v1, s2, v1
	s_waitcnt vmcnt(2)
	v_ashrrev_i32_e32 v2, s2, v4
	;; [unrolled: 2-line block ×4, first 2 shown]
	global_store_dword v0, v1, s[0:1]
	global_store_dword v3, v2, s[0:1]
	;; [unrolled: 1-line block ×4, first 2 shown]
	s_endpgm
.LBB181_73:
	v_mov_b32_e32 v0, 0
	v_mov_b32_e32 v2, 0
	s_branch .LBB181_79
.LBB181_74:
	v_mov_b32_e32 v0, 0
	v_mov_b32_e32 v2, 0
	s_branch .LBB181_95
.LBB181_75:
	s_mov_b32 s58, 0
	v_mov_b32_e32 v0, 0
	v_mov_b32_e32 v2, 0
	v_mov_b32_e32 v1, v7
.LBB181_76:
	s_and_b32 s4, s59, 3
	s_cmp_eq_u32 s4, 0
	s_cbranch_scc1 .LBB181_79
; %bb.77:
	s_lshl_b32 s0, s58, 3
	s_add_u32 s0, s34, s0
	s_addc_u32 s1, s35, 0
	s_add_u32 s0, s0, 0xc4
	s_addc_u32 s1, s1, 0
	s_mul_i32 s2, s58, 12
	s_add_u32 s2, s34, s2
	s_addc_u32 s3, s35, 0
.LBB181_78:                             ; =>This Inner Loop Header: Depth=1
	s_load_dwordx2 s[6:7], s[2:3], 0x4
	s_load_dword s5, s[2:3], 0xc
	s_load_dwordx2 s[8:9], s[0:1], 0x0
	s_add_u32 s2, s2, 12
	s_addc_u32 s3, s3, 0
	s_waitcnt lgkmcnt(0)
	v_mul_hi_u32 v3, s7, v1
	s_add_u32 s0, s0, 8
	s_addc_u32 s1, s1, 0
	s_add_i32 s4, s4, -1
	v_add_u32_e32 v3, v1, v3
	v_lshrrev_b32_e32 v4, s5, v3
	v_mul_lo_u32 v3, v4, s6
	s_cmp_lg_u32 s4, 0
	v_sub_u32_e32 v3, v1, v3
	v_mad_u64_u32 v[0:1], s[6:7], v3, s8, v[0:1]
	v_mad_u64_u32 v[2:3], s[6:7], v3, s9, v[2:3]
	v_mov_b32_e32 v1, v4
	s_cbranch_scc1 .LBB181_78
.LBB181_79:
	s_cbranch_execnz .LBB181_82
.LBB181_80:
	v_mul_hi_u32 v0, s21, v7
	s_andn2_b64 vcc, exec, s[42:43]
	v_add_u32_e32 v0, v7, v0
	v_lshrrev_b32_e32 v1, s22, v0
	v_mul_lo_u32 v0, v1, s20
	v_sub_u32_e32 v2, v7, v0
	v_mul_lo_u32 v0, v2, s24
	v_mul_lo_u32 v2, v2, s25
	s_cbranch_vccnz .LBB181_82
; %bb.81:
	v_mul_hi_u32 v3, s40, v1
	v_add_u32_e32 v3, v1, v3
	v_lshrrev_b32_e32 v3, s41, v3
	v_mul_lo_u32 v3, v3, s23
	v_sub_u32_e32 v3, v1, v3
	v_mad_u64_u32 v[0:1], s[0:1], v3, s26, v[0:1]
	v_mad_u64_u32 v[2:3], s[0:1], v3, s27, v[2:3]
.LBB181_82:
	global_load_dword v1, v2, s[18:19]
	v_add_u32_e32 v7, 0x80, v7
	s_waitcnt vmcnt(0)
	v_ashrrev_i32_e32 v1, s55, v1
	global_store_dword v0, v1, s[16:17]
	s_or_b64 exec, exec, s[48:49]
	v_cmp_gt_i32_e32 vcc, s56, v7
	s_and_saveexec_b64 s[48:49], vcc
	s_cbranch_execnz .LBB181_15
.LBB181_83:
	s_or_b64 exec, exec, s[48:49]
	v_cmp_gt_i32_e32 vcc, s56, v7
	s_and_saveexec_b64 s[48:49], vcc
	s_cbranch_execz .LBB181_99
.LBB181_84:
	s_andn2_b64 vcc, exec, s[36:37]
	s_cbranch_vccnz .LBB181_89
; %bb.85:
	s_andn2_b64 vcc, exec, s[46:47]
	s_cbranch_vccnz .LBB181_90
; %bb.86:
	s_add_i32 s59, s57, 1
	s_cmp_eq_u32 s54, 2
	s_cbranch_scc1 .LBB181_102
; %bb.87:
	s_and_b32 s58, s59, 28
	v_mov_b32_e32 v2, 0
	s_mov_b32 s60, 0
	s_mov_b64 s[50:51], s[34:35]
	s_mov_b64 s[52:53], s[44:45]
	v_mov_b32_e32 v0, 0
	v_mov_b32_e32 v1, v7
.LBB181_88:                             ; =>This Inner Loop Header: Depth=1
	s_load_dwordx8 s[8:15], s[50:51], 0x4
	s_load_dwordx4 s[28:31], s[50:51], 0x24
	s_load_dwordx8 s[0:7], s[52:53], 0x0
	s_add_u32 s50, s50, 48
	s_addc_u32 s51, s51, 0
	s_waitcnt lgkmcnt(0)
	v_mul_hi_u32 v3, s9, v1
	s_add_i32 s60, s60, 4
	s_add_u32 s52, s52, 32
	s_addc_u32 s53, s53, 0
	v_add_u32_e32 v3, v1, v3
	v_lshrrev_b32_e32 v3, s10, v3
	v_mul_lo_u32 v4, v3, s8
	v_mul_hi_u32 v5, s12, v3
	s_cmp_eq_u32 s58, s60
	v_sub_u32_e32 v1, v1, v4
	v_add_u32_e32 v4, v3, v5
	v_mul_lo_u32 v5, v1, s0
	v_mul_lo_u32 v6, v1, s1
	v_lshrrev_b32_e32 v1, s13, v4
	v_mul_lo_u32 v4, v1, s11
	v_mul_hi_u32 v8, s15, v1
	v_sub_u32_e32 v3, v3, v4
	v_add_u32_e32 v4, v1, v8
	v_lshrrev_b32_e32 v4, s28, v4
	v_mul_hi_u32 v9, s30, v4
	v_mul_lo_u32 v10, v4, s14
	v_mul_lo_u32 v8, v3, s2
	;; [unrolled: 1-line block ×3, first 2 shown]
	v_sub_u32_e32 v10, v1, v10
	v_add_u32_e32 v1, v4, v9
	v_lshrrev_b32_e32 v1, s31, v1
	v_mul_lo_u32 v9, v1, s29
	v_mul_lo_u32 v11, v10, s4
	v_mul_lo_u32 v10, v10, s5
	v_add3_u32 v0, v5, v0, v8
	v_sub_u32_e32 v4, v4, v9
	v_mul_lo_u32 v9, v4, s6
	v_mul_lo_u32 v4, v4, s7
	v_add3_u32 v2, v6, v2, v3
	v_add3_u32 v0, v11, v0, v9
	;; [unrolled: 1-line block ×3, first 2 shown]
	s_cbranch_scc0 .LBB181_88
	s_branch .LBB181_103
.LBB181_89:
                                        ; implicit-def: $vgpr0
                                        ; implicit-def: $vgpr2
	s_branch .LBB181_107
.LBB181_90:
	v_mov_b32_e32 v0, 0
	v_mov_b32_e32 v2, 0
	s_branch .LBB181_106
.LBB181_91:
	s_mov_b32 s58, 0
	v_mov_b32_e32 v0, 0
	v_mov_b32_e32 v2, 0
	v_mov_b32_e32 v1, v7
.LBB181_92:
	s_and_b32 s4, s59, 3
	s_cmp_eq_u32 s4, 0
	s_cbranch_scc1 .LBB181_95
; %bb.93:
	s_lshl_b32 s0, s58, 3
	s_add_u32 s0, s34, s0
	s_addc_u32 s1, s35, 0
	s_add_u32 s0, s0, 0xc4
	s_addc_u32 s1, s1, 0
	s_mul_i32 s2, s58, 12
	s_add_u32 s2, s34, s2
	s_addc_u32 s3, s35, 0
.LBB181_94:                             ; =>This Inner Loop Header: Depth=1
	s_load_dwordx2 s[6:7], s[2:3], 0x4
	s_load_dword s5, s[2:3], 0xc
	s_load_dwordx2 s[8:9], s[0:1], 0x0
	s_add_u32 s2, s2, 12
	s_addc_u32 s3, s3, 0
	s_waitcnt lgkmcnt(0)
	v_mul_hi_u32 v3, s7, v1
	s_add_u32 s0, s0, 8
	s_addc_u32 s1, s1, 0
	s_add_i32 s4, s4, -1
	v_add_u32_e32 v3, v1, v3
	v_lshrrev_b32_e32 v4, s5, v3
	v_mul_lo_u32 v3, v4, s6
	s_cmp_lg_u32 s4, 0
	v_sub_u32_e32 v3, v1, v3
	v_mad_u64_u32 v[0:1], s[6:7], v3, s8, v[0:1]
	v_mad_u64_u32 v[2:3], s[6:7], v3, s9, v[2:3]
	v_mov_b32_e32 v1, v4
	s_cbranch_scc1 .LBB181_94
.LBB181_95:
	s_cbranch_execnz .LBB181_98
.LBB181_96:
	v_mul_hi_u32 v0, s21, v7
	s_andn2_b64 vcc, exec, s[42:43]
	v_add_u32_e32 v0, v7, v0
	v_lshrrev_b32_e32 v1, s22, v0
	v_mul_lo_u32 v0, v1, s20
	v_sub_u32_e32 v2, v7, v0
	v_mul_lo_u32 v0, v2, s24
	v_mul_lo_u32 v2, v2, s25
	s_cbranch_vccnz .LBB181_98
; %bb.97:
	v_mul_hi_u32 v3, s40, v1
	v_add_u32_e32 v3, v1, v3
	v_lshrrev_b32_e32 v3, s41, v3
	v_mul_lo_u32 v3, v3, s23
	v_sub_u32_e32 v3, v1, v3
	v_mad_u64_u32 v[0:1], s[0:1], v3, s26, v[0:1]
	v_mad_u64_u32 v[2:3], s[0:1], v3, s27, v[2:3]
.LBB181_98:
	global_load_dword v1, v2, s[18:19]
	v_add_u32_e32 v7, 0x80, v7
	s_waitcnt vmcnt(0)
	v_ashrrev_i32_e32 v1, s55, v1
	global_store_dword v0, v1, s[16:17]
	s_or_b64 exec, exec, s[48:49]
	v_cmp_gt_i32_e32 vcc, s56, v7
	s_and_saveexec_b64 s[48:49], vcc
	s_cbranch_execnz .LBB181_84
.LBB181_99:
	s_or_b64 exec, exec, s[48:49]
	v_cmp_gt_i32_e32 vcc, s56, v7
	s_and_saveexec_b64 s[48:49], vcc
	s_cbranch_execnz .LBB181_110
.LBB181_100:
	s_or_b64 exec, exec, s[48:49]
                                        ; implicit-def: $vgpr13
                                        ; implicit-def: $vgpr7
	s_andn2_saveexec_b64 s[0:1], s[38:39]
	s_cbranch_execnz .LBB181_8
.LBB181_101:
	s_endpgm
.LBB181_102:
	s_mov_b32 s58, 0
	v_mov_b32_e32 v0, 0
	v_mov_b32_e32 v2, 0
	;; [unrolled: 1-line block ×3, first 2 shown]
.LBB181_103:
	s_and_b32 s4, s59, 3
	s_cmp_eq_u32 s4, 0
	s_cbranch_scc1 .LBB181_106
; %bb.104:
	s_lshl_b32 s0, s58, 3
	s_add_u32 s0, s34, s0
	s_addc_u32 s1, s35, 0
	s_add_u32 s0, s0, 0xc4
	s_addc_u32 s1, s1, 0
	s_mul_i32 s2, s58, 12
	s_add_u32 s2, s34, s2
	s_addc_u32 s3, s35, 0
.LBB181_105:                            ; =>This Inner Loop Header: Depth=1
	s_load_dwordx2 s[6:7], s[2:3], 0x4
	s_load_dword s5, s[2:3], 0xc
	s_load_dwordx2 s[8:9], s[0:1], 0x0
	s_add_u32 s2, s2, 12
	s_addc_u32 s3, s3, 0
	s_waitcnt lgkmcnt(0)
	v_mul_hi_u32 v3, s7, v1
	s_add_u32 s0, s0, 8
	s_addc_u32 s1, s1, 0
	s_add_i32 s4, s4, -1
	v_add_u32_e32 v3, v1, v3
	v_lshrrev_b32_e32 v4, s5, v3
	v_mul_lo_u32 v3, v4, s6
	s_cmp_lg_u32 s4, 0
	v_sub_u32_e32 v3, v1, v3
	v_mad_u64_u32 v[0:1], s[6:7], v3, s8, v[0:1]
	v_mad_u64_u32 v[2:3], s[6:7], v3, s9, v[2:3]
	v_mov_b32_e32 v1, v4
	s_cbranch_scc1 .LBB181_105
.LBB181_106:
	s_cbranch_execnz .LBB181_109
.LBB181_107:
	v_mul_hi_u32 v0, s21, v7
	s_andn2_b64 vcc, exec, s[42:43]
	v_add_u32_e32 v0, v7, v0
	v_lshrrev_b32_e32 v1, s22, v0
	v_mul_lo_u32 v0, v1, s20
	v_sub_u32_e32 v2, v7, v0
	v_mul_lo_u32 v0, v2, s24
	v_mul_lo_u32 v2, v2, s25
	s_cbranch_vccnz .LBB181_109
; %bb.108:
	v_mul_hi_u32 v3, s40, v1
	v_add_u32_e32 v3, v1, v3
	v_lshrrev_b32_e32 v3, s41, v3
	v_mul_lo_u32 v3, v3, s23
	v_sub_u32_e32 v3, v1, v3
	v_mad_u64_u32 v[0:1], s[0:1], v3, s26, v[0:1]
	v_mad_u64_u32 v[2:3], s[0:1], v3, s27, v[2:3]
.LBB181_109:
	global_load_dword v1, v2, s[18:19]
	v_add_u32_e32 v7, 0x80, v7
	s_waitcnt vmcnt(0)
	v_ashrrev_i32_e32 v1, s55, v1
	global_store_dword v0, v1, s[16:17]
	s_or_b64 exec, exec, s[48:49]
	v_cmp_gt_i32_e32 vcc, s56, v7
	s_and_saveexec_b64 s[48:49], vcc
	s_cbranch_execz .LBB181_100
.LBB181_110:
	s_andn2_b64 vcc, exec, s[36:37]
	s_cbranch_vccnz .LBB181_115
; %bb.111:
	s_andn2_b64 vcc, exec, s[46:47]
	s_cbranch_vccnz .LBB181_116
; %bb.112:
	s_add_i32 s57, s57, 1
	s_cmp_eq_u32 s54, 2
	s_cbranch_scc1 .LBB181_117
; %bb.113:
	s_and_b32 s50, s57, 28
	v_mov_b32_e32 v2, 0
	s_mov_b32 s51, 0
	s_mov_b64 s[46:47], s[34:35]
	v_mov_b32_e32 v0, 0
	v_mov_b32_e32 v1, v7
.LBB181_114:                            ; =>This Inner Loop Header: Depth=1
	s_load_dwordx8 s[8:15], s[46:47], 0x4
	s_load_dwordx4 s[28:31], s[46:47], 0x24
	s_load_dwordx8 s[0:7], s[44:45], 0x0
	s_add_u32 s46, s46, 48
	s_addc_u32 s47, s47, 0
	s_waitcnt lgkmcnt(0)
	v_mul_hi_u32 v3, s9, v1
	s_add_i32 s51, s51, 4
	s_add_u32 s44, s44, 32
	s_addc_u32 s45, s45, 0
	v_add_u32_e32 v3, v1, v3
	v_lshrrev_b32_e32 v3, s10, v3
	v_mul_lo_u32 v4, v3, s8
	v_mul_hi_u32 v5, s12, v3
	s_cmp_eq_u32 s50, s51
	v_sub_u32_e32 v1, v1, v4
	v_add_u32_e32 v4, v3, v5
	v_mul_lo_u32 v5, v1, s0
	v_mul_lo_u32 v6, v1, s1
	v_lshrrev_b32_e32 v1, s13, v4
	v_mul_lo_u32 v4, v1, s11
	v_mul_hi_u32 v8, s15, v1
	v_sub_u32_e32 v3, v3, v4
	v_add_u32_e32 v4, v1, v8
	v_lshrrev_b32_e32 v4, s28, v4
	v_mul_hi_u32 v9, s30, v4
	v_mul_lo_u32 v10, v4, s14
	v_mul_lo_u32 v8, v3, s2
	;; [unrolled: 1-line block ×3, first 2 shown]
	v_sub_u32_e32 v10, v1, v10
	v_add_u32_e32 v1, v4, v9
	v_lshrrev_b32_e32 v1, s31, v1
	v_mul_lo_u32 v9, v1, s29
	v_mul_lo_u32 v11, v10, s4
	;; [unrolled: 1-line block ×3, first 2 shown]
	v_add3_u32 v0, v5, v0, v8
	v_sub_u32_e32 v4, v4, v9
	v_mul_lo_u32 v9, v4, s6
	v_mul_lo_u32 v4, v4, s7
	v_add3_u32 v2, v6, v2, v3
	v_add3_u32 v0, v11, v0, v9
	;; [unrolled: 1-line block ×3, first 2 shown]
	s_cbranch_scc0 .LBB181_114
	s_branch .LBB181_118
.LBB181_115:
                                        ; implicit-def: $vgpr0
                                        ; implicit-def: $vgpr2
	s_branch .LBB181_122
.LBB181_116:
	v_mov_b32_e32 v0, 0
	v_mov_b32_e32 v2, 0
	s_branch .LBB181_121
.LBB181_117:
	s_mov_b32 s50, 0
	v_mov_b32_e32 v0, 0
	v_mov_b32_e32 v2, 0
	;; [unrolled: 1-line block ×3, first 2 shown]
.LBB181_118:
	s_and_b32 s4, s57, 3
	s_cmp_eq_u32 s4, 0
	s_cbranch_scc1 .LBB181_121
; %bb.119:
	s_lshl_b32 s0, s50, 3
	s_add_u32 s0, s34, s0
	s_addc_u32 s1, s35, 0
	s_add_u32 s0, s0, 0xc4
	s_addc_u32 s1, s1, 0
	s_mul_i32 s2, s50, 12
	s_add_u32 s2, s34, s2
	s_addc_u32 s3, s35, 0
.LBB181_120:                            ; =>This Inner Loop Header: Depth=1
	s_load_dwordx2 s[6:7], s[2:3], 0x4
	s_load_dword s5, s[2:3], 0xc
	s_load_dwordx2 s[8:9], s[0:1], 0x0
	s_add_u32 s2, s2, 12
	s_addc_u32 s3, s3, 0
	s_waitcnt lgkmcnt(0)
	v_mul_hi_u32 v3, s7, v1
	s_add_u32 s0, s0, 8
	s_addc_u32 s1, s1, 0
	s_add_i32 s4, s4, -1
	v_add_u32_e32 v3, v1, v3
	v_lshrrev_b32_e32 v4, s5, v3
	v_mul_lo_u32 v3, v4, s6
	s_cmp_lg_u32 s4, 0
	v_sub_u32_e32 v3, v1, v3
	v_mad_u64_u32 v[0:1], s[6:7], v3, s8, v[0:1]
	v_mad_u64_u32 v[2:3], s[6:7], v3, s9, v[2:3]
	v_mov_b32_e32 v1, v4
	s_cbranch_scc1 .LBB181_120
.LBB181_121:
	s_cbranch_execnz .LBB181_124
.LBB181_122:
	v_mul_hi_u32 v0, s21, v7
	s_andn2_b64 vcc, exec, s[42:43]
	v_add_u32_e32 v0, v7, v0
	v_lshrrev_b32_e32 v1, s22, v0
	v_mul_lo_u32 v0, v1, s20
	v_sub_u32_e32 v2, v7, v0
	v_mul_lo_u32 v0, v2, s24
	v_mul_lo_u32 v2, v2, s25
	s_cbranch_vccnz .LBB181_124
; %bb.123:
	v_mul_hi_u32 v3, s40, v1
	v_add_u32_e32 v3, v1, v3
	v_lshrrev_b32_e32 v3, s41, v3
	v_mul_lo_u32 v3, v3, s23
	v_sub_u32_e32 v3, v1, v3
	v_mad_u64_u32 v[0:1], s[0:1], v3, s26, v[0:1]
	v_mad_u64_u32 v[2:3], s[0:1], v3, s27, v[2:3]
.LBB181_124:
	global_load_dword v1, v2, s[18:19]
	s_waitcnt vmcnt(0)
	v_ashrrev_i32_e32 v1, s55, v1
	global_store_dword v0, v1, s[16:17]
	s_or_b64 exec, exec, s[48:49]
                                        ; implicit-def: $vgpr13
                                        ; implicit-def: $vgpr7
	s_andn2_saveexec_b64 s[0:1], s[38:39]
	s_cbranch_execz .LBB181_101
	s_branch .LBB181_8
	.section	.rodata,"a",@progbits
	.p2align	6, 0x0
	.amdhsa_kernel _ZN2at6native32elementwise_kernel_manual_unrollILi128ELi4EZNS0_22gpu_kernel_impl_nocastINS0_13BUnaryFunctorIiiiZZZNS0_18rshift_kernel_cudaERNS_18TensorIteratorBaseEENKUlvE_clEvENKUlvE1_clEvEUliiE_EEEEvS5_RKT_EUlibE_EEviT1_
		.amdhsa_group_segment_fixed_size 0
		.amdhsa_private_segment_fixed_size 0
		.amdhsa_kernarg_size 360
		.amdhsa_user_sgpr_count 6
		.amdhsa_user_sgpr_private_segment_buffer 1
		.amdhsa_user_sgpr_dispatch_ptr 0
		.amdhsa_user_sgpr_queue_ptr 0
		.amdhsa_user_sgpr_kernarg_segment_ptr 1
		.amdhsa_user_sgpr_dispatch_id 0
		.amdhsa_user_sgpr_flat_scratch_init 0
		.amdhsa_user_sgpr_private_segment_size 0
		.amdhsa_uses_dynamic_stack 0
		.amdhsa_system_sgpr_private_segment_wavefront_offset 0
		.amdhsa_system_sgpr_workgroup_id_x 1
		.amdhsa_system_sgpr_workgroup_id_y 0
		.amdhsa_system_sgpr_workgroup_id_z 0
		.amdhsa_system_sgpr_workgroup_info 0
		.amdhsa_system_vgpr_workitem_id 0
		.amdhsa_next_free_vgpr 18
		.amdhsa_next_free_sgpr 61
		.amdhsa_reserve_vcc 1
		.amdhsa_reserve_flat_scratch 0
		.amdhsa_float_round_mode_32 0
		.amdhsa_float_round_mode_16_64 0
		.amdhsa_float_denorm_mode_32 3
		.amdhsa_float_denorm_mode_16_64 3
		.amdhsa_dx10_clamp 1
		.amdhsa_ieee_mode 1
		.amdhsa_fp16_overflow 0
		.amdhsa_exception_fp_ieee_invalid_op 0
		.amdhsa_exception_fp_denorm_src 0
		.amdhsa_exception_fp_ieee_div_zero 0
		.amdhsa_exception_fp_ieee_overflow 0
		.amdhsa_exception_fp_ieee_underflow 0
		.amdhsa_exception_fp_ieee_inexact 0
		.amdhsa_exception_int_div_zero 0
	.end_amdhsa_kernel
	.section	.text._ZN2at6native32elementwise_kernel_manual_unrollILi128ELi4EZNS0_22gpu_kernel_impl_nocastINS0_13BUnaryFunctorIiiiZZZNS0_18rshift_kernel_cudaERNS_18TensorIteratorBaseEENKUlvE_clEvENKUlvE1_clEvEUliiE_EEEEvS5_RKT_EUlibE_EEviT1_,"axG",@progbits,_ZN2at6native32elementwise_kernel_manual_unrollILi128ELi4EZNS0_22gpu_kernel_impl_nocastINS0_13BUnaryFunctorIiiiZZZNS0_18rshift_kernel_cudaERNS_18TensorIteratorBaseEENKUlvE_clEvENKUlvE1_clEvEUliiE_EEEEvS5_RKT_EUlibE_EEviT1_,comdat
.Lfunc_end181:
	.size	_ZN2at6native32elementwise_kernel_manual_unrollILi128ELi4EZNS0_22gpu_kernel_impl_nocastINS0_13BUnaryFunctorIiiiZZZNS0_18rshift_kernel_cudaERNS_18TensorIteratorBaseEENKUlvE_clEvENKUlvE1_clEvEUliiE_EEEEvS5_RKT_EUlibE_EEviT1_, .Lfunc_end181-_ZN2at6native32elementwise_kernel_manual_unrollILi128ELi4EZNS0_22gpu_kernel_impl_nocastINS0_13BUnaryFunctorIiiiZZZNS0_18rshift_kernel_cudaERNS_18TensorIteratorBaseEENKUlvE_clEvENKUlvE1_clEvEUliiE_EEEEvS5_RKT_EUlibE_EEviT1_
                                        ; -- End function
	.set _ZN2at6native32elementwise_kernel_manual_unrollILi128ELi4EZNS0_22gpu_kernel_impl_nocastINS0_13BUnaryFunctorIiiiZZZNS0_18rshift_kernel_cudaERNS_18TensorIteratorBaseEENKUlvE_clEvENKUlvE1_clEvEUliiE_EEEEvS5_RKT_EUlibE_EEviT1_.num_vgpr, 18
	.set _ZN2at6native32elementwise_kernel_manual_unrollILi128ELi4EZNS0_22gpu_kernel_impl_nocastINS0_13BUnaryFunctorIiiiZZZNS0_18rshift_kernel_cudaERNS_18TensorIteratorBaseEENKUlvE_clEvENKUlvE1_clEvEUliiE_EEEEvS5_RKT_EUlibE_EEviT1_.num_agpr, 0
	.set _ZN2at6native32elementwise_kernel_manual_unrollILi128ELi4EZNS0_22gpu_kernel_impl_nocastINS0_13BUnaryFunctorIiiiZZZNS0_18rshift_kernel_cudaERNS_18TensorIteratorBaseEENKUlvE_clEvENKUlvE1_clEvEUliiE_EEEEvS5_RKT_EUlibE_EEviT1_.numbered_sgpr, 61
	.set _ZN2at6native32elementwise_kernel_manual_unrollILi128ELi4EZNS0_22gpu_kernel_impl_nocastINS0_13BUnaryFunctorIiiiZZZNS0_18rshift_kernel_cudaERNS_18TensorIteratorBaseEENKUlvE_clEvENKUlvE1_clEvEUliiE_EEEEvS5_RKT_EUlibE_EEviT1_.num_named_barrier, 0
	.set _ZN2at6native32elementwise_kernel_manual_unrollILi128ELi4EZNS0_22gpu_kernel_impl_nocastINS0_13BUnaryFunctorIiiiZZZNS0_18rshift_kernel_cudaERNS_18TensorIteratorBaseEENKUlvE_clEvENKUlvE1_clEvEUliiE_EEEEvS5_RKT_EUlibE_EEviT1_.private_seg_size, 0
	.set _ZN2at6native32elementwise_kernel_manual_unrollILi128ELi4EZNS0_22gpu_kernel_impl_nocastINS0_13BUnaryFunctorIiiiZZZNS0_18rshift_kernel_cudaERNS_18TensorIteratorBaseEENKUlvE_clEvENKUlvE1_clEvEUliiE_EEEEvS5_RKT_EUlibE_EEviT1_.uses_vcc, 1
	.set _ZN2at6native32elementwise_kernel_manual_unrollILi128ELi4EZNS0_22gpu_kernel_impl_nocastINS0_13BUnaryFunctorIiiiZZZNS0_18rshift_kernel_cudaERNS_18TensorIteratorBaseEENKUlvE_clEvENKUlvE1_clEvEUliiE_EEEEvS5_RKT_EUlibE_EEviT1_.uses_flat_scratch, 0
	.set _ZN2at6native32elementwise_kernel_manual_unrollILi128ELi4EZNS0_22gpu_kernel_impl_nocastINS0_13BUnaryFunctorIiiiZZZNS0_18rshift_kernel_cudaERNS_18TensorIteratorBaseEENKUlvE_clEvENKUlvE1_clEvEUliiE_EEEEvS5_RKT_EUlibE_EEviT1_.has_dyn_sized_stack, 0
	.set _ZN2at6native32elementwise_kernel_manual_unrollILi128ELi4EZNS0_22gpu_kernel_impl_nocastINS0_13BUnaryFunctorIiiiZZZNS0_18rshift_kernel_cudaERNS_18TensorIteratorBaseEENKUlvE_clEvENKUlvE1_clEvEUliiE_EEEEvS5_RKT_EUlibE_EEviT1_.has_recursion, 0
	.set _ZN2at6native32elementwise_kernel_manual_unrollILi128ELi4EZNS0_22gpu_kernel_impl_nocastINS0_13BUnaryFunctorIiiiZZZNS0_18rshift_kernel_cudaERNS_18TensorIteratorBaseEENKUlvE_clEvENKUlvE1_clEvEUliiE_EEEEvS5_RKT_EUlibE_EEviT1_.has_indirect_call, 0
	.section	.AMDGPU.csdata,"",@progbits
; Kernel info:
; codeLenInByte = 5692
; TotalNumSgprs: 65
; NumVgprs: 18
; ScratchSize: 0
; MemoryBound: 0
; FloatMode: 240
; IeeeMode: 1
; LDSByteSize: 0 bytes/workgroup (compile time only)
; SGPRBlocks: 8
; VGPRBlocks: 4
; NumSGPRsForWavesPerEU: 65
; NumVGPRsForWavesPerEU: 18
; Occupancy: 10
; WaveLimiterHint : 1
; COMPUTE_PGM_RSRC2:SCRATCH_EN: 0
; COMPUTE_PGM_RSRC2:USER_SGPR: 6
; COMPUTE_PGM_RSRC2:TRAP_HANDLER: 0
; COMPUTE_PGM_RSRC2:TGID_X_EN: 1
; COMPUTE_PGM_RSRC2:TGID_Y_EN: 0
; COMPUTE_PGM_RSRC2:TGID_Z_EN: 0
; COMPUTE_PGM_RSRC2:TIDIG_COMP_CNT: 0
	.section	.text._ZN2at6native32elementwise_kernel_manual_unrollILi128ELi4EZNS0_15gpu_kernel_implINS0_13BUnaryFunctorIiiiZZZNS0_18rshift_kernel_cudaERNS_18TensorIteratorBaseEENKUlvE_clEvENKUlvE1_clEvEUliiE_EEEEvS5_RKT_EUlibE_EEviT1_,"axG",@progbits,_ZN2at6native32elementwise_kernel_manual_unrollILi128ELi4EZNS0_15gpu_kernel_implINS0_13BUnaryFunctorIiiiZZZNS0_18rshift_kernel_cudaERNS_18TensorIteratorBaseEENKUlvE_clEvENKUlvE1_clEvEUliiE_EEEEvS5_RKT_EUlibE_EEviT1_,comdat
	.globl	_ZN2at6native32elementwise_kernel_manual_unrollILi128ELi4EZNS0_15gpu_kernel_implINS0_13BUnaryFunctorIiiiZZZNS0_18rshift_kernel_cudaERNS_18TensorIteratorBaseEENKUlvE_clEvENKUlvE1_clEvEUliiE_EEEEvS5_RKT_EUlibE_EEviT1_ ; -- Begin function _ZN2at6native32elementwise_kernel_manual_unrollILi128ELi4EZNS0_15gpu_kernel_implINS0_13BUnaryFunctorIiiiZZZNS0_18rshift_kernel_cudaERNS_18TensorIteratorBaseEENKUlvE_clEvENKUlvE1_clEvEUliiE_EEEEvS5_RKT_EUlibE_EEviT1_
	.p2align	8
	.type	_ZN2at6native32elementwise_kernel_manual_unrollILi128ELi4EZNS0_15gpu_kernel_implINS0_13BUnaryFunctorIiiiZZZNS0_18rshift_kernel_cudaERNS_18TensorIteratorBaseEENKUlvE_clEvENKUlvE1_clEvEUliiE_EEEEvS5_RKT_EUlibE_EEviT1_,@function
_ZN2at6native32elementwise_kernel_manual_unrollILi128ELi4EZNS0_15gpu_kernel_implINS0_13BUnaryFunctorIiiiZZZNS0_18rshift_kernel_cudaERNS_18TensorIteratorBaseEENKUlvE_clEvENKUlvE1_clEvEUliiE_EEEEvS5_RKT_EUlibE_EEviT1_: ; @_ZN2at6native32elementwise_kernel_manual_unrollILi128ELi4EZNS0_15gpu_kernel_implINS0_13BUnaryFunctorIiiiZZZNS0_18rshift_kernel_cudaERNS_18TensorIteratorBaseEENKUlvE_clEvENKUlvE1_clEvEUliiE_EEEEvS5_RKT_EUlibE_EEviT1_
; %bb.0:
	s_load_dwordx2 s[12:13], s[4:5], 0x24
	s_load_dwordx2 s[2:3], s[4:5], 0x18
	s_load_dword s40, s[4:5], 0x0
	s_load_dwordx4 s[8:11], s[4:5], 0x8
	v_lshl_or_b32 v4, s6, 9, v0
	v_or_b32_e32 v0, 0x180, v4
	s_waitcnt lgkmcnt(0)
	s_bfe_u32 s33, s13, 0x80008
	v_cmp_le_i32_e32 vcc, s40, v0
	s_mov_b64 s[4:5], 0
	s_mov_b64 s[14:15], 0
	s_and_saveexec_b64 s[0:1], vcc
	s_xor_b64 s[6:7], exec, s[0:1]
	s_cbranch_execz .LBB182_1011
; %bb.1:
	s_min_u32 s44, s12, 31
	v_cmp_gt_i32_e32 vcc, s40, v4
	s_mov_b64 s[20:21], -1
	s_mov_b64 s[22:23], 0
	s_mov_b64 s[16:17], 0
	s_and_saveexec_b64 s[18:19], vcc
	s_cbranch_execz .LBB182_248
; %bb.2:
	v_mul_lo_u32 v0, v4, s3
	v_mov_b32_e32 v1, s11
	s_and_b32 s20, 0xffff, s33
	s_cmp_lt_i32 s20, 11
	v_ashrrev_i32_e32 v2, 31, v0
	v_add_co_u32_e32 v0, vcc, s10, v0
	v_addc_co_u32_e32 v1, vcc, v1, v2, vcc
	s_cbranch_scc1 .LBB182_9
; %bb.3:
	s_cmp_gt_i32 s20, 25
	s_cbranch_scc0 .LBB182_18
; %bb.4:
	s_cmp_gt_i32 s20, 28
	s_cbranch_scc0 .LBB182_22
	;; [unrolled: 3-line block ×4, first 2 shown]
; %bb.7:
	s_cmp_eq_u32 s20, 46
	s_cbranch_scc0 .LBB182_28
; %bb.8:
	global_load_dword v2, v[0:1], off
	s_mov_b64 s[0:1], -1
	s_waitcnt vmcnt(0)
	v_lshlrev_b32_e32 v2, 16, v2
	v_cvt_i32_f32_e32 v2, v2
	s_branch .LBB182_30
.LBB182_9:
                                        ; implicit-def: $vgpr2
	s_mov_b64 s[0:1], 0
	s_cbranch_execnz .LBB182_199
.LBB182_10:
	s_andn2_b64 vcc, exec, s[0:1]
	s_cbranch_vccnz .LBB182_246
.LBB182_11:
	v_mul_lo_u32 v1, v4, s2
	s_waitcnt vmcnt(0)
	v_ashrrev_i32_e32 v0, s44, v2
	v_mov_b32_e32 v3, s9
	s_and_b32 s26, s13, 0xff
	v_ashrrev_i32_e32 v5, 31, v1
	v_add_co_u32_e32 v2, vcc, s8, v1
	s_cmp_lt_i32 s26, 11
	v_addc_co_u32_e32 v3, vcc, v3, v5, vcc
	s_cbranch_scc1 .LBB182_19
; %bb.12:
	s_and_b32 s27, 0xffff, s26
	s_cmp_gt_i32 s27, 25
	s_cbranch_scc0 .LBB182_23
; %bb.13:
	s_cmp_gt_i32 s27, 28
	s_cbranch_scc0 .LBB182_25
; %bb.14:
	s_cmp_gt_i32 s27, 43
	s_cbranch_scc0 .LBB182_27
; %bb.15:
	s_cmp_gt_i32 s27, 45
	s_cbranch_scc0 .LBB182_33
; %bb.16:
	s_mov_b64 s[20:21], 0
	s_mov_b64 s[0:1], -1
	s_cmp_eq_u32 s27, 46
	s_mov_b64 s[14:15], 0
	s_cbranch_scc0 .LBB182_34
; %bb.17:
	v_cvt_f32_i32_e32 v1, v0
	s_movk_i32 s0, 0x7fff
	s_mov_b64 s[14:15], -1
	v_bfe_u32 v5, v1, 16, 1
	v_add3_u32 v1, v1, v5, s0
	v_lshrrev_b32_e32 v1, 16, v1
	global_store_dword v[2:3], v1, off
	s_mov_b64 s[0:1], 0
	s_branch .LBB182_34
.LBB182_18:
	s_mov_b64 s[0:1], 0
                                        ; implicit-def: $vgpr2
	s_cbranch_execnz .LBB182_166
	s_branch .LBB182_198
.LBB182_19:
	s_mov_b64 s[0:1], 0
	s_mov_b64 s[14:15], 0
	s_cbranch_execnz .LBB182_103
.LBB182_20:
	s_andn2_b64 vcc, exec, s[14:15]
	s_cbranch_vccnz .LBB182_141
.LBB182_21:
	v_add_u32_e32 v4, 0x80, v4
	s_mov_b64 s[20:21], -1
	s_branch .LBB182_247
.LBB182_22:
	s_mov_b64 s[14:15], -1
	s_mov_b64 s[0:1], 0
                                        ; implicit-def: $vgpr2
	s_branch .LBB182_149
.LBB182_23:
	s_mov_b64 s[20:21], -1
	s_mov_b64 s[0:1], 0
	s_mov_b64 s[14:15], 0
	s_branch .LBB182_61
.LBB182_24:
	s_mov_b64 s[14:15], -1
	s_mov_b64 s[0:1], 0
                                        ; implicit-def: $vgpr2
	s_branch .LBB182_144
.LBB182_25:
	s_mov_b64 s[20:21], -1
	s_mov_b64 s[0:1], 0
	s_mov_b64 s[14:15], 0
	s_branch .LBB182_44
.LBB182_26:
	s_mov_b64 s[14:15], -1
	s_branch .LBB182_29
.LBB182_27:
	s_mov_b64 s[20:21], -1
	s_mov_b64 s[0:1], 0
	s_mov_b64 s[14:15], 0
	s_branch .LBB182_40
.LBB182_28:
	s_mov_b64 s[16:17], -1
.LBB182_29:
	s_mov_b64 s[0:1], 0
                                        ; implicit-def: $vgpr2
.LBB182_30:
	s_and_b64 vcc, exec, s[14:15]
	s_cbranch_vccz .LBB182_143
; %bb.31:
	s_cmp_eq_u32 s20, 44
	s_cbranch_scc0 .LBB182_142
; %bb.32:
	global_load_ubyte v2, v[0:1], off
	s_mov_b64 s[0:1], -1
	s_mov_b64 s[16:17], 0
	s_waitcnt vmcnt(0)
	v_lshlrev_b32_e32 v3, 23, v2
	v_cvt_i32_f32_e32 v3, v3
	v_cmp_ne_u32_e32 vcc, 0, v2
	v_cndmask_b32_e32 v2, 0, v3, vcc
	s_branch .LBB182_143
.LBB182_33:
	s_mov_b64 s[20:21], -1
	s_mov_b64 s[0:1], 0
	s_mov_b64 s[14:15], 0
.LBB182_34:
	s_and_b64 vcc, exec, s[20:21]
	s_cbranch_vccz .LBB182_39
; %bb.35:
	s_cmp_eq_u32 s27, 44
	s_mov_b64 s[0:1], -1
	s_cbranch_scc0 .LBB182_39
; %bb.36:
	v_cvt_f32_i32_e32 v1, v0
	s_movk_i32 s0, 0xff
	v_mov_b32_e32 v6, 0xff
	v_bfe_u32 v5, v1, 23, 8
	v_cmp_ne_u32_e32 vcc, s0, v5
	s_and_saveexec_b64 s[14:15], vcc
; %bb.37:
	s_mov_b32 s0, 0x3fffff
	v_lshrrev_b32_e32 v6, 23, v1
	v_and_b32_e32 v7, 0x400000, v1
	v_and_or_b32 v1, v1, s0, v5
	v_cmp_ne_u32_e32 vcc, 0, v7
	v_cmp_ne_u32_e64 s[0:1], 0, v1
	s_and_b64 s[0:1], vcc, s[0:1]
	v_cndmask_b32_e64 v1, 0, 1, s[0:1]
	v_add_u32_e32 v6, v6, v1
; %bb.38:
	s_or_b64 exec, exec, s[14:15]
	s_mov_b64 s[14:15], -1
	s_mov_b64 s[0:1], 0
	global_store_byte v[2:3], v6, off
.LBB182_39:
	s_mov_b64 s[20:21], 0
.LBB182_40:
	s_and_b64 vcc, exec, s[20:21]
	s_cbranch_vccz .LBB182_43
; %bb.41:
	s_cmp_eq_u32 s27, 29
	s_mov_b64 s[0:1], -1
	s_cbranch_scc0 .LBB182_43
; %bb.42:
	v_ashrrev_i32_e32 v1, 31, v0
	global_store_dwordx2 v[2:3], v[0:1], off
	s_mov_b64 s[14:15], -1
	s_mov_b64 s[0:1], 0
.LBB182_43:
	s_mov_b64 s[20:21], 0
.LBB182_44:
	s_and_b64 vcc, exec, s[20:21]
	s_cbranch_vccz .LBB182_60
; %bb.45:
	s_cmp_lt_i32 s27, 27
	s_mov_b64 s[14:15], -1
	s_cbranch_scc1 .LBB182_51
; %bb.46:
	s_cmp_gt_i32 s27, 27
	s_cbranch_scc0 .LBB182_48
; %bb.47:
	s_mov_b64 s[14:15], 0
	global_store_dword v[2:3], v0, off
.LBB182_48:
	s_andn2_b64 vcc, exec, s[14:15]
	s_cbranch_vccnz .LBB182_50
; %bb.49:
	global_store_short v[2:3], v0, off
.LBB182_50:
	s_mov_b64 s[14:15], 0
.LBB182_51:
	s_andn2_b64 vcc, exec, s[14:15]
	s_cbranch_vccnz .LBB182_59
; %bb.52:
	v_cvt_f32_i32_e32 v1, v0
	s_mov_b32 s14, 0x43800000
	v_mov_b32_e32 v6, 0x80
	v_and_b32_e32 v5, 0x7fffffff, v1
	v_cmp_gt_u32_e32 vcc, s14, v5
	s_and_saveexec_b64 s[14:15], vcc
	s_cbranch_execz .LBB182_58
; %bb.53:
	s_mov_b32 s20, 0x3bffffff
	v_cmp_lt_u32_e32 vcc, s20, v5
	s_mov_b64 s[20:21], 0
                                        ; implicit-def: $vgpr5
	s_and_saveexec_b64 s[24:25], vcc
	s_xor_b64 s[24:25], exec, s[24:25]
	s_cbranch_execz .LBB182_275
; %bb.54:
	v_bfe_u32 v5, v1, 20, 1
	s_mov_b32 s28, 0x487ffff
	v_add3_u32 v5, v1, v5, s28
	s_mov_b64 s[20:21], exec
	v_lshrrev_b32_e32 v5, 20, v5
	s_andn2_saveexec_b64 s[24:25], s[24:25]
	s_cbranch_execnz .LBB182_276
.LBB182_55:
	s_or_b64 exec, exec, s[24:25]
	v_mov_b32_e32 v6, 0
	s_and_saveexec_b64 s[24:25], s[20:21]
.LBB182_56:
	v_lshrrev_b32_e32 v1, 24, v1
	s_movk_i32 s20, 0x80
	v_and_or_b32 v6, v1, s20, v5
.LBB182_57:
	s_or_b64 exec, exec, s[24:25]
.LBB182_58:
	s_or_b64 exec, exec, s[14:15]
	global_store_byte v[2:3], v6, off
.LBB182_59:
	s_mov_b64 s[14:15], -1
.LBB182_60:
	s_mov_b64 s[20:21], 0
.LBB182_61:
	s_and_b64 vcc, exec, s[20:21]
	s_cbranch_vccz .LBB182_102
; %bb.62:
	s_cmp_gt_i32 s27, 22
	s_mov_b64 s[20:21], -1
	s_cbranch_scc0 .LBB182_94
; %bb.63:
	s_cmp_lt_i32 s27, 24
	s_mov_b64 s[14:15], -1
	s_cbranch_scc1 .LBB182_83
; %bb.64:
	s_cmp_gt_i32 s27, 24
	s_cbranch_scc0 .LBB182_72
; %bb.65:
	v_cvt_f32_i32_e32 v1, v0
	s_mov_b32 s14, 0x47800000
	v_mov_b32_e32 v6, 0x80
	v_and_b32_e32 v5, 0x7fffffff, v1
	v_cmp_gt_u32_e32 vcc, s14, v5
	s_and_saveexec_b64 s[14:15], vcc
	s_cbranch_execz .LBB182_71
; %bb.66:
	s_mov_b32 s20, 0x37ffffff
	v_cmp_lt_u32_e32 vcc, s20, v5
	s_mov_b64 s[20:21], 0
                                        ; implicit-def: $vgpr5
	s_and_saveexec_b64 s[24:25], vcc
	s_xor_b64 s[24:25], exec, s[24:25]
	s_cbranch_execz .LBB182_279
; %bb.67:
	v_bfe_u32 v5, v1, 21, 1
	s_mov_b32 s28, 0x88fffff
	v_add3_u32 v5, v1, v5, s28
	s_mov_b64 s[20:21], exec
	v_lshrrev_b32_e32 v5, 21, v5
	s_andn2_saveexec_b64 s[24:25], s[24:25]
	s_cbranch_execnz .LBB182_280
.LBB182_68:
	s_or_b64 exec, exec, s[24:25]
	v_mov_b32_e32 v6, 0
	s_and_saveexec_b64 s[24:25], s[20:21]
.LBB182_69:
	v_lshrrev_b32_e32 v1, 24, v1
	s_movk_i32 s20, 0x80
	v_and_or_b32 v6, v1, s20, v5
.LBB182_70:
	s_or_b64 exec, exec, s[24:25]
.LBB182_71:
	s_or_b64 exec, exec, s[14:15]
	s_mov_b64 s[14:15], 0
	global_store_byte v[2:3], v6, off
.LBB182_72:
	s_and_b64 vcc, exec, s[14:15]
	s_cbranch_vccz .LBB182_82
; %bb.73:
	v_cvt_f32_i32_e32 v1, v0
	s_mov_b32 s14, 0x43f00000
                                        ; implicit-def: $vgpr5
	v_and_b32_e32 v6, 0x7fffffff, v1
	v_cmp_gt_u32_e32 vcc, s14, v6
	s_and_saveexec_b64 s[14:15], vcc
	s_xor_b64 s[14:15], exec, s[14:15]
	s_cbranch_execz .LBB182_79
; %bb.74:
	s_mov_b32 s20, 0x3c7fffff
	v_cmp_lt_u32_e32 vcc, s20, v6
                                        ; implicit-def: $vgpr5
	s_and_saveexec_b64 s[20:21], vcc
	s_xor_b64 s[20:21], exec, s[20:21]
; %bb.75:
	v_bfe_u32 v5, v1, 20, 1
	s_mov_b32 s24, 0x407ffff
	v_add3_u32 v5, v1, v5, s24
	v_lshrrev_b32_e32 v6, 20, v5
	v_and_b32_e32 v5, 0xff00000, v5
	s_mov_b32 s24, 0x7f00000
	v_mov_b32_e32 v7, 0x7e
	v_cmp_ne_u32_e32 vcc, s24, v5
	v_cndmask_b32_e32 v5, v7, v6, vcc
; %bb.76:
	s_andn2_saveexec_b64 s[20:21], s[20:21]
; %bb.77:
	s_mov_b32 s24, 0x46800000
	v_add_f32_e64 v5, |v1|, s24
; %bb.78:
	s_or_b64 exec, exec, s[20:21]
                                        ; implicit-def: $vgpr6
.LBB182_79:
	s_andn2_saveexec_b64 s[14:15], s[14:15]
; %bb.80:
	s_mov_b32 s20, 0x7f800000
	v_mov_b32_e32 v5, 0x7e
	v_mov_b32_e32 v7, 0x7f
	v_cmp_lt_u32_e32 vcc, s20, v6
	v_cndmask_b32_e32 v5, v5, v7, vcc
; %bb.81:
	s_or_b64 exec, exec, s[14:15]
	v_lshrrev_b32_e32 v1, 24, v1
	s_movk_i32 s14, 0x80
	v_and_or_b32 v1, v1, s14, v5
	global_store_byte v[2:3], v1, off
.LBB182_82:
	s_mov_b64 s[14:15], 0
.LBB182_83:
	s_andn2_b64 vcc, exec, s[14:15]
	s_cbranch_vccnz .LBB182_93
; %bb.84:
	v_cvt_f32_i32_e32 v1, v0
	s_mov_b32 s14, 0x47800000
                                        ; implicit-def: $vgpr5
	v_and_b32_e32 v6, 0x7fffffff, v1
	v_cmp_gt_u32_e32 vcc, s14, v6
	s_and_saveexec_b64 s[14:15], vcc
	s_xor_b64 s[14:15], exec, s[14:15]
	s_cbranch_execz .LBB182_90
; %bb.85:
	s_mov_b32 s20, 0x387fffff
	v_cmp_lt_u32_e32 vcc, s20, v6
                                        ; implicit-def: $vgpr5
	s_and_saveexec_b64 s[20:21], vcc
	s_xor_b64 s[20:21], exec, s[20:21]
; %bb.86:
	v_bfe_u32 v5, v1, 21, 1
	s_mov_b32 s24, 0x80fffff
	v_add3_u32 v5, v1, v5, s24
	v_lshrrev_b32_e32 v5, 21, v5
; %bb.87:
	s_andn2_saveexec_b64 s[20:21], s[20:21]
; %bb.88:
	s_mov_b32 s24, 0x43000000
	v_add_f32_e64 v5, |v1|, s24
; %bb.89:
	s_or_b64 exec, exec, s[20:21]
                                        ; implicit-def: $vgpr6
.LBB182_90:
	s_andn2_saveexec_b64 s[14:15], s[14:15]
; %bb.91:
	s_mov_b32 s20, 0x7f800000
	v_mov_b32_e32 v5, 0x7c
	v_mov_b32_e32 v7, 0x7f
	v_cmp_lt_u32_e32 vcc, s20, v6
	v_cndmask_b32_e32 v5, v5, v7, vcc
; %bb.92:
	s_or_b64 exec, exec, s[14:15]
	v_lshrrev_b32_e32 v1, 24, v1
	s_movk_i32 s14, 0x80
	v_and_or_b32 v1, v1, s14, v5
	global_store_byte v[2:3], v1, off
.LBB182_93:
	s_mov_b64 s[20:21], 0
	s_mov_b64 s[14:15], -1
.LBB182_94:
	s_andn2_b64 vcc, exec, s[20:21]
	s_cbranch_vccnz .LBB182_102
; %bb.95:
	s_cmp_gt_i32 s27, 14
	s_mov_b64 s[20:21], -1
	s_cbranch_scc0 .LBB182_99
; %bb.96:
	s_cmp_eq_u32 s27, 15
	s_mov_b64 s[0:1], -1
	s_cbranch_scc0 .LBB182_98
; %bb.97:
	v_cvt_f32_i32_e32 v1, v0
	s_movk_i32 s0, 0x7fff
	s_mov_b64 s[14:15], -1
	v_bfe_u32 v5, v1, 16, 1
	v_add3_u32 v1, v1, v5, s0
	global_store_short_d16_hi v[2:3], v1, off
	s_mov_b64 s[0:1], 0
.LBB182_98:
	s_mov_b64 s[20:21], 0
.LBB182_99:
	s_and_b64 vcc, exec, s[20:21]
	s_cbranch_vccz .LBB182_102
; %bb.100:
	s_cmp_eq_u32 s27, 11
	s_mov_b64 s[0:1], -1
	s_cbranch_scc0 .LBB182_102
; %bb.101:
	v_cmp_ne_u32_e32 vcc, 0, v0
	v_cndmask_b32_e64 v1, 0, 1, vcc
	s_mov_b64 s[14:15], -1
	s_mov_b64 s[0:1], 0
	global_store_byte v[2:3], v1, off
.LBB182_102:
	s_branch .LBB182_20
.LBB182_103:
	s_and_b32 s20, 0xffff, s26
	s_cmp_lt_i32 s20, 5
	s_mov_b64 s[14:15], -1
	s_cbranch_scc1 .LBB182_124
; %bb.104:
	s_cmp_lt_i32 s20, 8
	s_cbranch_scc1 .LBB182_114
; %bb.105:
	s_cmp_lt_i32 s20, 9
	s_cbranch_scc1 .LBB182_111
; %bb.106:
	s_cmp_gt_i32 s20, 9
	s_cbranch_scc0 .LBB182_108
; %bb.107:
	v_cvt_f64_i32_e32 v[5:6], v0
	v_mov_b32_e32 v7, 0
	v_mov_b32_e32 v8, v7
	s_mov_b64 s[14:15], 0
	global_store_dwordx4 v[2:3], v[5:8], off
.LBB182_108:
	s_andn2_b64 vcc, exec, s[14:15]
	s_cbranch_vccnz .LBB182_110
; %bb.109:
	v_cvt_f32_i32_e32 v5, v0
	v_mov_b32_e32 v6, 0
	global_store_dwordx2 v[2:3], v[5:6], off
.LBB182_110:
	s_mov_b64 s[14:15], 0
.LBB182_111:
	s_andn2_b64 vcc, exec, s[14:15]
	s_cbranch_vccnz .LBB182_113
; %bb.112:
	v_cvt_f32_i32_e32 v1, v0
	v_cvt_f16_f32_e32 v1, v1
	global_store_dword v[2:3], v1, off
.LBB182_113:
	s_mov_b64 s[14:15], 0
.LBB182_114:
	s_andn2_b64 vcc, exec, s[14:15]
	s_cbranch_vccnz .LBB182_123
; %bb.115:
	s_cmp_lt_i32 s20, 6
	s_mov_b64 s[14:15], -1
	s_cbranch_scc1 .LBB182_121
; %bb.116:
	s_cmp_gt_i32 s20, 6
	s_cbranch_scc0 .LBB182_118
; %bb.117:
	v_cvt_f64_i32_e32 v[5:6], v0
	s_mov_b64 s[14:15], 0
	global_store_dwordx2 v[2:3], v[5:6], off
.LBB182_118:
	s_andn2_b64 vcc, exec, s[14:15]
	s_cbranch_vccnz .LBB182_120
; %bb.119:
	v_cvt_f32_i32_e32 v1, v0
	global_store_dword v[2:3], v1, off
.LBB182_120:
	s_mov_b64 s[14:15], 0
.LBB182_121:
	s_andn2_b64 vcc, exec, s[14:15]
	s_cbranch_vccnz .LBB182_123
; %bb.122:
	v_cvt_f32_i32_e32 v1, v0
	v_cvt_f16_f32_e32 v1, v1
	global_store_short v[2:3], v1, off
.LBB182_123:
	s_mov_b64 s[14:15], 0
.LBB182_124:
	s_andn2_b64 vcc, exec, s[14:15]
	s_cbranch_vccnz .LBB182_140
; %bb.125:
	s_cmp_lt_i32 s20, 2
	s_mov_b64 s[14:15], -1
	s_cbranch_scc1 .LBB182_135
; %bb.126:
	s_cmp_lt_i32 s20, 3
	s_cbranch_scc1 .LBB182_132
; %bb.127:
	s_cmp_gt_i32 s20, 3
	s_cbranch_scc0 .LBB182_129
; %bb.128:
	v_ashrrev_i32_e32 v1, 31, v0
	global_store_dwordx2 v[2:3], v[0:1], off
	s_mov_b64 s[14:15], 0
.LBB182_129:
	s_andn2_b64 vcc, exec, s[14:15]
	s_cbranch_vccnz .LBB182_131
; %bb.130:
	global_store_dword v[2:3], v0, off
.LBB182_131:
	s_mov_b64 s[14:15], 0
.LBB182_132:
	s_andn2_b64 vcc, exec, s[14:15]
	s_cbranch_vccnz .LBB182_134
; %bb.133:
	global_store_short v[2:3], v0, off
.LBB182_134:
	s_mov_b64 s[14:15], 0
.LBB182_135:
	s_andn2_b64 vcc, exec, s[14:15]
	s_cbranch_vccnz .LBB182_140
; %bb.136:
	s_cmp_gt_i32 s20, 0
	s_mov_b64 s[14:15], -1
	s_cbranch_scc0 .LBB182_138
; %bb.137:
	global_store_byte v[2:3], v0, off
	s_mov_b64 s[14:15], 0
.LBB182_138:
	s_andn2_b64 vcc, exec, s[14:15]
	s_cbranch_vccnz .LBB182_140
; %bb.139:
	global_store_byte v[2:3], v0, off
.LBB182_140:
	s_branch .LBB182_21
.LBB182_141:
	s_mov_b64 s[20:21], 0
                                        ; implicit-def: $vgpr4
	s_branch .LBB182_247
.LBB182_142:
	s_mov_b64 s[16:17], -1
                                        ; implicit-def: $vgpr2
.LBB182_143:
	s_mov_b64 s[14:15], 0
.LBB182_144:
	s_and_b64 vcc, exec, s[14:15]
	s_cbranch_vccz .LBB182_148
; %bb.145:
	s_cmp_eq_u32 s20, 29
	s_cbranch_scc0 .LBB182_147
; %bb.146:
	global_load_dword v2, v[0:1], off
	s_mov_b64 s[0:1], -1
	s_mov_b64 s[16:17], 0
	s_branch .LBB182_148
.LBB182_147:
	s_mov_b64 s[16:17], -1
                                        ; implicit-def: $vgpr2
.LBB182_148:
	s_mov_b64 s[14:15], 0
.LBB182_149:
	s_and_b64 vcc, exec, s[14:15]
	s_cbranch_vccz .LBB182_165
; %bb.150:
	s_cmp_lt_i32 s20, 27
	s_cbranch_scc1 .LBB182_153
; %bb.151:
	s_cmp_gt_i32 s20, 27
	s_cbranch_scc0 .LBB182_154
; %bb.152:
	global_load_dword v2, v[0:1], off
	s_mov_b64 s[0:1], 0
	s_branch .LBB182_155
.LBB182_153:
	s_mov_b64 s[0:1], -1
                                        ; implicit-def: $vgpr2
	s_branch .LBB182_158
.LBB182_154:
	s_mov_b64 s[0:1], -1
                                        ; implicit-def: $vgpr2
.LBB182_155:
	s_andn2_b64 vcc, exec, s[0:1]
	s_cbranch_vccnz .LBB182_157
; %bb.156:
	global_load_ushort v2, v[0:1], off
.LBB182_157:
	s_mov_b64 s[0:1], 0
.LBB182_158:
	s_andn2_b64 vcc, exec, s[0:1]
	s_cbranch_vccnz .LBB182_164
; %bb.159:
	global_load_ubyte v3, v[0:1], off
	s_movk_i32 s0, 0x7f
	s_mov_b64 s[14:15], 0
	s_waitcnt vmcnt(0)
	v_cmp_lt_i16_e32 vcc, s0, v3
	s_and_saveexec_b64 s[0:1], vcc
	s_xor_b64 s[0:1], exec, s[0:1]
	s_cbranch_execz .LBB182_175
; %bb.160:
	s_movk_i32 s14, 0x80
	v_cmp_ne_u16_e32 vcc, s14, v3
	s_and_b64 s[14:15], vcc, exec
	s_andn2_saveexec_b64 s[0:1], s[0:1]
	s_cbranch_execnz .LBB182_176
.LBB182_161:
	s_or_b64 exec, exec, s[0:1]
	v_mov_b32_e32 v2, 0
	s_and_saveexec_b64 s[0:1], s[14:15]
	s_cbranch_execz .LBB182_163
.LBB182_162:
	v_lshlrev_b32_e32 v2, 24, v3
	v_and_b32_e32 v3, 0xffff, v3
	v_and_b32_e32 v5, 7, v3
	v_ffbh_u32_e32 v7, v5
	v_min_u32_e32 v7, 32, v7
	v_subrev_u32_e32 v8, 28, v7
	v_bfe_u32 v6, v3, 3, 4
	v_lshlrev_b32_e32 v3, v8, v3
	v_sub_u32_e32 v7, 29, v7
	v_and_b32_e32 v3, 7, v3
	v_cmp_eq_u32_e32 vcc, 0, v6
	v_cndmask_b32_e32 v6, v6, v7, vcc
	v_cndmask_b32_e32 v3, v5, v3, vcc
	v_mov_b32_e32 v5, 0x3b800000
	v_lshlrev_b32_e32 v3, 20, v3
	v_and_b32_e32 v2, 0x80000000, v2
	v_lshl_add_u32 v5, v6, 23, v5
	v_or3_b32 v2, v2, v5, v3
	v_cvt_i32_f32_e32 v2, v2
.LBB182_163:
	s_or_b64 exec, exec, s[0:1]
.LBB182_164:
	s_mov_b64 s[0:1], -1
.LBB182_165:
	s_branch .LBB182_198
.LBB182_166:
	s_cmp_gt_i32 s20, 22
	s_cbranch_scc0 .LBB182_174
; %bb.167:
	s_cmp_lt_i32 s20, 24
	s_cbranch_scc1 .LBB182_177
; %bb.168:
	s_cmp_gt_i32 s20, 24
	s_cbranch_scc0 .LBB182_178
; %bb.169:
	global_load_ubyte v3, v[0:1], off
	s_movk_i32 s0, 0x7f
	s_mov_b64 s[14:15], 0
	s_waitcnt vmcnt(0)
	v_cmp_lt_i16_e32 vcc, s0, v3
	s_and_saveexec_b64 s[0:1], vcc
	s_xor_b64 s[0:1], exec, s[0:1]
	s_cbranch_execz .LBB182_190
; %bb.170:
	s_movk_i32 s14, 0x80
	v_cmp_ne_u16_e32 vcc, s14, v3
	s_and_b64 s[14:15], vcc, exec
	s_andn2_saveexec_b64 s[0:1], s[0:1]
	s_cbranch_execnz .LBB182_191
.LBB182_171:
	s_or_b64 exec, exec, s[0:1]
	v_mov_b32_e32 v2, 0
	s_and_saveexec_b64 s[0:1], s[14:15]
	s_cbranch_execz .LBB182_173
.LBB182_172:
	v_lshlrev_b32_e32 v2, 24, v3
	v_and_b32_e32 v3, 0xffff, v3
	v_and_b32_e32 v5, 3, v3
	v_ffbh_u32_e32 v7, v5
	v_min_u32_e32 v7, 32, v7
	v_subrev_u32_e32 v8, 29, v7
	v_bfe_u32 v6, v3, 2, 5
	v_lshlrev_b32_e32 v3, v8, v3
	v_sub_u32_e32 v7, 30, v7
	v_and_b32_e32 v3, 3, v3
	v_cmp_eq_u32_e32 vcc, 0, v6
	v_cndmask_b32_e32 v6, v6, v7, vcc
	v_cndmask_b32_e32 v3, v5, v3, vcc
	v_mov_b32_e32 v5, 0x37800000
	v_lshlrev_b32_e32 v3, 21, v3
	v_and_b32_e32 v2, 0x80000000, v2
	v_lshl_add_u32 v5, v6, 23, v5
	v_or3_b32 v2, v2, v5, v3
	v_cvt_i32_f32_e32 v2, v2
.LBB182_173:
	s_or_b64 exec, exec, s[0:1]
	s_mov_b64 s[0:1], 0
	s_branch .LBB182_179
.LBB182_174:
	s_mov_b64 s[14:15], -1
                                        ; implicit-def: $vgpr2
	s_branch .LBB182_185
.LBB182_175:
	s_andn2_saveexec_b64 s[0:1], s[0:1]
	s_cbranch_execz .LBB182_161
.LBB182_176:
	v_cmp_ne_u16_e32 vcc, 0, v3
	s_andn2_b64 s[14:15], s[14:15], exec
	s_and_b64 s[24:25], vcc, exec
	s_or_b64 s[14:15], s[14:15], s[24:25]
	s_or_b64 exec, exec, s[0:1]
	v_mov_b32_e32 v2, 0
	s_and_saveexec_b64 s[0:1], s[14:15]
	s_cbranch_execnz .LBB182_162
	s_branch .LBB182_163
.LBB182_177:
	s_mov_b64 s[0:1], -1
                                        ; implicit-def: $vgpr2
	s_branch .LBB182_182
.LBB182_178:
	s_mov_b64 s[0:1], -1
                                        ; implicit-def: $vgpr2
.LBB182_179:
	s_and_b64 vcc, exec, s[0:1]
	s_cbranch_vccz .LBB182_181
; %bb.180:
	global_load_ubyte v2, v[0:1], off
	s_mov_b32 s0, 0x7f800000
	s_waitcnt vmcnt(0)
	v_lshlrev_b32_e32 v2, 24, v2
	v_and_b32_e32 v3, 0x7f000000, v2
	v_ffbh_u32_e32 v5, v3
	v_min_u32_e32 v5, 32, v5
	v_sub_u32_e64 v5, v5, 4 clamp
	v_lshlrev_b32_e32 v7, v5, v3
	v_lshlrev_b32_e32 v5, 23, v5
	v_lshrrev_b32_e32 v7, 4, v7
	v_add_u32_e32 v6, 0x1000000, v3
	v_sub_u32_e32 v5, v7, v5
	v_ashrrev_i32_e32 v6, 8, v6
	v_add_u32_e32 v5, 0x3c000000, v5
	v_and_or_b32 v5, v6, s0, v5
	v_cmp_ne_u32_e32 vcc, 0, v3
	v_cndmask_b32_e32 v3, 0, v5, vcc
	s_brev_b32 s0, 1
	v_and_or_b32 v2, v2, s0, v3
	v_cvt_i32_f32_e32 v2, v2
.LBB182_181:
	s_mov_b64 s[0:1], 0
.LBB182_182:
	s_andn2_b64 vcc, exec, s[0:1]
	s_cbranch_vccnz .LBB182_184
; %bb.183:
	global_load_ubyte v2, v[0:1], off
	s_movk_i32 s0, 0x7f00
	s_brev_b32 s1, 16
	s_waitcnt vmcnt(0)
	v_lshlrev_b16_e32 v3, 8, v2
	v_lshlrev_b32_e32 v2, 25, v2
	v_lshrrev_b32_e32 v5, 4, v2
	v_and_or_b32 v6, v3, s0, 0.5
	v_or_b32_e32 v5, 0x70000000, v5
	v_add_f32_e32 v6, -0.5, v6
	v_mul_f32_e32 v5, 0x7800000, v5
	v_cmp_gt_u32_e32 vcc, s1, v2
	v_bfe_i32 v3, v3, 0, 16
	v_cndmask_b32_e32 v2, v5, v6, vcc
	s_brev_b32 s0, 1
	v_and_or_b32 v2, v3, s0, v2
	v_cvt_i32_f32_e32 v2, v2
.LBB182_184:
	s_mov_b64 s[14:15], 0
	s_mov_b64 s[0:1], -1
.LBB182_185:
	s_andn2_b64 vcc, exec, s[14:15]
	s_cbranch_vccnz .LBB182_198
; %bb.186:
	s_cmp_gt_i32 s20, 14
	s_cbranch_scc0 .LBB182_189
; %bb.187:
	s_cmp_eq_u32 s20, 15
	s_cbranch_scc0 .LBB182_192
; %bb.188:
	global_load_ushort v2, v[0:1], off
	s_mov_b64 s[0:1], -1
	s_mov_b64 s[16:17], 0
	s_waitcnt vmcnt(0)
	v_lshlrev_b32_e32 v2, 16, v2
	v_cvt_i32_f32_e32 v2, v2
	s_branch .LBB182_193
.LBB182_189:
	s_mov_b64 s[14:15], -1
                                        ; implicit-def: $vgpr2
	s_branch .LBB182_194
.LBB182_190:
	s_andn2_saveexec_b64 s[0:1], s[0:1]
	s_cbranch_execz .LBB182_171
.LBB182_191:
	v_cmp_ne_u16_e32 vcc, 0, v3
	s_andn2_b64 s[14:15], s[14:15], exec
	s_and_b64 s[24:25], vcc, exec
	s_or_b64 s[14:15], s[14:15], s[24:25]
	s_or_b64 exec, exec, s[0:1]
	v_mov_b32_e32 v2, 0
	s_and_saveexec_b64 s[0:1], s[14:15]
	s_cbranch_execnz .LBB182_172
	s_branch .LBB182_173
.LBB182_192:
	s_mov_b64 s[16:17], -1
                                        ; implicit-def: $vgpr2
.LBB182_193:
	s_mov_b64 s[14:15], 0
.LBB182_194:
	s_and_b64 vcc, exec, s[14:15]
	s_cbranch_vccz .LBB182_198
; %bb.195:
	s_cmp_eq_u32 s20, 11
	s_cbranch_scc0 .LBB182_197
; %bb.196:
	global_load_ubyte v2, v[0:1], off
	s_mov_b64 s[0:1], -1
	s_mov_b64 s[16:17], 0
	s_waitcnt vmcnt(0)
	v_cmp_ne_u16_e32 vcc, 0, v2
	v_cndmask_b32_e64 v2, 0, 1, vcc
	s_branch .LBB182_198
.LBB182_197:
	s_mov_b64 s[16:17], -1
                                        ; implicit-def: $vgpr2
.LBB182_198:
	s_branch .LBB182_10
.LBB182_199:
	s_cmp_lt_i32 s20, 5
	s_cbranch_scc1 .LBB182_204
; %bb.200:
	s_cmp_lt_i32 s20, 8
	s_cbranch_scc1 .LBB182_205
; %bb.201:
	;; [unrolled: 3-line block ×3, first 2 shown]
	s_cmp_gt_i32 s20, 9
	s_cbranch_scc0 .LBB182_207
; %bb.203:
	global_load_dwordx2 v[2:3], v[0:1], off
	s_mov_b64 s[0:1], 0
	s_waitcnt vmcnt(0)
	v_cvt_i32_f64_e32 v2, v[2:3]
	s_branch .LBB182_208
.LBB182_204:
                                        ; implicit-def: $vgpr2
	s_branch .LBB182_226
.LBB182_205:
	s_mov_b64 s[0:1], -1
                                        ; implicit-def: $vgpr2
	s_branch .LBB182_214
.LBB182_206:
	s_mov_b64 s[0:1], -1
                                        ; implicit-def: $vgpr2
	s_branch .LBB182_211
.LBB182_207:
	s_mov_b64 s[0:1], -1
                                        ; implicit-def: $vgpr2
.LBB182_208:
	s_andn2_b64 vcc, exec, s[0:1]
	s_cbranch_vccnz .LBB182_210
; %bb.209:
	global_load_dword v2, v[0:1], off
	s_waitcnt vmcnt(0)
	v_cvt_i32_f32_e32 v2, v2
.LBB182_210:
	s_mov_b64 s[0:1], 0
.LBB182_211:
	s_andn2_b64 vcc, exec, s[0:1]
	s_cbranch_vccnz .LBB182_213
; %bb.212:
	global_load_dword v2, v[0:1], off
	s_waitcnt vmcnt(0)
	v_cvt_f32_f16_e32 v2, v2
	v_cvt_i32_f32_e32 v2, v2
.LBB182_213:
	s_mov_b64 s[0:1], 0
.LBB182_214:
	s_andn2_b64 vcc, exec, s[0:1]
	s_cbranch_vccnz .LBB182_225
; %bb.215:
	s_cmp_lt_i32 s20, 6
	s_cbranch_scc1 .LBB182_218
; %bb.216:
	s_cmp_gt_i32 s20, 6
	s_cbranch_scc0 .LBB182_219
; %bb.217:
	global_load_dwordx2 v[2:3], v[0:1], off
	s_mov_b64 s[0:1], 0
	s_waitcnt vmcnt(0)
	v_cvt_i32_f64_e32 v2, v[2:3]
	s_branch .LBB182_220
.LBB182_218:
	s_mov_b64 s[0:1], -1
                                        ; implicit-def: $vgpr2
	s_branch .LBB182_223
.LBB182_219:
	s_mov_b64 s[0:1], -1
                                        ; implicit-def: $vgpr2
.LBB182_220:
	s_andn2_b64 vcc, exec, s[0:1]
	s_cbranch_vccnz .LBB182_222
; %bb.221:
	global_load_dword v2, v[0:1], off
	s_waitcnt vmcnt(0)
	v_cvt_i32_f32_e32 v2, v2
.LBB182_222:
	s_mov_b64 s[0:1], 0
.LBB182_223:
	s_andn2_b64 vcc, exec, s[0:1]
	s_cbranch_vccnz .LBB182_225
; %bb.224:
	global_load_ushort v2, v[0:1], off
	s_waitcnt vmcnt(0)
	v_cvt_f32_f16_e32 v2, v2
	v_cvt_i32_f32_e32 v2, v2
.LBB182_225:
	s_cbranch_execnz .LBB182_245
.LBB182_226:
	s_cmp_lt_i32 s20, 2
	s_cbranch_scc1 .LBB182_230
; %bb.227:
	s_cmp_lt_i32 s20, 3
	s_cbranch_scc1 .LBB182_231
; %bb.228:
	s_cmp_gt_i32 s20, 3
	s_cbranch_scc0 .LBB182_232
; %bb.229:
	global_load_dword v2, v[0:1], off
	s_mov_b64 s[0:1], 0
	s_branch .LBB182_233
.LBB182_230:
	s_mov_b64 s[0:1], -1
                                        ; implicit-def: $vgpr2
	s_branch .LBB182_239
.LBB182_231:
	s_mov_b64 s[0:1], -1
                                        ; implicit-def: $vgpr2
	s_branch .LBB182_236
.LBB182_232:
	s_mov_b64 s[0:1], -1
                                        ; implicit-def: $vgpr2
.LBB182_233:
	s_andn2_b64 vcc, exec, s[0:1]
	s_cbranch_vccnz .LBB182_235
; %bb.234:
	global_load_dword v2, v[0:1], off
.LBB182_235:
	s_mov_b64 s[0:1], 0
.LBB182_236:
	s_andn2_b64 vcc, exec, s[0:1]
	s_cbranch_vccnz .LBB182_238
; %bb.237:
	global_load_sshort v2, v[0:1], off
.LBB182_238:
	s_mov_b64 s[0:1], 0
.LBB182_239:
	s_andn2_b64 vcc, exec, s[0:1]
	s_cbranch_vccnz .LBB182_245
; %bb.240:
	s_cmp_gt_i32 s20, 0
	s_cbranch_scc0 .LBB182_242
; %bb.241:
	global_load_sbyte v2, v[0:1], off
	s_mov_b64 s[0:1], 0
	s_branch .LBB182_243
.LBB182_242:
	s_mov_b64 s[0:1], -1
                                        ; implicit-def: $vgpr2
.LBB182_243:
	s_andn2_b64 vcc, exec, s[0:1]
	s_cbranch_vccnz .LBB182_245
; %bb.244:
	global_load_ubyte v2, v[0:1], off
.LBB182_245:
	s_branch .LBB182_11
.LBB182_246:
	s_mov_b64 s[0:1], 0
                                        ; implicit-def: $vgpr4
	s_mov_b64 s[20:21], 0
.LBB182_247:
	s_and_b64 s[14:15], s[0:1], exec
	s_and_b64 s[16:17], s[16:17], exec
	s_orn2_b64 s[20:21], s[20:21], exec
.LBB182_248:
	s_or_b64 exec, exec, s[18:19]
	s_mov_b64 s[24:25], 0
	s_mov_b64 s[0:1], 0
                                        ; implicit-def: $vgpr0_vgpr1
                                        ; implicit-def: $vgpr5
	s_and_saveexec_b64 s[18:19], s[20:21]
	s_cbranch_execz .LBB182_257
; %bb.249:
	v_cmp_gt_i32_e32 vcc, s40, v4
	s_mov_b64 s[0:1], -1
	s_mov_b64 s[20:21], s[16:17]
	s_mov_b64 s[22:23], s[14:15]
	s_and_saveexec_b64 s[24:25], vcc
	s_cbranch_execz .LBB182_505
; %bb.250:
	v_mul_lo_u32 v0, v4, s3
	v_mov_b32_e32 v1, s11
	s_and_b32 s26, 0xffff, s33
	s_cmp_lt_i32 s26, 11
	s_waitcnt vmcnt(0)
	v_ashrrev_i32_e32 v2, 31, v0
	v_add_co_u32_e32 v0, vcc, s10, v0
	v_addc_co_u32_e32 v1, vcc, v1, v2, vcc
	s_cbranch_scc1 .LBB182_260
; %bb.251:
	s_cmp_gt_i32 s26, 25
	s_cbranch_scc0 .LBB182_269
; %bb.252:
	s_cmp_gt_i32 s26, 28
	s_cbranch_scc0 .LBB182_271
	;; [unrolled: 3-line block ×4, first 2 shown]
; %bb.255:
	s_cmp_eq_u32 s26, 46
	s_mov_b64 s[22:23], 0
	s_cbranch_scc0 .LBB182_281
; %bb.256:
	global_load_dword v2, v[0:1], off
	s_mov_b64 s[20:21], 0
	s_waitcnt vmcnt(0)
	v_lshlrev_b32_e32 v2, 16, v2
	v_cvt_i32_f32_e32 v2, v2
	s_branch .LBB182_282
.LBB182_257:
	s_or_b64 exec, exec, s[18:19]
	s_mov_b64 s[18:19], 0
	s_and_saveexec_b64 s[20:21], s[16:17]
	s_cbranch_execnz .LBB182_843
.LBB182_258:
	s_or_b64 exec, exec, s[20:21]
	s_and_saveexec_b64 s[16:17], s[22:23]
	s_xor_b64 s[16:17], exec, s[16:17]
	s_cbranch_execz .LBB182_844
.LBB182_259:
	global_load_ubyte v2, v[0:1], off
	s_or_b64 s[0:1], s[0:1], exec
	s_waitcnt vmcnt(0)
	v_cmp_ne_u16_e32 vcc, 0, v2
	v_cndmask_b32_e64 v5, 0, 1, vcc
	s_or_b64 exec, exec, s[16:17]
	s_and_saveexec_b64 s[16:17], s[24:25]
	s_cbranch_execz .LBB182_890
	s_branch .LBB182_845
.LBB182_260:
	s_mov_b64 s[0:1], 0
                                        ; implicit-def: $vgpr2
	s_mov_b64 s[20:21], s[16:17]
	s_cbranch_execnz .LBB182_455
.LBB182_261:
	s_andn2_b64 vcc, exec, s[0:1]
	s_cbranch_vccnz .LBB182_503
.LBB182_262:
	v_mul_lo_u32 v1, v4, s2
	s_waitcnt vmcnt(0)
	v_ashrrev_i32_e32 v0, s44, v2
	v_mov_b32_e32 v3, s9
	s_and_b32 s30, s13, 0xff
	v_ashrrev_i32_e32 v5, 31, v1
	v_add_co_u32_e32 v2, vcc, s8, v1
	s_cmp_lt_i32 s30, 11
	v_addc_co_u32_e32 v3, vcc, v3, v5, vcc
	s_cbranch_scc1 .LBB182_270
; %bb.263:
	s_and_b32 s31, 0xffff, s30
	s_cmp_gt_i32 s31, 25
	s_cbranch_scc0 .LBB182_272
; %bb.264:
	s_cmp_gt_i32 s31, 28
	s_cbranch_scc0 .LBB182_274
; %bb.265:
	;; [unrolled: 3-line block ×4, first 2 shown]
	s_mov_b64 s[26:27], 0
	s_mov_b64 s[0:1], -1
	s_cmp_eq_u32 s31, 46
	s_mov_b64 s[22:23], 0
	s_cbranch_scc0 .LBB182_286
; %bb.268:
	v_cvt_f32_i32_e32 v1, v0
	s_movk_i32 s0, 0x7fff
	s_mov_b64 s[22:23], -1
	v_bfe_u32 v5, v1, 16, 1
	v_add3_u32 v1, v1, v5, s0
	v_lshrrev_b32_e32 v1, 16, v1
	global_store_dword v[2:3], v1, off
	s_mov_b64 s[0:1], 0
	s_branch .LBB182_286
.LBB182_269:
	s_mov_b64 s[22:23], -1
	s_mov_b64 s[0:1], 0
	s_mov_b64 s[20:21], s[16:17]
                                        ; implicit-def: $vgpr2
	s_branch .LBB182_421
.LBB182_270:
	s_mov_b64 s[26:27], -1
	s_mov_b64 s[22:23], 0
	s_mov_b64 s[0:1], s[14:15]
	s_branch .LBB182_355
.LBB182_271:
	s_mov_b64 s[22:23], -1
	s_mov_b64 s[0:1], 0
	s_mov_b64 s[20:21], s[16:17]
                                        ; implicit-def: $vgpr2
	s_branch .LBB182_404
.LBB182_272:
	s_mov_b64 s[26:27], -1
	s_mov_b64 s[22:23], 0
	s_mov_b64 s[0:1], s[14:15]
	s_branch .LBB182_313
.LBB182_273:
	s_mov_b64 s[22:23], -1
	s_mov_b64 s[0:1], 0
	s_mov_b64 s[20:21], s[16:17]
                                        ; implicit-def: $vgpr2
	s_branch .LBB182_399
.LBB182_274:
	s_mov_b64 s[26:27], -1
	s_mov_b64 s[22:23], 0
	s_mov_b64 s[0:1], s[14:15]
	s_branch .LBB182_296
.LBB182_275:
	s_andn2_saveexec_b64 s[24:25], s[24:25]
	s_cbranch_execz .LBB182_55
.LBB182_276:
	s_mov_b32 s28, 0x46000000
	v_add_f32_e64 v5, |v1|, s28
	v_and_b32_e32 v5, 0xff, v5
	v_cmp_ne_u32_e32 vcc, 0, v5
	s_andn2_b64 s[20:21], s[20:21], exec
	s_and_b64 s[28:29], vcc, exec
	s_or_b64 s[20:21], s[20:21], s[28:29]
	s_or_b64 exec, exec, s[24:25]
	v_mov_b32_e32 v6, 0
	s_and_saveexec_b64 s[24:25], s[20:21]
	s_cbranch_execnz .LBB182_56
	s_branch .LBB182_57
.LBB182_277:
	s_mov_b64 s[22:23], -1
	s_mov_b64 s[0:1], 0
	s_mov_b64 s[20:21], s[16:17]
                                        ; implicit-def: $vgpr2
	s_branch .LBB182_282
.LBB182_278:
	s_mov_b64 s[26:27], -1
	s_mov_b64 s[22:23], 0
	s_mov_b64 s[0:1], s[14:15]
	s_branch .LBB182_292
.LBB182_279:
	s_andn2_saveexec_b64 s[24:25], s[24:25]
	s_cbranch_execz .LBB182_68
.LBB182_280:
	s_mov_b32 s28, 0x42800000
	v_add_f32_e64 v5, |v1|, s28
	v_and_b32_e32 v5, 0xff, v5
	v_cmp_ne_u32_e32 vcc, 0, v5
	s_andn2_b64 s[20:21], s[20:21], exec
	s_and_b64 s[28:29], vcc, exec
	s_or_b64 s[20:21], s[20:21], s[28:29]
	s_or_b64 exec, exec, s[24:25]
	v_mov_b32_e32 v6, 0
	s_and_saveexec_b64 s[24:25], s[20:21]
	s_cbranch_execnz .LBB182_69
	s_branch .LBB182_70
.LBB182_281:
	s_mov_b64 s[20:21], -1
                                        ; implicit-def: $vgpr2
	s_mov_b64 s[0:1], 0
.LBB182_282:
	s_and_b64 vcc, exec, s[22:23]
	s_cbranch_vccz .LBB182_398
; %bb.283:
	s_cmp_eq_u32 s26, 44
	s_cbranch_scc0 .LBB182_397
; %bb.284:
	global_load_ubyte v2, v[0:1], off
	s_mov_b64 s[0:1], -1
	s_mov_b64 s[20:21], 0
	s_waitcnt vmcnt(0)
	v_lshlrev_b32_e32 v3, 23, v2
	v_cvt_i32_f32_e32 v3, v3
	v_cmp_ne_u32_e32 vcc, 0, v2
	v_cndmask_b32_e32 v2, 0, v3, vcc
	s_branch .LBB182_398
.LBB182_285:
	s_mov_b64 s[26:27], -1
	s_mov_b64 s[22:23], 0
	s_mov_b64 s[0:1], s[14:15]
.LBB182_286:
	s_and_b64 vcc, exec, s[26:27]
	s_cbranch_vccz .LBB182_291
; %bb.287:
	s_cmp_eq_u32 s31, 44
	s_mov_b64 s[0:1], -1
	s_cbranch_scc0 .LBB182_291
; %bb.288:
	v_cvt_f32_i32_e32 v1, v0
	s_movk_i32 s0, 0xff
	v_mov_b32_e32 v6, 0xff
	v_bfe_u32 v5, v1, 23, 8
	v_cmp_ne_u32_e32 vcc, s0, v5
	s_and_saveexec_b64 s[22:23], vcc
; %bb.289:
	s_mov_b32 s0, 0x3fffff
	v_lshrrev_b32_e32 v6, 23, v1
	v_and_b32_e32 v7, 0x400000, v1
	v_and_or_b32 v1, v1, s0, v5
	v_cmp_ne_u32_e32 vcc, 0, v7
	v_cmp_ne_u32_e64 s[0:1], 0, v1
	s_and_b64 s[0:1], vcc, s[0:1]
	v_cndmask_b32_e64 v1, 0, 1, s[0:1]
	v_add_u32_e32 v6, v6, v1
; %bb.290:
	s_or_b64 exec, exec, s[22:23]
	s_mov_b64 s[22:23], -1
	s_mov_b64 s[0:1], 0
	global_store_byte v[2:3], v6, off
.LBB182_291:
	s_mov_b64 s[26:27], 0
.LBB182_292:
	s_and_b64 vcc, exec, s[26:27]
	s_cbranch_vccz .LBB182_295
; %bb.293:
	s_cmp_eq_u32 s31, 29
	s_mov_b64 s[0:1], -1
	s_cbranch_scc0 .LBB182_295
; %bb.294:
	v_ashrrev_i32_e32 v1, 31, v0
	global_store_dwordx2 v[2:3], v[0:1], off
	s_mov_b64 s[22:23], -1
	s_mov_b64 s[0:1], 0
.LBB182_295:
	s_mov_b64 s[26:27], 0
.LBB182_296:
	s_and_b64 vcc, exec, s[26:27]
	s_cbranch_vccz .LBB182_312
; %bb.297:
	s_cmp_lt_i32 s31, 27
	s_mov_b64 s[22:23], -1
	s_cbranch_scc1 .LBB182_303
; %bb.298:
	s_cmp_gt_i32 s31, 27
	s_cbranch_scc0 .LBB182_300
; %bb.299:
	s_mov_b64 s[22:23], 0
	global_store_dword v[2:3], v0, off
.LBB182_300:
	s_andn2_b64 vcc, exec, s[22:23]
	s_cbranch_vccnz .LBB182_302
; %bb.301:
	global_store_short v[2:3], v0, off
.LBB182_302:
	s_mov_b64 s[22:23], 0
.LBB182_303:
	s_andn2_b64 vcc, exec, s[22:23]
	s_cbranch_vccnz .LBB182_311
; %bb.304:
	v_cvt_f32_i32_e32 v1, v0
	s_mov_b32 s22, 0x43800000
	v_mov_b32_e32 v6, 0x80
	v_and_b32_e32 v5, 0x7fffffff, v1
	v_cmp_gt_u32_e32 vcc, s22, v5
	s_and_saveexec_b64 s[22:23], vcc
	s_cbranch_execz .LBB182_310
; %bb.305:
	s_mov_b32 s26, 0x3bffffff
	v_cmp_lt_u32_e32 vcc, s26, v5
	s_mov_b64 s[26:27], 0
                                        ; implicit-def: $vgpr5
	s_and_saveexec_b64 s[28:29], vcc
	s_xor_b64 s[28:29], exec, s[28:29]
	s_cbranch_execz .LBB182_518
; %bb.306:
	v_bfe_u32 v5, v1, 20, 1
	s_mov_b32 s34, 0x487ffff
	v_add3_u32 v5, v1, v5, s34
	s_mov_b64 s[26:27], exec
	v_lshrrev_b32_e32 v5, 20, v5
	s_andn2_saveexec_b64 s[28:29], s[28:29]
	s_cbranch_execnz .LBB182_519
.LBB182_307:
	s_or_b64 exec, exec, s[28:29]
	v_mov_b32_e32 v6, 0
	s_and_saveexec_b64 s[28:29], s[26:27]
.LBB182_308:
	v_lshrrev_b32_e32 v1, 24, v1
	s_movk_i32 s26, 0x80
	v_and_or_b32 v6, v1, s26, v5
.LBB182_309:
	s_or_b64 exec, exec, s[28:29]
.LBB182_310:
	s_or_b64 exec, exec, s[22:23]
	global_store_byte v[2:3], v6, off
.LBB182_311:
	s_mov_b64 s[22:23], -1
.LBB182_312:
	s_mov_b64 s[26:27], 0
.LBB182_313:
	s_and_b64 vcc, exec, s[26:27]
	s_cbranch_vccz .LBB182_354
; %bb.314:
	s_cmp_gt_i32 s31, 22
	s_mov_b64 s[26:27], -1
	s_cbranch_scc0 .LBB182_346
; %bb.315:
	s_cmp_lt_i32 s31, 24
	s_mov_b64 s[22:23], -1
	s_cbranch_scc1 .LBB182_335
; %bb.316:
	s_cmp_gt_i32 s31, 24
	s_cbranch_scc0 .LBB182_324
; %bb.317:
	v_cvt_f32_i32_e32 v1, v0
	s_mov_b32 s22, 0x47800000
	v_mov_b32_e32 v6, 0x80
	v_and_b32_e32 v5, 0x7fffffff, v1
	v_cmp_gt_u32_e32 vcc, s22, v5
	s_and_saveexec_b64 s[22:23], vcc
	s_cbranch_execz .LBB182_323
; %bb.318:
	s_mov_b32 s26, 0x37ffffff
	v_cmp_lt_u32_e32 vcc, s26, v5
	s_mov_b64 s[26:27], 0
                                        ; implicit-def: $vgpr5
	s_and_saveexec_b64 s[28:29], vcc
	s_xor_b64 s[28:29], exec, s[28:29]
	s_cbranch_execz .LBB182_521
; %bb.319:
	v_bfe_u32 v5, v1, 21, 1
	s_mov_b32 s34, 0x88fffff
	v_add3_u32 v5, v1, v5, s34
	s_mov_b64 s[26:27], exec
	v_lshrrev_b32_e32 v5, 21, v5
	s_andn2_saveexec_b64 s[28:29], s[28:29]
	s_cbranch_execnz .LBB182_522
.LBB182_320:
	s_or_b64 exec, exec, s[28:29]
	v_mov_b32_e32 v6, 0
	s_and_saveexec_b64 s[28:29], s[26:27]
.LBB182_321:
	v_lshrrev_b32_e32 v1, 24, v1
	s_movk_i32 s26, 0x80
	v_and_or_b32 v6, v1, s26, v5
.LBB182_322:
	s_or_b64 exec, exec, s[28:29]
.LBB182_323:
	s_or_b64 exec, exec, s[22:23]
	s_mov_b64 s[22:23], 0
	global_store_byte v[2:3], v6, off
.LBB182_324:
	s_and_b64 vcc, exec, s[22:23]
	s_cbranch_vccz .LBB182_334
; %bb.325:
	v_cvt_f32_i32_e32 v1, v0
	s_mov_b32 s22, 0x43f00000
                                        ; implicit-def: $vgpr5
	v_and_b32_e32 v6, 0x7fffffff, v1
	v_cmp_gt_u32_e32 vcc, s22, v6
	s_and_saveexec_b64 s[22:23], vcc
	s_xor_b64 s[22:23], exec, s[22:23]
	s_cbranch_execz .LBB182_331
; %bb.326:
	s_mov_b32 s26, 0x3c7fffff
	v_cmp_lt_u32_e32 vcc, s26, v6
                                        ; implicit-def: $vgpr5
	s_and_saveexec_b64 s[26:27], vcc
	s_xor_b64 s[26:27], exec, s[26:27]
; %bb.327:
	v_bfe_u32 v5, v1, 20, 1
	s_mov_b32 s28, 0x407ffff
	v_add3_u32 v5, v1, v5, s28
	v_lshrrev_b32_e32 v6, 20, v5
	v_and_b32_e32 v5, 0xff00000, v5
	s_mov_b32 s28, 0x7f00000
	v_mov_b32_e32 v7, 0x7e
	v_cmp_ne_u32_e32 vcc, s28, v5
	v_cndmask_b32_e32 v5, v7, v6, vcc
; %bb.328:
	s_andn2_saveexec_b64 s[26:27], s[26:27]
; %bb.329:
	s_mov_b32 s28, 0x46800000
	v_add_f32_e64 v5, |v1|, s28
; %bb.330:
	s_or_b64 exec, exec, s[26:27]
                                        ; implicit-def: $vgpr6
.LBB182_331:
	s_andn2_saveexec_b64 s[22:23], s[22:23]
; %bb.332:
	s_mov_b32 s26, 0x7f800000
	v_mov_b32_e32 v5, 0x7e
	v_mov_b32_e32 v7, 0x7f
	v_cmp_lt_u32_e32 vcc, s26, v6
	v_cndmask_b32_e32 v5, v5, v7, vcc
; %bb.333:
	s_or_b64 exec, exec, s[22:23]
	v_lshrrev_b32_e32 v1, 24, v1
	s_movk_i32 s22, 0x80
	v_and_or_b32 v1, v1, s22, v5
	global_store_byte v[2:3], v1, off
.LBB182_334:
	s_mov_b64 s[22:23], 0
.LBB182_335:
	s_andn2_b64 vcc, exec, s[22:23]
	s_cbranch_vccnz .LBB182_345
; %bb.336:
	v_cvt_f32_i32_e32 v1, v0
	s_mov_b32 s22, 0x47800000
                                        ; implicit-def: $vgpr5
	v_and_b32_e32 v6, 0x7fffffff, v1
	v_cmp_gt_u32_e32 vcc, s22, v6
	s_and_saveexec_b64 s[22:23], vcc
	s_xor_b64 s[22:23], exec, s[22:23]
	s_cbranch_execz .LBB182_342
; %bb.337:
	s_mov_b32 s26, 0x387fffff
	v_cmp_lt_u32_e32 vcc, s26, v6
                                        ; implicit-def: $vgpr5
	s_and_saveexec_b64 s[26:27], vcc
	s_xor_b64 s[26:27], exec, s[26:27]
; %bb.338:
	v_bfe_u32 v5, v1, 21, 1
	s_mov_b32 s28, 0x80fffff
	v_add3_u32 v5, v1, v5, s28
	v_lshrrev_b32_e32 v5, 21, v5
; %bb.339:
	s_andn2_saveexec_b64 s[26:27], s[26:27]
; %bb.340:
	s_mov_b32 s28, 0x43000000
	v_add_f32_e64 v5, |v1|, s28
; %bb.341:
	s_or_b64 exec, exec, s[26:27]
                                        ; implicit-def: $vgpr6
.LBB182_342:
	s_andn2_saveexec_b64 s[22:23], s[22:23]
; %bb.343:
	s_mov_b32 s26, 0x7f800000
	v_mov_b32_e32 v5, 0x7c
	v_mov_b32_e32 v7, 0x7f
	v_cmp_lt_u32_e32 vcc, s26, v6
	v_cndmask_b32_e32 v5, v5, v7, vcc
; %bb.344:
	s_or_b64 exec, exec, s[22:23]
	v_lshrrev_b32_e32 v1, 24, v1
	s_movk_i32 s22, 0x80
	v_and_or_b32 v1, v1, s22, v5
	global_store_byte v[2:3], v1, off
.LBB182_345:
	s_mov_b64 s[26:27], 0
	s_mov_b64 s[22:23], -1
.LBB182_346:
	s_andn2_b64 vcc, exec, s[26:27]
	s_cbranch_vccnz .LBB182_354
; %bb.347:
	s_cmp_gt_i32 s31, 14
	s_mov_b64 s[26:27], -1
	s_cbranch_scc0 .LBB182_351
; %bb.348:
	s_cmp_eq_u32 s31, 15
	s_mov_b64 s[0:1], -1
	s_cbranch_scc0 .LBB182_350
; %bb.349:
	v_cvt_f32_i32_e32 v1, v0
	s_movk_i32 s0, 0x7fff
	s_mov_b64 s[22:23], -1
	v_bfe_u32 v5, v1, 16, 1
	v_add3_u32 v1, v1, v5, s0
	global_store_short_d16_hi v[2:3], v1, off
	s_mov_b64 s[0:1], 0
.LBB182_350:
	s_mov_b64 s[26:27], 0
.LBB182_351:
	s_and_b64 vcc, exec, s[26:27]
	s_cbranch_vccz .LBB182_354
; %bb.352:
	s_cmp_eq_u32 s31, 11
	s_mov_b64 s[0:1], -1
	s_cbranch_scc0 .LBB182_354
; %bb.353:
	v_cmp_ne_u32_e32 vcc, 0, v0
	v_cndmask_b32_e64 v1, 0, 1, vcc
	s_mov_b64 s[22:23], -1
	s_mov_b64 s[0:1], 0
	global_store_byte v[2:3], v1, off
.LBB182_354:
	s_mov_b64 s[26:27], 0
.LBB182_355:
	s_and_b64 vcc, exec, s[26:27]
	s_cbranch_vccz .LBB182_394
; %bb.356:
	s_and_b32 s26, 0xffff, s30
	s_cmp_lt_i32 s26, 5
	s_mov_b64 s[22:23], -1
	s_cbranch_scc1 .LBB182_377
; %bb.357:
	s_cmp_lt_i32 s26, 8
	s_cbranch_scc1 .LBB182_367
; %bb.358:
	s_cmp_lt_i32 s26, 9
	s_cbranch_scc1 .LBB182_364
; %bb.359:
	s_cmp_gt_i32 s26, 9
	s_cbranch_scc0 .LBB182_361
; %bb.360:
	v_cvt_f64_i32_e32 v[5:6], v0
	v_mov_b32_e32 v7, 0
	v_mov_b32_e32 v8, v7
	s_mov_b64 s[22:23], 0
	global_store_dwordx4 v[2:3], v[5:8], off
.LBB182_361:
	s_andn2_b64 vcc, exec, s[22:23]
	s_cbranch_vccnz .LBB182_363
; %bb.362:
	v_cvt_f32_i32_e32 v5, v0
	v_mov_b32_e32 v6, 0
	global_store_dwordx2 v[2:3], v[5:6], off
.LBB182_363:
	s_mov_b64 s[22:23], 0
.LBB182_364:
	s_andn2_b64 vcc, exec, s[22:23]
	s_cbranch_vccnz .LBB182_366
; %bb.365:
	v_cvt_f32_i32_e32 v1, v0
	v_cvt_f16_f32_e32 v1, v1
	global_store_dword v[2:3], v1, off
.LBB182_366:
	s_mov_b64 s[22:23], 0
.LBB182_367:
	s_andn2_b64 vcc, exec, s[22:23]
	s_cbranch_vccnz .LBB182_376
; %bb.368:
	s_cmp_lt_i32 s26, 6
	s_mov_b64 s[22:23], -1
	s_cbranch_scc1 .LBB182_374
; %bb.369:
	s_cmp_gt_i32 s26, 6
	s_cbranch_scc0 .LBB182_371
; %bb.370:
	v_cvt_f64_i32_e32 v[5:6], v0
	s_mov_b64 s[22:23], 0
	global_store_dwordx2 v[2:3], v[5:6], off
.LBB182_371:
	s_andn2_b64 vcc, exec, s[22:23]
	s_cbranch_vccnz .LBB182_373
; %bb.372:
	v_cvt_f32_i32_e32 v1, v0
	global_store_dword v[2:3], v1, off
.LBB182_373:
	s_mov_b64 s[22:23], 0
.LBB182_374:
	s_andn2_b64 vcc, exec, s[22:23]
	s_cbranch_vccnz .LBB182_376
; %bb.375:
	v_cvt_f32_i32_e32 v1, v0
	v_cvt_f16_f32_e32 v1, v1
	global_store_short v[2:3], v1, off
.LBB182_376:
	s_mov_b64 s[22:23], 0
.LBB182_377:
	s_andn2_b64 vcc, exec, s[22:23]
	s_cbranch_vccnz .LBB182_393
; %bb.378:
	s_cmp_lt_i32 s26, 2
	s_mov_b64 s[22:23], -1
	s_cbranch_scc1 .LBB182_388
; %bb.379:
	s_cmp_lt_i32 s26, 3
	s_cbranch_scc1 .LBB182_385
; %bb.380:
	s_cmp_gt_i32 s26, 3
	s_cbranch_scc0 .LBB182_382
; %bb.381:
	v_ashrrev_i32_e32 v1, 31, v0
	s_mov_b64 s[22:23], 0
	global_store_dwordx2 v[2:3], v[0:1], off
.LBB182_382:
	s_andn2_b64 vcc, exec, s[22:23]
	s_cbranch_vccnz .LBB182_384
; %bb.383:
	global_store_dword v[2:3], v0, off
.LBB182_384:
	s_mov_b64 s[22:23], 0
.LBB182_385:
	s_andn2_b64 vcc, exec, s[22:23]
	s_cbranch_vccnz .LBB182_387
; %bb.386:
	global_store_short v[2:3], v0, off
.LBB182_387:
	s_mov_b64 s[22:23], 0
.LBB182_388:
	s_andn2_b64 vcc, exec, s[22:23]
	s_cbranch_vccnz .LBB182_393
; %bb.389:
	s_cmp_gt_i32 s26, 0
	s_mov_b64 s[22:23], -1
	s_cbranch_scc0 .LBB182_391
; %bb.390:
	s_mov_b64 s[22:23], 0
	global_store_byte v[2:3], v0, off
.LBB182_391:
	s_andn2_b64 vcc, exec, s[22:23]
	s_cbranch_vccnz .LBB182_393
; %bb.392:
	global_store_byte v[2:3], v0, off
.LBB182_393:
	s_mov_b64 s[22:23], -1
.LBB182_394:
	s_andn2_b64 vcc, exec, s[22:23]
	s_cbranch_vccnz .LBB182_396
; %bb.395:
	v_add_u32_e32 v4, 0x80, v4
	s_mov_b64 s[26:27], -1
	s_branch .LBB182_504
.LBB182_396:
	s_mov_b64 s[26:27], 0
                                        ; implicit-def: $vgpr4
	s_branch .LBB182_504
.LBB182_397:
	s_mov_b64 s[20:21], -1
                                        ; implicit-def: $vgpr2
.LBB182_398:
	s_mov_b64 s[22:23], 0
.LBB182_399:
	s_and_b64 vcc, exec, s[22:23]
	s_cbranch_vccz .LBB182_403
; %bb.400:
	s_cmp_eq_u32 s26, 29
	s_cbranch_scc0 .LBB182_402
; %bb.401:
	global_load_dword v2, v[0:1], off
	s_mov_b64 s[0:1], -1
	s_mov_b64 s[20:21], 0
	s_branch .LBB182_403
.LBB182_402:
	s_mov_b64 s[20:21], -1
                                        ; implicit-def: $vgpr2
.LBB182_403:
	s_mov_b64 s[22:23], 0
.LBB182_404:
	s_and_b64 vcc, exec, s[22:23]
	s_cbranch_vccz .LBB182_420
; %bb.405:
	s_cmp_lt_i32 s26, 27
	s_cbranch_scc1 .LBB182_408
; %bb.406:
	s_cmp_gt_i32 s26, 27
	s_cbranch_scc0 .LBB182_409
; %bb.407:
	global_load_dword v2, v[0:1], off
	s_mov_b64 s[0:1], 0
	s_branch .LBB182_410
.LBB182_408:
	s_mov_b64 s[0:1], -1
                                        ; implicit-def: $vgpr2
	s_branch .LBB182_413
.LBB182_409:
	s_mov_b64 s[0:1], -1
                                        ; implicit-def: $vgpr2
.LBB182_410:
	s_andn2_b64 vcc, exec, s[0:1]
	s_cbranch_vccnz .LBB182_412
; %bb.411:
	global_load_ushort v2, v[0:1], off
.LBB182_412:
	s_mov_b64 s[0:1], 0
.LBB182_413:
	s_andn2_b64 vcc, exec, s[0:1]
	s_cbranch_vccnz .LBB182_419
; %bb.414:
	global_load_ubyte v3, v[0:1], off
	s_movk_i32 s0, 0x7f
	s_mov_b64 s[22:23], 0
	s_waitcnt vmcnt(0)
	v_cmp_lt_i16_e32 vcc, s0, v3
	s_and_saveexec_b64 s[0:1], vcc
	s_xor_b64 s[0:1], exec, s[0:1]
	s_cbranch_execz .LBB182_431
; %bb.415:
	s_movk_i32 s22, 0x80
	v_cmp_ne_u16_e32 vcc, s22, v3
	s_and_b64 s[22:23], vcc, exec
	s_andn2_saveexec_b64 s[0:1], s[0:1]
	s_cbranch_execnz .LBB182_432
.LBB182_416:
	s_or_b64 exec, exec, s[0:1]
	v_mov_b32_e32 v2, 0
	s_and_saveexec_b64 s[0:1], s[22:23]
	s_cbranch_execz .LBB182_418
.LBB182_417:
	v_lshlrev_b32_e32 v2, 24, v3
	v_and_b32_e32 v3, 0xffff, v3
	v_and_b32_e32 v5, 7, v3
	v_ffbh_u32_e32 v7, v5
	v_min_u32_e32 v7, 32, v7
	v_subrev_u32_e32 v8, 28, v7
	v_bfe_u32 v6, v3, 3, 4
	v_lshlrev_b32_e32 v3, v8, v3
	v_sub_u32_e32 v7, 29, v7
	v_and_b32_e32 v3, 7, v3
	v_cmp_eq_u32_e32 vcc, 0, v6
	v_cndmask_b32_e32 v6, v6, v7, vcc
	v_cndmask_b32_e32 v3, v5, v3, vcc
	v_mov_b32_e32 v5, 0x3b800000
	v_lshlrev_b32_e32 v3, 20, v3
	v_and_b32_e32 v2, 0x80000000, v2
	v_lshl_add_u32 v5, v6, 23, v5
	v_or3_b32 v2, v2, v5, v3
	v_cvt_i32_f32_e32 v2, v2
.LBB182_418:
	s_or_b64 exec, exec, s[0:1]
.LBB182_419:
	s_mov_b64 s[0:1], -1
.LBB182_420:
	s_mov_b64 s[22:23], 0
.LBB182_421:
	s_and_b64 vcc, exec, s[22:23]
	s_cbranch_vccz .LBB182_454
; %bb.422:
	s_cmp_gt_i32 s26, 22
	s_cbranch_scc0 .LBB182_430
; %bb.423:
	s_cmp_lt_i32 s26, 24
	s_cbranch_scc1 .LBB182_433
; %bb.424:
	s_cmp_gt_i32 s26, 24
	s_cbranch_scc0 .LBB182_434
; %bb.425:
	global_load_ubyte v3, v[0:1], off
	s_movk_i32 s0, 0x7f
	s_mov_b64 s[22:23], 0
	s_waitcnt vmcnt(0)
	v_cmp_lt_i16_e32 vcc, s0, v3
	s_and_saveexec_b64 s[0:1], vcc
	s_xor_b64 s[0:1], exec, s[0:1]
	s_cbranch_execz .LBB182_446
; %bb.426:
	s_movk_i32 s22, 0x80
	v_cmp_ne_u16_e32 vcc, s22, v3
	s_and_b64 s[22:23], vcc, exec
	s_andn2_saveexec_b64 s[0:1], s[0:1]
	s_cbranch_execnz .LBB182_447
.LBB182_427:
	s_or_b64 exec, exec, s[0:1]
	v_mov_b32_e32 v2, 0
	s_and_saveexec_b64 s[0:1], s[22:23]
	s_cbranch_execz .LBB182_429
.LBB182_428:
	v_lshlrev_b32_e32 v2, 24, v3
	v_and_b32_e32 v3, 0xffff, v3
	v_and_b32_e32 v5, 3, v3
	v_ffbh_u32_e32 v7, v5
	v_min_u32_e32 v7, 32, v7
	v_subrev_u32_e32 v8, 29, v7
	v_bfe_u32 v6, v3, 2, 5
	v_lshlrev_b32_e32 v3, v8, v3
	v_sub_u32_e32 v7, 30, v7
	v_and_b32_e32 v3, 3, v3
	v_cmp_eq_u32_e32 vcc, 0, v6
	v_cndmask_b32_e32 v6, v6, v7, vcc
	v_cndmask_b32_e32 v3, v5, v3, vcc
	v_mov_b32_e32 v5, 0x37800000
	v_lshlrev_b32_e32 v3, 21, v3
	v_and_b32_e32 v2, 0x80000000, v2
	v_lshl_add_u32 v5, v6, 23, v5
	v_or3_b32 v2, v2, v5, v3
	v_cvt_i32_f32_e32 v2, v2
.LBB182_429:
	s_or_b64 exec, exec, s[0:1]
	s_mov_b64 s[0:1], 0
	s_branch .LBB182_435
.LBB182_430:
	s_mov_b64 s[22:23], -1
                                        ; implicit-def: $vgpr2
	s_branch .LBB182_441
.LBB182_431:
	s_andn2_saveexec_b64 s[0:1], s[0:1]
	s_cbranch_execz .LBB182_416
.LBB182_432:
	v_cmp_ne_u16_e32 vcc, 0, v3
	s_andn2_b64 s[22:23], s[22:23], exec
	s_and_b64 s[28:29], vcc, exec
	s_or_b64 s[22:23], s[22:23], s[28:29]
	s_or_b64 exec, exec, s[0:1]
	v_mov_b32_e32 v2, 0
	s_and_saveexec_b64 s[0:1], s[22:23]
	s_cbranch_execnz .LBB182_417
	s_branch .LBB182_418
.LBB182_433:
	s_mov_b64 s[0:1], -1
                                        ; implicit-def: $vgpr2
	s_branch .LBB182_438
.LBB182_434:
	s_mov_b64 s[0:1], -1
                                        ; implicit-def: $vgpr2
.LBB182_435:
	s_and_b64 vcc, exec, s[0:1]
	s_cbranch_vccz .LBB182_437
; %bb.436:
	global_load_ubyte v2, v[0:1], off
	s_mov_b32 s0, 0x7f800000
	s_waitcnt vmcnt(0)
	v_lshlrev_b32_e32 v2, 24, v2
	v_and_b32_e32 v3, 0x7f000000, v2
	v_ffbh_u32_e32 v5, v3
	v_min_u32_e32 v5, 32, v5
	v_sub_u32_e64 v5, v5, 4 clamp
	v_lshlrev_b32_e32 v7, v5, v3
	v_lshlrev_b32_e32 v5, 23, v5
	v_lshrrev_b32_e32 v7, 4, v7
	v_add_u32_e32 v6, 0x1000000, v3
	v_sub_u32_e32 v5, v7, v5
	v_ashrrev_i32_e32 v6, 8, v6
	v_add_u32_e32 v5, 0x3c000000, v5
	v_and_or_b32 v5, v6, s0, v5
	v_cmp_ne_u32_e32 vcc, 0, v3
	v_cndmask_b32_e32 v3, 0, v5, vcc
	s_brev_b32 s0, 1
	v_and_or_b32 v2, v2, s0, v3
	v_cvt_i32_f32_e32 v2, v2
.LBB182_437:
	s_mov_b64 s[0:1], 0
.LBB182_438:
	s_andn2_b64 vcc, exec, s[0:1]
	s_cbranch_vccnz .LBB182_440
; %bb.439:
	global_load_ubyte v2, v[0:1], off
	s_movk_i32 s0, 0x7f00
	s_brev_b32 s1, 16
	s_waitcnt vmcnt(0)
	v_lshlrev_b16_e32 v3, 8, v2
	v_lshlrev_b32_e32 v2, 25, v2
	v_lshrrev_b32_e32 v5, 4, v2
	v_and_or_b32 v6, v3, s0, 0.5
	v_or_b32_e32 v5, 0x70000000, v5
	v_add_f32_e32 v6, -0.5, v6
	v_mul_f32_e32 v5, 0x7800000, v5
	v_cmp_gt_u32_e32 vcc, s1, v2
	v_bfe_i32 v3, v3, 0, 16
	v_cndmask_b32_e32 v2, v5, v6, vcc
	s_brev_b32 s0, 1
	v_and_or_b32 v2, v3, s0, v2
	v_cvt_i32_f32_e32 v2, v2
.LBB182_440:
	s_mov_b64 s[22:23], 0
	s_mov_b64 s[0:1], -1
.LBB182_441:
	s_andn2_b64 vcc, exec, s[22:23]
	s_cbranch_vccnz .LBB182_454
; %bb.442:
	s_cmp_gt_i32 s26, 14
	s_cbranch_scc0 .LBB182_445
; %bb.443:
	s_cmp_eq_u32 s26, 15
	s_cbranch_scc0 .LBB182_448
; %bb.444:
	global_load_ushort v2, v[0:1], off
	s_mov_b64 s[0:1], -1
	s_mov_b64 s[20:21], 0
	s_waitcnt vmcnt(0)
	v_lshlrev_b32_e32 v2, 16, v2
	v_cvt_i32_f32_e32 v2, v2
	s_branch .LBB182_449
.LBB182_445:
	s_mov_b64 s[22:23], -1
                                        ; implicit-def: $vgpr2
	s_branch .LBB182_450
.LBB182_446:
	s_andn2_saveexec_b64 s[0:1], s[0:1]
	s_cbranch_execz .LBB182_427
.LBB182_447:
	v_cmp_ne_u16_e32 vcc, 0, v3
	s_andn2_b64 s[22:23], s[22:23], exec
	s_and_b64 s[28:29], vcc, exec
	s_or_b64 s[22:23], s[22:23], s[28:29]
	s_or_b64 exec, exec, s[0:1]
	v_mov_b32_e32 v2, 0
	s_and_saveexec_b64 s[0:1], s[22:23]
	s_cbranch_execnz .LBB182_428
	s_branch .LBB182_429
.LBB182_448:
	s_mov_b64 s[20:21], -1
                                        ; implicit-def: $vgpr2
.LBB182_449:
	s_mov_b64 s[22:23], 0
.LBB182_450:
	s_and_b64 vcc, exec, s[22:23]
	s_cbranch_vccz .LBB182_454
; %bb.451:
	s_cmp_eq_u32 s26, 11
	s_cbranch_scc0 .LBB182_453
; %bb.452:
	global_load_ubyte v2, v[0:1], off
	s_mov_b64 s[0:1], -1
	s_mov_b64 s[20:21], 0
	s_waitcnt vmcnt(0)
	v_cmp_ne_u16_e32 vcc, 0, v2
	v_cndmask_b32_e64 v2, 0, 1, vcc
	s_branch .LBB182_454
.LBB182_453:
	s_mov_b64 s[20:21], -1
                                        ; implicit-def: $vgpr2
.LBB182_454:
	s_branch .LBB182_261
.LBB182_455:
	s_cmp_lt_i32 s26, 5
	s_cbranch_scc1 .LBB182_460
; %bb.456:
	s_cmp_lt_i32 s26, 8
	s_cbranch_scc1 .LBB182_461
; %bb.457:
	;; [unrolled: 3-line block ×3, first 2 shown]
	s_cmp_gt_i32 s26, 9
	s_cbranch_scc0 .LBB182_463
; %bb.459:
	global_load_dwordx2 v[2:3], v[0:1], off
	s_mov_b64 s[0:1], 0
	s_waitcnt vmcnt(0)
	v_cvt_i32_f64_e32 v2, v[2:3]
	s_branch .LBB182_464
.LBB182_460:
	s_mov_b64 s[0:1], -1
                                        ; implicit-def: $vgpr2
	s_branch .LBB182_482
.LBB182_461:
	s_mov_b64 s[0:1], -1
                                        ; implicit-def: $vgpr2
	s_branch .LBB182_470
.LBB182_462:
	s_mov_b64 s[0:1], -1
                                        ; implicit-def: $vgpr2
	s_branch .LBB182_467
.LBB182_463:
	s_mov_b64 s[0:1], -1
                                        ; implicit-def: $vgpr2
.LBB182_464:
	s_andn2_b64 vcc, exec, s[0:1]
	s_cbranch_vccnz .LBB182_466
; %bb.465:
	global_load_dword v2, v[0:1], off
	s_waitcnt vmcnt(0)
	v_cvt_i32_f32_e32 v2, v2
.LBB182_466:
	s_mov_b64 s[0:1], 0
.LBB182_467:
	s_andn2_b64 vcc, exec, s[0:1]
	s_cbranch_vccnz .LBB182_469
; %bb.468:
	global_load_dword v2, v[0:1], off
	s_waitcnt vmcnt(0)
	v_cvt_f32_f16_e32 v2, v2
	v_cvt_i32_f32_e32 v2, v2
.LBB182_469:
	s_mov_b64 s[0:1], 0
.LBB182_470:
	s_andn2_b64 vcc, exec, s[0:1]
	s_cbranch_vccnz .LBB182_481
; %bb.471:
	s_cmp_lt_i32 s26, 6
	s_cbranch_scc1 .LBB182_474
; %bb.472:
	s_cmp_gt_i32 s26, 6
	s_cbranch_scc0 .LBB182_475
; %bb.473:
	global_load_dwordx2 v[2:3], v[0:1], off
	s_mov_b64 s[0:1], 0
	s_waitcnt vmcnt(0)
	v_cvt_i32_f64_e32 v2, v[2:3]
	s_branch .LBB182_476
.LBB182_474:
	s_mov_b64 s[0:1], -1
                                        ; implicit-def: $vgpr2
	s_branch .LBB182_479
.LBB182_475:
	s_mov_b64 s[0:1], -1
                                        ; implicit-def: $vgpr2
.LBB182_476:
	s_andn2_b64 vcc, exec, s[0:1]
	s_cbranch_vccnz .LBB182_478
; %bb.477:
	global_load_dword v2, v[0:1], off
	s_waitcnt vmcnt(0)
	v_cvt_i32_f32_e32 v2, v2
.LBB182_478:
	s_mov_b64 s[0:1], 0
.LBB182_479:
	s_andn2_b64 vcc, exec, s[0:1]
	s_cbranch_vccnz .LBB182_481
; %bb.480:
	global_load_ushort v2, v[0:1], off
	s_waitcnt vmcnt(0)
	v_cvt_f32_f16_e32 v2, v2
	v_cvt_i32_f32_e32 v2, v2
.LBB182_481:
	s_mov_b64 s[0:1], 0
.LBB182_482:
	s_andn2_b64 vcc, exec, s[0:1]
	s_cbranch_vccnz .LBB182_502
; %bb.483:
	s_cmp_lt_i32 s26, 2
	s_cbranch_scc1 .LBB182_487
; %bb.484:
	s_cmp_lt_i32 s26, 3
	s_cbranch_scc1 .LBB182_488
; %bb.485:
	s_cmp_gt_i32 s26, 3
	s_cbranch_scc0 .LBB182_489
; %bb.486:
	global_load_dword v2, v[0:1], off
	s_mov_b64 s[0:1], 0
	s_branch .LBB182_490
.LBB182_487:
	s_mov_b64 s[0:1], -1
                                        ; implicit-def: $vgpr2
	s_branch .LBB182_496
.LBB182_488:
	s_mov_b64 s[0:1], -1
                                        ; implicit-def: $vgpr2
	s_branch .LBB182_493
.LBB182_489:
	s_mov_b64 s[0:1], -1
                                        ; implicit-def: $vgpr2
.LBB182_490:
	s_andn2_b64 vcc, exec, s[0:1]
	s_cbranch_vccnz .LBB182_492
; %bb.491:
	global_load_dword v2, v[0:1], off
.LBB182_492:
	s_mov_b64 s[0:1], 0
.LBB182_493:
	s_andn2_b64 vcc, exec, s[0:1]
	s_cbranch_vccnz .LBB182_495
; %bb.494:
	global_load_sshort v2, v[0:1], off
.LBB182_495:
	s_mov_b64 s[0:1], 0
.LBB182_496:
	s_andn2_b64 vcc, exec, s[0:1]
	s_cbranch_vccnz .LBB182_502
; %bb.497:
	s_cmp_gt_i32 s26, 0
	s_cbranch_scc0 .LBB182_499
; %bb.498:
	global_load_sbyte v2, v[0:1], off
	s_mov_b64 s[0:1], 0
	s_branch .LBB182_500
.LBB182_499:
	s_mov_b64 s[0:1], -1
                                        ; implicit-def: $vgpr2
.LBB182_500:
	s_andn2_b64 vcc, exec, s[0:1]
	s_cbranch_vccnz .LBB182_502
; %bb.501:
	global_load_ubyte v2, v[0:1], off
.LBB182_502:
	s_branch .LBB182_262
.LBB182_503:
	s_mov_b64 s[26:27], 0
                                        ; implicit-def: $vgpr4
	s_mov_b64 s[0:1], s[14:15]
.LBB182_504:
	s_andn2_b64 s[22:23], s[14:15], exec
	s_and_b64 s[0:1], s[0:1], exec
	s_or_b64 s[22:23], s[22:23], s[0:1]
	s_andn2_b64 s[0:1], s[16:17], exec
	s_and_b64 s[20:21], s[20:21], exec
	s_or_b64 s[20:21], s[0:1], s[20:21]
	s_orn2_b64 s[0:1], s[26:27], exec
.LBB182_505:
	s_or_b64 exec, exec, s[24:25]
	s_mov_b64 s[26:27], 0
	s_mov_b64 s[28:29], 0
	;; [unrolled: 1-line block ×3, first 2 shown]
                                        ; implicit-def: $vgpr0_vgpr1
                                        ; implicit-def: $vgpr5
	s_and_saveexec_b64 s[24:25], s[0:1]
	s_cbranch_execz .LBB182_842
; %bb.506:
	v_cmp_gt_i32_e32 vcc, s40, v4
	s_mov_b64 s[36:37], -1
	s_mov_b64 s[0:1], s[20:21]
	s_mov_b64 s[30:31], s[22:23]
	s_and_saveexec_b64 s[26:27], vcc
	s_cbranch_execz .LBB182_760
; %bb.507:
	v_mul_lo_u32 v0, v4, s3
	v_mov_b32_e32 v1, s11
	s_and_b32 s34, 0xffff, s33
	s_cmp_lt_i32 s34, 11
	s_waitcnt vmcnt(0)
	v_ashrrev_i32_e32 v2, 31, v0
	v_add_co_u32_e32 v0, vcc, s10, v0
	v_addc_co_u32_e32 v1, vcc, v1, v2, vcc
	s_cbranch_scc1 .LBB182_514
; %bb.508:
	s_cmp_gt_i32 s34, 25
	s_cbranch_scc0 .LBB182_515
; %bb.509:
	s_cmp_gt_i32 s34, 28
	s_cbranch_scc0 .LBB182_516
	;; [unrolled: 3-line block ×4, first 2 shown]
; %bb.512:
	s_cmp_eq_u32 s34, 46
	s_mov_b64 s[30:31], 0
	s_cbranch_scc0 .LBB182_523
; %bb.513:
	global_load_dword v2, v[0:1], off
	s_mov_b64 s[0:1], -1
	s_waitcnt vmcnt(0)
	v_lshlrev_b32_e32 v2, 16, v2
	v_cvt_i32_f32_e32 v2, v2
	s_branch .LBB182_524
.LBB182_514:
	s_mov_b64 s[30:31], -1
	s_mov_b64 s[0:1], 0
                                        ; implicit-def: $vgpr2
	s_mov_b64 s[28:29], s[20:21]
	s_branch .LBB182_585
.LBB182_515:
	s_mov_b64 s[30:31], -1
	s_mov_b64 s[0:1], 0
	s_mov_b64 s[28:29], s[20:21]
                                        ; implicit-def: $vgpr2
	s_branch .LBB182_551
.LBB182_516:
	s_mov_b64 s[30:31], -1
	s_mov_b64 s[0:1], 0
	s_mov_b64 s[28:29], s[20:21]
                                        ; implicit-def: $vgpr2
	s_branch .LBB182_534
.LBB182_517:
	s_mov_b64 s[30:31], -1
	s_mov_b64 s[0:1], 0
	s_mov_b64 s[28:29], s[20:21]
                                        ; implicit-def: $vgpr2
	s_branch .LBB182_529
.LBB182_518:
	s_andn2_saveexec_b64 s[28:29], s[28:29]
	s_cbranch_execz .LBB182_307
.LBB182_519:
	s_mov_b32 s34, 0x46000000
	v_add_f32_e64 v5, |v1|, s34
	v_and_b32_e32 v5, 0xff, v5
	v_cmp_ne_u32_e32 vcc, 0, v5
	s_andn2_b64 s[26:27], s[26:27], exec
	s_and_b64 s[34:35], vcc, exec
	s_or_b64 s[26:27], s[26:27], s[34:35]
	s_or_b64 exec, exec, s[28:29]
	v_mov_b32_e32 v6, 0
	s_and_saveexec_b64 s[28:29], s[26:27]
	s_cbranch_execnz .LBB182_308
	s_branch .LBB182_309
.LBB182_520:
	s_mov_b64 s[30:31], -1
	s_mov_b64 s[0:1], 0
	s_mov_b64 s[28:29], s[20:21]
                                        ; implicit-def: $vgpr2
	s_branch .LBB182_524
.LBB182_521:
	s_andn2_saveexec_b64 s[28:29], s[28:29]
	s_cbranch_execz .LBB182_320
.LBB182_522:
	s_mov_b32 s34, 0x42800000
	v_add_f32_e64 v5, |v1|, s34
	v_and_b32_e32 v5, 0xff, v5
	v_cmp_ne_u32_e32 vcc, 0, v5
	s_andn2_b64 s[26:27], s[26:27], exec
	s_and_b64 s[34:35], vcc, exec
	s_or_b64 s[26:27], s[26:27], s[34:35]
	s_or_b64 exec, exec, s[28:29]
	v_mov_b32_e32 v6, 0
	s_and_saveexec_b64 s[28:29], s[26:27]
	s_cbranch_execnz .LBB182_321
	s_branch .LBB182_322
.LBB182_523:
	s_mov_b64 s[28:29], -1
                                        ; implicit-def: $vgpr2
	s_mov_b64 s[0:1], 0
.LBB182_524:
	s_and_b64 vcc, exec, s[30:31]
	s_cbranch_vccz .LBB182_528
; %bb.525:
	s_cmp_eq_u32 s34, 44
	s_cbranch_scc0 .LBB182_527
; %bb.526:
	global_load_ubyte v2, v[0:1], off
	s_mov_b64 s[0:1], -1
	s_mov_b64 s[28:29], 0
	s_waitcnt vmcnt(0)
	v_lshlrev_b32_e32 v3, 23, v2
	v_cvt_i32_f32_e32 v3, v3
	v_cmp_ne_u32_e32 vcc, 0, v2
	v_cndmask_b32_e32 v2, 0, v3, vcc
	s_branch .LBB182_528
.LBB182_527:
	s_mov_b64 s[28:29], -1
                                        ; implicit-def: $vgpr2
.LBB182_528:
	s_mov_b64 s[30:31], 0
.LBB182_529:
	s_and_b64 vcc, exec, s[30:31]
	s_cbranch_vccz .LBB182_533
; %bb.530:
	s_cmp_eq_u32 s34, 29
	s_cbranch_scc0 .LBB182_532
; %bb.531:
	global_load_dword v2, v[0:1], off
	s_mov_b64 s[0:1], -1
	s_mov_b64 s[28:29], 0
	s_branch .LBB182_533
.LBB182_532:
	s_mov_b64 s[28:29], -1
                                        ; implicit-def: $vgpr2
.LBB182_533:
	s_mov_b64 s[30:31], 0
.LBB182_534:
	s_and_b64 vcc, exec, s[30:31]
	s_cbranch_vccz .LBB182_550
; %bb.535:
	s_cmp_lt_i32 s34, 27
	s_cbranch_scc1 .LBB182_538
; %bb.536:
	s_cmp_gt_i32 s34, 27
	s_cbranch_scc0 .LBB182_539
; %bb.537:
	global_load_dword v2, v[0:1], off
	s_mov_b64 s[0:1], 0
	s_branch .LBB182_540
.LBB182_538:
	s_mov_b64 s[0:1], -1
                                        ; implicit-def: $vgpr2
	s_branch .LBB182_543
.LBB182_539:
	s_mov_b64 s[0:1], -1
                                        ; implicit-def: $vgpr2
.LBB182_540:
	s_andn2_b64 vcc, exec, s[0:1]
	s_cbranch_vccnz .LBB182_542
; %bb.541:
	global_load_ushort v2, v[0:1], off
.LBB182_542:
	s_mov_b64 s[0:1], 0
.LBB182_543:
	s_andn2_b64 vcc, exec, s[0:1]
	s_cbranch_vccnz .LBB182_549
; %bb.544:
	global_load_ubyte v3, v[0:1], off
	s_movk_i32 s0, 0x7f
	s_mov_b64 s[30:31], 0
	s_waitcnt vmcnt(0)
	v_cmp_lt_i16_e32 vcc, s0, v3
	s_and_saveexec_b64 s[0:1], vcc
	s_xor_b64 s[0:1], exec, s[0:1]
	s_cbranch_execz .LBB182_561
; %bb.545:
	s_movk_i32 s30, 0x80
	v_cmp_ne_u16_e32 vcc, s30, v3
	s_and_b64 s[30:31], vcc, exec
	s_andn2_saveexec_b64 s[0:1], s[0:1]
	s_cbranch_execnz .LBB182_562
.LBB182_546:
	s_or_b64 exec, exec, s[0:1]
	v_mov_b32_e32 v2, 0
	s_and_saveexec_b64 s[0:1], s[30:31]
	s_cbranch_execz .LBB182_548
.LBB182_547:
	v_lshlrev_b32_e32 v2, 24, v3
	v_and_b32_e32 v3, 0xffff, v3
	v_and_b32_e32 v5, 7, v3
	v_ffbh_u32_e32 v7, v5
	v_min_u32_e32 v7, 32, v7
	v_subrev_u32_e32 v8, 28, v7
	v_bfe_u32 v6, v3, 3, 4
	v_lshlrev_b32_e32 v3, v8, v3
	v_sub_u32_e32 v7, 29, v7
	v_and_b32_e32 v3, 7, v3
	v_cmp_eq_u32_e32 vcc, 0, v6
	v_cndmask_b32_e32 v6, v6, v7, vcc
	v_cndmask_b32_e32 v3, v5, v3, vcc
	v_mov_b32_e32 v5, 0x3b800000
	v_lshlrev_b32_e32 v3, 20, v3
	v_and_b32_e32 v2, 0x80000000, v2
	v_lshl_add_u32 v5, v6, 23, v5
	v_or3_b32 v2, v2, v5, v3
	v_cvt_i32_f32_e32 v2, v2
.LBB182_548:
	s_or_b64 exec, exec, s[0:1]
.LBB182_549:
	s_mov_b64 s[0:1], -1
.LBB182_550:
	s_mov_b64 s[30:31], 0
.LBB182_551:
	s_and_b64 vcc, exec, s[30:31]
	s_cbranch_vccz .LBB182_584
; %bb.552:
	s_cmp_gt_i32 s34, 22
	s_cbranch_scc0 .LBB182_560
; %bb.553:
	s_cmp_lt_i32 s34, 24
	s_cbranch_scc1 .LBB182_563
; %bb.554:
	s_cmp_gt_i32 s34, 24
	s_cbranch_scc0 .LBB182_564
; %bb.555:
	global_load_ubyte v3, v[0:1], off
	s_movk_i32 s0, 0x7f
	s_mov_b64 s[30:31], 0
	s_waitcnt vmcnt(0)
	v_cmp_lt_i16_e32 vcc, s0, v3
	s_and_saveexec_b64 s[0:1], vcc
	s_xor_b64 s[0:1], exec, s[0:1]
	s_cbranch_execz .LBB182_576
; %bb.556:
	s_movk_i32 s30, 0x80
	v_cmp_ne_u16_e32 vcc, s30, v3
	s_and_b64 s[30:31], vcc, exec
	s_andn2_saveexec_b64 s[0:1], s[0:1]
	s_cbranch_execnz .LBB182_577
.LBB182_557:
	s_or_b64 exec, exec, s[0:1]
	v_mov_b32_e32 v2, 0
	s_and_saveexec_b64 s[0:1], s[30:31]
	s_cbranch_execz .LBB182_559
.LBB182_558:
	v_lshlrev_b32_e32 v2, 24, v3
	v_and_b32_e32 v3, 0xffff, v3
	v_and_b32_e32 v5, 3, v3
	v_ffbh_u32_e32 v7, v5
	v_min_u32_e32 v7, 32, v7
	v_subrev_u32_e32 v8, 29, v7
	v_bfe_u32 v6, v3, 2, 5
	v_lshlrev_b32_e32 v3, v8, v3
	v_sub_u32_e32 v7, 30, v7
	v_and_b32_e32 v3, 3, v3
	v_cmp_eq_u32_e32 vcc, 0, v6
	v_cndmask_b32_e32 v6, v6, v7, vcc
	v_cndmask_b32_e32 v3, v5, v3, vcc
	v_mov_b32_e32 v5, 0x37800000
	v_lshlrev_b32_e32 v3, 21, v3
	v_and_b32_e32 v2, 0x80000000, v2
	v_lshl_add_u32 v5, v6, 23, v5
	v_or3_b32 v2, v2, v5, v3
	v_cvt_i32_f32_e32 v2, v2
.LBB182_559:
	s_or_b64 exec, exec, s[0:1]
	s_mov_b64 s[0:1], 0
	s_branch .LBB182_565
.LBB182_560:
	s_mov_b64 s[30:31], -1
                                        ; implicit-def: $vgpr2
	s_branch .LBB182_571
.LBB182_561:
	s_andn2_saveexec_b64 s[0:1], s[0:1]
	s_cbranch_execz .LBB182_546
.LBB182_562:
	v_cmp_ne_u16_e32 vcc, 0, v3
	s_andn2_b64 s[30:31], s[30:31], exec
	s_and_b64 s[36:37], vcc, exec
	s_or_b64 s[30:31], s[30:31], s[36:37]
	s_or_b64 exec, exec, s[0:1]
	v_mov_b32_e32 v2, 0
	s_and_saveexec_b64 s[0:1], s[30:31]
	s_cbranch_execnz .LBB182_547
	s_branch .LBB182_548
.LBB182_563:
	s_mov_b64 s[0:1], -1
                                        ; implicit-def: $vgpr2
	s_branch .LBB182_568
.LBB182_564:
	s_mov_b64 s[0:1], -1
                                        ; implicit-def: $vgpr2
.LBB182_565:
	s_and_b64 vcc, exec, s[0:1]
	s_cbranch_vccz .LBB182_567
; %bb.566:
	global_load_ubyte v2, v[0:1], off
	s_mov_b32 s0, 0x7f800000
	s_waitcnt vmcnt(0)
	v_lshlrev_b32_e32 v2, 24, v2
	v_and_b32_e32 v3, 0x7f000000, v2
	v_ffbh_u32_e32 v5, v3
	v_min_u32_e32 v5, 32, v5
	v_sub_u32_e64 v5, v5, 4 clamp
	v_lshlrev_b32_e32 v7, v5, v3
	v_lshlrev_b32_e32 v5, 23, v5
	v_lshrrev_b32_e32 v7, 4, v7
	v_add_u32_e32 v6, 0x1000000, v3
	v_sub_u32_e32 v5, v7, v5
	v_ashrrev_i32_e32 v6, 8, v6
	v_add_u32_e32 v5, 0x3c000000, v5
	v_and_or_b32 v5, v6, s0, v5
	v_cmp_ne_u32_e32 vcc, 0, v3
	v_cndmask_b32_e32 v3, 0, v5, vcc
	s_brev_b32 s0, 1
	v_and_or_b32 v2, v2, s0, v3
	v_cvt_i32_f32_e32 v2, v2
.LBB182_567:
	s_mov_b64 s[0:1], 0
.LBB182_568:
	s_andn2_b64 vcc, exec, s[0:1]
	s_cbranch_vccnz .LBB182_570
; %bb.569:
	global_load_ubyte v2, v[0:1], off
	s_movk_i32 s0, 0x7f00
	s_brev_b32 s1, 16
	s_waitcnt vmcnt(0)
	v_lshlrev_b16_e32 v3, 8, v2
	v_lshlrev_b32_e32 v2, 25, v2
	v_lshrrev_b32_e32 v5, 4, v2
	v_and_or_b32 v6, v3, s0, 0.5
	v_or_b32_e32 v5, 0x70000000, v5
	v_add_f32_e32 v6, -0.5, v6
	v_mul_f32_e32 v5, 0x7800000, v5
	v_cmp_gt_u32_e32 vcc, s1, v2
	v_bfe_i32 v3, v3, 0, 16
	v_cndmask_b32_e32 v2, v5, v6, vcc
	s_brev_b32 s0, 1
	v_and_or_b32 v2, v3, s0, v2
	v_cvt_i32_f32_e32 v2, v2
.LBB182_570:
	s_mov_b64 s[30:31], 0
	s_mov_b64 s[0:1], -1
.LBB182_571:
	s_andn2_b64 vcc, exec, s[30:31]
	s_cbranch_vccnz .LBB182_584
; %bb.572:
	s_cmp_gt_i32 s34, 14
	s_cbranch_scc0 .LBB182_575
; %bb.573:
	s_cmp_eq_u32 s34, 15
	s_cbranch_scc0 .LBB182_578
; %bb.574:
	global_load_ushort v2, v[0:1], off
	s_mov_b64 s[0:1], -1
	s_mov_b64 s[28:29], 0
	s_waitcnt vmcnt(0)
	v_lshlrev_b32_e32 v2, 16, v2
	v_cvt_i32_f32_e32 v2, v2
	s_branch .LBB182_579
.LBB182_575:
	s_mov_b64 s[30:31], -1
                                        ; implicit-def: $vgpr2
	s_branch .LBB182_580
.LBB182_576:
	s_andn2_saveexec_b64 s[0:1], s[0:1]
	s_cbranch_execz .LBB182_557
.LBB182_577:
	v_cmp_ne_u16_e32 vcc, 0, v3
	s_andn2_b64 s[30:31], s[30:31], exec
	s_and_b64 s[36:37], vcc, exec
	s_or_b64 s[30:31], s[30:31], s[36:37]
	s_or_b64 exec, exec, s[0:1]
	v_mov_b32_e32 v2, 0
	s_and_saveexec_b64 s[0:1], s[30:31]
	s_cbranch_execnz .LBB182_558
	s_branch .LBB182_559
.LBB182_578:
	s_mov_b64 s[28:29], -1
                                        ; implicit-def: $vgpr2
.LBB182_579:
	s_mov_b64 s[30:31], 0
.LBB182_580:
	s_and_b64 vcc, exec, s[30:31]
	s_cbranch_vccz .LBB182_584
; %bb.581:
	s_cmp_eq_u32 s34, 11
	s_cbranch_scc0 .LBB182_583
; %bb.582:
	global_load_ubyte v2, v[0:1], off
	s_mov_b64 s[0:1], -1
	s_mov_b64 s[28:29], 0
	s_waitcnt vmcnt(0)
	v_cmp_ne_u16_e32 vcc, 0, v2
	v_cndmask_b32_e64 v2, 0, 1, vcc
	s_branch .LBB182_584
.LBB182_583:
	s_mov_b64 s[28:29], -1
                                        ; implicit-def: $vgpr2
.LBB182_584:
	s_mov_b64 s[30:31], 0
.LBB182_585:
	s_and_b64 vcc, exec, s[30:31]
	s_cbranch_vccz .LBB182_634
; %bb.586:
	s_cmp_lt_i32 s34, 5
	s_cbranch_scc1 .LBB182_591
; %bb.587:
	s_cmp_lt_i32 s34, 8
	s_cbranch_scc1 .LBB182_592
	;; [unrolled: 3-line block ×3, first 2 shown]
; %bb.589:
	s_cmp_gt_i32 s34, 9
	s_cbranch_scc0 .LBB182_594
; %bb.590:
	global_load_dwordx2 v[2:3], v[0:1], off
	s_mov_b64 s[0:1], 0
	s_waitcnt vmcnt(0)
	v_cvt_i32_f64_e32 v2, v[2:3]
	s_branch .LBB182_595
.LBB182_591:
	s_mov_b64 s[0:1], -1
                                        ; implicit-def: $vgpr2
	s_branch .LBB182_613
.LBB182_592:
	s_mov_b64 s[0:1], -1
                                        ; implicit-def: $vgpr2
	s_branch .LBB182_601
.LBB182_593:
	s_mov_b64 s[0:1], -1
                                        ; implicit-def: $vgpr2
	s_branch .LBB182_598
.LBB182_594:
	s_mov_b64 s[0:1], -1
                                        ; implicit-def: $vgpr2
.LBB182_595:
	s_andn2_b64 vcc, exec, s[0:1]
	s_cbranch_vccnz .LBB182_597
; %bb.596:
	global_load_dword v2, v[0:1], off
	s_waitcnt vmcnt(0)
	v_cvt_i32_f32_e32 v2, v2
.LBB182_597:
	s_mov_b64 s[0:1], 0
.LBB182_598:
	s_andn2_b64 vcc, exec, s[0:1]
	s_cbranch_vccnz .LBB182_600
; %bb.599:
	global_load_dword v2, v[0:1], off
	s_waitcnt vmcnt(0)
	v_cvt_f32_f16_e32 v2, v2
	v_cvt_i32_f32_e32 v2, v2
.LBB182_600:
	s_mov_b64 s[0:1], 0
.LBB182_601:
	s_andn2_b64 vcc, exec, s[0:1]
	s_cbranch_vccnz .LBB182_612
; %bb.602:
	s_cmp_lt_i32 s34, 6
	s_cbranch_scc1 .LBB182_605
; %bb.603:
	s_cmp_gt_i32 s34, 6
	s_cbranch_scc0 .LBB182_606
; %bb.604:
	global_load_dwordx2 v[2:3], v[0:1], off
	s_mov_b64 s[0:1], 0
	s_waitcnt vmcnt(0)
	v_cvt_i32_f64_e32 v2, v[2:3]
	s_branch .LBB182_607
.LBB182_605:
	s_mov_b64 s[0:1], -1
                                        ; implicit-def: $vgpr2
	s_branch .LBB182_610
.LBB182_606:
	s_mov_b64 s[0:1], -1
                                        ; implicit-def: $vgpr2
.LBB182_607:
	s_andn2_b64 vcc, exec, s[0:1]
	s_cbranch_vccnz .LBB182_609
; %bb.608:
	global_load_dword v2, v[0:1], off
	s_waitcnt vmcnt(0)
	v_cvt_i32_f32_e32 v2, v2
.LBB182_609:
	s_mov_b64 s[0:1], 0
.LBB182_610:
	s_andn2_b64 vcc, exec, s[0:1]
	s_cbranch_vccnz .LBB182_612
; %bb.611:
	global_load_ushort v2, v[0:1], off
	s_waitcnt vmcnt(0)
	v_cvt_f32_f16_e32 v2, v2
	v_cvt_i32_f32_e32 v2, v2
.LBB182_612:
	s_mov_b64 s[0:1], 0
.LBB182_613:
	s_andn2_b64 vcc, exec, s[0:1]
	s_cbranch_vccnz .LBB182_633
; %bb.614:
	s_cmp_lt_i32 s34, 2
	s_cbranch_scc1 .LBB182_618
; %bb.615:
	s_cmp_lt_i32 s34, 3
	s_cbranch_scc1 .LBB182_619
; %bb.616:
	s_cmp_gt_i32 s34, 3
	s_cbranch_scc0 .LBB182_620
; %bb.617:
	global_load_dword v2, v[0:1], off
	s_mov_b64 s[0:1], 0
	s_branch .LBB182_621
.LBB182_618:
	s_mov_b64 s[0:1], -1
                                        ; implicit-def: $vgpr2
	s_branch .LBB182_627
.LBB182_619:
	s_mov_b64 s[0:1], -1
                                        ; implicit-def: $vgpr2
	s_branch .LBB182_624
.LBB182_620:
	s_mov_b64 s[0:1], -1
                                        ; implicit-def: $vgpr2
.LBB182_621:
	s_andn2_b64 vcc, exec, s[0:1]
	s_cbranch_vccnz .LBB182_623
; %bb.622:
	global_load_dword v2, v[0:1], off
.LBB182_623:
	s_mov_b64 s[0:1], 0
.LBB182_624:
	s_andn2_b64 vcc, exec, s[0:1]
	s_cbranch_vccnz .LBB182_626
; %bb.625:
	global_load_sshort v2, v[0:1], off
.LBB182_626:
	s_mov_b64 s[0:1], 0
.LBB182_627:
	s_andn2_b64 vcc, exec, s[0:1]
	s_cbranch_vccnz .LBB182_633
; %bb.628:
	s_cmp_gt_i32 s34, 0
	s_cbranch_scc0 .LBB182_630
; %bb.629:
	global_load_sbyte v2, v[0:1], off
	s_mov_b64 s[0:1], 0
	s_branch .LBB182_631
.LBB182_630:
	s_mov_b64 s[0:1], -1
                                        ; implicit-def: $vgpr2
.LBB182_631:
	s_andn2_b64 vcc, exec, s[0:1]
	s_cbranch_vccnz .LBB182_633
; %bb.632:
	global_load_ubyte v2, v[0:1], off
.LBB182_633:
	s_mov_b64 s[0:1], -1
.LBB182_634:
	s_andn2_b64 vcc, exec, s[0:1]
	s_cbranch_vccnz .LBB182_642
; %bb.635:
	v_mul_lo_u32 v1, v4, s2
	s_waitcnt vmcnt(0)
	v_ashrrev_i32_e32 v0, s44, v2
	v_mov_b32_e32 v3, s9
	s_and_b32 s38, s13, 0xff
	v_ashrrev_i32_e32 v5, 31, v1
	v_add_co_u32_e32 v2, vcc, s8, v1
	s_cmp_lt_i32 s38, 11
	v_addc_co_u32_e32 v3, vcc, v3, v5, vcc
	s_cbranch_scc1 .LBB182_643
; %bb.636:
	s_and_b32 s39, 0xffff, s38
	s_cmp_gt_i32 s39, 25
	s_cbranch_scc0 .LBB182_644
; %bb.637:
	s_cmp_gt_i32 s39, 28
	s_cbranch_scc0 .LBB182_645
; %bb.638:
	;; [unrolled: 3-line block ×4, first 2 shown]
	s_mov_b64 s[34:35], 0
	s_mov_b64 s[0:1], -1
	s_cmp_eq_u32 s39, 46
	s_mov_b64 s[30:31], 0
	s_cbranch_scc0 .LBB182_648
; %bb.641:
	v_cvt_f32_i32_e32 v1, v0
	s_movk_i32 s0, 0x7fff
	s_mov_b64 s[30:31], -1
	v_bfe_u32 v5, v1, 16, 1
	v_add3_u32 v1, v1, v5, s0
	v_lshrrev_b32_e32 v1, 16, v1
	global_store_dword v[2:3], v1, off
	s_mov_b64 s[0:1], 0
	s_branch .LBB182_648
.LBB182_642:
	s_mov_b64 s[34:35], 0
                                        ; implicit-def: $vgpr4
	s_mov_b64 s[0:1], s[22:23]
	s_branch .LBB182_759
.LBB182_643:
	s_mov_b64 s[34:35], -1
	s_mov_b64 s[30:31], 0
	s_mov_b64 s[0:1], s[22:23]
	s_branch .LBB182_717
.LBB182_644:
	s_mov_b64 s[34:35], -1
	s_mov_b64 s[30:31], 0
	s_mov_b64 s[0:1], s[22:23]
	s_branch .LBB182_675
.LBB182_645:
	s_mov_b64 s[34:35], -1
	s_mov_b64 s[30:31], 0
	s_mov_b64 s[0:1], s[22:23]
	s_branch .LBB182_658
.LBB182_646:
	s_mov_b64 s[34:35], -1
	s_mov_b64 s[30:31], 0
	s_mov_b64 s[0:1], s[22:23]
	s_branch .LBB182_654
.LBB182_647:
	s_mov_b64 s[34:35], -1
	s_mov_b64 s[30:31], 0
	s_mov_b64 s[0:1], s[22:23]
.LBB182_648:
	s_and_b64 vcc, exec, s[34:35]
	s_cbranch_vccz .LBB182_653
; %bb.649:
	s_cmp_eq_u32 s39, 44
	s_mov_b64 s[0:1], -1
	s_cbranch_scc0 .LBB182_653
; %bb.650:
	v_cvt_f32_i32_e32 v1, v0
	s_movk_i32 s0, 0xff
	v_mov_b32_e32 v6, 0xff
	v_bfe_u32 v5, v1, 23, 8
	v_cmp_ne_u32_e32 vcc, s0, v5
	s_and_saveexec_b64 s[30:31], vcc
; %bb.651:
	s_mov_b32 s0, 0x3fffff
	v_lshrrev_b32_e32 v6, 23, v1
	v_and_b32_e32 v7, 0x400000, v1
	v_and_or_b32 v1, v1, s0, v5
	v_cmp_ne_u32_e32 vcc, 0, v7
	v_cmp_ne_u32_e64 s[0:1], 0, v1
	s_and_b64 s[0:1], vcc, s[0:1]
	v_cndmask_b32_e64 v1, 0, 1, s[0:1]
	v_add_u32_e32 v6, v6, v1
; %bb.652:
	s_or_b64 exec, exec, s[30:31]
	s_mov_b64 s[30:31], -1
	s_mov_b64 s[0:1], 0
	global_store_byte v[2:3], v6, off
.LBB182_653:
	s_mov_b64 s[34:35], 0
.LBB182_654:
	s_and_b64 vcc, exec, s[34:35]
	s_cbranch_vccz .LBB182_657
; %bb.655:
	s_cmp_eq_u32 s39, 29
	s_mov_b64 s[0:1], -1
	s_cbranch_scc0 .LBB182_657
; %bb.656:
	v_ashrrev_i32_e32 v1, 31, v0
	global_store_dwordx2 v[2:3], v[0:1], off
	s_mov_b64 s[30:31], -1
	s_mov_b64 s[0:1], 0
.LBB182_657:
	s_mov_b64 s[34:35], 0
.LBB182_658:
	s_and_b64 vcc, exec, s[34:35]
	s_cbranch_vccz .LBB182_674
; %bb.659:
	s_cmp_lt_i32 s39, 27
	s_mov_b64 s[30:31], -1
	s_cbranch_scc1 .LBB182_665
; %bb.660:
	s_cmp_gt_i32 s39, 27
	s_cbranch_scc0 .LBB182_662
; %bb.661:
	s_mov_b64 s[30:31], 0
	global_store_dword v[2:3], v0, off
.LBB182_662:
	s_andn2_b64 vcc, exec, s[30:31]
	s_cbranch_vccnz .LBB182_664
; %bb.663:
	global_store_short v[2:3], v0, off
.LBB182_664:
	s_mov_b64 s[30:31], 0
.LBB182_665:
	s_andn2_b64 vcc, exec, s[30:31]
	s_cbranch_vccnz .LBB182_673
; %bb.666:
	v_cvt_f32_i32_e32 v1, v0
	s_mov_b32 s30, 0x43800000
	v_mov_b32_e32 v6, 0x80
	v_and_b32_e32 v5, 0x7fffffff, v1
	v_cmp_gt_u32_e32 vcc, s30, v5
	s_and_saveexec_b64 s[30:31], vcc
	s_cbranch_execz .LBB182_672
; %bb.667:
	s_mov_b32 s34, 0x3bffffff
	v_cmp_lt_u32_e32 vcc, s34, v5
	s_mov_b64 s[34:35], 0
                                        ; implicit-def: $vgpr5
	s_and_saveexec_b64 s[36:37], vcc
	s_xor_b64 s[36:37], exec, s[36:37]
	s_cbranch_execz .LBB182_773
; %bb.668:
	v_bfe_u32 v5, v1, 20, 1
	s_mov_b32 s41, 0x487ffff
	v_add3_u32 v5, v1, v5, s41
	s_mov_b64 s[34:35], exec
	v_lshrrev_b32_e32 v5, 20, v5
	s_andn2_saveexec_b64 s[36:37], s[36:37]
	s_cbranch_execnz .LBB182_774
.LBB182_669:
	s_or_b64 exec, exec, s[36:37]
	v_mov_b32_e32 v6, 0
	s_and_saveexec_b64 s[36:37], s[34:35]
.LBB182_670:
	v_lshrrev_b32_e32 v1, 24, v1
	s_movk_i32 s34, 0x80
	v_and_or_b32 v6, v1, s34, v5
.LBB182_671:
	s_or_b64 exec, exec, s[36:37]
.LBB182_672:
	s_or_b64 exec, exec, s[30:31]
	global_store_byte v[2:3], v6, off
.LBB182_673:
	s_mov_b64 s[30:31], -1
.LBB182_674:
	s_mov_b64 s[34:35], 0
.LBB182_675:
	s_and_b64 vcc, exec, s[34:35]
	s_cbranch_vccz .LBB182_716
; %bb.676:
	s_cmp_gt_i32 s39, 22
	s_mov_b64 s[34:35], -1
	s_cbranch_scc0 .LBB182_708
; %bb.677:
	s_cmp_lt_i32 s39, 24
	s_mov_b64 s[30:31], -1
	s_cbranch_scc1 .LBB182_697
; %bb.678:
	s_cmp_gt_i32 s39, 24
	s_cbranch_scc0 .LBB182_686
; %bb.679:
	v_cvt_f32_i32_e32 v1, v0
	s_mov_b32 s30, 0x47800000
	v_mov_b32_e32 v6, 0x80
	v_and_b32_e32 v5, 0x7fffffff, v1
	v_cmp_gt_u32_e32 vcc, s30, v5
	s_and_saveexec_b64 s[30:31], vcc
	s_cbranch_execz .LBB182_685
; %bb.680:
	s_mov_b32 s34, 0x37ffffff
	v_cmp_lt_u32_e32 vcc, s34, v5
	s_mov_b64 s[34:35], 0
                                        ; implicit-def: $vgpr5
	s_and_saveexec_b64 s[36:37], vcc
	s_xor_b64 s[36:37], exec, s[36:37]
	s_cbranch_execz .LBB182_776
; %bb.681:
	v_bfe_u32 v5, v1, 21, 1
	s_mov_b32 s41, 0x88fffff
	v_add3_u32 v5, v1, v5, s41
	s_mov_b64 s[34:35], exec
	v_lshrrev_b32_e32 v5, 21, v5
	s_andn2_saveexec_b64 s[36:37], s[36:37]
	s_cbranch_execnz .LBB182_777
.LBB182_682:
	s_or_b64 exec, exec, s[36:37]
	v_mov_b32_e32 v6, 0
	s_and_saveexec_b64 s[36:37], s[34:35]
.LBB182_683:
	v_lshrrev_b32_e32 v1, 24, v1
	s_movk_i32 s34, 0x80
	v_and_or_b32 v6, v1, s34, v5
.LBB182_684:
	s_or_b64 exec, exec, s[36:37]
.LBB182_685:
	s_or_b64 exec, exec, s[30:31]
	s_mov_b64 s[30:31], 0
	global_store_byte v[2:3], v6, off
.LBB182_686:
	s_and_b64 vcc, exec, s[30:31]
	s_cbranch_vccz .LBB182_696
; %bb.687:
	v_cvt_f32_i32_e32 v1, v0
	s_mov_b32 s30, 0x43f00000
                                        ; implicit-def: $vgpr5
	v_and_b32_e32 v6, 0x7fffffff, v1
	v_cmp_gt_u32_e32 vcc, s30, v6
	s_and_saveexec_b64 s[30:31], vcc
	s_xor_b64 s[30:31], exec, s[30:31]
	s_cbranch_execz .LBB182_693
; %bb.688:
	s_mov_b32 s34, 0x3c7fffff
	v_cmp_lt_u32_e32 vcc, s34, v6
                                        ; implicit-def: $vgpr5
	s_and_saveexec_b64 s[34:35], vcc
	s_xor_b64 s[34:35], exec, s[34:35]
; %bb.689:
	v_bfe_u32 v5, v1, 20, 1
	s_mov_b32 s36, 0x407ffff
	v_add3_u32 v5, v1, v5, s36
	v_lshrrev_b32_e32 v6, 20, v5
	v_and_b32_e32 v5, 0xff00000, v5
	s_mov_b32 s36, 0x7f00000
	v_mov_b32_e32 v7, 0x7e
	v_cmp_ne_u32_e32 vcc, s36, v5
	v_cndmask_b32_e32 v5, v7, v6, vcc
; %bb.690:
	s_andn2_saveexec_b64 s[34:35], s[34:35]
; %bb.691:
	s_mov_b32 s36, 0x46800000
	v_add_f32_e64 v5, |v1|, s36
; %bb.692:
	s_or_b64 exec, exec, s[34:35]
                                        ; implicit-def: $vgpr6
.LBB182_693:
	s_andn2_saveexec_b64 s[30:31], s[30:31]
; %bb.694:
	s_mov_b32 s34, 0x7f800000
	v_mov_b32_e32 v5, 0x7e
	v_mov_b32_e32 v7, 0x7f
	v_cmp_lt_u32_e32 vcc, s34, v6
	v_cndmask_b32_e32 v5, v5, v7, vcc
; %bb.695:
	s_or_b64 exec, exec, s[30:31]
	v_lshrrev_b32_e32 v1, 24, v1
	s_movk_i32 s30, 0x80
	v_and_or_b32 v1, v1, s30, v5
	global_store_byte v[2:3], v1, off
.LBB182_696:
	s_mov_b64 s[30:31], 0
.LBB182_697:
	s_andn2_b64 vcc, exec, s[30:31]
	s_cbranch_vccnz .LBB182_707
; %bb.698:
	v_cvt_f32_i32_e32 v1, v0
	s_mov_b32 s30, 0x47800000
                                        ; implicit-def: $vgpr5
	v_and_b32_e32 v6, 0x7fffffff, v1
	v_cmp_gt_u32_e32 vcc, s30, v6
	s_and_saveexec_b64 s[30:31], vcc
	s_xor_b64 s[30:31], exec, s[30:31]
	s_cbranch_execz .LBB182_704
; %bb.699:
	s_mov_b32 s34, 0x387fffff
	v_cmp_lt_u32_e32 vcc, s34, v6
                                        ; implicit-def: $vgpr5
	s_and_saveexec_b64 s[34:35], vcc
	s_xor_b64 s[34:35], exec, s[34:35]
; %bb.700:
	v_bfe_u32 v5, v1, 21, 1
	s_mov_b32 s36, 0x80fffff
	v_add3_u32 v5, v1, v5, s36
	v_lshrrev_b32_e32 v5, 21, v5
; %bb.701:
	s_andn2_saveexec_b64 s[34:35], s[34:35]
; %bb.702:
	s_mov_b32 s36, 0x43000000
	v_add_f32_e64 v5, |v1|, s36
; %bb.703:
	s_or_b64 exec, exec, s[34:35]
                                        ; implicit-def: $vgpr6
.LBB182_704:
	s_andn2_saveexec_b64 s[30:31], s[30:31]
; %bb.705:
	s_mov_b32 s34, 0x7f800000
	v_mov_b32_e32 v5, 0x7c
	v_mov_b32_e32 v7, 0x7f
	v_cmp_lt_u32_e32 vcc, s34, v6
	v_cndmask_b32_e32 v5, v5, v7, vcc
; %bb.706:
	s_or_b64 exec, exec, s[30:31]
	v_lshrrev_b32_e32 v1, 24, v1
	s_movk_i32 s30, 0x80
	v_and_or_b32 v1, v1, s30, v5
	global_store_byte v[2:3], v1, off
.LBB182_707:
	s_mov_b64 s[34:35], 0
	s_mov_b64 s[30:31], -1
.LBB182_708:
	s_andn2_b64 vcc, exec, s[34:35]
	s_cbranch_vccnz .LBB182_716
; %bb.709:
	s_cmp_gt_i32 s39, 14
	s_mov_b64 s[34:35], -1
	s_cbranch_scc0 .LBB182_713
; %bb.710:
	s_cmp_eq_u32 s39, 15
	s_mov_b64 s[0:1], -1
	s_cbranch_scc0 .LBB182_712
; %bb.711:
	v_cvt_f32_i32_e32 v1, v0
	s_movk_i32 s0, 0x7fff
	s_mov_b64 s[30:31], -1
	v_bfe_u32 v5, v1, 16, 1
	v_add3_u32 v1, v1, v5, s0
	global_store_short_d16_hi v[2:3], v1, off
	s_mov_b64 s[0:1], 0
.LBB182_712:
	s_mov_b64 s[34:35], 0
.LBB182_713:
	s_and_b64 vcc, exec, s[34:35]
	s_cbranch_vccz .LBB182_716
; %bb.714:
	s_cmp_eq_u32 s39, 11
	s_mov_b64 s[0:1], -1
	s_cbranch_scc0 .LBB182_716
; %bb.715:
	v_cmp_ne_u32_e32 vcc, 0, v0
	v_cndmask_b32_e64 v1, 0, 1, vcc
	s_mov_b64 s[30:31], -1
	s_mov_b64 s[0:1], 0
	global_store_byte v[2:3], v1, off
.LBB182_716:
	s_mov_b64 s[34:35], 0
.LBB182_717:
	s_and_b64 vcc, exec, s[34:35]
	s_cbranch_vccz .LBB182_756
; %bb.718:
	s_and_b32 s34, 0xffff, s38
	s_cmp_lt_i32 s34, 5
	s_mov_b64 s[30:31], -1
	s_cbranch_scc1 .LBB182_739
; %bb.719:
	s_cmp_lt_i32 s34, 8
	s_cbranch_scc1 .LBB182_729
; %bb.720:
	s_cmp_lt_i32 s34, 9
	s_cbranch_scc1 .LBB182_726
; %bb.721:
	s_cmp_gt_i32 s34, 9
	s_cbranch_scc0 .LBB182_723
; %bb.722:
	v_cvt_f64_i32_e32 v[5:6], v0
	v_mov_b32_e32 v7, 0
	v_mov_b32_e32 v8, v7
	s_mov_b64 s[30:31], 0
	global_store_dwordx4 v[2:3], v[5:8], off
.LBB182_723:
	s_andn2_b64 vcc, exec, s[30:31]
	s_cbranch_vccnz .LBB182_725
; %bb.724:
	v_cvt_f32_i32_e32 v5, v0
	v_mov_b32_e32 v6, 0
	global_store_dwordx2 v[2:3], v[5:6], off
.LBB182_725:
	s_mov_b64 s[30:31], 0
.LBB182_726:
	s_andn2_b64 vcc, exec, s[30:31]
	s_cbranch_vccnz .LBB182_728
; %bb.727:
	v_cvt_f32_i32_e32 v1, v0
	v_cvt_f16_f32_e32 v1, v1
	global_store_dword v[2:3], v1, off
.LBB182_728:
	s_mov_b64 s[30:31], 0
.LBB182_729:
	s_andn2_b64 vcc, exec, s[30:31]
	s_cbranch_vccnz .LBB182_738
; %bb.730:
	s_cmp_lt_i32 s34, 6
	s_mov_b64 s[30:31], -1
	s_cbranch_scc1 .LBB182_736
; %bb.731:
	s_cmp_gt_i32 s34, 6
	s_cbranch_scc0 .LBB182_733
; %bb.732:
	v_cvt_f64_i32_e32 v[5:6], v0
	s_mov_b64 s[30:31], 0
	global_store_dwordx2 v[2:3], v[5:6], off
.LBB182_733:
	s_andn2_b64 vcc, exec, s[30:31]
	s_cbranch_vccnz .LBB182_735
; %bb.734:
	v_cvt_f32_i32_e32 v1, v0
	global_store_dword v[2:3], v1, off
.LBB182_735:
	s_mov_b64 s[30:31], 0
.LBB182_736:
	s_andn2_b64 vcc, exec, s[30:31]
	s_cbranch_vccnz .LBB182_738
; %bb.737:
	v_cvt_f32_i32_e32 v1, v0
	v_cvt_f16_f32_e32 v1, v1
	global_store_short v[2:3], v1, off
.LBB182_738:
	s_mov_b64 s[30:31], 0
.LBB182_739:
	s_andn2_b64 vcc, exec, s[30:31]
	s_cbranch_vccnz .LBB182_755
; %bb.740:
	s_cmp_lt_i32 s34, 2
	s_mov_b64 s[30:31], -1
	s_cbranch_scc1 .LBB182_750
; %bb.741:
	s_cmp_lt_i32 s34, 3
	s_cbranch_scc1 .LBB182_747
; %bb.742:
	s_cmp_gt_i32 s34, 3
	s_cbranch_scc0 .LBB182_744
; %bb.743:
	v_ashrrev_i32_e32 v1, 31, v0
	s_mov_b64 s[30:31], 0
	global_store_dwordx2 v[2:3], v[0:1], off
.LBB182_744:
	s_andn2_b64 vcc, exec, s[30:31]
	s_cbranch_vccnz .LBB182_746
; %bb.745:
	global_store_dword v[2:3], v0, off
.LBB182_746:
	s_mov_b64 s[30:31], 0
.LBB182_747:
	s_andn2_b64 vcc, exec, s[30:31]
	s_cbranch_vccnz .LBB182_749
; %bb.748:
	global_store_short v[2:3], v0, off
.LBB182_749:
	s_mov_b64 s[30:31], 0
.LBB182_750:
	s_andn2_b64 vcc, exec, s[30:31]
	s_cbranch_vccnz .LBB182_755
; %bb.751:
	s_cmp_gt_i32 s34, 0
	s_mov_b64 s[30:31], -1
	s_cbranch_scc0 .LBB182_753
; %bb.752:
	s_mov_b64 s[30:31], 0
	global_store_byte v[2:3], v0, off
.LBB182_753:
	s_andn2_b64 vcc, exec, s[30:31]
	s_cbranch_vccnz .LBB182_755
; %bb.754:
	global_store_byte v[2:3], v0, off
.LBB182_755:
	s_mov_b64 s[30:31], -1
.LBB182_756:
	s_andn2_b64 vcc, exec, s[30:31]
	s_cbranch_vccnz .LBB182_758
; %bb.757:
	v_add_u32_e32 v4, 0x80, v4
	s_mov_b64 s[34:35], -1
	s_branch .LBB182_759
.LBB182_758:
	s_mov_b64 s[34:35], 0
                                        ; implicit-def: $vgpr4
.LBB182_759:
	s_andn2_b64 s[30:31], s[22:23], exec
	s_and_b64 s[0:1], s[0:1], exec
	s_or_b64 s[30:31], s[30:31], s[0:1]
	s_andn2_b64 s[0:1], s[20:21], exec
	s_and_b64 s[28:29], s[28:29], exec
	s_or_b64 s[0:1], s[0:1], s[28:29]
	s_orn2_b64 s[36:37], s[34:35], exec
.LBB182_760:
	s_or_b64 exec, exec, s[26:27]
	s_mov_b64 s[34:35], 0
	s_mov_b64 s[28:29], 0
	;; [unrolled: 1-line block ×3, first 2 shown]
                                        ; implicit-def: $vgpr0_vgpr1
                                        ; implicit-def: $vgpr5
	s_and_saveexec_b64 s[26:27], s[36:37]
	s_cbranch_execz .LBB182_841
; %bb.761:
	v_cmp_gt_i32_e32 vcc, s40, v4
	s_mov_b64 s[36:37], 0
	s_mov_b64 s[40:41], s[0:1]
	;; [unrolled: 1-line block ×3, first 2 shown]
                                        ; implicit-def: $vgpr0_vgpr1
                                        ; implicit-def: $vgpr5
	s_and_saveexec_b64 s[28:29], vcc
	s_cbranch_execz .LBB182_840
; %bb.762:
	v_mul_lo_u32 v0, v4, s3
	v_mov_b32_e32 v1, s11
	s_and_b32 s42, 0xffff, s33
	s_cmp_lt_i32 s42, 11
	s_waitcnt vmcnt(0)
	v_ashrrev_i32_e32 v2, 31, v0
	v_add_co_u32_e32 v0, vcc, s10, v0
	v_addc_co_u32_e32 v1, vcc, v1, v2, vcc
	s_cbranch_scc1 .LBB182_769
; %bb.763:
	s_cmp_gt_i32 s42, 25
	s_cbranch_scc0 .LBB182_770
; %bb.764:
	s_cmp_gt_i32 s42, 28
	s_cbranch_scc0 .LBB182_771
	;; [unrolled: 3-line block ×4, first 2 shown]
; %bb.767:
	s_cmp_eq_u32 s42, 46
	s_mov_b64 s[40:41], 0
	s_cbranch_scc0 .LBB182_778
; %bb.768:
	global_load_dword v2, v[0:1], off
	s_mov_b64 s[38:39], -1
	s_waitcnt vmcnt(0)
	v_lshlrev_b32_e32 v2, 16, v2
	v_cvt_i32_f32_e32 v5, v2
	s_branch .LBB182_780
.LBB182_769:
	s_mov_b64 s[40:41], -1
                                        ; implicit-def: $vgpr5
	s_mov_b64 s[34:35], s[0:1]
	s_branch .LBB182_839
.LBB182_770:
	s_mov_b64 s[40:41], -1
	s_mov_b64 s[34:35], s[0:1]
                                        ; implicit-def: $vgpr5
	s_branch .LBB182_807
.LBB182_771:
	s_mov_b64 s[40:41], -1
	s_mov_b64 s[34:35], s[0:1]
                                        ; implicit-def: $vgpr5
	s_branch .LBB182_790
.LBB182_772:
	s_mov_b64 s[40:41], -1
	s_mov_b64 s[34:35], s[0:1]
                                        ; implicit-def: $vgpr5
	s_branch .LBB182_785
.LBB182_773:
	s_andn2_saveexec_b64 s[36:37], s[36:37]
	s_cbranch_execz .LBB182_669
.LBB182_774:
	s_mov_b32 s41, 0x46000000
	v_add_f32_e64 v5, |v1|, s41
	v_and_b32_e32 v5, 0xff, v5
	v_cmp_ne_u32_e32 vcc, 0, v5
	s_andn2_b64 s[34:35], s[34:35], exec
	s_and_b64 s[42:43], vcc, exec
	s_or_b64 s[34:35], s[34:35], s[42:43]
	s_or_b64 exec, exec, s[36:37]
	v_mov_b32_e32 v6, 0
	s_and_saveexec_b64 s[36:37], s[34:35]
	s_cbranch_execnz .LBB182_670
	s_branch .LBB182_671
.LBB182_775:
	s_mov_b64 s[40:41], -1
	s_mov_b64 s[34:35], s[0:1]
	s_branch .LBB182_779
.LBB182_776:
	s_andn2_saveexec_b64 s[36:37], s[36:37]
	s_cbranch_execz .LBB182_682
.LBB182_777:
	s_mov_b32 s41, 0x42800000
	v_add_f32_e64 v5, |v1|, s41
	v_and_b32_e32 v5, 0xff, v5
	v_cmp_ne_u32_e32 vcc, 0, v5
	s_andn2_b64 s[34:35], s[34:35], exec
	s_and_b64 s[42:43], vcc, exec
	s_or_b64 s[34:35], s[34:35], s[42:43]
	s_or_b64 exec, exec, s[36:37]
	v_mov_b32_e32 v6, 0
	s_and_saveexec_b64 s[36:37], s[34:35]
	s_cbranch_execnz .LBB182_683
	s_branch .LBB182_684
.LBB182_778:
	s_mov_b64 s[34:35], -1
.LBB182_779:
                                        ; implicit-def: $vgpr5
.LBB182_780:
	s_and_b64 vcc, exec, s[40:41]
	s_cbranch_vccz .LBB182_784
; %bb.781:
	s_cmp_eq_u32 s42, 44
	s_cbranch_scc0 .LBB182_783
; %bb.782:
	global_load_ubyte v2, v[0:1], off
	s_mov_b64 s[34:35], 0
	s_mov_b64 s[38:39], -1
	s_waitcnt vmcnt(0)
	v_lshlrev_b32_e32 v3, 23, v2
	v_cvt_i32_f32_e32 v3, v3
	v_cmp_ne_u32_e32 vcc, 0, v2
	v_cndmask_b32_e32 v5, 0, v3, vcc
	s_branch .LBB182_784
.LBB182_783:
	s_mov_b64 s[34:35], -1
                                        ; implicit-def: $vgpr5
.LBB182_784:
	s_mov_b64 s[40:41], 0
.LBB182_785:
	s_and_b64 vcc, exec, s[40:41]
	s_cbranch_vccz .LBB182_789
; %bb.786:
	s_cmp_eq_u32 s42, 29
	s_cbranch_scc0 .LBB182_788
; %bb.787:
	global_load_dword v5, v[0:1], off
	s_mov_b64 s[34:35], 0
	s_mov_b64 s[38:39], -1
	s_branch .LBB182_789
.LBB182_788:
	s_mov_b64 s[34:35], -1
                                        ; implicit-def: $vgpr5
.LBB182_789:
	s_mov_b64 s[40:41], 0
.LBB182_790:
	s_and_b64 vcc, exec, s[40:41]
	s_cbranch_vccz .LBB182_806
; %bb.791:
	s_cmp_lt_i32 s42, 27
	s_cbranch_scc1 .LBB182_794
; %bb.792:
	s_cmp_gt_i32 s42, 27
	s_cbranch_scc0 .LBB182_795
; %bb.793:
	global_load_dword v5, v[0:1], off
	s_mov_b64 s[38:39], 0
	s_branch .LBB182_796
.LBB182_794:
	s_mov_b64 s[38:39], -1
                                        ; implicit-def: $vgpr5
	s_branch .LBB182_799
.LBB182_795:
	s_mov_b64 s[38:39], -1
                                        ; implicit-def: $vgpr5
.LBB182_796:
	s_andn2_b64 vcc, exec, s[38:39]
	s_cbranch_vccnz .LBB182_798
; %bb.797:
	global_load_ushort v5, v[0:1], off
.LBB182_798:
	s_mov_b64 s[38:39], 0
.LBB182_799:
	s_andn2_b64 vcc, exec, s[38:39]
	s_cbranch_vccnz .LBB182_805
; %bb.800:
	global_load_ubyte v2, v[0:1], off
	s_movk_i32 s38, 0x7f
	s_mov_b64 s[40:41], 0
	s_waitcnt vmcnt(0)
	v_cmp_lt_i16_e32 vcc, s38, v2
	s_and_saveexec_b64 s[38:39], vcc
	s_xor_b64 s[38:39], exec, s[38:39]
	s_cbranch_execz .LBB182_817
; %bb.801:
	s_movk_i32 s40, 0x80
	v_cmp_ne_u16_e32 vcc, s40, v2
	s_and_b64 s[40:41], vcc, exec
	s_andn2_saveexec_b64 s[38:39], s[38:39]
	s_cbranch_execnz .LBB182_818
.LBB182_802:
	s_or_b64 exec, exec, s[38:39]
	v_mov_b32_e32 v5, 0
	s_and_saveexec_b64 s[38:39], s[40:41]
	s_cbranch_execz .LBB182_804
.LBB182_803:
	v_lshlrev_b32_e32 v3, 24, v2
	v_and_b32_e32 v2, 0xffff, v2
	v_and_b32_e32 v5, 7, v2
	v_ffbh_u32_e32 v7, v5
	v_min_u32_e32 v7, 32, v7
	v_subrev_u32_e32 v8, 28, v7
	v_bfe_u32 v6, v2, 3, 4
	v_lshlrev_b32_e32 v2, v8, v2
	v_sub_u32_e32 v7, 29, v7
	v_and_b32_e32 v2, 7, v2
	v_cmp_eq_u32_e32 vcc, 0, v6
	v_cndmask_b32_e32 v6, v6, v7, vcc
	v_cndmask_b32_e32 v2, v5, v2, vcc
	v_mov_b32_e32 v5, 0x3b800000
	v_lshlrev_b32_e32 v2, 20, v2
	v_and_b32_e32 v3, 0x80000000, v3
	v_lshl_add_u32 v5, v6, 23, v5
	v_or3_b32 v2, v3, v5, v2
	v_cvt_i32_f32_e32 v5, v2
.LBB182_804:
	s_or_b64 exec, exec, s[38:39]
.LBB182_805:
	s_mov_b64 s[38:39], -1
.LBB182_806:
	s_mov_b64 s[40:41], 0
.LBB182_807:
	s_and_b64 vcc, exec, s[40:41]
	s_cbranch_vccz .LBB182_838
; %bb.808:
	s_cmp_gt_i32 s42, 22
	s_cbranch_scc0 .LBB182_816
; %bb.809:
	s_cmp_lt_i32 s42, 24
	s_cbranch_scc1 .LBB182_819
; %bb.810:
	s_cmp_gt_i32 s42, 24
	s_cbranch_scc0 .LBB182_820
; %bb.811:
	global_load_ubyte v2, v[0:1], off
	s_movk_i32 s36, 0x7f
	s_mov_b64 s[38:39], 0
	s_waitcnt vmcnt(0)
	v_cmp_lt_i16_e32 vcc, s36, v2
	s_and_saveexec_b64 s[36:37], vcc
	s_xor_b64 s[36:37], exec, s[36:37]
	s_cbranch_execz .LBB182_832
; %bb.812:
	s_movk_i32 s38, 0x80
	v_cmp_ne_u16_e32 vcc, s38, v2
	s_and_b64 s[38:39], vcc, exec
	s_andn2_saveexec_b64 s[36:37], s[36:37]
	s_cbranch_execnz .LBB182_833
.LBB182_813:
	s_or_b64 exec, exec, s[36:37]
	v_mov_b32_e32 v5, 0
	s_and_saveexec_b64 s[36:37], s[38:39]
	s_cbranch_execz .LBB182_815
.LBB182_814:
	v_lshlrev_b32_e32 v3, 24, v2
	v_and_b32_e32 v2, 0xffff, v2
	v_and_b32_e32 v5, 3, v2
	v_ffbh_u32_e32 v7, v5
	v_min_u32_e32 v7, 32, v7
	v_subrev_u32_e32 v8, 29, v7
	v_bfe_u32 v6, v2, 2, 5
	v_lshlrev_b32_e32 v2, v8, v2
	v_sub_u32_e32 v7, 30, v7
	v_and_b32_e32 v2, 3, v2
	v_cmp_eq_u32_e32 vcc, 0, v6
	v_cndmask_b32_e32 v6, v6, v7, vcc
	v_cndmask_b32_e32 v2, v5, v2, vcc
	v_mov_b32_e32 v5, 0x37800000
	v_lshlrev_b32_e32 v2, 21, v2
	v_and_b32_e32 v3, 0x80000000, v3
	v_lshl_add_u32 v5, v6, 23, v5
	v_or3_b32 v2, v3, v5, v2
	v_cvt_i32_f32_e32 v5, v2
.LBB182_815:
	s_or_b64 exec, exec, s[36:37]
	s_mov_b64 s[36:37], 0
	s_branch .LBB182_821
.LBB182_816:
	s_mov_b64 s[36:37], -1
                                        ; implicit-def: $vgpr5
	s_branch .LBB182_827
.LBB182_817:
	s_andn2_saveexec_b64 s[38:39], s[38:39]
	s_cbranch_execz .LBB182_802
.LBB182_818:
	v_cmp_ne_u16_e32 vcc, 0, v2
	s_andn2_b64 s[40:41], s[40:41], exec
	s_and_b64 s[46:47], vcc, exec
	s_or_b64 s[40:41], s[40:41], s[46:47]
	s_or_b64 exec, exec, s[38:39]
	v_mov_b32_e32 v5, 0
	s_and_saveexec_b64 s[38:39], s[40:41]
	s_cbranch_execnz .LBB182_803
	s_branch .LBB182_804
.LBB182_819:
	s_mov_b64 s[36:37], -1
                                        ; implicit-def: $vgpr5
	s_branch .LBB182_824
.LBB182_820:
	s_mov_b64 s[36:37], -1
                                        ; implicit-def: $vgpr5
.LBB182_821:
	s_and_b64 vcc, exec, s[36:37]
	s_cbranch_vccz .LBB182_823
; %bb.822:
	global_load_ubyte v2, v[0:1], off
	s_mov_b32 s36, 0x7f800000
	s_waitcnt vmcnt(0)
	v_lshlrev_b32_e32 v2, 24, v2
	v_and_b32_e32 v3, 0x7f000000, v2
	v_ffbh_u32_e32 v5, v3
	v_min_u32_e32 v5, 32, v5
	v_sub_u32_e64 v5, v5, 4 clamp
	v_lshlrev_b32_e32 v7, v5, v3
	v_lshlrev_b32_e32 v5, 23, v5
	v_lshrrev_b32_e32 v7, 4, v7
	v_add_u32_e32 v6, 0x1000000, v3
	v_sub_u32_e32 v5, v7, v5
	v_ashrrev_i32_e32 v6, 8, v6
	v_add_u32_e32 v5, 0x3c000000, v5
	v_and_or_b32 v5, v6, s36, v5
	v_cmp_ne_u32_e32 vcc, 0, v3
	v_cndmask_b32_e32 v3, 0, v5, vcc
	s_brev_b32 s36, 1
	v_and_or_b32 v2, v2, s36, v3
	v_cvt_i32_f32_e32 v5, v2
.LBB182_823:
	s_mov_b64 s[36:37], 0
.LBB182_824:
	s_andn2_b64 vcc, exec, s[36:37]
	s_cbranch_vccnz .LBB182_826
; %bb.825:
	global_load_ubyte v2, v[0:1], off
	s_movk_i32 s36, 0x7f00
	s_brev_b32 s37, 16
	s_waitcnt vmcnt(0)
	v_lshlrev_b16_e32 v3, 8, v2
	v_lshlrev_b32_e32 v2, 25, v2
	v_lshrrev_b32_e32 v5, 4, v2
	v_and_or_b32 v6, v3, s36, 0.5
	v_or_b32_e32 v5, 0x70000000, v5
	v_add_f32_e32 v6, -0.5, v6
	v_mul_f32_e32 v5, 0x7800000, v5
	v_cmp_gt_u32_e32 vcc, s37, v2
	v_bfe_i32 v3, v3, 0, 16
	v_cndmask_b32_e32 v2, v5, v6, vcc
	s_brev_b32 s36, 1
	v_and_or_b32 v2, v3, s36, v2
	v_cvt_i32_f32_e32 v5, v2
.LBB182_826:
	s_mov_b64 s[36:37], 0
	s_mov_b64 s[38:39], -1
.LBB182_827:
	s_andn2_b64 vcc, exec, s[36:37]
	s_mov_b64 s[36:37], 0
	s_cbranch_vccnz .LBB182_838
; %bb.828:
	s_cmp_gt_i32 s42, 14
	s_cbranch_scc0 .LBB182_831
; %bb.829:
	s_cmp_eq_u32 s42, 15
	s_cbranch_scc0 .LBB182_834
; %bb.830:
	global_load_ushort v2, v[0:1], off
	s_mov_b64 s[34:35], 0
	s_mov_b64 s[38:39], -1
	s_waitcnt vmcnt(0)
	v_lshlrev_b32_e32 v2, 16, v2
	v_cvt_i32_f32_e32 v5, v2
	s_branch .LBB182_835
.LBB182_831:
	s_mov_b64 s[40:41], -1
                                        ; implicit-def: $vgpr5
	s_branch .LBB182_836
.LBB182_832:
	s_andn2_saveexec_b64 s[36:37], s[36:37]
	s_cbranch_execz .LBB182_813
.LBB182_833:
	v_cmp_ne_u16_e32 vcc, 0, v2
	s_andn2_b64 s[38:39], s[38:39], exec
	s_and_b64 s[40:41], vcc, exec
	s_or_b64 s[38:39], s[38:39], s[40:41]
	s_or_b64 exec, exec, s[36:37]
	v_mov_b32_e32 v5, 0
	s_and_saveexec_b64 s[36:37], s[38:39]
	s_cbranch_execnz .LBB182_814
	s_branch .LBB182_815
.LBB182_834:
	s_mov_b64 s[34:35], -1
                                        ; implicit-def: $vgpr5
.LBB182_835:
	s_mov_b64 s[40:41], 0
.LBB182_836:
	s_and_b64 vcc, exec, s[40:41]
	s_cbranch_vccz .LBB182_838
; %bb.837:
	s_cmp_lg_u32 s42, 11
	s_cselect_b64 s[40:41], -1, 0
	s_andn2_b64 s[34:35], s[34:35], exec
	s_and_b64 s[40:41], s[40:41], exec
	s_mov_b64 s[36:37], -1
	s_or_b64 s[34:35], s[34:35], s[40:41]
.LBB182_838:
	s_mov_b64 s[40:41], 0
.LBB182_839:
	s_and_b64 s[42:43], s[40:41], exec
	s_andn2_b64 s[40:41], s[0:1], exec
	s_and_b64 s[34:35], s[34:35], exec
	s_and_b64 s[38:39], s[38:39], exec
	;; [unrolled: 1-line block ×3, first 2 shown]
	s_or_b64 s[40:41], s[40:41], s[34:35]
.LBB182_840:
	s_or_b64 exec, exec, s[28:29]
	s_and_b64 s[34:35], s[36:37], exec
	s_andn2_b64 s[0:1], s[0:1], exec
	s_and_b64 s[36:37], s[40:41], exec
	s_and_b64 s[38:39], s[38:39], exec
	;; [unrolled: 1-line block ×3, first 2 shown]
	s_or_b64 s[0:1], s[0:1], s[36:37]
.LBB182_841:
	s_or_b64 exec, exec, s[26:27]
	s_andn2_b64 s[22:23], s[22:23], exec
	s_and_b64 s[26:27], s[30:31], exec
	s_andn2_b64 s[20:21], s[20:21], exec
	s_and_b64 s[0:1], s[0:1], exec
	s_or_b64 s[22:23], s[22:23], s[26:27]
	s_and_b64 s[30:31], s[38:39], exec
	s_and_b64 s[28:29], s[28:29], exec
	;; [unrolled: 1-line block ×3, first 2 shown]
	s_or_b64 s[20:21], s[20:21], s[0:1]
.LBB182_842:
	s_or_b64 exec, exec, s[24:25]
	s_andn2_b64 s[0:1], s[14:15], exec
	s_and_b64 s[14:15], s[22:23], exec
	s_andn2_b64 s[16:17], s[16:17], exec
	s_and_b64 s[20:21], s[20:21], exec
	s_or_b64 s[14:15], s[0:1], s[14:15]
	s_and_b64 s[0:1], s[30:31], exec
	s_and_b64 s[24:25], s[28:29], exec
	s_and_b64 s[22:23], s[26:27], exec
	s_or_b64 s[16:17], s[16:17], s[20:21]
	s_or_b64 exec, exec, s[18:19]
	s_mov_b64 s[18:19], 0
	s_and_saveexec_b64 s[20:21], s[16:17]
	s_cbranch_execz .LBB182_258
.LBB182_843:
	s_mov_b64 s[18:19], exec
	s_andn2_b64 s[22:23], s[22:23], exec
	s_trap 2
	s_or_b64 exec, exec, s[20:21]
	s_and_saveexec_b64 s[16:17], s[22:23]
	s_xor_b64 s[16:17], exec, s[16:17]
	s_cbranch_execnz .LBB182_259
.LBB182_844:
	s_or_b64 exec, exec, s[16:17]
	s_and_saveexec_b64 s[16:17], s[24:25]
	s_cbranch_execz .LBB182_890
.LBB182_845:
	s_sext_i32_i16 s20, s33
	s_cmp_lt_i32 s20, 5
	s_cbranch_scc1 .LBB182_850
; %bb.846:
	s_cmp_lt_i32 s20, 8
	s_cbranch_scc1 .LBB182_851
; %bb.847:
	;; [unrolled: 3-line block ×3, first 2 shown]
	s_cmp_gt_i32 s20, 9
	s_cbranch_scc0 .LBB182_853
; %bb.849:
	global_load_dwordx2 v[2:3], v[0:1], off
	s_mov_b64 s[20:21], 0
	s_waitcnt vmcnt(0)
	v_cvt_i32_f64_e32 v5, v[2:3]
	s_branch .LBB182_854
.LBB182_850:
                                        ; implicit-def: $vgpr5
	s_branch .LBB182_871
.LBB182_851:
                                        ; implicit-def: $vgpr5
	s_branch .LBB182_860
.LBB182_852:
	s_mov_b64 s[20:21], -1
                                        ; implicit-def: $vgpr5
	s_branch .LBB182_857
.LBB182_853:
	s_mov_b64 s[20:21], -1
                                        ; implicit-def: $vgpr5
.LBB182_854:
	s_andn2_b64 vcc, exec, s[20:21]
	s_cbranch_vccnz .LBB182_856
; %bb.855:
	global_load_dword v2, v[0:1], off
	s_waitcnt vmcnt(0)
	v_cvt_i32_f32_e32 v5, v2
.LBB182_856:
	s_mov_b64 s[20:21], 0
.LBB182_857:
	s_andn2_b64 vcc, exec, s[20:21]
	s_cbranch_vccnz .LBB182_859
; %bb.858:
	global_load_dword v2, v[0:1], off
	s_waitcnt vmcnt(0)
	v_cvt_f32_f16_e32 v2, v2
	v_cvt_i32_f32_e32 v5, v2
.LBB182_859:
	s_cbranch_execnz .LBB182_870
.LBB182_860:
	s_sext_i32_i16 s20, s33
	s_cmp_lt_i32 s20, 6
	s_cbranch_scc1 .LBB182_863
; %bb.861:
	s_cmp_gt_i32 s20, 6
	s_cbranch_scc0 .LBB182_864
; %bb.862:
	global_load_dwordx2 v[2:3], v[0:1], off
	s_mov_b64 s[20:21], 0
	s_waitcnt vmcnt(0)
	v_cvt_i32_f64_e32 v5, v[2:3]
	s_branch .LBB182_865
.LBB182_863:
	s_mov_b64 s[20:21], -1
                                        ; implicit-def: $vgpr5
	s_branch .LBB182_868
.LBB182_864:
	s_mov_b64 s[20:21], -1
                                        ; implicit-def: $vgpr5
.LBB182_865:
	s_andn2_b64 vcc, exec, s[20:21]
	s_cbranch_vccnz .LBB182_867
; %bb.866:
	global_load_dword v2, v[0:1], off
	s_waitcnt vmcnt(0)
	v_cvt_i32_f32_e32 v5, v2
.LBB182_867:
	s_mov_b64 s[20:21], 0
.LBB182_868:
	s_andn2_b64 vcc, exec, s[20:21]
	s_cbranch_vccnz .LBB182_870
; %bb.869:
	global_load_ushort v2, v[0:1], off
	s_waitcnt vmcnt(0)
	v_cvt_f32_f16_e32 v2, v2
	v_cvt_i32_f32_e32 v5, v2
.LBB182_870:
	s_cbranch_execnz .LBB182_889
.LBB182_871:
	s_sext_i32_i16 s20, s33
	s_cmp_lt_i32 s20, 2
	s_cbranch_scc1 .LBB182_875
; %bb.872:
	s_cmp_lt_i32 s20, 3
	s_cbranch_scc1 .LBB182_876
; %bb.873:
	s_cmp_gt_i32 s20, 3
	s_cbranch_scc0 .LBB182_877
; %bb.874:
	global_load_dword v5, v[0:1], off
	s_mov_b64 s[20:21], 0
	s_branch .LBB182_878
.LBB182_875:
                                        ; implicit-def: $vgpr5
	s_branch .LBB182_884
.LBB182_876:
	s_mov_b64 s[20:21], -1
                                        ; implicit-def: $vgpr5
	s_branch .LBB182_881
.LBB182_877:
	s_mov_b64 s[20:21], -1
                                        ; implicit-def: $vgpr5
.LBB182_878:
	s_andn2_b64 vcc, exec, s[20:21]
	s_cbranch_vccnz .LBB182_880
; %bb.879:
	global_load_dword v5, v[0:1], off
.LBB182_880:
	s_mov_b64 s[20:21], 0
.LBB182_881:
	s_andn2_b64 vcc, exec, s[20:21]
	s_cbranch_vccnz .LBB182_883
; %bb.882:
	global_load_sshort v5, v[0:1], off
.LBB182_883:
	s_cbranch_execnz .LBB182_889
.LBB182_884:
	s_sext_i32_i16 s20, s33
	s_cmp_gt_i32 s20, 0
	s_cbranch_scc0 .LBB182_886
; %bb.885:
	global_load_sbyte v5, v[0:1], off
	s_mov_b64 s[20:21], 0
	s_branch .LBB182_887
.LBB182_886:
	s_mov_b64 s[20:21], -1
                                        ; implicit-def: $vgpr5
.LBB182_887:
	s_andn2_b64 vcc, exec, s[20:21]
	s_cbranch_vccnz .LBB182_889
; %bb.888:
	global_load_ubyte v5, v[0:1], off
.LBB182_889:
	s_or_b64 s[0:1], s[0:1], exec
.LBB182_890:
	s_or_b64 exec, exec, s[16:17]
	s_mov_b64 s[22:23], 0
	s_mov_b64 s[20:21], 0
                                        ; implicit-def: $sgpr28
                                        ; implicit-def: $vgpr2_vgpr3
                                        ; implicit-def: $vgpr0
	s_and_saveexec_b64 s[16:17], s[0:1]
	s_cbranch_execz .LBB182_898
; %bb.891:
	v_mul_lo_u32 v1, v4, s2
	v_mov_b32_e32 v3, s9
	s_and_b32 s28, s13, 0xff
	s_waitcnt vmcnt(0)
	v_ashrrev_i32_e32 v0, s44, v5
	v_ashrrev_i32_e32 v4, 31, v1
	v_add_co_u32_e32 v2, vcc, s8, v1
	s_cmp_lt_i32 s28, 11
	v_addc_co_u32_e32 v3, vcc, v3, v4, vcc
	s_cbranch_scc1 .LBB182_901
; %bb.892:
	s_and_b32 s29, 0xffff, s28
	s_mov_b64 s[22:23], -1
	s_cmp_gt_i32 s29, 25
	s_mov_b64 s[0:1], s[14:15]
	s_cbranch_scc0 .LBB182_929
; %bb.893:
	s_mov_b64 s[20:21], -1
	s_cmp_gt_i32 s29, 28
	s_mov_b64 s[0:1], s[14:15]
	s_cbranch_scc0 .LBB182_913
; %bb.894:
	s_cmp_gt_i32 s29, 43
	s_mov_b64 s[0:1], s[14:15]
	s_cbranch_scc0 .LBB182_909
; %bb.895:
	;; [unrolled: 4-line block ×3, first 2 shown]
	s_cmp_eq_u32 s29, 46
	s_mov_b64 s[0:1], -1
	s_cbranch_scc0 .LBB182_902
; %bb.897:
	v_cvt_f32_i32_e32 v1, v0
	s_movk_i32 s0, 0x7fff
	s_mov_b64 s[20:21], 0
	v_bfe_u32 v4, v1, 16, 1
	v_add3_u32 v1, v1, v4, s0
	v_lshrrev_b32_e32 v1, 16, v1
	global_store_dword v[2:3], v1, off
	s_mov_b64 s[0:1], 0
	s_branch .LBB182_903
.LBB182_898:
	s_or_b64 exec, exec, s[16:17]
	s_and_saveexec_b64 s[0:1], s[14:15]
	s_cbranch_execnz .LBB182_971
.LBB182_899:
	s_or_b64 exec, exec, s[0:1]
	s_and_saveexec_b64 s[0:1], s[22:23]
	s_xor_b64 s[0:1], exec, s[0:1]
	s_cbranch_execz .LBB182_972
.LBB182_900:
	v_cmp_ne_u32_e32 vcc, 0, v0
	v_cndmask_b32_e64 v1, 0, 1, vcc
	s_waitcnt vmcnt(0)
	global_store_byte v[2:3], v1, off
	s_or_b64 exec, exec, s[0:1]
	s_and_saveexec_b64 s[0:1], s[20:21]
	s_xor_b64 s[0:1], exec, s[0:1]
	s_cbranch_execz .LBB182_1010
	s_branch .LBB182_973
.LBB182_901:
	s_mov_b64 s[20:21], -1
	s_mov_b64 s[0:1], s[14:15]
	s_branch .LBB182_970
.LBB182_902:
	s_mov_b64 s[20:21], 0
.LBB182_903:
	s_and_b64 vcc, exec, s[20:21]
	s_cbranch_vccz .LBB182_908
; %bb.904:
	s_cmp_eq_u32 s29, 44
	s_mov_b64 s[0:1], -1
	s_cbranch_scc0 .LBB182_908
; %bb.905:
	v_cvt_f32_i32_e32 v1, v0
	s_movk_i32 s0, 0xff
	v_mov_b32_e32 v5, 0xff
	v_bfe_u32 v4, v1, 23, 8
	v_cmp_ne_u32_e32 vcc, s0, v4
	s_and_saveexec_b64 s[20:21], vcc
; %bb.906:
	s_mov_b32 s0, 0x3fffff
	v_lshrrev_b32_e32 v5, 23, v1
	v_and_b32_e32 v6, 0x400000, v1
	v_and_or_b32 v1, v1, s0, v4
	v_cmp_ne_u32_e32 vcc, 0, v6
	v_cmp_ne_u32_e64 s[0:1], 0, v1
	s_and_b64 s[0:1], vcc, s[0:1]
	v_cndmask_b32_e64 v1, 0, 1, s[0:1]
	v_add_u32_e32 v5, v5, v1
; %bb.907:
	s_or_b64 exec, exec, s[20:21]
	s_mov_b64 s[0:1], 0
	global_store_byte v[2:3], v5, off
.LBB182_908:
	s_mov_b64 s[20:21], 0
.LBB182_909:
	s_and_b64 vcc, exec, s[20:21]
	s_cbranch_vccz .LBB182_912
; %bb.910:
	s_cmp_eq_u32 s29, 29
	s_mov_b64 s[0:1], -1
	s_cbranch_scc0 .LBB182_912
; %bb.911:
	v_ashrrev_i32_e32 v1, 31, v0
	global_store_dwordx2 v[2:3], v[0:1], off
	s_mov_b64 s[0:1], 0
.LBB182_912:
	s_mov_b64 s[20:21], 0
.LBB182_913:
	s_and_b64 vcc, exec, s[20:21]
	s_cbranch_vccz .LBB182_928
; %bb.914:
	s_cmp_lt_i32 s29, 27
	s_mov_b64 s[20:21], -1
	s_cbranch_scc1 .LBB182_920
; %bb.915:
	s_cmp_gt_i32 s29, 27
	s_cbranch_scc0 .LBB182_917
; %bb.916:
	s_mov_b64 s[20:21], 0
	global_store_dword v[2:3], v0, off
.LBB182_917:
	s_andn2_b64 vcc, exec, s[20:21]
	s_cbranch_vccnz .LBB182_919
; %bb.918:
	global_store_short v[2:3], v0, off
.LBB182_919:
	s_mov_b64 s[20:21], 0
.LBB182_920:
	s_andn2_b64 vcc, exec, s[20:21]
	s_cbranch_vccnz .LBB182_928
; %bb.921:
	v_cvt_f32_i32_e32 v1, v0
	s_mov_b32 s20, 0x43800000
	v_mov_b32_e32 v5, 0x80
	v_and_b32_e32 v4, 0x7fffffff, v1
	v_cmp_gt_u32_e32 vcc, s20, v4
	s_and_saveexec_b64 s[20:21], vcc
	s_cbranch_execz .LBB182_927
; %bb.922:
	s_mov_b32 s22, 0x3bffffff
	v_cmp_lt_u32_e32 vcc, s22, v4
	s_mov_b64 s[22:23], 0
                                        ; implicit-def: $vgpr4
	s_and_saveexec_b64 s[24:25], vcc
	s_xor_b64 s[24:25], exec, s[24:25]
	s_cbranch_execz .LBB182_1025
; %bb.923:
	v_bfe_u32 v4, v1, 20, 1
	s_mov_b32 s26, 0x487ffff
	v_add3_u32 v4, v1, v4, s26
	s_mov_b64 s[22:23], exec
	v_lshrrev_b32_e32 v4, 20, v4
	s_andn2_saveexec_b64 s[24:25], s[24:25]
	s_cbranch_execnz .LBB182_1026
.LBB182_924:
	s_or_b64 exec, exec, s[24:25]
	v_mov_b32_e32 v5, 0
	s_and_saveexec_b64 s[24:25], s[22:23]
.LBB182_925:
	v_lshrrev_b32_e32 v1, 24, v1
	s_movk_i32 s22, 0x80
	v_and_or_b32 v5, v1, s22, v4
.LBB182_926:
	s_or_b64 exec, exec, s[24:25]
.LBB182_927:
	s_or_b64 exec, exec, s[20:21]
	global_store_byte v[2:3], v5, off
.LBB182_928:
	s_mov_b64 s[22:23], 0
.LBB182_929:
	s_mov_b64 s[20:21], 0
	s_and_b64 vcc, exec, s[22:23]
	s_cbranch_vccz .LBB182_969
; %bb.930:
	s_cmp_gt_i32 s29, 22
	s_mov_b64 s[22:23], -1
	s_cbranch_scc0 .LBB182_962
; %bb.931:
	s_cmp_lt_i32 s29, 24
	s_cbranch_scc1 .LBB182_951
; %bb.932:
	s_cmp_gt_i32 s29, 24
	s_cbranch_scc0 .LBB182_940
; %bb.933:
	v_cvt_f32_i32_e32 v1, v0
	s_mov_b32 s22, 0x47800000
	v_mov_b32_e32 v5, 0x80
	v_and_b32_e32 v4, 0x7fffffff, v1
	v_cmp_gt_u32_e32 vcc, s22, v4
	s_and_saveexec_b64 s[22:23], vcc
	s_cbranch_execz .LBB182_939
; %bb.934:
	s_mov_b32 s24, 0x37ffffff
	v_cmp_lt_u32_e32 vcc, s24, v4
	s_mov_b64 s[24:25], 0
                                        ; implicit-def: $vgpr4
	s_and_saveexec_b64 s[26:27], vcc
	s_xor_b64 s[26:27], exec, s[26:27]
	s_cbranch_execz .LBB182_1145
; %bb.935:
	v_bfe_u32 v4, v1, 21, 1
	s_mov_b32 s30, 0x88fffff
	v_add3_u32 v4, v1, v4, s30
	s_mov_b64 s[24:25], exec
	v_lshrrev_b32_e32 v4, 21, v4
	s_andn2_saveexec_b64 s[26:27], s[26:27]
	s_cbranch_execnz .LBB182_1146
.LBB182_936:
	s_or_b64 exec, exec, s[26:27]
	v_mov_b32_e32 v5, 0
	s_and_saveexec_b64 s[26:27], s[24:25]
.LBB182_937:
	v_lshrrev_b32_e32 v1, 24, v1
	s_movk_i32 s24, 0x80
	v_and_or_b32 v5, v1, s24, v4
.LBB182_938:
	s_or_b64 exec, exec, s[26:27]
.LBB182_939:
	s_or_b64 exec, exec, s[22:23]
	s_mov_b64 s[22:23], 0
	global_store_byte v[2:3], v5, off
.LBB182_940:
	s_and_b64 vcc, exec, s[22:23]
	s_cbranch_vccz .LBB182_950
; %bb.941:
	v_cvt_f32_i32_e32 v1, v0
	s_mov_b32 s22, 0x43f00000
                                        ; implicit-def: $vgpr4
	v_and_b32_e32 v5, 0x7fffffff, v1
	v_cmp_gt_u32_e32 vcc, s22, v5
	s_and_saveexec_b64 s[22:23], vcc
	s_xor_b64 s[22:23], exec, s[22:23]
	s_cbranch_execz .LBB182_947
; %bb.942:
	s_mov_b32 s24, 0x3c7fffff
	v_cmp_lt_u32_e32 vcc, s24, v5
                                        ; implicit-def: $vgpr4
	s_and_saveexec_b64 s[24:25], vcc
	s_xor_b64 s[24:25], exec, s[24:25]
; %bb.943:
	v_bfe_u32 v4, v1, 20, 1
	s_mov_b32 s26, 0x407ffff
	v_add3_u32 v4, v1, v4, s26
	v_lshrrev_b32_e32 v5, 20, v4
	v_and_b32_e32 v4, 0xff00000, v4
	s_mov_b32 s26, 0x7f00000
	v_mov_b32_e32 v6, 0x7e
	v_cmp_ne_u32_e32 vcc, s26, v4
	v_cndmask_b32_e32 v4, v6, v5, vcc
; %bb.944:
	s_andn2_saveexec_b64 s[24:25], s[24:25]
; %bb.945:
	s_mov_b32 s26, 0x46800000
	v_add_f32_e64 v4, |v1|, s26
; %bb.946:
	s_or_b64 exec, exec, s[24:25]
                                        ; implicit-def: $vgpr5
.LBB182_947:
	s_andn2_saveexec_b64 s[22:23], s[22:23]
; %bb.948:
	s_mov_b32 s24, 0x7f800000
	v_mov_b32_e32 v4, 0x7e
	v_mov_b32_e32 v6, 0x7f
	v_cmp_lt_u32_e32 vcc, s24, v5
	v_cndmask_b32_e32 v4, v4, v6, vcc
; %bb.949:
	s_or_b64 exec, exec, s[22:23]
	v_lshrrev_b32_e32 v1, 24, v1
	s_movk_i32 s22, 0x80
	v_and_or_b32 v1, v1, s22, v4
	global_store_byte v[2:3], v1, off
.LBB182_950:
	s_mov_b64 s[22:23], 0
.LBB182_951:
	s_andn2_b64 vcc, exec, s[22:23]
	s_cbranch_vccnz .LBB182_961
; %bb.952:
	v_cvt_f32_i32_e32 v1, v0
	s_mov_b32 s22, 0x47800000
                                        ; implicit-def: $vgpr4
	v_and_b32_e32 v5, 0x7fffffff, v1
	v_cmp_gt_u32_e32 vcc, s22, v5
	s_and_saveexec_b64 s[22:23], vcc
	s_xor_b64 s[22:23], exec, s[22:23]
	s_cbranch_execz .LBB182_958
; %bb.953:
	s_mov_b32 s24, 0x387fffff
	v_cmp_lt_u32_e32 vcc, s24, v5
                                        ; implicit-def: $vgpr4
	s_and_saveexec_b64 s[24:25], vcc
	s_xor_b64 s[24:25], exec, s[24:25]
; %bb.954:
	v_bfe_u32 v4, v1, 21, 1
	s_mov_b32 s26, 0x80fffff
	v_add3_u32 v4, v1, v4, s26
	v_lshrrev_b32_e32 v4, 21, v4
; %bb.955:
	s_andn2_saveexec_b64 s[24:25], s[24:25]
; %bb.956:
	s_mov_b32 s26, 0x43000000
	v_add_f32_e64 v4, |v1|, s26
; %bb.957:
	s_or_b64 exec, exec, s[24:25]
                                        ; implicit-def: $vgpr5
.LBB182_958:
	s_andn2_saveexec_b64 s[22:23], s[22:23]
; %bb.959:
	s_mov_b32 s24, 0x7f800000
	v_mov_b32_e32 v4, 0x7c
	v_mov_b32_e32 v6, 0x7f
	v_cmp_lt_u32_e32 vcc, s24, v5
	v_cndmask_b32_e32 v4, v4, v6, vcc
; %bb.960:
	s_or_b64 exec, exec, s[22:23]
	v_lshrrev_b32_e32 v1, 24, v1
	s_movk_i32 s22, 0x80
	v_and_or_b32 v1, v1, s22, v4
	global_store_byte v[2:3], v1, off
.LBB182_961:
	s_mov_b64 s[22:23], 0
.LBB182_962:
	s_andn2_b64 vcc, exec, s[22:23]
	s_mov_b64 s[22:23], 0
	s_cbranch_vccnz .LBB182_970
; %bb.963:
	s_cmp_gt_i32 s29, 14
	s_mov_b64 s[24:25], -1
	s_cbranch_scc0 .LBB182_967
; %bb.964:
	s_cmp_eq_u32 s29, 15
	s_mov_b64 s[0:1], -1
	s_cbranch_scc0 .LBB182_966
; %bb.965:
	v_cvt_f32_i32_e32 v1, v0
	s_movk_i32 s0, 0x7fff
	v_bfe_u32 v4, v1, 16, 1
	v_add3_u32 v1, v1, v4, s0
	global_store_short_d16_hi v[2:3], v1, off
	s_mov_b64 s[0:1], 0
.LBB182_966:
	s_mov_b64 s[24:25], 0
.LBB182_967:
	s_and_b64 vcc, exec, s[24:25]
	s_cbranch_vccz .LBB182_970
; %bb.968:
	s_cmp_lg_u32 s29, 11
	s_cselect_b64 s[24:25], -1, 0
	s_andn2_b64 s[0:1], s[0:1], exec
	s_and_b64 s[24:25], s[24:25], exec
	s_mov_b64 s[22:23], -1
	s_or_b64 s[0:1], s[0:1], s[24:25]
	s_branch .LBB182_970
.LBB182_969:
	s_mov_b64 s[22:23], 0
.LBB182_970:
	s_andn2_b64 s[14:15], s[14:15], exec
	s_and_b64 s[0:1], s[0:1], exec
	s_and_b64 s[20:21], s[20:21], exec
	;; [unrolled: 1-line block ×3, first 2 shown]
	s_or_b64 s[14:15], s[14:15], s[0:1]
	s_or_b64 exec, exec, s[16:17]
	s_and_saveexec_b64 s[0:1], s[14:15]
	s_cbranch_execz .LBB182_899
.LBB182_971:
	s_or_b64 s[18:19], s[18:19], exec
	s_andn2_b64 s[22:23], s[22:23], exec
	s_trap 2
	s_or_b64 exec, exec, s[0:1]
	s_and_saveexec_b64 s[0:1], s[22:23]
	s_xor_b64 s[0:1], exec, s[0:1]
	s_cbranch_execnz .LBB182_900
.LBB182_972:
	s_or_b64 exec, exec, s[0:1]
	s_and_saveexec_b64 s[0:1], s[20:21]
	s_xor_b64 s[0:1], exec, s[0:1]
	s_cbranch_execz .LBB182_1010
.LBB182_973:
	s_sext_i32_i16 s16, s28
	s_cmp_lt_i32 s16, 5
	s_mov_b64 s[14:15], -1
	s_cbranch_scc1 .LBB182_994
; %bb.974:
	s_cmp_lt_i32 s16, 8
	s_cbranch_scc1 .LBB182_984
; %bb.975:
	s_cmp_lt_i32 s16, 9
	s_cbranch_scc1 .LBB182_981
; %bb.976:
	s_cmp_gt_i32 s16, 9
	s_cbranch_scc0 .LBB182_978
; %bb.977:
	s_waitcnt vmcnt(0)
	v_cvt_f64_i32_e32 v[4:5], v0
	v_mov_b32_e32 v6, 0
	v_mov_b32_e32 v7, v6
	s_mov_b64 s[14:15], 0
	global_store_dwordx4 v[2:3], v[4:7], off
.LBB182_978:
	s_andn2_b64 vcc, exec, s[14:15]
	s_cbranch_vccnz .LBB182_980
; %bb.979:
	v_cvt_f32_i32_e32 v4, v0
	s_waitcnt vmcnt(0)
	v_mov_b32_e32 v5, 0
	global_store_dwordx2 v[2:3], v[4:5], off
.LBB182_980:
	s_mov_b64 s[14:15], 0
.LBB182_981:
	s_andn2_b64 vcc, exec, s[14:15]
	s_cbranch_vccnz .LBB182_983
; %bb.982:
	v_cvt_f32_i32_e32 v1, v0
	v_cvt_f16_f32_e32 v1, v1
	s_waitcnt vmcnt(0)
	global_store_dword v[2:3], v1, off
.LBB182_983:
	s_mov_b64 s[14:15], 0
.LBB182_984:
	s_andn2_b64 vcc, exec, s[14:15]
	s_cbranch_vccnz .LBB182_993
; %bb.985:
	s_sext_i32_i16 s16, s28
	s_cmp_lt_i32 s16, 6
	s_mov_b64 s[14:15], -1
	s_cbranch_scc1 .LBB182_991
; %bb.986:
	s_cmp_gt_i32 s16, 6
	s_cbranch_scc0 .LBB182_988
; %bb.987:
	s_waitcnt vmcnt(0)
	v_cvt_f64_i32_e32 v[4:5], v0
	s_mov_b64 s[14:15], 0
	global_store_dwordx2 v[2:3], v[4:5], off
.LBB182_988:
	s_andn2_b64 vcc, exec, s[14:15]
	s_cbranch_vccnz .LBB182_990
; %bb.989:
	v_cvt_f32_i32_e32 v1, v0
	s_waitcnt vmcnt(0)
	global_store_dword v[2:3], v1, off
.LBB182_990:
	s_mov_b64 s[14:15], 0
.LBB182_991:
	s_andn2_b64 vcc, exec, s[14:15]
	s_cbranch_vccnz .LBB182_993
; %bb.992:
	v_cvt_f32_i32_e32 v1, v0
	v_cvt_f16_f32_e32 v1, v1
	s_waitcnt vmcnt(0)
	global_store_short v[2:3], v1, off
.LBB182_993:
	s_mov_b64 s[14:15], 0
.LBB182_994:
	s_andn2_b64 vcc, exec, s[14:15]
	s_cbranch_vccnz .LBB182_1010
; %bb.995:
	s_sext_i32_i16 s16, s28
	s_cmp_lt_i32 s16, 2
	s_mov_b64 s[14:15], -1
	s_cbranch_scc1 .LBB182_1005
; %bb.996:
	s_cmp_lt_i32 s16, 3
	s_cbranch_scc1 .LBB182_1002
; %bb.997:
	s_cmp_gt_i32 s16, 3
	s_cbranch_scc0 .LBB182_999
; %bb.998:
	v_ashrrev_i32_e32 v1, 31, v0
	s_mov_b64 s[14:15], 0
	s_waitcnt vmcnt(0)
	global_store_dwordx2 v[2:3], v[0:1], off
.LBB182_999:
	s_andn2_b64 vcc, exec, s[14:15]
	s_cbranch_vccnz .LBB182_1001
; %bb.1000:
	s_waitcnt vmcnt(0)
	global_store_dword v[2:3], v0, off
.LBB182_1001:
	s_mov_b64 s[14:15], 0
.LBB182_1002:
	s_andn2_b64 vcc, exec, s[14:15]
	s_cbranch_vccnz .LBB182_1004
; %bb.1003:
	s_waitcnt vmcnt(0)
	global_store_short v[2:3], v0, off
.LBB182_1004:
	s_mov_b64 s[14:15], 0
.LBB182_1005:
	s_andn2_b64 vcc, exec, s[14:15]
	s_cbranch_vccnz .LBB182_1010
; %bb.1006:
	s_sext_i32_i16 s14, s28
	s_cmp_gt_i32 s14, 0
	s_mov_b64 s[14:15], -1
	s_cbranch_scc0 .LBB182_1008
; %bb.1007:
	s_mov_b64 s[14:15], 0
	s_waitcnt vmcnt(0)
	global_store_byte v[2:3], v0, off
.LBB182_1008:
	s_andn2_b64 vcc, exec, s[14:15]
	s_cbranch_vccnz .LBB182_1010
; %bb.1009:
	s_waitcnt vmcnt(0)
	global_store_byte v[2:3], v0, off
.LBB182_1010:
	s_or_b64 exec, exec, s[0:1]
	s_and_b64 s[14:15], s[18:19], exec
                                        ; implicit-def: $vgpr4
.LBB182_1011:
	s_or_saveexec_b64 s[6:7], s[6:7]
	s_mov_b64 s[0:1], 0
                                        ; implicit-def: $sgpr20
                                        ; implicit-def: $vgpr2_vgpr3
                                        ; implicit-def: $vgpr0
	s_xor_b64 exec, exec, s[6:7]
	s_cbranch_execz .LBB182_1942
; %bb.1012:
	v_mul_lo_u32 v3, s3, v4
	v_mov_b32_e32 v1, s11
	s_and_b32 s22, 0xffff, s33
	s_cmp_lt_i32 s22, 11
	s_waitcnt vmcnt(0)
	v_ashrrev_i32_e32 v2, 31, v3
	v_add_co_u32_e32 v0, vcc, s10, v3
	v_addc_co_u32_e32 v1, vcc, v1, v2, vcc
	s_cbranch_scc1 .LBB182_1019
; %bb.1013:
	s_cmp_gt_i32 s22, 25
	s_cbranch_scc0 .LBB182_1021
; %bb.1014:
	s_cmp_gt_i32 s22, 28
	s_cbranch_scc0 .LBB182_1022
; %bb.1015:
	s_cmp_gt_i32 s22, 43
	s_cbranch_scc0 .LBB182_1023
; %bb.1016:
	s_cmp_gt_i32 s22, 45
	s_cbranch_scc0 .LBB182_1024
; %bb.1017:
	s_cmp_eq_u32 s22, 46
	s_mov_b64 s[16:17], 0
	s_cbranch_scc0 .LBB182_1027
; %bb.1018:
	global_load_dword v2, v[0:1], off
	s_mov_b64 s[18:19], -1
	s_waitcnt vmcnt(0)
	v_lshlrev_b32_e32 v2, 16, v2
	v_cvt_i32_f32_e32 v2, v2
	s_branch .LBB182_1028
.LBB182_1019:
	s_mov_b64 s[18:19], 0
                                        ; implicit-def: $vgpr2
	s_mov_b64 s[16:17], s[14:15]
	s_cbranch_execnz .LBB182_1086
.LBB182_1020:
	s_andn2_b64 vcc, exec, s[18:19]
	s_cbranch_vccz .LBB182_1131
	s_branch .LBB182_1940
.LBB182_1021:
	s_mov_b64 s[18:19], 0
                                        ; implicit-def: $vgpr2
	s_cbranch_execnz .LBB182_1053
	s_branch .LBB182_1082
.LBB182_1022:
	s_mov_b64 s[18:19], 0
                                        ; implicit-def: $vgpr2
	s_cbranch_execz .LBB182_1052
	s_branch .LBB182_1037
.LBB182_1023:
	s_mov_b64 s[18:19], 0
                                        ; implicit-def: $vgpr2
	s_cbranch_execnz .LBB182_1033
	s_branch .LBB182_1036
.LBB182_1024:
	s_mov_b64 s[16:17], -1
	s_mov_b64 s[18:19], 0
                                        ; implicit-def: $vgpr2
	s_branch .LBB182_1028
.LBB182_1025:
	s_andn2_saveexec_b64 s[24:25], s[24:25]
	s_cbranch_execz .LBB182_924
.LBB182_1026:
	s_mov_b32 s26, 0x46000000
	v_add_f32_e64 v4, |v1|, s26
	v_and_b32_e32 v4, 0xff, v4
	v_cmp_ne_u32_e32 vcc, 0, v4
	s_andn2_b64 s[22:23], s[22:23], exec
	s_and_b64 s[26:27], vcc, exec
	s_or_b64 s[22:23], s[22:23], s[26:27]
	s_or_b64 exec, exec, s[24:25]
	v_mov_b32_e32 v5, 0
	s_and_saveexec_b64 s[24:25], s[22:23]
	s_cbranch_execnz .LBB182_925
	s_branch .LBB182_926
.LBB182_1027:
	s_mov_b64 s[0:1], -1
                                        ; implicit-def: $vgpr2
	s_mov_b64 s[18:19], 0
.LBB182_1028:
	s_and_b64 vcc, exec, s[16:17]
	s_cbranch_vccz .LBB182_1031
; %bb.1029:
	s_cmp_eq_u32 s22, 44
	s_cbranch_scc0 .LBB182_1032
; %bb.1030:
	global_load_ubyte v2, v[0:1], off
	s_mov_b64 s[0:1], 0
	s_mov_b64 s[18:19], -1
	s_waitcnt vmcnt(0)
	v_lshlrev_b32_e32 v5, 23, v2
	v_cvt_i32_f32_e32 v5, v5
	v_cmp_ne_u32_e32 vcc, 0, v2
	v_cndmask_b32_e32 v2, 0, v5, vcc
.LBB182_1031:
	s_branch .LBB182_1036
.LBB182_1032:
	s_mov_b64 s[0:1], -1
                                        ; implicit-def: $vgpr2
	s_branch .LBB182_1036
.LBB182_1033:
	s_cmp_eq_u32 s22, 29
	s_cbranch_scc0 .LBB182_1035
; %bb.1034:
	global_load_dword v2, v[0:1], off
	s_mov_b64 s[0:1], 0
	s_mov_b64 s[18:19], -1
	s_branch .LBB182_1036
.LBB182_1035:
	s_mov_b64 s[0:1], -1
                                        ; implicit-def: $vgpr2
.LBB182_1036:
	s_branch .LBB182_1052
.LBB182_1037:
	s_cmp_lt_i32 s22, 27
	s_cbranch_scc1 .LBB182_1040
; %bb.1038:
	s_cmp_gt_i32 s22, 27
	s_cbranch_scc0 .LBB182_1041
; %bb.1039:
	global_load_dword v2, v[0:1], off
	s_mov_b64 s[16:17], 0
	s_branch .LBB182_1042
.LBB182_1040:
	s_mov_b64 s[16:17], -1
                                        ; implicit-def: $vgpr2
	s_branch .LBB182_1045
.LBB182_1041:
	s_mov_b64 s[16:17], -1
                                        ; implicit-def: $vgpr2
.LBB182_1042:
	s_andn2_b64 vcc, exec, s[16:17]
	s_cbranch_vccnz .LBB182_1044
; %bb.1043:
	global_load_ushort v2, v[0:1], off
.LBB182_1044:
	s_mov_b64 s[16:17], 0
.LBB182_1045:
	s_andn2_b64 vcc, exec, s[16:17]
	s_cbranch_vccnz .LBB182_1051
; %bb.1046:
	global_load_ubyte v5, v[0:1], off
	s_movk_i32 s16, 0x7f
	s_mov_b64 s[18:19], 0
	s_waitcnt vmcnt(0)
	v_cmp_lt_i16_e32 vcc, s16, v5
	s_and_saveexec_b64 s[16:17], vcc
	s_xor_b64 s[16:17], exec, s[16:17]
	s_cbranch_execz .LBB182_1062
; %bb.1047:
	s_movk_i32 s18, 0x80
	v_cmp_ne_u16_e32 vcc, s18, v5
	s_and_b64 s[18:19], vcc, exec
	s_andn2_saveexec_b64 s[16:17], s[16:17]
	s_cbranch_execnz .LBB182_1063
.LBB182_1048:
	s_or_b64 exec, exec, s[16:17]
	v_mov_b32_e32 v2, 0
	s_and_saveexec_b64 s[16:17], s[18:19]
	s_cbranch_execz .LBB182_1050
.LBB182_1049:
	v_lshlrev_b32_e32 v2, 24, v5
	v_and_b32_e32 v5, 0xffff, v5
	v_and_b32_e32 v6, 7, v5
	v_ffbh_u32_e32 v8, v6
	v_min_u32_e32 v8, 32, v8
	v_subrev_u32_e32 v9, 28, v8
	v_bfe_u32 v7, v5, 3, 4
	v_lshlrev_b32_e32 v5, v9, v5
	v_sub_u32_e32 v8, 29, v8
	v_and_b32_e32 v5, 7, v5
	v_cmp_eq_u32_e32 vcc, 0, v7
	v_cndmask_b32_e32 v7, v7, v8, vcc
	v_cndmask_b32_e32 v5, v6, v5, vcc
	v_mov_b32_e32 v6, 0x3b800000
	v_lshlrev_b32_e32 v5, 20, v5
	v_and_b32_e32 v2, 0x80000000, v2
	v_lshl_add_u32 v6, v7, 23, v6
	v_or3_b32 v2, v2, v6, v5
	v_cvt_i32_f32_e32 v2, v2
.LBB182_1050:
	s_or_b64 exec, exec, s[16:17]
.LBB182_1051:
	s_mov_b64 s[18:19], -1
.LBB182_1052:
	s_branch .LBB182_1082
.LBB182_1053:
	s_cmp_gt_i32 s22, 22
	s_cbranch_scc0 .LBB182_1061
; %bb.1054:
	s_cmp_lt_i32 s22, 24
	s_cbranch_scc1 .LBB182_1064
; %bb.1055:
	s_cmp_gt_i32 s22, 24
	s_cbranch_scc0 .LBB182_1065
; %bb.1056:
	global_load_ubyte v5, v[0:1], off
	s_movk_i32 s4, 0x7f
	s_mov_b64 s[16:17], 0
	s_waitcnt vmcnt(0)
	v_cmp_lt_i16_e32 vcc, s4, v5
	s_and_saveexec_b64 s[4:5], vcc
	s_xor_b64 s[4:5], exec, s[4:5]
	s_cbranch_execz .LBB182_1076
; %bb.1057:
	s_movk_i32 s16, 0x80
	v_cmp_ne_u16_e32 vcc, s16, v5
	s_and_b64 s[16:17], vcc, exec
	s_andn2_saveexec_b64 s[4:5], s[4:5]
	s_cbranch_execnz .LBB182_1077
.LBB182_1058:
	s_or_b64 exec, exec, s[4:5]
	v_mov_b32_e32 v2, 0
	s_and_saveexec_b64 s[4:5], s[16:17]
	s_cbranch_execz .LBB182_1060
.LBB182_1059:
	v_lshlrev_b32_e32 v2, 24, v5
	v_and_b32_e32 v5, 0xffff, v5
	v_and_b32_e32 v6, 3, v5
	v_ffbh_u32_e32 v8, v6
	v_min_u32_e32 v8, 32, v8
	v_subrev_u32_e32 v9, 29, v8
	v_bfe_u32 v7, v5, 2, 5
	v_lshlrev_b32_e32 v5, v9, v5
	v_sub_u32_e32 v8, 30, v8
	v_and_b32_e32 v5, 3, v5
	v_cmp_eq_u32_e32 vcc, 0, v7
	v_cndmask_b32_e32 v7, v7, v8, vcc
	v_cndmask_b32_e32 v5, v6, v5, vcc
	v_mov_b32_e32 v6, 0x37800000
	v_lshlrev_b32_e32 v5, 21, v5
	v_and_b32_e32 v2, 0x80000000, v2
	v_lshl_add_u32 v6, v7, 23, v6
	v_or3_b32 v2, v2, v6, v5
	v_cvt_i32_f32_e32 v2, v2
.LBB182_1060:
	s_or_b64 exec, exec, s[4:5]
	s_mov_b64 s[4:5], 0
	s_branch .LBB182_1066
.LBB182_1061:
                                        ; implicit-def: $vgpr2
	s_mov_b64 s[4:5], 0
	s_branch .LBB182_1072
.LBB182_1062:
	s_andn2_saveexec_b64 s[16:17], s[16:17]
	s_cbranch_execz .LBB182_1048
.LBB182_1063:
	v_cmp_ne_u16_e32 vcc, 0, v5
	s_andn2_b64 s[18:19], s[18:19], exec
	s_and_b64 s[20:21], vcc, exec
	s_or_b64 s[18:19], s[18:19], s[20:21]
	s_or_b64 exec, exec, s[16:17]
	v_mov_b32_e32 v2, 0
	s_and_saveexec_b64 s[16:17], s[18:19]
	s_cbranch_execnz .LBB182_1049
	s_branch .LBB182_1050
.LBB182_1064:
	s_mov_b64 s[4:5], -1
                                        ; implicit-def: $vgpr2
	s_branch .LBB182_1069
.LBB182_1065:
	s_mov_b64 s[4:5], -1
                                        ; implicit-def: $vgpr2
.LBB182_1066:
	s_and_b64 vcc, exec, s[4:5]
	s_cbranch_vccz .LBB182_1068
; %bb.1067:
	global_load_ubyte v2, v[0:1], off
	s_mov_b32 s4, 0x7f800000
	s_waitcnt vmcnt(0)
	v_lshlrev_b32_e32 v2, 24, v2
	v_and_b32_e32 v5, 0x7f000000, v2
	v_ffbh_u32_e32 v6, v5
	v_min_u32_e32 v6, 32, v6
	v_sub_u32_e64 v6, v6, 4 clamp
	v_lshlrev_b32_e32 v8, v6, v5
	v_lshlrev_b32_e32 v6, 23, v6
	v_lshrrev_b32_e32 v8, 4, v8
	v_add_u32_e32 v7, 0x1000000, v5
	v_sub_u32_e32 v6, v8, v6
	v_ashrrev_i32_e32 v7, 8, v7
	v_add_u32_e32 v6, 0x3c000000, v6
	v_and_or_b32 v6, v7, s4, v6
	v_cmp_ne_u32_e32 vcc, 0, v5
	v_cndmask_b32_e32 v5, 0, v6, vcc
	s_brev_b32 s4, 1
	v_and_or_b32 v2, v2, s4, v5
	v_cvt_i32_f32_e32 v2, v2
.LBB182_1068:
	s_mov_b64 s[4:5], 0
.LBB182_1069:
	s_andn2_b64 vcc, exec, s[4:5]
	s_cbranch_vccnz .LBB182_1071
; %bb.1070:
	global_load_ubyte v2, v[0:1], off
	s_movk_i32 s4, 0x7f00
	s_brev_b32 s5, 16
	s_waitcnt vmcnt(0)
	v_lshlrev_b16_e32 v5, 8, v2
	v_lshlrev_b32_e32 v2, 25, v2
	v_lshrrev_b32_e32 v6, 4, v2
	v_and_or_b32 v7, v5, s4, 0.5
	v_or_b32_e32 v6, 0x70000000, v6
	v_add_f32_e32 v7, -0.5, v7
	v_mul_f32_e32 v6, 0x7800000, v6
	v_cmp_gt_u32_e32 vcc, s5, v2
	v_bfe_i32 v5, v5, 0, 16
	v_cndmask_b32_e32 v2, v6, v7, vcc
	s_brev_b32 s4, 1
	v_and_or_b32 v2, v5, s4, v2
	v_cvt_i32_f32_e32 v2, v2
.LBB182_1071:
	s_mov_b64 s[18:19], -1
	s_mov_b64 s[4:5], 0
	s_cbranch_execnz .LBB182_1082
.LBB182_1072:
	s_cmp_gt_i32 s22, 14
	s_cbranch_scc0 .LBB182_1075
; %bb.1073:
	s_cmp_eq_u32 s22, 15
	s_cbranch_scc0 .LBB182_1078
; %bb.1074:
	global_load_ushort v2, v[0:1], off
	s_mov_b64 s[0:1], 0
	s_mov_b64 s[18:19], -1
	s_waitcnt vmcnt(0)
	v_lshlrev_b32_e32 v2, 16, v2
	v_cvt_i32_f32_e32 v2, v2
	s_branch .LBB182_1079
.LBB182_1075:
	s_mov_b64 s[16:17], -1
                                        ; implicit-def: $vgpr2
	s_branch .LBB182_1080
.LBB182_1076:
	s_andn2_saveexec_b64 s[4:5], s[4:5]
	s_cbranch_execz .LBB182_1058
.LBB182_1077:
	v_cmp_ne_u16_e32 vcc, 0, v5
	s_andn2_b64 s[16:17], s[16:17], exec
	s_and_b64 s[18:19], vcc, exec
	s_or_b64 s[16:17], s[16:17], s[18:19]
	s_or_b64 exec, exec, s[4:5]
	v_mov_b32_e32 v2, 0
	s_and_saveexec_b64 s[4:5], s[16:17]
	s_cbranch_execnz .LBB182_1059
	s_branch .LBB182_1060
.LBB182_1078:
	s_mov_b64 s[0:1], -1
                                        ; implicit-def: $vgpr2
.LBB182_1079:
	s_mov_b64 s[16:17], 0
.LBB182_1080:
	s_and_b64 vcc, exec, s[16:17]
	s_cbranch_vccz .LBB182_1082
; %bb.1081:
	s_cmp_lg_u32 s22, 11
	s_mov_b64 s[4:5], -1
	s_cselect_b64 s[0:1], -1, 0
.LBB182_1082:
	s_and_b64 vcc, exec, s[0:1]
	s_mov_b64 s[16:17], s[14:15]
	s_cbranch_vccnz .LBB182_1143
; %bb.1083:
	s_andn2_b64 vcc, exec, s[4:5]
	s_cbranch_vccnz .LBB182_1085
.LBB182_1084:
	global_load_ubyte v2, v[0:1], off
	s_mov_b64 s[18:19], -1
	s_waitcnt vmcnt(0)
	v_cmp_ne_u16_e32 vcc, 0, v2
	v_cndmask_b32_e64 v2, 0, 1, vcc
.LBB182_1085:
	s_branch .LBB182_1020
.LBB182_1086:
	s_cmp_lt_i32 s22, 5
	s_cbranch_scc1 .LBB182_1091
; %bb.1087:
	s_cmp_lt_i32 s22, 8
	s_cbranch_scc1 .LBB182_1092
; %bb.1088:
	;; [unrolled: 3-line block ×3, first 2 shown]
	s_cmp_gt_i32 s22, 9
	s_cbranch_scc0 .LBB182_1094
; %bb.1090:
	global_load_dwordx2 v[5:6], v[0:1], off
	s_mov_b64 s[0:1], 0
	s_waitcnt vmcnt(0)
	v_cvt_i32_f64_e32 v2, v[5:6]
	s_branch .LBB182_1095
.LBB182_1091:
                                        ; implicit-def: $vgpr2
	s_branch .LBB182_1112
.LBB182_1092:
                                        ; implicit-def: $vgpr2
	s_branch .LBB182_1101
.LBB182_1093:
	s_mov_b64 s[0:1], -1
                                        ; implicit-def: $vgpr2
	s_branch .LBB182_1098
.LBB182_1094:
	s_mov_b64 s[0:1], -1
                                        ; implicit-def: $vgpr2
.LBB182_1095:
	s_andn2_b64 vcc, exec, s[0:1]
	s_cbranch_vccnz .LBB182_1097
; %bb.1096:
	global_load_dword v2, v[0:1], off
	s_waitcnt vmcnt(0)
	v_cvt_i32_f32_e32 v2, v2
.LBB182_1097:
	s_mov_b64 s[0:1], 0
.LBB182_1098:
	s_andn2_b64 vcc, exec, s[0:1]
	s_cbranch_vccnz .LBB182_1100
; %bb.1099:
	global_load_dword v2, v[0:1], off
	s_waitcnt vmcnt(0)
	v_cvt_f32_f16_e32 v2, v2
	v_cvt_i32_f32_e32 v2, v2
.LBB182_1100:
	s_cbranch_execnz .LBB182_1111
.LBB182_1101:
	s_cmp_lt_i32 s22, 6
	s_cbranch_scc1 .LBB182_1104
; %bb.1102:
	s_cmp_gt_i32 s22, 6
	s_cbranch_scc0 .LBB182_1105
; %bb.1103:
	global_load_dwordx2 v[5:6], v[0:1], off
	s_mov_b64 s[0:1], 0
	s_waitcnt vmcnt(0)
	v_cvt_i32_f64_e32 v2, v[5:6]
	s_branch .LBB182_1106
.LBB182_1104:
	s_mov_b64 s[0:1], -1
                                        ; implicit-def: $vgpr2
	s_branch .LBB182_1109
.LBB182_1105:
	s_mov_b64 s[0:1], -1
                                        ; implicit-def: $vgpr2
.LBB182_1106:
	s_andn2_b64 vcc, exec, s[0:1]
	s_cbranch_vccnz .LBB182_1108
; %bb.1107:
	global_load_dword v2, v[0:1], off
	s_waitcnt vmcnt(0)
	v_cvt_i32_f32_e32 v2, v2
.LBB182_1108:
	s_mov_b64 s[0:1], 0
.LBB182_1109:
	s_andn2_b64 vcc, exec, s[0:1]
	s_cbranch_vccnz .LBB182_1111
; %bb.1110:
	global_load_ushort v2, v[0:1], off
	s_waitcnt vmcnt(0)
	v_cvt_f32_f16_e32 v2, v2
	v_cvt_i32_f32_e32 v2, v2
.LBB182_1111:
	s_cbranch_execnz .LBB182_1130
.LBB182_1112:
	s_cmp_lt_i32 s22, 2
	s_cbranch_scc1 .LBB182_1116
; %bb.1113:
	s_cmp_lt_i32 s22, 3
	s_cbranch_scc1 .LBB182_1117
; %bb.1114:
	s_cmp_gt_i32 s22, 3
	s_cbranch_scc0 .LBB182_1118
; %bb.1115:
	global_load_dword v2, v[0:1], off
	s_mov_b64 s[0:1], 0
	s_branch .LBB182_1119
.LBB182_1116:
                                        ; implicit-def: $vgpr2
	s_branch .LBB182_1125
.LBB182_1117:
	s_mov_b64 s[0:1], -1
                                        ; implicit-def: $vgpr2
	s_branch .LBB182_1122
.LBB182_1118:
	s_mov_b64 s[0:1], -1
                                        ; implicit-def: $vgpr2
.LBB182_1119:
	s_andn2_b64 vcc, exec, s[0:1]
	s_cbranch_vccnz .LBB182_1121
; %bb.1120:
	global_load_dword v2, v[0:1], off
.LBB182_1121:
	s_mov_b64 s[0:1], 0
.LBB182_1122:
	s_andn2_b64 vcc, exec, s[0:1]
	s_cbranch_vccnz .LBB182_1124
; %bb.1123:
	global_load_sshort v2, v[0:1], off
.LBB182_1124:
	s_cbranch_execnz .LBB182_1130
.LBB182_1125:
	s_cmp_gt_i32 s22, 0
	s_cbranch_scc0 .LBB182_1127
; %bb.1126:
	global_load_sbyte v2, v[0:1], off
	s_mov_b64 s[0:1], 0
	s_branch .LBB182_1128
.LBB182_1127:
	s_mov_b64 s[0:1], -1
                                        ; implicit-def: $vgpr2
.LBB182_1128:
	s_andn2_b64 vcc, exec, s[0:1]
	s_cbranch_vccnz .LBB182_1130
; %bb.1129:
	global_load_ubyte v2, v[0:1], off
.LBB182_1130:
.LBB182_1131:
	s_lshl_b32 s3, s3, 7
	v_add_u32_e32 v3, s3, v3
	v_ashrrev_i32_e32 v1, 31, v3
	v_mov_b32_e32 v5, s11
	v_add_co_u32_e32 v0, vcc, s10, v3
	s_cmp_lt_i32 s22, 11
	v_addc_co_u32_e32 v1, vcc, v5, v1, vcc
	s_cbranch_scc1 .LBB182_1138
; %bb.1132:
	s_cmp_gt_i32 s22, 25
	s_mov_b64 s[4:5], 0
	s_cbranch_scc0 .LBB182_1140
; %bb.1133:
	s_cmp_gt_i32 s22, 28
	s_cbranch_scc0 .LBB182_1141
; %bb.1134:
	s_cmp_gt_i32 s22, 43
	;; [unrolled: 3-line block ×3, first 2 shown]
	s_cbranch_scc0 .LBB182_1144
; %bb.1136:
	s_cmp_eq_u32 s22, 46
	s_mov_b64 s[20:21], 0
	s_cbranch_scc0 .LBB182_1147
; %bb.1137:
	global_load_dword v5, v[0:1], off
	s_mov_b64 s[0:1], 0
	s_mov_b64 s[18:19], -1
	s_waitcnt vmcnt(0)
	v_lshlrev_b32_e32 v5, 16, v5
	v_cvt_i32_f32_e32 v7, v5
	s_branch .LBB182_1148
.LBB182_1138:
	s_mov_b64 s[18:19], 0
                                        ; implicit-def: $vgpr7
	s_cbranch_execnz .LBB182_1209
.LBB182_1139:
	s_andn2_b64 vcc, exec, s[18:19]
	s_cbranch_vccnz .LBB182_1940
	s_branch .LBB182_1256
.LBB182_1140:
	s_mov_b64 s[18:19], 0
	s_mov_b64 s[0:1], 0
                                        ; implicit-def: $vgpr7
	s_cbranch_execnz .LBB182_1175
	s_branch .LBB182_1205
.LBB182_1141:
	s_mov_b64 s[20:21], -1
	s_mov_b64 s[18:19], 0
	s_mov_b64 s[0:1], 0
                                        ; implicit-def: $vgpr7
	s_branch .LBB182_1158
.LBB182_1142:
	s_mov_b64 s[20:21], -1
	s_mov_b64 s[18:19], 0
	s_mov_b64 s[0:1], 0
                                        ; implicit-def: $vgpr7
	s_branch .LBB182_1153
.LBB182_1143:
	s_or_b64 s[16:17], s[14:15], exec
	s_trap 2
	s_cbranch_execz .LBB182_1084
	s_branch .LBB182_1085
.LBB182_1144:
	s_mov_b64 s[20:21], -1
	s_mov_b64 s[18:19], 0
	s_mov_b64 s[0:1], 0
                                        ; implicit-def: $vgpr7
	s_branch .LBB182_1148
.LBB182_1145:
	s_andn2_saveexec_b64 s[26:27], s[26:27]
	s_cbranch_execz .LBB182_936
.LBB182_1146:
	s_mov_b32 s30, 0x42800000
	v_add_f32_e64 v4, |v1|, s30
	v_and_b32_e32 v4, 0xff, v4
	v_cmp_ne_u32_e32 vcc, 0, v4
	s_andn2_b64 s[24:25], s[24:25], exec
	s_and_b64 s[30:31], vcc, exec
	s_or_b64 s[24:25], s[24:25], s[30:31]
	s_or_b64 exec, exec, s[26:27]
	v_mov_b32_e32 v5, 0
	s_and_saveexec_b64 s[26:27], s[24:25]
	s_cbranch_execnz .LBB182_937
	s_branch .LBB182_938
.LBB182_1147:
	s_mov_b64 s[0:1], -1
                                        ; implicit-def: $vgpr7
	s_mov_b64 s[18:19], 0
.LBB182_1148:
	s_and_b64 vcc, exec, s[20:21]
	s_cbranch_vccz .LBB182_1152
; %bb.1149:
	s_cmp_eq_u32 s22, 44
	s_cbranch_scc0 .LBB182_1151
; %bb.1150:
	global_load_ubyte v5, v[0:1], off
	s_mov_b64 s[0:1], 0
	s_mov_b64 s[18:19], -1
	s_waitcnt vmcnt(0)
	v_lshlrev_b32_e32 v6, 23, v5
	v_cvt_i32_f32_e32 v6, v6
	v_cmp_ne_u32_e32 vcc, 0, v5
	v_cndmask_b32_e32 v7, 0, v6, vcc
	s_branch .LBB182_1152
.LBB182_1151:
	s_mov_b64 s[0:1], -1
                                        ; implicit-def: $vgpr7
.LBB182_1152:
	s_mov_b64 s[20:21], 0
.LBB182_1153:
	s_and_b64 vcc, exec, s[20:21]
	s_cbranch_vccz .LBB182_1157
; %bb.1154:
	s_cmp_eq_u32 s22, 29
	s_cbranch_scc0 .LBB182_1156
; %bb.1155:
	global_load_dword v7, v[0:1], off
	s_mov_b64 s[0:1], 0
	s_mov_b64 s[18:19], -1
	s_branch .LBB182_1157
.LBB182_1156:
	s_mov_b64 s[0:1], -1
                                        ; implicit-def: $vgpr7
.LBB182_1157:
	s_mov_b64 s[20:21], 0
.LBB182_1158:
	s_and_b64 vcc, exec, s[20:21]
	s_cbranch_vccz .LBB182_1174
; %bb.1159:
	s_cmp_lt_i32 s22, 27
	s_cbranch_scc1 .LBB182_1162
; %bb.1160:
	s_cmp_gt_i32 s22, 27
	s_cbranch_scc0 .LBB182_1163
; %bb.1161:
	global_load_dword v7, v[0:1], off
	s_mov_b64 s[18:19], 0
	s_branch .LBB182_1164
.LBB182_1162:
	s_mov_b64 s[18:19], -1
                                        ; implicit-def: $vgpr7
	s_branch .LBB182_1167
.LBB182_1163:
	s_mov_b64 s[18:19], -1
                                        ; implicit-def: $vgpr7
.LBB182_1164:
	s_andn2_b64 vcc, exec, s[18:19]
	s_cbranch_vccnz .LBB182_1166
; %bb.1165:
	global_load_ushort v7, v[0:1], off
.LBB182_1166:
	s_mov_b64 s[18:19], 0
.LBB182_1167:
	s_andn2_b64 vcc, exec, s[18:19]
	s_cbranch_vccnz .LBB182_1173
; %bb.1168:
	global_load_ubyte v5, v[0:1], off
	s_movk_i32 s18, 0x7f
	s_mov_b64 s[20:21], 0
	s_waitcnt vmcnt(0)
	v_cmp_lt_i16_e32 vcc, s18, v5
	s_and_saveexec_b64 s[18:19], vcc
	s_xor_b64 s[18:19], exec, s[18:19]
	s_cbranch_execz .LBB182_1184
; %bb.1169:
	s_movk_i32 s20, 0x80
	v_cmp_ne_u16_e32 vcc, s20, v5
	s_and_b64 s[20:21], vcc, exec
	s_andn2_saveexec_b64 s[18:19], s[18:19]
	s_cbranch_execnz .LBB182_1185
.LBB182_1170:
	s_or_b64 exec, exec, s[18:19]
	v_mov_b32_e32 v7, 0
	s_and_saveexec_b64 s[18:19], s[20:21]
	s_cbranch_execz .LBB182_1172
.LBB182_1171:
	v_lshlrev_b32_e32 v6, 24, v5
	v_and_b32_e32 v5, 0xffff, v5
	v_and_b32_e32 v7, 7, v5
	v_ffbh_u32_e32 v9, v7
	v_min_u32_e32 v9, 32, v9
	v_subrev_u32_e32 v10, 28, v9
	v_bfe_u32 v8, v5, 3, 4
	v_lshlrev_b32_e32 v5, v10, v5
	v_sub_u32_e32 v9, 29, v9
	v_and_b32_e32 v5, 7, v5
	v_cmp_eq_u32_e32 vcc, 0, v8
	v_cndmask_b32_e32 v8, v8, v9, vcc
	v_cndmask_b32_e32 v5, v7, v5, vcc
	v_mov_b32_e32 v7, 0x3b800000
	v_lshlrev_b32_e32 v5, 20, v5
	v_and_b32_e32 v6, 0x80000000, v6
	v_lshl_add_u32 v7, v8, 23, v7
	v_or3_b32 v5, v6, v7, v5
	v_cvt_i32_f32_e32 v7, v5
.LBB182_1172:
	s_or_b64 exec, exec, s[18:19]
.LBB182_1173:
	s_mov_b64 s[18:19], -1
.LBB182_1174:
	s_branch .LBB182_1205
.LBB182_1175:
	s_cmp_gt_i32 s22, 22
	s_cbranch_scc0 .LBB182_1183
; %bb.1176:
	s_cmp_lt_i32 s22, 24
	s_cbranch_scc1 .LBB182_1186
; %bb.1177:
	s_cmp_gt_i32 s22, 24
	s_cbranch_scc0 .LBB182_1187
; %bb.1178:
	global_load_ubyte v5, v[0:1], off
	s_movk_i32 s4, 0x7f
	s_mov_b64 s[18:19], 0
	s_waitcnt vmcnt(0)
	v_cmp_lt_i16_e32 vcc, s4, v5
	s_and_saveexec_b64 s[4:5], vcc
	s_xor_b64 s[4:5], exec, s[4:5]
	s_cbranch_execz .LBB182_1199
; %bb.1179:
	s_movk_i32 s18, 0x80
	v_cmp_ne_u16_e32 vcc, s18, v5
	s_and_b64 s[18:19], vcc, exec
	s_andn2_saveexec_b64 s[4:5], s[4:5]
	s_cbranch_execnz .LBB182_1200
.LBB182_1180:
	s_or_b64 exec, exec, s[4:5]
	v_mov_b32_e32 v7, 0
	s_and_saveexec_b64 s[4:5], s[18:19]
	s_cbranch_execz .LBB182_1182
.LBB182_1181:
	v_lshlrev_b32_e32 v6, 24, v5
	v_and_b32_e32 v5, 0xffff, v5
	v_and_b32_e32 v7, 3, v5
	v_ffbh_u32_e32 v9, v7
	v_min_u32_e32 v9, 32, v9
	v_subrev_u32_e32 v10, 29, v9
	v_bfe_u32 v8, v5, 2, 5
	v_lshlrev_b32_e32 v5, v10, v5
	v_sub_u32_e32 v9, 30, v9
	v_and_b32_e32 v5, 3, v5
	v_cmp_eq_u32_e32 vcc, 0, v8
	v_cndmask_b32_e32 v8, v8, v9, vcc
	v_cndmask_b32_e32 v5, v7, v5, vcc
	v_mov_b32_e32 v7, 0x37800000
	v_lshlrev_b32_e32 v5, 21, v5
	v_and_b32_e32 v6, 0x80000000, v6
	v_lshl_add_u32 v7, v8, 23, v7
	v_or3_b32 v5, v6, v7, v5
	v_cvt_i32_f32_e32 v7, v5
.LBB182_1182:
	s_or_b64 exec, exec, s[4:5]
	s_mov_b64 s[4:5], 0
	s_branch .LBB182_1188
.LBB182_1183:
	s_mov_b64 s[4:5], -1
                                        ; implicit-def: $vgpr7
	s_branch .LBB182_1194
.LBB182_1184:
	s_andn2_saveexec_b64 s[18:19], s[18:19]
	s_cbranch_execz .LBB182_1170
.LBB182_1185:
	v_cmp_ne_u16_e32 vcc, 0, v5
	s_andn2_b64 s[20:21], s[20:21], exec
	s_and_b64 s[24:25], vcc, exec
	s_or_b64 s[20:21], s[20:21], s[24:25]
	s_or_b64 exec, exec, s[18:19]
	v_mov_b32_e32 v7, 0
	s_and_saveexec_b64 s[18:19], s[20:21]
	s_cbranch_execnz .LBB182_1171
	s_branch .LBB182_1172
.LBB182_1186:
	s_mov_b64 s[4:5], -1
                                        ; implicit-def: $vgpr7
	s_branch .LBB182_1191
.LBB182_1187:
	s_mov_b64 s[4:5], -1
                                        ; implicit-def: $vgpr7
.LBB182_1188:
	s_and_b64 vcc, exec, s[4:5]
	s_cbranch_vccz .LBB182_1190
; %bb.1189:
	global_load_ubyte v5, v[0:1], off
	s_mov_b32 s4, 0x7f800000
	s_waitcnt vmcnt(0)
	v_lshlrev_b32_e32 v5, 24, v5
	v_and_b32_e32 v6, 0x7f000000, v5
	v_ffbh_u32_e32 v7, v6
	v_min_u32_e32 v7, 32, v7
	v_sub_u32_e64 v7, v7, 4 clamp
	v_lshlrev_b32_e32 v9, v7, v6
	v_lshlrev_b32_e32 v7, 23, v7
	v_lshrrev_b32_e32 v9, 4, v9
	v_add_u32_e32 v8, 0x1000000, v6
	v_sub_u32_e32 v7, v9, v7
	v_ashrrev_i32_e32 v8, 8, v8
	v_add_u32_e32 v7, 0x3c000000, v7
	v_and_or_b32 v7, v8, s4, v7
	v_cmp_ne_u32_e32 vcc, 0, v6
	v_cndmask_b32_e32 v6, 0, v7, vcc
	s_brev_b32 s4, 1
	v_and_or_b32 v5, v5, s4, v6
	v_cvt_i32_f32_e32 v7, v5
.LBB182_1190:
	s_mov_b64 s[4:5], 0
.LBB182_1191:
	s_andn2_b64 vcc, exec, s[4:5]
	s_cbranch_vccnz .LBB182_1193
; %bb.1192:
	global_load_ubyte v5, v[0:1], off
	s_movk_i32 s4, 0x7f00
	s_brev_b32 s5, 16
	s_waitcnt vmcnt(0)
	v_lshlrev_b16_e32 v6, 8, v5
	v_lshlrev_b32_e32 v5, 25, v5
	v_lshrrev_b32_e32 v7, 4, v5
	v_and_or_b32 v8, v6, s4, 0.5
	v_or_b32_e32 v7, 0x70000000, v7
	v_add_f32_e32 v8, -0.5, v8
	v_mul_f32_e32 v7, 0x7800000, v7
	v_cmp_gt_u32_e32 vcc, s5, v5
	v_bfe_i32 v6, v6, 0, 16
	v_cndmask_b32_e32 v5, v7, v8, vcc
	s_brev_b32 s4, 1
	v_and_or_b32 v5, v6, s4, v5
	v_cvt_i32_f32_e32 v7, v5
.LBB182_1193:
	s_mov_b64 s[4:5], 0
	s_mov_b64 s[18:19], -1
.LBB182_1194:
	s_andn2_b64 vcc, exec, s[4:5]
	s_mov_b64 s[4:5], 0
	s_cbranch_vccnz .LBB182_1205
; %bb.1195:
	s_cmp_gt_i32 s22, 14
	s_cbranch_scc0 .LBB182_1198
; %bb.1196:
	s_cmp_eq_u32 s22, 15
	s_cbranch_scc0 .LBB182_1201
; %bb.1197:
	global_load_ushort v5, v[0:1], off
	s_mov_b64 s[0:1], 0
	s_mov_b64 s[18:19], -1
	s_waitcnt vmcnt(0)
	v_lshlrev_b32_e32 v5, 16, v5
	v_cvt_i32_f32_e32 v7, v5
	s_branch .LBB182_1202
.LBB182_1198:
	s_mov_b64 s[20:21], -1
                                        ; implicit-def: $vgpr7
	s_branch .LBB182_1203
.LBB182_1199:
	s_andn2_saveexec_b64 s[4:5], s[4:5]
	s_cbranch_execz .LBB182_1180
.LBB182_1200:
	v_cmp_ne_u16_e32 vcc, 0, v5
	s_andn2_b64 s[18:19], s[18:19], exec
	s_and_b64 s[20:21], vcc, exec
	s_or_b64 s[18:19], s[18:19], s[20:21]
	s_or_b64 exec, exec, s[4:5]
	v_mov_b32_e32 v7, 0
	s_and_saveexec_b64 s[4:5], s[18:19]
	s_cbranch_execnz .LBB182_1181
	s_branch .LBB182_1182
.LBB182_1201:
	s_mov_b64 s[0:1], -1
                                        ; implicit-def: $vgpr7
.LBB182_1202:
	s_mov_b64 s[20:21], 0
.LBB182_1203:
	s_and_b64 vcc, exec, s[20:21]
	s_cbranch_vccz .LBB182_1205
; %bb.1204:
	s_cmp_lg_u32 s22, 11
	s_mov_b64 s[4:5], -1
	s_cselect_b64 s[0:1], -1, 0
.LBB182_1205:
	s_and_b64 vcc, exec, s[0:1]
	s_cbranch_vccnz .LBB182_1268
; %bb.1206:
	s_andn2_b64 vcc, exec, s[4:5]
	s_cbranch_vccnz .LBB182_1208
.LBB182_1207:
	global_load_ubyte v5, v[0:1], off
	s_mov_b64 s[18:19], -1
	s_waitcnt vmcnt(0)
	v_cmp_ne_u16_e32 vcc, 0, v5
	v_cndmask_b32_e64 v7, 0, 1, vcc
.LBB182_1208:
	s_branch .LBB182_1139
.LBB182_1209:
	s_cmp_lt_i32 s22, 5
	s_cbranch_scc1 .LBB182_1214
; %bb.1210:
	s_cmp_lt_i32 s22, 8
	s_cbranch_scc1 .LBB182_1215
; %bb.1211:
	;; [unrolled: 3-line block ×3, first 2 shown]
	s_cmp_gt_i32 s22, 9
	s_cbranch_scc0 .LBB182_1217
; %bb.1213:
	global_load_dwordx2 v[5:6], v[0:1], off
	s_mov_b64 s[0:1], 0
	s_waitcnt vmcnt(0)
	v_cvt_i32_f64_e32 v7, v[5:6]
	s_branch .LBB182_1218
.LBB182_1214:
                                        ; implicit-def: $vgpr7
	s_branch .LBB182_1236
.LBB182_1215:
	s_mov_b64 s[0:1], -1
                                        ; implicit-def: $vgpr7
	s_branch .LBB182_1224
.LBB182_1216:
	s_mov_b64 s[0:1], -1
                                        ; implicit-def: $vgpr7
	s_branch .LBB182_1221
.LBB182_1217:
	s_mov_b64 s[0:1], -1
                                        ; implicit-def: $vgpr7
.LBB182_1218:
	s_andn2_b64 vcc, exec, s[0:1]
	s_cbranch_vccnz .LBB182_1220
; %bb.1219:
	global_load_dword v5, v[0:1], off
	s_waitcnt vmcnt(0)
	v_cvt_i32_f32_e32 v7, v5
.LBB182_1220:
	s_mov_b64 s[0:1], 0
.LBB182_1221:
	s_andn2_b64 vcc, exec, s[0:1]
	s_cbranch_vccnz .LBB182_1223
; %bb.1222:
	global_load_dword v5, v[0:1], off
	s_waitcnt vmcnt(0)
	v_cvt_f32_f16_e32 v5, v5
	v_cvt_i32_f32_e32 v7, v5
.LBB182_1223:
	s_mov_b64 s[0:1], 0
.LBB182_1224:
	s_andn2_b64 vcc, exec, s[0:1]
	s_cbranch_vccnz .LBB182_1235
; %bb.1225:
	s_cmp_lt_i32 s22, 6
	s_cbranch_scc1 .LBB182_1228
; %bb.1226:
	s_cmp_gt_i32 s22, 6
	s_cbranch_scc0 .LBB182_1229
; %bb.1227:
	global_load_dwordx2 v[5:6], v[0:1], off
	s_mov_b64 s[0:1], 0
	s_waitcnt vmcnt(0)
	v_cvt_i32_f64_e32 v7, v[5:6]
	s_branch .LBB182_1230
.LBB182_1228:
	s_mov_b64 s[0:1], -1
                                        ; implicit-def: $vgpr7
	s_branch .LBB182_1233
.LBB182_1229:
	s_mov_b64 s[0:1], -1
                                        ; implicit-def: $vgpr7
.LBB182_1230:
	s_andn2_b64 vcc, exec, s[0:1]
	s_cbranch_vccnz .LBB182_1232
; %bb.1231:
	global_load_dword v5, v[0:1], off
	s_waitcnt vmcnt(0)
	v_cvt_i32_f32_e32 v7, v5
.LBB182_1232:
	s_mov_b64 s[0:1], 0
.LBB182_1233:
	s_andn2_b64 vcc, exec, s[0:1]
	s_cbranch_vccnz .LBB182_1235
; %bb.1234:
	global_load_ushort v5, v[0:1], off
	s_waitcnt vmcnt(0)
	v_cvt_f32_f16_e32 v5, v5
	v_cvt_i32_f32_e32 v7, v5
.LBB182_1235:
	s_cbranch_execnz .LBB182_1255
.LBB182_1236:
	s_cmp_lt_i32 s22, 2
	s_cbranch_scc1 .LBB182_1240
; %bb.1237:
	s_cmp_lt_i32 s22, 3
	s_cbranch_scc1 .LBB182_1241
; %bb.1238:
	s_cmp_gt_i32 s22, 3
	s_cbranch_scc0 .LBB182_1242
; %bb.1239:
	global_load_dword v7, v[0:1], off
	s_mov_b64 s[0:1], 0
	s_branch .LBB182_1243
.LBB182_1240:
	s_mov_b64 s[0:1], -1
                                        ; implicit-def: $vgpr7
	s_branch .LBB182_1249
.LBB182_1241:
	s_mov_b64 s[0:1], -1
                                        ; implicit-def: $vgpr7
	s_branch .LBB182_1246
.LBB182_1242:
	s_mov_b64 s[0:1], -1
                                        ; implicit-def: $vgpr7
.LBB182_1243:
	s_andn2_b64 vcc, exec, s[0:1]
	s_cbranch_vccnz .LBB182_1245
; %bb.1244:
	global_load_dword v7, v[0:1], off
.LBB182_1245:
	s_mov_b64 s[0:1], 0
.LBB182_1246:
	s_andn2_b64 vcc, exec, s[0:1]
	s_cbranch_vccnz .LBB182_1248
; %bb.1247:
	global_load_sshort v7, v[0:1], off
.LBB182_1248:
	s_mov_b64 s[0:1], 0
.LBB182_1249:
	s_andn2_b64 vcc, exec, s[0:1]
	s_cbranch_vccnz .LBB182_1255
; %bb.1250:
	s_cmp_gt_i32 s22, 0
	s_cbranch_scc0 .LBB182_1252
; %bb.1251:
	global_load_sbyte v7, v[0:1], off
	s_mov_b64 s[0:1], 0
	s_branch .LBB182_1253
.LBB182_1252:
	s_mov_b64 s[0:1], -1
                                        ; implicit-def: $vgpr7
.LBB182_1253:
	s_andn2_b64 vcc, exec, s[0:1]
	s_cbranch_vccnz .LBB182_1255
; %bb.1254:
	global_load_ubyte v7, v[0:1], off
.LBB182_1255:
.LBB182_1256:
	v_add_u32_e32 v3, s3, v3
	v_ashrrev_i32_e32 v1, 31, v3
	v_mov_b32_e32 v5, s11
	v_add_co_u32_e32 v0, vcc, s10, v3
	s_cmp_lt_i32 s22, 11
	v_addc_co_u32_e32 v1, vcc, v5, v1, vcc
	s_cbranch_scc1 .LBB182_1263
; %bb.1257:
	s_cmp_gt_i32 s22, 25
	s_mov_b64 s[4:5], 0
	s_cbranch_scc0 .LBB182_1265
; %bb.1258:
	s_cmp_gt_i32 s22, 28
	s_cbranch_scc0 .LBB182_1266
; %bb.1259:
	s_cmp_gt_i32 s22, 43
	;; [unrolled: 3-line block ×3, first 2 shown]
	s_cbranch_scc0 .LBB182_1269
; %bb.1261:
	s_cmp_eq_u32 s22, 46
	s_mov_b64 s[20:21], 0
	s_cbranch_scc0 .LBB182_1270
; %bb.1262:
	global_load_dword v5, v[0:1], off
	s_mov_b64 s[0:1], 0
	s_mov_b64 s[18:19], -1
	s_waitcnt vmcnt(0)
	v_lshlrev_b32_e32 v5, 16, v5
	v_cvt_i32_f32_e32 v6, v5
	s_branch .LBB182_1271
.LBB182_1263:
	s_mov_b64 s[18:19], 0
                                        ; implicit-def: $vgpr6
	s_cbranch_execnz .LBB182_1333
.LBB182_1264:
	s_andn2_b64 vcc, exec, s[18:19]
	s_cbranch_vccnz .LBB182_1940
	s_branch .LBB182_1381
.LBB182_1265:
	s_mov_b64 s[20:21], -1
	s_mov_b64 s[18:19], 0
	s_mov_b64 s[0:1], 0
                                        ; implicit-def: $vgpr6
	s_branch .LBB182_1298
.LBB182_1266:
	s_mov_b64 s[20:21], -1
	s_mov_b64 s[18:19], 0
	s_mov_b64 s[0:1], 0
                                        ; implicit-def: $vgpr6
	s_branch .LBB182_1281
.LBB182_1267:
	s_mov_b64 s[20:21], -1
	s_mov_b64 s[18:19], 0
	s_mov_b64 s[0:1], 0
                                        ; implicit-def: $vgpr6
	s_branch .LBB182_1276
.LBB182_1268:
	s_trap 2
	s_or_b64 s[16:17], s[16:17], exec
	s_cbranch_execz .LBB182_1207
	s_branch .LBB182_1208
.LBB182_1269:
	s_mov_b64 s[20:21], -1
	s_mov_b64 s[18:19], 0
	s_mov_b64 s[0:1], 0
                                        ; implicit-def: $vgpr6
	s_branch .LBB182_1271
.LBB182_1270:
	s_mov_b64 s[0:1], -1
                                        ; implicit-def: $vgpr6
	s_mov_b64 s[18:19], 0
.LBB182_1271:
	s_and_b64 vcc, exec, s[20:21]
	s_cbranch_vccz .LBB182_1275
; %bb.1272:
	s_cmp_eq_u32 s22, 44
	s_cbranch_scc0 .LBB182_1274
; %bb.1273:
	global_load_ubyte v5, v[0:1], off
	s_mov_b64 s[0:1], 0
	s_mov_b64 s[18:19], -1
	s_waitcnt vmcnt(0)
	v_lshlrev_b32_e32 v6, 23, v5
	v_cvt_i32_f32_e32 v6, v6
	v_cmp_ne_u32_e32 vcc, 0, v5
	v_cndmask_b32_e32 v6, 0, v6, vcc
	s_branch .LBB182_1275
.LBB182_1274:
	s_mov_b64 s[0:1], -1
                                        ; implicit-def: $vgpr6
.LBB182_1275:
	s_mov_b64 s[20:21], 0
.LBB182_1276:
	s_and_b64 vcc, exec, s[20:21]
	s_cbranch_vccz .LBB182_1280
; %bb.1277:
	s_cmp_eq_u32 s22, 29
	s_cbranch_scc0 .LBB182_1279
; %bb.1278:
	global_load_dword v6, v[0:1], off
	s_mov_b64 s[0:1], 0
	s_mov_b64 s[18:19], -1
	s_branch .LBB182_1280
.LBB182_1279:
	s_mov_b64 s[0:1], -1
                                        ; implicit-def: $vgpr6
.LBB182_1280:
	s_mov_b64 s[20:21], 0
.LBB182_1281:
	s_and_b64 vcc, exec, s[20:21]
	s_cbranch_vccz .LBB182_1297
; %bb.1282:
	s_cmp_lt_i32 s22, 27
	s_cbranch_scc1 .LBB182_1285
; %bb.1283:
	s_cmp_gt_i32 s22, 27
	s_cbranch_scc0 .LBB182_1286
; %bb.1284:
	global_load_dword v6, v[0:1], off
	s_mov_b64 s[18:19], 0
	s_branch .LBB182_1287
.LBB182_1285:
	s_mov_b64 s[18:19], -1
                                        ; implicit-def: $vgpr6
	s_branch .LBB182_1290
.LBB182_1286:
	s_mov_b64 s[18:19], -1
                                        ; implicit-def: $vgpr6
.LBB182_1287:
	s_andn2_b64 vcc, exec, s[18:19]
	s_cbranch_vccnz .LBB182_1289
; %bb.1288:
	global_load_ushort v6, v[0:1], off
.LBB182_1289:
	s_mov_b64 s[18:19], 0
.LBB182_1290:
	s_andn2_b64 vcc, exec, s[18:19]
	s_cbranch_vccnz .LBB182_1296
; %bb.1291:
	global_load_ubyte v5, v[0:1], off
	s_movk_i32 s18, 0x7f
	s_mov_b64 s[20:21], 0
	s_waitcnt vmcnt(0)
	v_cmp_lt_i16_e32 vcc, s18, v5
	s_and_saveexec_b64 s[18:19], vcc
	s_xor_b64 s[18:19], exec, s[18:19]
	s_cbranch_execz .LBB182_1308
; %bb.1292:
	s_movk_i32 s20, 0x80
	v_cmp_ne_u16_e32 vcc, s20, v5
	s_and_b64 s[20:21], vcc, exec
	s_andn2_saveexec_b64 s[18:19], s[18:19]
	s_cbranch_execnz .LBB182_1309
.LBB182_1293:
	s_or_b64 exec, exec, s[18:19]
	v_mov_b32_e32 v6, 0
	s_and_saveexec_b64 s[18:19], s[20:21]
	s_cbranch_execz .LBB182_1295
.LBB182_1294:
	v_lshlrev_b32_e32 v6, 24, v5
	v_and_b32_e32 v5, 0xffff, v5
	v_and_b32_e32 v8, 7, v5
	v_ffbh_u32_e32 v10, v8
	v_min_u32_e32 v10, 32, v10
	v_subrev_u32_e32 v11, 28, v10
	v_bfe_u32 v9, v5, 3, 4
	v_lshlrev_b32_e32 v5, v11, v5
	v_sub_u32_e32 v10, 29, v10
	v_and_b32_e32 v5, 7, v5
	v_cmp_eq_u32_e32 vcc, 0, v9
	v_cndmask_b32_e32 v9, v9, v10, vcc
	v_cndmask_b32_e32 v5, v8, v5, vcc
	v_mov_b32_e32 v8, 0x3b800000
	v_lshlrev_b32_e32 v5, 20, v5
	v_and_b32_e32 v6, 0x80000000, v6
	v_lshl_add_u32 v8, v9, 23, v8
	v_or3_b32 v5, v6, v8, v5
	v_cvt_i32_f32_e32 v6, v5
.LBB182_1295:
	s_or_b64 exec, exec, s[18:19]
.LBB182_1296:
	s_mov_b64 s[18:19], -1
.LBB182_1297:
	s_mov_b64 s[20:21], 0
.LBB182_1298:
	s_and_b64 vcc, exec, s[20:21]
	s_cbranch_vccz .LBB182_1329
; %bb.1299:
	s_cmp_gt_i32 s22, 22
	s_cbranch_scc0 .LBB182_1307
; %bb.1300:
	s_cmp_lt_i32 s22, 24
	s_cbranch_scc1 .LBB182_1310
; %bb.1301:
	s_cmp_gt_i32 s22, 24
	s_cbranch_scc0 .LBB182_1311
; %bb.1302:
	global_load_ubyte v5, v[0:1], off
	s_movk_i32 s4, 0x7f
	s_mov_b64 s[18:19], 0
	s_waitcnt vmcnt(0)
	v_cmp_lt_i16_e32 vcc, s4, v5
	s_and_saveexec_b64 s[4:5], vcc
	s_xor_b64 s[4:5], exec, s[4:5]
	s_cbranch_execz .LBB182_1323
; %bb.1303:
	s_movk_i32 s18, 0x80
	v_cmp_ne_u16_e32 vcc, s18, v5
	s_and_b64 s[18:19], vcc, exec
	s_andn2_saveexec_b64 s[4:5], s[4:5]
	s_cbranch_execnz .LBB182_1324
.LBB182_1304:
	s_or_b64 exec, exec, s[4:5]
	v_mov_b32_e32 v6, 0
	s_and_saveexec_b64 s[4:5], s[18:19]
	s_cbranch_execz .LBB182_1306
.LBB182_1305:
	v_lshlrev_b32_e32 v6, 24, v5
	v_and_b32_e32 v5, 0xffff, v5
	v_and_b32_e32 v8, 3, v5
	v_ffbh_u32_e32 v10, v8
	v_min_u32_e32 v10, 32, v10
	v_subrev_u32_e32 v11, 29, v10
	v_bfe_u32 v9, v5, 2, 5
	v_lshlrev_b32_e32 v5, v11, v5
	v_sub_u32_e32 v10, 30, v10
	v_and_b32_e32 v5, 3, v5
	v_cmp_eq_u32_e32 vcc, 0, v9
	v_cndmask_b32_e32 v9, v9, v10, vcc
	v_cndmask_b32_e32 v5, v8, v5, vcc
	v_mov_b32_e32 v8, 0x37800000
	v_lshlrev_b32_e32 v5, 21, v5
	v_and_b32_e32 v6, 0x80000000, v6
	v_lshl_add_u32 v8, v9, 23, v8
	v_or3_b32 v5, v6, v8, v5
	v_cvt_i32_f32_e32 v6, v5
.LBB182_1306:
	s_or_b64 exec, exec, s[4:5]
	s_mov_b64 s[4:5], 0
	s_branch .LBB182_1312
.LBB182_1307:
	s_mov_b64 s[4:5], -1
                                        ; implicit-def: $vgpr6
	s_branch .LBB182_1318
.LBB182_1308:
	s_andn2_saveexec_b64 s[18:19], s[18:19]
	s_cbranch_execz .LBB182_1293
.LBB182_1309:
	v_cmp_ne_u16_e32 vcc, 0, v5
	s_andn2_b64 s[20:21], s[20:21], exec
	s_and_b64 s[24:25], vcc, exec
	s_or_b64 s[20:21], s[20:21], s[24:25]
	s_or_b64 exec, exec, s[18:19]
	v_mov_b32_e32 v6, 0
	s_and_saveexec_b64 s[18:19], s[20:21]
	s_cbranch_execnz .LBB182_1294
	s_branch .LBB182_1295
.LBB182_1310:
	s_mov_b64 s[4:5], -1
                                        ; implicit-def: $vgpr6
	s_branch .LBB182_1315
.LBB182_1311:
	s_mov_b64 s[4:5], -1
                                        ; implicit-def: $vgpr6
.LBB182_1312:
	s_and_b64 vcc, exec, s[4:5]
	s_cbranch_vccz .LBB182_1314
; %bb.1313:
	global_load_ubyte v5, v[0:1], off
	s_mov_b32 s4, 0x7f800000
	s_waitcnt vmcnt(0)
	v_lshlrev_b32_e32 v5, 24, v5
	v_and_b32_e32 v6, 0x7f000000, v5
	v_ffbh_u32_e32 v8, v6
	v_min_u32_e32 v8, 32, v8
	v_sub_u32_e64 v8, v8, 4 clamp
	v_lshlrev_b32_e32 v10, v8, v6
	v_lshlrev_b32_e32 v8, 23, v8
	v_lshrrev_b32_e32 v10, 4, v10
	v_add_u32_e32 v9, 0x1000000, v6
	v_sub_u32_e32 v8, v10, v8
	v_ashrrev_i32_e32 v9, 8, v9
	v_add_u32_e32 v8, 0x3c000000, v8
	v_and_or_b32 v8, v9, s4, v8
	v_cmp_ne_u32_e32 vcc, 0, v6
	v_cndmask_b32_e32 v6, 0, v8, vcc
	s_brev_b32 s4, 1
	v_and_or_b32 v5, v5, s4, v6
	v_cvt_i32_f32_e32 v6, v5
.LBB182_1314:
	s_mov_b64 s[4:5], 0
.LBB182_1315:
	s_andn2_b64 vcc, exec, s[4:5]
	s_cbranch_vccnz .LBB182_1317
; %bb.1316:
	global_load_ubyte v5, v[0:1], off
	s_movk_i32 s4, 0x7f00
	s_brev_b32 s5, 16
	s_waitcnt vmcnt(0)
	v_lshlrev_b16_e32 v6, 8, v5
	v_lshlrev_b32_e32 v5, 25, v5
	v_lshrrev_b32_e32 v8, 4, v5
	v_and_or_b32 v9, v6, s4, 0.5
	v_or_b32_e32 v8, 0x70000000, v8
	v_add_f32_e32 v9, -0.5, v9
	v_mul_f32_e32 v8, 0x7800000, v8
	v_cmp_gt_u32_e32 vcc, s5, v5
	v_bfe_i32 v6, v6, 0, 16
	v_cndmask_b32_e32 v5, v8, v9, vcc
	s_brev_b32 s4, 1
	v_and_or_b32 v5, v6, s4, v5
	v_cvt_i32_f32_e32 v6, v5
.LBB182_1317:
	s_mov_b64 s[4:5], 0
	s_mov_b64 s[18:19], -1
.LBB182_1318:
	s_andn2_b64 vcc, exec, s[4:5]
	s_mov_b64 s[4:5], 0
	s_cbranch_vccnz .LBB182_1329
; %bb.1319:
	s_cmp_gt_i32 s22, 14
	s_cbranch_scc0 .LBB182_1322
; %bb.1320:
	s_cmp_eq_u32 s22, 15
	s_cbranch_scc0 .LBB182_1325
; %bb.1321:
	global_load_ushort v5, v[0:1], off
	s_mov_b64 s[0:1], 0
	s_mov_b64 s[18:19], -1
	s_waitcnt vmcnt(0)
	v_lshlrev_b32_e32 v5, 16, v5
	v_cvt_i32_f32_e32 v6, v5
	s_branch .LBB182_1326
.LBB182_1322:
	s_mov_b64 s[20:21], -1
                                        ; implicit-def: $vgpr6
	s_branch .LBB182_1327
.LBB182_1323:
	s_andn2_saveexec_b64 s[4:5], s[4:5]
	s_cbranch_execz .LBB182_1304
.LBB182_1324:
	v_cmp_ne_u16_e32 vcc, 0, v5
	s_andn2_b64 s[18:19], s[18:19], exec
	s_and_b64 s[20:21], vcc, exec
	s_or_b64 s[18:19], s[18:19], s[20:21]
	s_or_b64 exec, exec, s[4:5]
	v_mov_b32_e32 v6, 0
	s_and_saveexec_b64 s[4:5], s[18:19]
	s_cbranch_execnz .LBB182_1305
	s_branch .LBB182_1306
.LBB182_1325:
	s_mov_b64 s[0:1], -1
                                        ; implicit-def: $vgpr6
.LBB182_1326:
	s_mov_b64 s[20:21], 0
.LBB182_1327:
	s_and_b64 vcc, exec, s[20:21]
	s_cbranch_vccz .LBB182_1329
; %bb.1328:
	s_cmp_lg_u32 s22, 11
	s_mov_b64 s[4:5], -1
	s_cselect_b64 s[0:1], -1, 0
.LBB182_1329:
	s_and_b64 vcc, exec, s[0:1]
	s_cbranch_vccnz .LBB182_1392
; %bb.1330:
	s_andn2_b64 vcc, exec, s[4:5]
	s_cbranch_vccnz .LBB182_1332
.LBB182_1331:
	global_load_ubyte v5, v[0:1], off
	s_mov_b64 s[18:19], -1
	s_waitcnt vmcnt(0)
	v_cmp_ne_u16_e32 vcc, 0, v5
	v_cndmask_b32_e64 v6, 0, 1, vcc
.LBB182_1332:
	s_branch .LBB182_1264
.LBB182_1333:
	s_cmp_lt_i32 s22, 5
	s_cbranch_scc1 .LBB182_1338
; %bb.1334:
	s_cmp_lt_i32 s22, 8
	s_cbranch_scc1 .LBB182_1339
; %bb.1335:
	;; [unrolled: 3-line block ×3, first 2 shown]
	s_cmp_gt_i32 s22, 9
	s_cbranch_scc0 .LBB182_1341
; %bb.1337:
	global_load_dwordx2 v[5:6], v[0:1], off
	s_mov_b64 s[0:1], 0
	s_waitcnt vmcnt(0)
	v_cvt_i32_f64_e32 v6, v[5:6]
	s_branch .LBB182_1342
.LBB182_1338:
	s_mov_b64 s[0:1], -1
                                        ; implicit-def: $vgpr6
	s_branch .LBB182_1360
.LBB182_1339:
	s_mov_b64 s[0:1], -1
                                        ; implicit-def: $vgpr6
	s_branch .LBB182_1348
.LBB182_1340:
	s_mov_b64 s[0:1], -1
                                        ; implicit-def: $vgpr6
	s_branch .LBB182_1345
.LBB182_1341:
	s_mov_b64 s[0:1], -1
                                        ; implicit-def: $vgpr6
.LBB182_1342:
	s_andn2_b64 vcc, exec, s[0:1]
	s_cbranch_vccnz .LBB182_1344
; %bb.1343:
	global_load_dword v5, v[0:1], off
	s_waitcnt vmcnt(0)
	v_cvt_i32_f32_e32 v6, v5
.LBB182_1344:
	s_mov_b64 s[0:1], 0
.LBB182_1345:
	s_andn2_b64 vcc, exec, s[0:1]
	s_cbranch_vccnz .LBB182_1347
; %bb.1346:
	global_load_dword v5, v[0:1], off
	s_waitcnt vmcnt(0)
	v_cvt_f32_f16_e32 v5, v5
	v_cvt_i32_f32_e32 v6, v5
.LBB182_1347:
	s_mov_b64 s[0:1], 0
.LBB182_1348:
	s_andn2_b64 vcc, exec, s[0:1]
	s_cbranch_vccnz .LBB182_1359
; %bb.1349:
	s_cmp_lt_i32 s22, 6
	s_cbranch_scc1 .LBB182_1352
; %bb.1350:
	s_cmp_gt_i32 s22, 6
	s_cbranch_scc0 .LBB182_1353
; %bb.1351:
	global_load_dwordx2 v[5:6], v[0:1], off
	s_mov_b64 s[0:1], 0
	s_waitcnt vmcnt(0)
	v_cvt_i32_f64_e32 v6, v[5:6]
	s_branch .LBB182_1354
.LBB182_1352:
	s_mov_b64 s[0:1], -1
                                        ; implicit-def: $vgpr6
	s_branch .LBB182_1357
.LBB182_1353:
	s_mov_b64 s[0:1], -1
                                        ; implicit-def: $vgpr6
.LBB182_1354:
	s_andn2_b64 vcc, exec, s[0:1]
	s_cbranch_vccnz .LBB182_1356
; %bb.1355:
	global_load_dword v5, v[0:1], off
	s_waitcnt vmcnt(0)
	v_cvt_i32_f32_e32 v6, v5
.LBB182_1356:
	s_mov_b64 s[0:1], 0
.LBB182_1357:
	s_andn2_b64 vcc, exec, s[0:1]
	s_cbranch_vccnz .LBB182_1359
; %bb.1358:
	global_load_ushort v5, v[0:1], off
	s_waitcnt vmcnt(0)
	v_cvt_f32_f16_e32 v5, v5
	v_cvt_i32_f32_e32 v6, v5
.LBB182_1359:
	s_mov_b64 s[0:1], 0
.LBB182_1360:
	s_andn2_b64 vcc, exec, s[0:1]
	s_cbranch_vccnz .LBB182_1380
; %bb.1361:
	s_cmp_lt_i32 s22, 2
	s_cbranch_scc1 .LBB182_1365
; %bb.1362:
	s_cmp_lt_i32 s22, 3
	s_cbranch_scc1 .LBB182_1366
; %bb.1363:
	s_cmp_gt_i32 s22, 3
	s_cbranch_scc0 .LBB182_1367
; %bb.1364:
	global_load_dword v6, v[0:1], off
	s_mov_b64 s[0:1], 0
	s_branch .LBB182_1368
.LBB182_1365:
	s_mov_b64 s[0:1], -1
                                        ; implicit-def: $vgpr6
	s_branch .LBB182_1374
.LBB182_1366:
	s_mov_b64 s[0:1], -1
                                        ; implicit-def: $vgpr6
	s_branch .LBB182_1371
.LBB182_1367:
	s_mov_b64 s[0:1], -1
                                        ; implicit-def: $vgpr6
.LBB182_1368:
	s_andn2_b64 vcc, exec, s[0:1]
	s_cbranch_vccnz .LBB182_1370
; %bb.1369:
	global_load_dword v6, v[0:1], off
.LBB182_1370:
	s_mov_b64 s[0:1], 0
.LBB182_1371:
	s_andn2_b64 vcc, exec, s[0:1]
	s_cbranch_vccnz .LBB182_1373
; %bb.1372:
	global_load_sshort v6, v[0:1], off
.LBB182_1373:
	s_mov_b64 s[0:1], 0
.LBB182_1374:
	s_andn2_b64 vcc, exec, s[0:1]
	s_cbranch_vccnz .LBB182_1380
; %bb.1375:
	s_cmp_gt_i32 s22, 0
	s_cbranch_scc0 .LBB182_1377
; %bb.1376:
	global_load_sbyte v6, v[0:1], off
	s_mov_b64 s[0:1], 0
	s_branch .LBB182_1378
.LBB182_1377:
	s_mov_b64 s[0:1], -1
                                        ; implicit-def: $vgpr6
.LBB182_1378:
	s_andn2_b64 vcc, exec, s[0:1]
	s_cbranch_vccnz .LBB182_1380
; %bb.1379:
	global_load_ubyte v6, v[0:1], off
.LBB182_1380:
.LBB182_1381:
	v_add_u32_e32 v0, s3, v3
	v_ashrrev_i32_e32 v1, 31, v0
	v_mov_b32_e32 v3, s11
	v_add_co_u32_e32 v0, vcc, s10, v0
	s_cmp_lt_i32 s22, 11
	v_addc_co_u32_e32 v1, vcc, v3, v1, vcc
	s_cbranch_scc1 .LBB182_1388
; %bb.1382:
	s_cmp_gt_i32 s22, 25
	s_mov_b64 s[4:5], 0
	s_cbranch_scc0 .LBB182_1389
; %bb.1383:
	s_cmp_gt_i32 s22, 28
	s_cbranch_scc0 .LBB182_1390
; %bb.1384:
	s_cmp_gt_i32 s22, 43
	;; [unrolled: 3-line block ×3, first 2 shown]
	s_cbranch_scc0 .LBB182_1393
; %bb.1386:
	s_cmp_eq_u32 s22, 46
	s_mov_b64 s[18:19], 0
	s_cbranch_scc0 .LBB182_1394
; %bb.1387:
	global_load_dword v3, v[0:1], off
	s_mov_b64 s[0:1], 0
	s_mov_b64 s[10:11], -1
	s_waitcnt vmcnt(0)
	v_lshlrev_b32_e32 v3, 16, v3
	v_cvt_i32_f32_e32 v5, v3
	s_branch .LBB182_1395
.LBB182_1388:
	s_mov_b64 s[0:1], -1
	s_mov_b64 s[10:11], 0
                                        ; implicit-def: $vgpr5
	s_branch .LBB182_1457
.LBB182_1389:
	s_mov_b64 s[18:19], -1
	s_mov_b64 s[10:11], 0
	s_mov_b64 s[0:1], 0
                                        ; implicit-def: $vgpr5
	s_branch .LBB182_1422
.LBB182_1390:
	s_mov_b64 s[18:19], -1
	s_mov_b64 s[10:11], 0
	s_mov_b64 s[0:1], 0
                                        ; implicit-def: $vgpr5
	s_branch .LBB182_1405
.LBB182_1391:
	s_mov_b64 s[18:19], -1
	s_mov_b64 s[10:11], 0
	s_mov_b64 s[0:1], 0
                                        ; implicit-def: $vgpr5
	s_branch .LBB182_1400
.LBB182_1392:
	s_trap 2
	s_or_b64 s[16:17], s[16:17], exec
	s_cbranch_execz .LBB182_1331
	s_branch .LBB182_1332
.LBB182_1393:
	s_mov_b64 s[18:19], -1
	s_mov_b64 s[10:11], 0
	s_mov_b64 s[0:1], 0
                                        ; implicit-def: $vgpr5
	s_branch .LBB182_1395
.LBB182_1394:
	s_mov_b64 s[0:1], -1
                                        ; implicit-def: $vgpr5
	s_mov_b64 s[10:11], 0
.LBB182_1395:
	s_and_b64 vcc, exec, s[18:19]
	s_cbranch_vccz .LBB182_1399
; %bb.1396:
	s_cmp_eq_u32 s22, 44
	s_cbranch_scc0 .LBB182_1398
; %bb.1397:
	global_load_ubyte v3, v[0:1], off
	s_mov_b64 s[0:1], 0
	s_mov_b64 s[10:11], -1
	s_waitcnt vmcnt(0)
	v_lshlrev_b32_e32 v5, 23, v3
	v_cvt_i32_f32_e32 v5, v5
	v_cmp_ne_u32_e32 vcc, 0, v3
	v_cndmask_b32_e32 v5, 0, v5, vcc
	s_branch .LBB182_1399
.LBB182_1398:
	s_mov_b64 s[0:1], -1
                                        ; implicit-def: $vgpr5
.LBB182_1399:
	s_mov_b64 s[18:19], 0
.LBB182_1400:
	s_and_b64 vcc, exec, s[18:19]
	s_cbranch_vccz .LBB182_1404
; %bb.1401:
	s_cmp_eq_u32 s22, 29
	s_cbranch_scc0 .LBB182_1403
; %bb.1402:
	global_load_dword v5, v[0:1], off
	s_mov_b64 s[0:1], 0
	s_mov_b64 s[10:11], -1
	s_branch .LBB182_1404
.LBB182_1403:
	s_mov_b64 s[0:1], -1
                                        ; implicit-def: $vgpr5
.LBB182_1404:
	s_mov_b64 s[18:19], 0
.LBB182_1405:
	s_and_b64 vcc, exec, s[18:19]
	s_cbranch_vccz .LBB182_1421
; %bb.1406:
	s_cmp_lt_i32 s22, 27
	s_cbranch_scc1 .LBB182_1409
; %bb.1407:
	s_cmp_gt_i32 s22, 27
	s_cbranch_scc0 .LBB182_1410
; %bb.1408:
	global_load_dword v5, v[0:1], off
	s_mov_b64 s[10:11], 0
	s_branch .LBB182_1411
.LBB182_1409:
	s_mov_b64 s[10:11], -1
                                        ; implicit-def: $vgpr5
	s_branch .LBB182_1414
.LBB182_1410:
	s_mov_b64 s[10:11], -1
                                        ; implicit-def: $vgpr5
.LBB182_1411:
	s_andn2_b64 vcc, exec, s[10:11]
	s_cbranch_vccnz .LBB182_1413
; %bb.1412:
	global_load_ushort v5, v[0:1], off
.LBB182_1413:
	s_mov_b64 s[10:11], 0
.LBB182_1414:
	s_andn2_b64 vcc, exec, s[10:11]
	s_cbranch_vccnz .LBB182_1420
; %bb.1415:
	global_load_ubyte v3, v[0:1], off
	s_movk_i32 s3, 0x7f
	s_mov_b64 s[18:19], 0
	s_waitcnt vmcnt(0)
	v_cmp_lt_i16_e32 vcc, s3, v3
	s_and_saveexec_b64 s[10:11], vcc
	s_xor_b64 s[10:11], exec, s[10:11]
	s_cbranch_execz .LBB182_1432
; %bb.1416:
	s_movk_i32 s3, 0x80
	v_cmp_ne_u16_e32 vcc, s3, v3
	s_and_b64 s[18:19], vcc, exec
	s_andn2_saveexec_b64 s[10:11], s[10:11]
	s_cbranch_execnz .LBB182_1433
.LBB182_1417:
	s_or_b64 exec, exec, s[10:11]
	v_mov_b32_e32 v5, 0
	s_and_saveexec_b64 s[10:11], s[18:19]
	s_cbranch_execz .LBB182_1419
.LBB182_1418:
	v_lshlrev_b32_e32 v5, 24, v3
	v_and_b32_e32 v3, 0xffff, v3
	v_and_b32_e32 v8, 7, v3
	v_ffbh_u32_e32 v10, v8
	v_min_u32_e32 v10, 32, v10
	v_subrev_u32_e32 v11, 28, v10
	v_bfe_u32 v9, v3, 3, 4
	v_lshlrev_b32_e32 v3, v11, v3
	v_sub_u32_e32 v10, 29, v10
	v_and_b32_e32 v3, 7, v3
	v_cmp_eq_u32_e32 vcc, 0, v9
	v_cndmask_b32_e32 v9, v9, v10, vcc
	v_cndmask_b32_e32 v3, v8, v3, vcc
	v_mov_b32_e32 v8, 0x3b800000
	v_lshlrev_b32_e32 v3, 20, v3
	v_and_b32_e32 v5, 0x80000000, v5
	v_lshl_add_u32 v8, v9, 23, v8
	v_or3_b32 v3, v5, v8, v3
	v_cvt_i32_f32_e32 v5, v3
.LBB182_1419:
	s_or_b64 exec, exec, s[10:11]
.LBB182_1420:
	s_mov_b64 s[10:11], -1
.LBB182_1421:
	s_mov_b64 s[18:19], 0
.LBB182_1422:
	s_and_b64 vcc, exec, s[18:19]
	s_cbranch_vccz .LBB182_1453
; %bb.1423:
	s_cmp_gt_i32 s22, 22
	s_cbranch_scc0 .LBB182_1431
; %bb.1424:
	s_cmp_lt_i32 s22, 24
	s_cbranch_scc1 .LBB182_1434
; %bb.1425:
	s_cmp_gt_i32 s22, 24
	s_cbranch_scc0 .LBB182_1435
; %bb.1426:
	global_load_ubyte v3, v[0:1], off
	s_movk_i32 s3, 0x7f
	s_mov_b64 s[10:11], 0
	s_waitcnt vmcnt(0)
	v_cmp_lt_i16_e32 vcc, s3, v3
	s_and_saveexec_b64 s[4:5], vcc
	s_xor_b64 s[4:5], exec, s[4:5]
	s_cbranch_execz .LBB182_1447
; %bb.1427:
	s_movk_i32 s3, 0x80
	v_cmp_ne_u16_e32 vcc, s3, v3
	s_and_b64 s[10:11], vcc, exec
	s_andn2_saveexec_b64 s[4:5], s[4:5]
	s_cbranch_execnz .LBB182_1448
.LBB182_1428:
	s_or_b64 exec, exec, s[4:5]
	v_mov_b32_e32 v5, 0
	s_and_saveexec_b64 s[4:5], s[10:11]
	s_cbranch_execz .LBB182_1430
.LBB182_1429:
	v_lshlrev_b32_e32 v5, 24, v3
	v_and_b32_e32 v3, 0xffff, v3
	v_and_b32_e32 v8, 3, v3
	v_ffbh_u32_e32 v10, v8
	v_min_u32_e32 v10, 32, v10
	v_subrev_u32_e32 v11, 29, v10
	v_bfe_u32 v9, v3, 2, 5
	v_lshlrev_b32_e32 v3, v11, v3
	v_sub_u32_e32 v10, 30, v10
	v_and_b32_e32 v3, 3, v3
	v_cmp_eq_u32_e32 vcc, 0, v9
	v_cndmask_b32_e32 v9, v9, v10, vcc
	v_cndmask_b32_e32 v3, v8, v3, vcc
	v_mov_b32_e32 v8, 0x37800000
	v_lshlrev_b32_e32 v3, 21, v3
	v_and_b32_e32 v5, 0x80000000, v5
	v_lshl_add_u32 v8, v9, 23, v8
	v_or3_b32 v3, v5, v8, v3
	v_cvt_i32_f32_e32 v5, v3
.LBB182_1430:
	s_or_b64 exec, exec, s[4:5]
	s_mov_b64 s[4:5], 0
	s_branch .LBB182_1436
.LBB182_1431:
	s_mov_b64 s[4:5], -1
                                        ; implicit-def: $vgpr5
	s_branch .LBB182_1442
.LBB182_1432:
	s_andn2_saveexec_b64 s[10:11], s[10:11]
	s_cbranch_execz .LBB182_1417
.LBB182_1433:
	v_cmp_ne_u16_e32 vcc, 0, v3
	s_andn2_b64 s[18:19], s[18:19], exec
	s_and_b64 s[20:21], vcc, exec
	s_or_b64 s[18:19], s[18:19], s[20:21]
	s_or_b64 exec, exec, s[10:11]
	v_mov_b32_e32 v5, 0
	s_and_saveexec_b64 s[10:11], s[18:19]
	s_cbranch_execnz .LBB182_1418
	s_branch .LBB182_1419
.LBB182_1434:
	s_mov_b64 s[4:5], -1
                                        ; implicit-def: $vgpr5
	s_branch .LBB182_1439
.LBB182_1435:
	s_mov_b64 s[4:5], -1
                                        ; implicit-def: $vgpr5
.LBB182_1436:
	s_and_b64 vcc, exec, s[4:5]
	s_cbranch_vccz .LBB182_1438
; %bb.1437:
	global_load_ubyte v3, v[0:1], off
	s_mov_b32 s3, 0x7f800000
	s_waitcnt vmcnt(0)
	v_lshlrev_b32_e32 v3, 24, v3
	v_and_b32_e32 v5, 0x7f000000, v3
	v_ffbh_u32_e32 v8, v5
	v_min_u32_e32 v8, 32, v8
	v_sub_u32_e64 v8, v8, 4 clamp
	v_lshlrev_b32_e32 v10, v8, v5
	v_lshlrev_b32_e32 v8, 23, v8
	v_lshrrev_b32_e32 v10, 4, v10
	v_add_u32_e32 v9, 0x1000000, v5
	v_sub_u32_e32 v8, v10, v8
	v_ashrrev_i32_e32 v9, 8, v9
	v_add_u32_e32 v8, 0x3c000000, v8
	v_and_or_b32 v8, v9, s3, v8
	v_cmp_ne_u32_e32 vcc, 0, v5
	v_cndmask_b32_e32 v5, 0, v8, vcc
	s_brev_b32 s3, 1
	v_and_or_b32 v3, v3, s3, v5
	v_cvt_i32_f32_e32 v5, v3
.LBB182_1438:
	s_mov_b64 s[4:5], 0
.LBB182_1439:
	s_andn2_b64 vcc, exec, s[4:5]
	s_cbranch_vccnz .LBB182_1441
; %bb.1440:
	global_load_ubyte v3, v[0:1], off
	s_movk_i32 s3, 0x7f00
	s_brev_b32 s4, 16
	s_waitcnt vmcnt(0)
	v_lshlrev_b16_e32 v5, 8, v3
	v_lshlrev_b32_e32 v3, 25, v3
	v_lshrrev_b32_e32 v8, 4, v3
	v_and_or_b32 v9, v5, s3, 0.5
	v_or_b32_e32 v8, 0x70000000, v8
	v_add_f32_e32 v9, -0.5, v9
	v_mul_f32_e32 v8, 0x7800000, v8
	v_cmp_gt_u32_e32 vcc, s4, v3
	v_bfe_i32 v5, v5, 0, 16
	v_cndmask_b32_e32 v3, v8, v9, vcc
	s_brev_b32 s3, 1
	v_and_or_b32 v3, v5, s3, v3
	v_cvt_i32_f32_e32 v5, v3
.LBB182_1441:
	s_mov_b64 s[4:5], 0
	s_mov_b64 s[10:11], -1
.LBB182_1442:
	s_andn2_b64 vcc, exec, s[4:5]
	s_mov_b64 s[4:5], 0
	s_cbranch_vccnz .LBB182_1453
; %bb.1443:
	s_cmp_gt_i32 s22, 14
	s_cbranch_scc0 .LBB182_1446
; %bb.1444:
	s_cmp_eq_u32 s22, 15
	s_cbranch_scc0 .LBB182_1449
; %bb.1445:
	global_load_ushort v3, v[0:1], off
	s_mov_b64 s[0:1], 0
	s_mov_b64 s[10:11], -1
	s_waitcnt vmcnt(0)
	v_lshlrev_b32_e32 v3, 16, v3
	v_cvt_i32_f32_e32 v5, v3
	s_branch .LBB182_1450
.LBB182_1446:
	s_mov_b64 s[18:19], -1
                                        ; implicit-def: $vgpr5
	s_branch .LBB182_1451
.LBB182_1447:
	s_andn2_saveexec_b64 s[4:5], s[4:5]
	s_cbranch_execz .LBB182_1428
.LBB182_1448:
	v_cmp_ne_u16_e32 vcc, 0, v3
	s_andn2_b64 s[10:11], s[10:11], exec
	s_and_b64 s[18:19], vcc, exec
	s_or_b64 s[10:11], s[10:11], s[18:19]
	s_or_b64 exec, exec, s[4:5]
	v_mov_b32_e32 v5, 0
	s_and_saveexec_b64 s[4:5], s[10:11]
	s_cbranch_execnz .LBB182_1429
	s_branch .LBB182_1430
.LBB182_1449:
	s_mov_b64 s[0:1], -1
                                        ; implicit-def: $vgpr5
.LBB182_1450:
	s_mov_b64 s[18:19], 0
.LBB182_1451:
	s_and_b64 vcc, exec, s[18:19]
	s_cbranch_vccz .LBB182_1453
; %bb.1452:
	s_cmp_lg_u32 s22, 11
	s_mov_b64 s[4:5], -1
	s_cselect_b64 s[0:1], -1, 0
.LBB182_1453:
	s_and_b64 vcc, exec, s[0:1]
	s_cbranch_vccnz .LBB182_1986
; %bb.1454:
	s_andn2_b64 vcc, exec, s[4:5]
	s_cbranch_vccnz .LBB182_1456
.LBB182_1455:
	global_load_ubyte v3, v[0:1], off
	s_mov_b64 s[10:11], -1
	s_waitcnt vmcnt(0)
	v_cmp_ne_u16_e32 vcc, 0, v3
	v_cndmask_b32_e64 v5, 0, 1, vcc
.LBB182_1456:
	s_mov_b64 s[0:1], 0
.LBB182_1457:
	s_and_b64 vcc, exec, s[0:1]
	s_cbranch_vccz .LBB182_1506
; %bb.1458:
	s_cmp_lt_i32 s22, 5
	s_cbranch_scc1 .LBB182_1463
; %bb.1459:
	s_cmp_lt_i32 s22, 8
	s_cbranch_scc1 .LBB182_1464
	;; [unrolled: 3-line block ×3, first 2 shown]
; %bb.1461:
	s_cmp_gt_i32 s22, 9
	s_cbranch_scc0 .LBB182_1466
; %bb.1462:
	global_load_dwordx2 v[8:9], v[0:1], off
	s_mov_b64 s[0:1], 0
	s_waitcnt vmcnt(0)
	v_cvt_i32_f64_e32 v5, v[8:9]
	s_branch .LBB182_1467
.LBB182_1463:
	s_mov_b64 s[0:1], -1
                                        ; implicit-def: $vgpr5
	s_branch .LBB182_1485
.LBB182_1464:
	s_mov_b64 s[0:1], -1
                                        ; implicit-def: $vgpr5
	s_branch .LBB182_1473
.LBB182_1465:
	s_mov_b64 s[0:1], -1
                                        ; implicit-def: $vgpr5
	s_branch .LBB182_1470
.LBB182_1466:
	s_mov_b64 s[0:1], -1
                                        ; implicit-def: $vgpr5
.LBB182_1467:
	s_andn2_b64 vcc, exec, s[0:1]
	s_cbranch_vccnz .LBB182_1469
; %bb.1468:
	global_load_dword v3, v[0:1], off
	s_waitcnt vmcnt(0)
	v_cvt_i32_f32_e32 v5, v3
.LBB182_1469:
	s_mov_b64 s[0:1], 0
.LBB182_1470:
	s_andn2_b64 vcc, exec, s[0:1]
	s_cbranch_vccnz .LBB182_1472
; %bb.1471:
	global_load_dword v3, v[0:1], off
	s_waitcnt vmcnt(0)
	v_cvt_f32_f16_e32 v3, v3
	v_cvt_i32_f32_e32 v5, v3
.LBB182_1472:
	s_mov_b64 s[0:1], 0
.LBB182_1473:
	s_andn2_b64 vcc, exec, s[0:1]
	s_cbranch_vccnz .LBB182_1484
; %bb.1474:
	s_cmp_lt_i32 s22, 6
	s_cbranch_scc1 .LBB182_1477
; %bb.1475:
	s_cmp_gt_i32 s22, 6
	s_cbranch_scc0 .LBB182_1478
; %bb.1476:
	global_load_dwordx2 v[8:9], v[0:1], off
	s_mov_b64 s[0:1], 0
	s_waitcnt vmcnt(0)
	v_cvt_i32_f64_e32 v5, v[8:9]
	s_branch .LBB182_1479
.LBB182_1477:
	s_mov_b64 s[0:1], -1
                                        ; implicit-def: $vgpr5
	s_branch .LBB182_1482
.LBB182_1478:
	s_mov_b64 s[0:1], -1
                                        ; implicit-def: $vgpr5
.LBB182_1479:
	s_andn2_b64 vcc, exec, s[0:1]
	s_cbranch_vccnz .LBB182_1481
; %bb.1480:
	global_load_dword v3, v[0:1], off
	s_waitcnt vmcnt(0)
	v_cvt_i32_f32_e32 v5, v3
.LBB182_1481:
	s_mov_b64 s[0:1], 0
.LBB182_1482:
	s_andn2_b64 vcc, exec, s[0:1]
	s_cbranch_vccnz .LBB182_1484
; %bb.1483:
	global_load_ushort v3, v[0:1], off
	s_waitcnt vmcnt(0)
	v_cvt_f32_f16_e32 v3, v3
	v_cvt_i32_f32_e32 v5, v3
.LBB182_1484:
	s_mov_b64 s[0:1], 0
.LBB182_1485:
	s_andn2_b64 vcc, exec, s[0:1]
	s_cbranch_vccnz .LBB182_1505
; %bb.1486:
	s_cmp_lt_i32 s22, 2
	s_cbranch_scc1 .LBB182_1490
; %bb.1487:
	s_cmp_lt_i32 s22, 3
	s_cbranch_scc1 .LBB182_1491
; %bb.1488:
	s_cmp_gt_i32 s22, 3
	s_cbranch_scc0 .LBB182_1492
; %bb.1489:
	global_load_dword v5, v[0:1], off
	s_mov_b64 s[0:1], 0
	s_branch .LBB182_1493
.LBB182_1490:
	s_mov_b64 s[0:1], -1
                                        ; implicit-def: $vgpr5
	s_branch .LBB182_1499
.LBB182_1491:
	s_mov_b64 s[0:1], -1
                                        ; implicit-def: $vgpr5
	s_branch .LBB182_1496
.LBB182_1492:
	s_mov_b64 s[0:1], -1
                                        ; implicit-def: $vgpr5
.LBB182_1493:
	s_andn2_b64 vcc, exec, s[0:1]
	s_cbranch_vccnz .LBB182_1495
; %bb.1494:
	global_load_dword v5, v[0:1], off
.LBB182_1495:
	s_mov_b64 s[0:1], 0
.LBB182_1496:
	s_andn2_b64 vcc, exec, s[0:1]
	s_cbranch_vccnz .LBB182_1498
; %bb.1497:
	global_load_sshort v5, v[0:1], off
.LBB182_1498:
	s_mov_b64 s[0:1], 0
.LBB182_1499:
	s_andn2_b64 vcc, exec, s[0:1]
	s_cbranch_vccnz .LBB182_1505
; %bb.1500:
	s_cmp_gt_i32 s22, 0
	s_cbranch_scc0 .LBB182_1502
; %bb.1501:
	global_load_sbyte v5, v[0:1], off
	s_mov_b64 s[0:1], 0
	s_branch .LBB182_1503
.LBB182_1502:
	s_mov_b64 s[0:1], -1
                                        ; implicit-def: $vgpr5
.LBB182_1503:
	s_andn2_b64 vcc, exec, s[0:1]
	s_cbranch_vccnz .LBB182_1505
; %bb.1504:
	global_load_ubyte v5, v[0:1], off
.LBB182_1505:
	s_mov_b64 s[10:11], -1
.LBB182_1506:
	s_andn2_b64 vcc, exec, s[10:11]
	s_cbranch_vccnz .LBB182_1940
; %bb.1507:
	v_mul_lo_u32 v4, s2, v4
	s_min_u32 s21, s12, 31
	v_mov_b32_e32 v1, s9
	s_waitcnt vmcnt(0)
	v_ashrrev_i32_e32 v0, s21, v2
	v_ashrrev_i32_e32 v3, 31, v4
	s_and_b32 s20, s13, 0xff
	v_add_co_u32_e32 v2, vcc, s8, v4
	s_cmp_lt_i32 s20, 11
	v_addc_co_u32_e32 v3, vcc, v1, v3, vcc
	s_cbranch_scc1 .LBB182_1585
; %bb.1508:
	s_and_b32 s3, 0xffff, s20
	s_mov_b64 s[12:13], -1
	s_mov_b64 s[4:5], 0
	s_cmp_gt_i32 s3, 25
	s_mov_b64 s[10:11], 0
	s_mov_b64 s[0:1], 0
	s_cbranch_scc0 .LBB182_1541
; %bb.1509:
	s_cmp_gt_i32 s3, 28
	s_cbranch_scc0 .LBB182_1524
; %bb.1510:
	s_cmp_gt_i32 s3, 43
	;; [unrolled: 3-line block ×3, first 2 shown]
	s_cbranch_scc0 .LBB182_1514
; %bb.1512:
	s_mov_b64 s[0:1], -1
	s_mov_b64 s[12:13], 0
	s_cmp_eq_u32 s3, 46
	s_cbranch_scc0 .LBB182_1514
; %bb.1513:
	v_cvt_f32_i32_e32 v1, v0
	s_movk_i32 s10, 0x7fff
	s_mov_b64 s[0:1], 0
	v_bfe_u32 v8, v1, 16, 1
	v_add3_u32 v1, v1, v8, s10
	v_lshrrev_b32_e32 v1, 16, v1
	global_store_dword v[2:3], v1, off
	s_mov_b64 s[10:11], -1
.LBB182_1514:
	s_and_b64 vcc, exec, s[12:13]
	s_cbranch_vccz .LBB182_1519
; %bb.1515:
	s_cmp_eq_u32 s3, 44
	s_mov_b64 s[0:1], -1
	s_cbranch_scc0 .LBB182_1519
; %bb.1516:
	v_cvt_f32_i32_e32 v1, v0
	s_movk_i32 s0, 0xff
	v_mov_b32_e32 v9, 0xff
	v_bfe_u32 v8, v1, 23, 8
	v_cmp_ne_u32_e32 vcc, s0, v8
	s_and_saveexec_b64 s[10:11], vcc
; %bb.1517:
	s_mov_b32 s0, 0x3fffff
	v_lshrrev_b32_e32 v9, 23, v1
	v_and_b32_e32 v10, 0x400000, v1
	v_and_or_b32 v1, v1, s0, v8
	v_cmp_ne_u32_e32 vcc, 0, v10
	v_cmp_ne_u32_e64 s[0:1], 0, v1
	s_and_b64 s[0:1], vcc, s[0:1]
	v_cndmask_b32_e64 v1, 0, 1, s[0:1]
	v_add_u32_e32 v9, v9, v1
; %bb.1518:
	s_or_b64 exec, exec, s[10:11]
	s_mov_b64 s[0:1], 0
	s_mov_b64 s[10:11], -1
	global_store_byte v[2:3], v9, off
.LBB182_1519:
	s_mov_b64 s[12:13], 0
.LBB182_1520:
	s_and_b64 vcc, exec, s[12:13]
	s_cbranch_vccz .LBB182_1523
; %bb.1521:
	s_cmp_eq_u32 s3, 29
	s_mov_b64 s[0:1], -1
	s_cbranch_scc0 .LBB182_1523
; %bb.1522:
	v_ashrrev_i32_e32 v1, 31, v0
	global_store_dwordx2 v[2:3], v[0:1], off
	s_mov_b64 s[0:1], 0
	s_mov_b64 s[10:11], -1
.LBB182_1523:
	s_mov_b64 s[12:13], 0
.LBB182_1524:
	s_and_b64 vcc, exec, s[12:13]
	s_cbranch_vccz .LBB182_1540
; %bb.1525:
	s_cmp_lt_i32 s3, 27
	s_mov_b64 s[10:11], -1
	s_cbranch_scc1 .LBB182_1531
; %bb.1526:
	s_cmp_gt_i32 s3, 27
	s_cbranch_scc0 .LBB182_1528
; %bb.1527:
	s_mov_b64 s[10:11], 0
	global_store_dword v[2:3], v0, off
.LBB182_1528:
	s_andn2_b64 vcc, exec, s[10:11]
	s_cbranch_vccnz .LBB182_1530
; %bb.1529:
	global_store_short v[2:3], v0, off
.LBB182_1530:
	s_mov_b64 s[10:11], 0
.LBB182_1531:
	s_andn2_b64 vcc, exec, s[10:11]
	s_cbranch_vccnz .LBB182_1539
; %bb.1532:
	v_cvt_f32_i32_e32 v1, v0
	s_mov_b32 s10, 0x43800000
	v_mov_b32_e32 v9, 0x80
	v_and_b32_e32 v8, 0x7fffffff, v1
	v_cmp_gt_u32_e32 vcc, s10, v8
	s_and_saveexec_b64 s[10:11], vcc
	s_cbranch_execz .LBB182_1538
; %bb.1533:
	s_mov_b32 s12, 0x3bffffff
	v_cmp_lt_u32_e32 vcc, s12, v8
	s_mov_b64 s[12:13], 0
                                        ; implicit-def: $vgpr8
	s_and_saveexec_b64 s[18:19], vcc
	s_xor_b64 s[18:19], exec, s[18:19]
	s_cbranch_execz .LBB182_1987
; %bb.1534:
	v_bfe_u32 v8, v1, 20, 1
	s_mov_b32 s22, 0x487ffff
	v_add3_u32 v8, v1, v8, s22
	s_mov_b64 s[12:13], exec
	v_lshrrev_b32_e32 v8, 20, v8
	s_andn2_saveexec_b64 s[18:19], s[18:19]
	s_cbranch_execnz .LBB182_1988
.LBB182_1535:
	s_or_b64 exec, exec, s[18:19]
	v_mov_b32_e32 v9, 0
	s_and_saveexec_b64 s[18:19], s[12:13]
.LBB182_1536:
	v_lshrrev_b32_e32 v1, 24, v1
	s_movk_i32 s12, 0x80
	v_and_or_b32 v9, v1, s12, v8
.LBB182_1537:
	s_or_b64 exec, exec, s[18:19]
.LBB182_1538:
	s_or_b64 exec, exec, s[10:11]
	global_store_byte v[2:3], v9, off
.LBB182_1539:
	s_mov_b64 s[10:11], -1
.LBB182_1540:
	s_mov_b64 s[12:13], 0
.LBB182_1541:
	s_and_b64 vcc, exec, s[12:13]
	s_cbranch_vccz .LBB182_1581
; %bb.1542:
	s_cmp_gt_i32 s3, 22
	s_mov_b64 s[4:5], -1
	s_cbranch_scc0 .LBB182_1574
; %bb.1543:
	s_cmp_lt_i32 s3, 24
	s_cbranch_scc1 .LBB182_1563
; %bb.1544:
	s_cmp_gt_i32 s3, 24
	s_cbranch_scc0 .LBB182_1552
; %bb.1545:
	v_cvt_f32_i32_e32 v1, v0
	s_mov_b32 s4, 0x47800000
	v_mov_b32_e32 v9, 0x80
	v_and_b32_e32 v8, 0x7fffffff, v1
	v_cmp_gt_u32_e32 vcc, s4, v8
	s_and_saveexec_b64 s[4:5], vcc
	s_cbranch_execz .LBB182_1551
; %bb.1546:
	s_mov_b32 s10, 0x37ffffff
	v_cmp_lt_u32_e32 vcc, s10, v8
	s_mov_b64 s[10:11], 0
                                        ; implicit-def: $vgpr8
	s_and_saveexec_b64 s[12:13], vcc
	s_xor_b64 s[12:13], exec, s[12:13]
	s_cbranch_execz .LBB182_1990
; %bb.1547:
	v_bfe_u32 v8, v1, 21, 1
	s_mov_b32 s18, 0x88fffff
	v_add3_u32 v8, v1, v8, s18
	s_mov_b64 s[10:11], exec
	v_lshrrev_b32_e32 v8, 21, v8
	s_andn2_saveexec_b64 s[12:13], s[12:13]
	s_cbranch_execnz .LBB182_1991
.LBB182_1548:
	s_or_b64 exec, exec, s[12:13]
	v_mov_b32_e32 v9, 0
	s_and_saveexec_b64 s[12:13], s[10:11]
.LBB182_1549:
	v_lshrrev_b32_e32 v1, 24, v1
	s_movk_i32 s10, 0x80
	v_and_or_b32 v9, v1, s10, v8
.LBB182_1550:
	s_or_b64 exec, exec, s[12:13]
.LBB182_1551:
	s_or_b64 exec, exec, s[4:5]
	s_mov_b64 s[4:5], 0
	global_store_byte v[2:3], v9, off
.LBB182_1552:
	s_and_b64 vcc, exec, s[4:5]
	s_cbranch_vccz .LBB182_1562
; %bb.1553:
	v_cvt_f32_i32_e32 v1, v0
	s_mov_b32 s4, 0x43f00000
                                        ; implicit-def: $vgpr8
	v_and_b32_e32 v9, 0x7fffffff, v1
	v_cmp_gt_u32_e32 vcc, s4, v9
	s_and_saveexec_b64 s[4:5], vcc
	s_xor_b64 s[4:5], exec, s[4:5]
	s_cbranch_execz .LBB182_1559
; %bb.1554:
	s_mov_b32 s10, 0x3c7fffff
	v_cmp_lt_u32_e32 vcc, s10, v9
                                        ; implicit-def: $vgpr8
	s_and_saveexec_b64 s[10:11], vcc
	s_xor_b64 s[10:11], exec, s[10:11]
; %bb.1555:
	v_bfe_u32 v8, v1, 20, 1
	s_mov_b32 s12, 0x407ffff
	v_add3_u32 v8, v1, v8, s12
	v_lshrrev_b32_e32 v9, 20, v8
	v_and_b32_e32 v8, 0xff00000, v8
	s_mov_b32 s12, 0x7f00000
	v_mov_b32_e32 v10, 0x7e
	v_cmp_ne_u32_e32 vcc, s12, v8
	v_cndmask_b32_e32 v8, v10, v9, vcc
; %bb.1556:
	s_andn2_saveexec_b64 s[10:11], s[10:11]
; %bb.1557:
	s_mov_b32 s12, 0x46800000
	v_add_f32_e64 v8, |v1|, s12
; %bb.1558:
	s_or_b64 exec, exec, s[10:11]
                                        ; implicit-def: $vgpr9
.LBB182_1559:
	s_andn2_saveexec_b64 s[4:5], s[4:5]
; %bb.1560:
	s_mov_b32 s10, 0x7f800000
	v_mov_b32_e32 v8, 0x7e
	v_mov_b32_e32 v10, 0x7f
	v_cmp_lt_u32_e32 vcc, s10, v9
	v_cndmask_b32_e32 v8, v8, v10, vcc
; %bb.1561:
	s_or_b64 exec, exec, s[4:5]
	v_lshrrev_b32_e32 v1, 24, v1
	s_movk_i32 s4, 0x80
	v_and_or_b32 v1, v1, s4, v8
	global_store_byte v[2:3], v1, off
.LBB182_1562:
	s_mov_b64 s[4:5], 0
.LBB182_1563:
	s_andn2_b64 vcc, exec, s[4:5]
	s_cbranch_vccnz .LBB182_1573
; %bb.1564:
	v_cvt_f32_i32_e32 v1, v0
	s_mov_b32 s4, 0x47800000
                                        ; implicit-def: $vgpr8
	v_and_b32_e32 v9, 0x7fffffff, v1
	v_cmp_gt_u32_e32 vcc, s4, v9
	s_and_saveexec_b64 s[4:5], vcc
	s_xor_b64 s[4:5], exec, s[4:5]
	s_cbranch_execz .LBB182_1570
; %bb.1565:
	s_mov_b32 s10, 0x387fffff
	v_cmp_lt_u32_e32 vcc, s10, v9
                                        ; implicit-def: $vgpr8
	s_and_saveexec_b64 s[10:11], vcc
	s_xor_b64 s[10:11], exec, s[10:11]
; %bb.1566:
	v_bfe_u32 v8, v1, 21, 1
	s_mov_b32 s12, 0x80fffff
	v_add3_u32 v8, v1, v8, s12
	v_lshrrev_b32_e32 v8, 21, v8
; %bb.1567:
	s_andn2_saveexec_b64 s[10:11], s[10:11]
; %bb.1568:
	s_mov_b32 s12, 0x43000000
	v_add_f32_e64 v8, |v1|, s12
; %bb.1569:
	s_or_b64 exec, exec, s[10:11]
                                        ; implicit-def: $vgpr9
.LBB182_1570:
	s_andn2_saveexec_b64 s[4:5], s[4:5]
; %bb.1571:
	s_mov_b32 s10, 0x7f800000
	v_mov_b32_e32 v8, 0x7c
	v_mov_b32_e32 v10, 0x7f
	v_cmp_lt_u32_e32 vcc, s10, v9
	v_cndmask_b32_e32 v8, v8, v10, vcc
; %bb.1572:
	s_or_b64 exec, exec, s[4:5]
	v_lshrrev_b32_e32 v1, 24, v1
	s_movk_i32 s4, 0x80
	v_and_or_b32 v1, v1, s4, v8
	global_store_byte v[2:3], v1, off
.LBB182_1573:
	s_mov_b64 s[4:5], 0
	s_mov_b64 s[10:11], -1
.LBB182_1574:
	s_andn2_b64 vcc, exec, s[4:5]
	s_mov_b64 s[4:5], 0
	s_cbranch_vccnz .LBB182_1581
; %bb.1575:
	s_cmp_gt_i32 s3, 14
	s_mov_b64 s[12:13], -1
	s_cbranch_scc0 .LBB182_1579
; %bb.1576:
	s_cmp_eq_u32 s3, 15
	s_mov_b64 s[0:1], -1
	s_cbranch_scc0 .LBB182_1578
; %bb.1577:
	v_cvt_f32_i32_e32 v1, v0
	s_movk_i32 s4, 0x7fff
	s_mov_b64 s[0:1], 0
	s_mov_b64 s[10:11], -1
	v_bfe_u32 v8, v1, 16, 1
	v_add3_u32 v1, v1, v8, s4
	global_store_short_d16_hi v[2:3], v1, off
.LBB182_1578:
	s_mov_b64 s[12:13], 0
.LBB182_1579:
	s_mov_b64 s[4:5], 0
	s_and_b64 vcc, exec, s[12:13]
	s_cbranch_vccz .LBB182_1581
; %bb.1580:
	s_cmp_lg_u32 s3, 11
	s_mov_b64 s[4:5], -1
	s_cselect_b64 s[0:1], -1, 0
.LBB182_1581:
	s_and_b64 vcc, exec, s[0:1]
	s_cbranch_vccnz .LBB182_1989
; %bb.1582:
	s_andn2_b64 vcc, exec, s[4:5]
	s_cbranch_vccnz .LBB182_1584
.LBB182_1583:
	v_cmp_ne_u32_e32 vcc, 0, v0
	v_cndmask_b32_e64 v1, 0, 1, vcc
	s_mov_b64 s[10:11], -1
	global_store_byte v[2:3], v1, off
.LBB182_1584:
	s_mov_b64 s[0:1], 0
	s_branch .LBB182_1586
.LBB182_1585:
	s_mov_b64 s[0:1], -1
	s_mov_b64 s[10:11], 0
.LBB182_1586:
	s_and_b64 vcc, exec, s[0:1]
	s_cbranch_vccz .LBB182_1625
; %bb.1587:
	s_and_b32 s3, 0xffff, s20
	s_cmp_lt_i32 s3, 5
	s_mov_b64 s[0:1], -1
	s_cbranch_scc1 .LBB182_1608
; %bb.1588:
	s_cmp_lt_i32 s3, 8
	s_cbranch_scc1 .LBB182_1598
; %bb.1589:
	s_cmp_lt_i32 s3, 9
	s_cbranch_scc1 .LBB182_1595
; %bb.1590:
	s_cmp_gt_i32 s3, 9
	s_cbranch_scc0 .LBB182_1592
; %bb.1591:
	v_cvt_f64_i32_e32 v[8:9], v0
	v_mov_b32_e32 v10, 0
	v_mov_b32_e32 v11, v10
	s_mov_b64 s[0:1], 0
	global_store_dwordx4 v[2:3], v[8:11], off
.LBB182_1592:
	s_andn2_b64 vcc, exec, s[0:1]
	s_cbranch_vccnz .LBB182_1594
; %bb.1593:
	v_cvt_f32_i32_e32 v8, v0
	v_mov_b32_e32 v9, 0
	global_store_dwordx2 v[2:3], v[8:9], off
.LBB182_1594:
	s_mov_b64 s[0:1], 0
.LBB182_1595:
	s_andn2_b64 vcc, exec, s[0:1]
	s_cbranch_vccnz .LBB182_1597
; %bb.1596:
	v_cvt_f32_i32_e32 v1, v0
	v_cvt_f16_f32_e32 v1, v1
	global_store_dword v[2:3], v1, off
.LBB182_1597:
	s_mov_b64 s[0:1], 0
.LBB182_1598:
	s_andn2_b64 vcc, exec, s[0:1]
	s_cbranch_vccnz .LBB182_1607
; %bb.1599:
	s_cmp_lt_i32 s3, 6
	s_mov_b64 s[0:1], -1
	s_cbranch_scc1 .LBB182_1605
; %bb.1600:
	s_cmp_gt_i32 s3, 6
	s_cbranch_scc0 .LBB182_1602
; %bb.1601:
	v_cvt_f64_i32_e32 v[8:9], v0
	s_mov_b64 s[0:1], 0
	global_store_dwordx2 v[2:3], v[8:9], off
.LBB182_1602:
	s_andn2_b64 vcc, exec, s[0:1]
	s_cbranch_vccnz .LBB182_1604
; %bb.1603:
	v_cvt_f32_i32_e32 v1, v0
	global_store_dword v[2:3], v1, off
.LBB182_1604:
	s_mov_b64 s[0:1], 0
.LBB182_1605:
	s_andn2_b64 vcc, exec, s[0:1]
	s_cbranch_vccnz .LBB182_1607
; %bb.1606:
	v_cvt_f32_i32_e32 v1, v0
	v_cvt_f16_f32_e32 v1, v1
	global_store_short v[2:3], v1, off
.LBB182_1607:
	s_mov_b64 s[0:1], 0
.LBB182_1608:
	s_andn2_b64 vcc, exec, s[0:1]
	s_cbranch_vccnz .LBB182_1624
; %bb.1609:
	s_cmp_lt_i32 s3, 2
	s_mov_b64 s[0:1], -1
	s_cbranch_scc1 .LBB182_1619
; %bb.1610:
	s_cmp_lt_i32 s3, 3
	s_cbranch_scc1 .LBB182_1616
; %bb.1611:
	s_cmp_gt_i32 s3, 3
	s_cbranch_scc0 .LBB182_1613
; %bb.1612:
	v_ashrrev_i32_e32 v1, 31, v0
	global_store_dwordx2 v[2:3], v[0:1], off
	s_mov_b64 s[0:1], 0
.LBB182_1613:
	s_andn2_b64 vcc, exec, s[0:1]
	s_cbranch_vccnz .LBB182_1615
; %bb.1614:
	global_store_dword v[2:3], v0, off
.LBB182_1615:
	s_mov_b64 s[0:1], 0
.LBB182_1616:
	s_andn2_b64 vcc, exec, s[0:1]
	s_cbranch_vccnz .LBB182_1618
; %bb.1617:
	global_store_short v[2:3], v0, off
.LBB182_1618:
	s_mov_b64 s[0:1], 0
.LBB182_1619:
	s_andn2_b64 vcc, exec, s[0:1]
	s_cbranch_vccnz .LBB182_1624
; %bb.1620:
	s_cmp_gt_i32 s3, 0
	s_mov_b64 s[0:1], -1
	s_cbranch_scc0 .LBB182_1622
; %bb.1621:
	global_store_byte v[2:3], v0, off
	s_mov_b64 s[0:1], 0
.LBB182_1622:
	s_andn2_b64 vcc, exec, s[0:1]
	s_cbranch_vccnz .LBB182_1624
; %bb.1623:
	global_store_byte v[2:3], v0, off
.LBB182_1624:
	s_mov_b64 s[10:11], -1
.LBB182_1625:
	s_andn2_b64 vcc, exec, s[10:11]
	s_cbranch_vccnz .LBB182_1940
; %bb.1626:
	s_lshl_b32 s18, s2, 7
	v_add_u32_e32 v4, s18, v4
	v_ashrrev_i32_e32 v1, 31, v4
	v_mov_b32_e32 v3, s9
	v_add_co_u32_e32 v2, vcc, s8, v4
	v_ashrrev_i32_e32 v0, s21, v7
	s_cmp_lt_i32 s20, 11
	v_addc_co_u32_e32 v3, vcc, v3, v1, vcc
	s_cbranch_scc1 .LBB182_1704
; %bb.1627:
	s_and_b32 s19, 0xffff, s20
	s_mov_b64 s[10:11], -1
	s_mov_b64 s[2:3], 0
	s_cmp_gt_i32 s19, 25
	s_mov_b64 s[4:5], 0
	s_mov_b64 s[0:1], 0
	s_cbranch_scc0 .LBB182_1660
; %bb.1628:
	s_cmp_gt_i32 s19, 28
	s_cbranch_scc0 .LBB182_1643
; %bb.1629:
	s_cmp_gt_i32 s19, 43
	;; [unrolled: 3-line block ×3, first 2 shown]
	s_cbranch_scc0 .LBB182_1633
; %bb.1631:
	s_mov_b64 s[0:1], -1
	s_mov_b64 s[10:11], 0
	s_cmp_eq_u32 s19, 46
	s_cbranch_scc0 .LBB182_1633
; %bb.1632:
	v_cvt_f32_i32_e32 v1, v0
	s_movk_i32 s4, 0x7fff
	s_mov_b64 s[0:1], 0
	v_bfe_u32 v7, v1, 16, 1
	v_add3_u32 v1, v1, v7, s4
	v_lshrrev_b32_e32 v1, 16, v1
	global_store_dword v[2:3], v1, off
	s_mov_b64 s[4:5], -1
.LBB182_1633:
	s_and_b64 vcc, exec, s[10:11]
	s_cbranch_vccz .LBB182_1638
; %bb.1634:
	s_cmp_eq_u32 s19, 44
	s_mov_b64 s[0:1], -1
	s_cbranch_scc0 .LBB182_1638
; %bb.1635:
	v_cvt_f32_i32_e32 v1, v0
	s_movk_i32 s0, 0xff
	v_mov_b32_e32 v8, 0xff
	v_bfe_u32 v7, v1, 23, 8
	v_cmp_ne_u32_e32 vcc, s0, v7
	s_and_saveexec_b64 s[4:5], vcc
; %bb.1636:
	s_mov_b32 s0, 0x3fffff
	v_lshrrev_b32_e32 v8, 23, v1
	v_and_b32_e32 v9, 0x400000, v1
	v_and_or_b32 v1, v1, s0, v7
	v_cmp_ne_u32_e32 vcc, 0, v9
	v_cmp_ne_u32_e64 s[0:1], 0, v1
	s_and_b64 s[0:1], vcc, s[0:1]
	v_cndmask_b32_e64 v1, 0, 1, s[0:1]
	v_add_u32_e32 v8, v8, v1
; %bb.1637:
	s_or_b64 exec, exec, s[4:5]
	s_mov_b64 s[0:1], 0
	s_mov_b64 s[4:5], -1
	global_store_byte v[2:3], v8, off
.LBB182_1638:
	s_mov_b64 s[10:11], 0
.LBB182_1639:
	s_and_b64 vcc, exec, s[10:11]
	s_cbranch_vccz .LBB182_1642
; %bb.1640:
	s_cmp_eq_u32 s19, 29
	s_mov_b64 s[0:1], -1
	s_cbranch_scc0 .LBB182_1642
; %bb.1641:
	v_ashrrev_i32_e32 v1, 31, v0
	global_store_dwordx2 v[2:3], v[0:1], off
	s_mov_b64 s[0:1], 0
	s_mov_b64 s[4:5], -1
.LBB182_1642:
	s_mov_b64 s[10:11], 0
.LBB182_1643:
	s_and_b64 vcc, exec, s[10:11]
	s_cbranch_vccz .LBB182_1659
; %bb.1644:
	s_cmp_lt_i32 s19, 27
	s_mov_b64 s[4:5], -1
	s_cbranch_scc1 .LBB182_1650
; %bb.1645:
	s_cmp_gt_i32 s19, 27
	s_cbranch_scc0 .LBB182_1647
; %bb.1646:
	s_mov_b64 s[4:5], 0
	global_store_dword v[2:3], v0, off
.LBB182_1647:
	s_andn2_b64 vcc, exec, s[4:5]
	s_cbranch_vccnz .LBB182_1649
; %bb.1648:
	global_store_short v[2:3], v0, off
.LBB182_1649:
	s_mov_b64 s[4:5], 0
.LBB182_1650:
	s_andn2_b64 vcc, exec, s[4:5]
	s_cbranch_vccnz .LBB182_1658
; %bb.1651:
	v_cvt_f32_i32_e32 v1, v0
	s_mov_b32 s4, 0x43800000
	v_mov_b32_e32 v8, 0x80
	v_and_b32_e32 v7, 0x7fffffff, v1
	v_cmp_gt_u32_e32 vcc, s4, v7
	s_and_saveexec_b64 s[4:5], vcc
	s_cbranch_execz .LBB182_1657
; %bb.1652:
	s_mov_b32 s10, 0x3bffffff
	v_cmp_lt_u32_e32 vcc, s10, v7
	s_mov_b64 s[10:11], 0
                                        ; implicit-def: $vgpr7
	s_and_saveexec_b64 s[12:13], vcc
	s_xor_b64 s[12:13], exec, s[12:13]
	s_cbranch_execz .LBB182_1992
; %bb.1653:
	v_bfe_u32 v7, v1, 20, 1
	s_mov_b32 s22, 0x487ffff
	v_add3_u32 v7, v1, v7, s22
	s_mov_b64 s[10:11], exec
	v_lshrrev_b32_e32 v7, 20, v7
	s_andn2_saveexec_b64 s[12:13], s[12:13]
	s_cbranch_execnz .LBB182_1993
.LBB182_1654:
	s_or_b64 exec, exec, s[12:13]
	v_mov_b32_e32 v8, 0
	s_and_saveexec_b64 s[12:13], s[10:11]
.LBB182_1655:
	v_lshrrev_b32_e32 v1, 24, v1
	s_movk_i32 s10, 0x80
	v_and_or_b32 v8, v1, s10, v7
.LBB182_1656:
	s_or_b64 exec, exec, s[12:13]
.LBB182_1657:
	s_or_b64 exec, exec, s[4:5]
	global_store_byte v[2:3], v8, off
.LBB182_1658:
	s_mov_b64 s[4:5], -1
.LBB182_1659:
	s_mov_b64 s[10:11], 0
.LBB182_1660:
	s_and_b64 vcc, exec, s[10:11]
	s_cbranch_vccz .LBB182_1700
; %bb.1661:
	s_cmp_gt_i32 s19, 22
	s_mov_b64 s[2:3], -1
	s_cbranch_scc0 .LBB182_1693
; %bb.1662:
	s_cmp_lt_i32 s19, 24
	s_cbranch_scc1 .LBB182_1682
; %bb.1663:
	s_cmp_gt_i32 s19, 24
	s_cbranch_scc0 .LBB182_1671
; %bb.1664:
	v_cvt_f32_i32_e32 v1, v0
	s_mov_b32 s2, 0x47800000
	v_mov_b32_e32 v8, 0x80
	v_and_b32_e32 v7, 0x7fffffff, v1
	v_cmp_gt_u32_e32 vcc, s2, v7
	s_and_saveexec_b64 s[2:3], vcc
	s_cbranch_execz .LBB182_1670
; %bb.1665:
	s_mov_b32 s4, 0x37ffffff
	v_cmp_lt_u32_e32 vcc, s4, v7
	s_mov_b64 s[4:5], 0
                                        ; implicit-def: $vgpr7
	s_and_saveexec_b64 s[10:11], vcc
	s_xor_b64 s[10:11], exec, s[10:11]
	s_cbranch_execz .LBB182_1995
; %bb.1666:
	v_bfe_u32 v7, v1, 21, 1
	s_mov_b32 s12, 0x88fffff
	v_add3_u32 v7, v1, v7, s12
	s_mov_b64 s[4:5], exec
	v_lshrrev_b32_e32 v7, 21, v7
	s_andn2_saveexec_b64 s[10:11], s[10:11]
	s_cbranch_execnz .LBB182_1996
.LBB182_1667:
	s_or_b64 exec, exec, s[10:11]
	v_mov_b32_e32 v8, 0
	s_and_saveexec_b64 s[10:11], s[4:5]
.LBB182_1668:
	v_lshrrev_b32_e32 v1, 24, v1
	s_movk_i32 s4, 0x80
	v_and_or_b32 v8, v1, s4, v7
.LBB182_1669:
	s_or_b64 exec, exec, s[10:11]
.LBB182_1670:
	s_or_b64 exec, exec, s[2:3]
	s_mov_b64 s[2:3], 0
	global_store_byte v[2:3], v8, off
.LBB182_1671:
	s_and_b64 vcc, exec, s[2:3]
	s_cbranch_vccz .LBB182_1681
; %bb.1672:
	v_cvt_f32_i32_e32 v1, v0
	s_mov_b32 s2, 0x43f00000
                                        ; implicit-def: $vgpr7
	v_and_b32_e32 v8, 0x7fffffff, v1
	v_cmp_gt_u32_e32 vcc, s2, v8
	s_and_saveexec_b64 s[2:3], vcc
	s_xor_b64 s[2:3], exec, s[2:3]
	s_cbranch_execz .LBB182_1678
; %bb.1673:
	s_mov_b32 s4, 0x3c7fffff
	v_cmp_lt_u32_e32 vcc, s4, v8
                                        ; implicit-def: $vgpr7
	s_and_saveexec_b64 s[4:5], vcc
	s_xor_b64 s[4:5], exec, s[4:5]
; %bb.1674:
	v_bfe_u32 v7, v1, 20, 1
	s_mov_b32 s10, 0x407ffff
	v_add3_u32 v7, v1, v7, s10
	v_lshrrev_b32_e32 v8, 20, v7
	v_and_b32_e32 v7, 0xff00000, v7
	s_mov_b32 s10, 0x7f00000
	v_mov_b32_e32 v9, 0x7e
	v_cmp_ne_u32_e32 vcc, s10, v7
	v_cndmask_b32_e32 v7, v9, v8, vcc
; %bb.1675:
	s_andn2_saveexec_b64 s[4:5], s[4:5]
; %bb.1676:
	s_mov_b32 s10, 0x46800000
	v_add_f32_e64 v7, |v1|, s10
; %bb.1677:
	s_or_b64 exec, exec, s[4:5]
                                        ; implicit-def: $vgpr8
.LBB182_1678:
	s_andn2_saveexec_b64 s[2:3], s[2:3]
; %bb.1679:
	s_mov_b32 s4, 0x7f800000
	v_mov_b32_e32 v7, 0x7e
	v_mov_b32_e32 v9, 0x7f
	v_cmp_lt_u32_e32 vcc, s4, v8
	v_cndmask_b32_e32 v7, v7, v9, vcc
; %bb.1680:
	s_or_b64 exec, exec, s[2:3]
	v_lshrrev_b32_e32 v1, 24, v1
	s_movk_i32 s2, 0x80
	v_and_or_b32 v1, v1, s2, v7
	global_store_byte v[2:3], v1, off
.LBB182_1681:
	s_mov_b64 s[2:3], 0
.LBB182_1682:
	s_andn2_b64 vcc, exec, s[2:3]
	s_cbranch_vccnz .LBB182_1692
; %bb.1683:
	v_cvt_f32_i32_e32 v1, v0
	s_mov_b32 s2, 0x47800000
                                        ; implicit-def: $vgpr7
	v_and_b32_e32 v8, 0x7fffffff, v1
	v_cmp_gt_u32_e32 vcc, s2, v8
	s_and_saveexec_b64 s[2:3], vcc
	s_xor_b64 s[2:3], exec, s[2:3]
	s_cbranch_execz .LBB182_1689
; %bb.1684:
	s_mov_b32 s4, 0x387fffff
	v_cmp_lt_u32_e32 vcc, s4, v8
                                        ; implicit-def: $vgpr7
	s_and_saveexec_b64 s[4:5], vcc
	s_xor_b64 s[4:5], exec, s[4:5]
; %bb.1685:
	v_bfe_u32 v7, v1, 21, 1
	s_mov_b32 s10, 0x80fffff
	v_add3_u32 v7, v1, v7, s10
	v_lshrrev_b32_e32 v7, 21, v7
; %bb.1686:
	s_andn2_saveexec_b64 s[4:5], s[4:5]
; %bb.1687:
	s_mov_b32 s10, 0x43000000
	v_add_f32_e64 v7, |v1|, s10
; %bb.1688:
	s_or_b64 exec, exec, s[4:5]
                                        ; implicit-def: $vgpr8
.LBB182_1689:
	s_andn2_saveexec_b64 s[2:3], s[2:3]
; %bb.1690:
	s_mov_b32 s4, 0x7f800000
	v_mov_b32_e32 v7, 0x7c
	v_mov_b32_e32 v9, 0x7f
	v_cmp_lt_u32_e32 vcc, s4, v8
	v_cndmask_b32_e32 v7, v7, v9, vcc
; %bb.1691:
	s_or_b64 exec, exec, s[2:3]
	v_lshrrev_b32_e32 v1, 24, v1
	s_movk_i32 s2, 0x80
	v_and_or_b32 v1, v1, s2, v7
	global_store_byte v[2:3], v1, off
.LBB182_1692:
	s_mov_b64 s[2:3], 0
	s_mov_b64 s[4:5], -1
.LBB182_1693:
	s_andn2_b64 vcc, exec, s[2:3]
	s_mov_b64 s[2:3], 0
	s_cbranch_vccnz .LBB182_1700
; %bb.1694:
	s_cmp_gt_i32 s19, 14
	s_mov_b64 s[10:11], -1
	s_cbranch_scc0 .LBB182_1698
; %bb.1695:
	s_cmp_eq_u32 s19, 15
	s_mov_b64 s[0:1], -1
	s_cbranch_scc0 .LBB182_1697
; %bb.1696:
	v_cvt_f32_i32_e32 v1, v0
	s_movk_i32 s2, 0x7fff
	s_mov_b64 s[0:1], 0
	s_mov_b64 s[4:5], -1
	v_bfe_u32 v7, v1, 16, 1
	v_add3_u32 v1, v1, v7, s2
	global_store_short_d16_hi v[2:3], v1, off
.LBB182_1697:
	s_mov_b64 s[10:11], 0
.LBB182_1698:
	s_mov_b64 s[2:3], 0
	s_and_b64 vcc, exec, s[10:11]
	s_cbranch_vccz .LBB182_1700
; %bb.1699:
	s_cmp_lg_u32 s19, 11
	s_mov_b64 s[2:3], -1
	s_cselect_b64 s[0:1], -1, 0
.LBB182_1700:
	s_and_b64 vcc, exec, s[0:1]
	s_cbranch_vccnz .LBB182_1994
; %bb.1701:
	s_andn2_b64 vcc, exec, s[2:3]
	s_cbranch_vccnz .LBB182_1703
.LBB182_1702:
	v_cmp_ne_u32_e32 vcc, 0, v0
	v_cndmask_b32_e64 v1, 0, 1, vcc
	s_mov_b64 s[4:5], -1
	global_store_byte v[2:3], v1, off
.LBB182_1703:
	s_mov_b64 s[0:1], 0
	s_branch .LBB182_1705
.LBB182_1704:
	s_mov_b64 s[0:1], -1
	s_mov_b64 s[4:5], 0
.LBB182_1705:
	s_and_b64 vcc, exec, s[0:1]
	s_cbranch_vccz .LBB182_1744
; %bb.1706:
	s_and_b32 s2, 0xffff, s20
	s_cmp_lt_i32 s2, 5
	s_mov_b64 s[0:1], -1
	s_cbranch_scc1 .LBB182_1727
; %bb.1707:
	s_cmp_lt_i32 s2, 8
	s_cbranch_scc1 .LBB182_1717
; %bb.1708:
	s_cmp_lt_i32 s2, 9
	s_cbranch_scc1 .LBB182_1714
; %bb.1709:
	s_cmp_gt_i32 s2, 9
	s_cbranch_scc0 .LBB182_1711
; %bb.1710:
	v_cvt_f64_i32_e32 v[7:8], v0
	v_mov_b32_e32 v9, 0
	v_mov_b32_e32 v10, v9
	s_mov_b64 s[0:1], 0
	global_store_dwordx4 v[2:3], v[7:10], off
.LBB182_1711:
	s_andn2_b64 vcc, exec, s[0:1]
	s_cbranch_vccnz .LBB182_1713
; %bb.1712:
	v_cvt_f32_i32_e32 v7, v0
	v_mov_b32_e32 v8, 0
	global_store_dwordx2 v[2:3], v[7:8], off
.LBB182_1713:
	s_mov_b64 s[0:1], 0
.LBB182_1714:
	s_andn2_b64 vcc, exec, s[0:1]
	s_cbranch_vccnz .LBB182_1716
; %bb.1715:
	v_cvt_f32_i32_e32 v1, v0
	v_cvt_f16_f32_e32 v1, v1
	global_store_dword v[2:3], v1, off
.LBB182_1716:
	s_mov_b64 s[0:1], 0
.LBB182_1717:
	s_andn2_b64 vcc, exec, s[0:1]
	s_cbranch_vccnz .LBB182_1726
; %bb.1718:
	s_cmp_lt_i32 s2, 6
	s_mov_b64 s[0:1], -1
	s_cbranch_scc1 .LBB182_1724
; %bb.1719:
	s_cmp_gt_i32 s2, 6
	s_cbranch_scc0 .LBB182_1721
; %bb.1720:
	v_cvt_f64_i32_e32 v[7:8], v0
	s_mov_b64 s[0:1], 0
	global_store_dwordx2 v[2:3], v[7:8], off
.LBB182_1721:
	s_andn2_b64 vcc, exec, s[0:1]
	s_cbranch_vccnz .LBB182_1723
; %bb.1722:
	v_cvt_f32_i32_e32 v1, v0
	global_store_dword v[2:3], v1, off
.LBB182_1723:
	s_mov_b64 s[0:1], 0
.LBB182_1724:
	s_andn2_b64 vcc, exec, s[0:1]
	s_cbranch_vccnz .LBB182_1726
; %bb.1725:
	v_cvt_f32_i32_e32 v1, v0
	v_cvt_f16_f32_e32 v1, v1
	global_store_short v[2:3], v1, off
.LBB182_1726:
	s_mov_b64 s[0:1], 0
.LBB182_1727:
	s_andn2_b64 vcc, exec, s[0:1]
	s_cbranch_vccnz .LBB182_1743
; %bb.1728:
	s_cmp_lt_i32 s2, 2
	s_mov_b64 s[0:1], -1
	s_cbranch_scc1 .LBB182_1738
; %bb.1729:
	s_cmp_lt_i32 s2, 3
	s_cbranch_scc1 .LBB182_1735
; %bb.1730:
	s_cmp_gt_i32 s2, 3
	s_cbranch_scc0 .LBB182_1732
; %bb.1731:
	v_ashrrev_i32_e32 v1, 31, v0
	global_store_dwordx2 v[2:3], v[0:1], off
	s_mov_b64 s[0:1], 0
.LBB182_1732:
	s_andn2_b64 vcc, exec, s[0:1]
	s_cbranch_vccnz .LBB182_1734
; %bb.1733:
	global_store_dword v[2:3], v0, off
.LBB182_1734:
	s_mov_b64 s[0:1], 0
.LBB182_1735:
	s_andn2_b64 vcc, exec, s[0:1]
	s_cbranch_vccnz .LBB182_1737
; %bb.1736:
	global_store_short v[2:3], v0, off
.LBB182_1737:
	s_mov_b64 s[0:1], 0
.LBB182_1738:
	s_andn2_b64 vcc, exec, s[0:1]
	s_cbranch_vccnz .LBB182_1743
; %bb.1739:
	s_cmp_gt_i32 s2, 0
	s_mov_b64 s[0:1], -1
	s_cbranch_scc0 .LBB182_1741
; %bb.1740:
	global_store_byte v[2:3], v0, off
	s_mov_b64 s[0:1], 0
.LBB182_1741:
	s_andn2_b64 vcc, exec, s[0:1]
	s_cbranch_vccnz .LBB182_1743
; %bb.1742:
	global_store_byte v[2:3], v0, off
.LBB182_1743:
	s_mov_b64 s[4:5], -1
.LBB182_1744:
	s_andn2_b64 vcc, exec, s[4:5]
	s_cbranch_vccnz .LBB182_1940
; %bb.1745:
	v_add_u32_e32 v4, s18, v4
	v_ashrrev_i32_e32 v1, 31, v4
	v_mov_b32_e32 v3, s9
	v_add_co_u32_e32 v2, vcc, s8, v4
	v_ashrrev_i32_e32 v0, s21, v6
	s_cmp_lt_i32 s20, 11
	v_addc_co_u32_e32 v3, vcc, v3, v1, vcc
	s_cbranch_scc1 .LBB182_1823
; %bb.1746:
	s_and_b32 s19, 0xffff, s20
	s_mov_b64 s[10:11], -1
	s_mov_b64 s[2:3], 0
	s_cmp_gt_i32 s19, 25
	s_mov_b64 s[4:5], 0
	s_mov_b64 s[0:1], 0
	s_cbranch_scc0 .LBB182_1779
; %bb.1747:
	s_cmp_gt_i32 s19, 28
	s_cbranch_scc0 .LBB182_1762
; %bb.1748:
	s_cmp_gt_i32 s19, 43
	;; [unrolled: 3-line block ×3, first 2 shown]
	s_cbranch_scc0 .LBB182_1752
; %bb.1750:
	s_mov_b64 s[0:1], -1
	s_mov_b64 s[10:11], 0
	s_cmp_eq_u32 s19, 46
	s_cbranch_scc0 .LBB182_1752
; %bb.1751:
	v_cvt_f32_i32_e32 v1, v0
	s_movk_i32 s4, 0x7fff
	s_mov_b64 s[0:1], 0
	v_bfe_u32 v6, v1, 16, 1
	v_add3_u32 v1, v1, v6, s4
	v_lshrrev_b32_e32 v1, 16, v1
	global_store_dword v[2:3], v1, off
	s_mov_b64 s[4:5], -1
.LBB182_1752:
	s_and_b64 vcc, exec, s[10:11]
	s_cbranch_vccz .LBB182_1757
; %bb.1753:
	s_cmp_eq_u32 s19, 44
	s_mov_b64 s[0:1], -1
	s_cbranch_scc0 .LBB182_1757
; %bb.1754:
	v_cvt_f32_i32_e32 v1, v0
	s_movk_i32 s0, 0xff
	v_mov_b32_e32 v7, 0xff
	v_bfe_u32 v6, v1, 23, 8
	v_cmp_ne_u32_e32 vcc, s0, v6
	s_and_saveexec_b64 s[4:5], vcc
; %bb.1755:
	s_mov_b32 s0, 0x3fffff
	v_lshrrev_b32_e32 v7, 23, v1
	v_and_b32_e32 v8, 0x400000, v1
	v_and_or_b32 v1, v1, s0, v6
	v_cmp_ne_u32_e32 vcc, 0, v8
	v_cmp_ne_u32_e64 s[0:1], 0, v1
	s_and_b64 s[0:1], vcc, s[0:1]
	v_cndmask_b32_e64 v1, 0, 1, s[0:1]
	v_add_u32_e32 v7, v7, v1
; %bb.1756:
	s_or_b64 exec, exec, s[4:5]
	s_mov_b64 s[0:1], 0
	s_mov_b64 s[4:5], -1
	global_store_byte v[2:3], v7, off
.LBB182_1757:
	s_mov_b64 s[10:11], 0
.LBB182_1758:
	s_and_b64 vcc, exec, s[10:11]
	s_cbranch_vccz .LBB182_1761
; %bb.1759:
	s_cmp_eq_u32 s19, 29
	s_mov_b64 s[0:1], -1
	s_cbranch_scc0 .LBB182_1761
; %bb.1760:
	v_ashrrev_i32_e32 v1, 31, v0
	global_store_dwordx2 v[2:3], v[0:1], off
	s_mov_b64 s[0:1], 0
	s_mov_b64 s[4:5], -1
.LBB182_1761:
	s_mov_b64 s[10:11], 0
.LBB182_1762:
	s_and_b64 vcc, exec, s[10:11]
	s_cbranch_vccz .LBB182_1778
; %bb.1763:
	s_cmp_lt_i32 s19, 27
	s_mov_b64 s[4:5], -1
	s_cbranch_scc1 .LBB182_1769
; %bb.1764:
	s_cmp_gt_i32 s19, 27
	s_cbranch_scc0 .LBB182_1766
; %bb.1765:
	s_mov_b64 s[4:5], 0
	global_store_dword v[2:3], v0, off
.LBB182_1766:
	s_andn2_b64 vcc, exec, s[4:5]
	s_cbranch_vccnz .LBB182_1768
; %bb.1767:
	global_store_short v[2:3], v0, off
.LBB182_1768:
	s_mov_b64 s[4:5], 0
.LBB182_1769:
	s_andn2_b64 vcc, exec, s[4:5]
	s_cbranch_vccnz .LBB182_1777
; %bb.1770:
	v_cvt_f32_i32_e32 v1, v0
	s_mov_b32 s4, 0x43800000
	v_mov_b32_e32 v7, 0x80
	v_and_b32_e32 v6, 0x7fffffff, v1
	v_cmp_gt_u32_e32 vcc, s4, v6
	s_and_saveexec_b64 s[4:5], vcc
	s_cbranch_execz .LBB182_1776
; %bb.1771:
	s_mov_b32 s10, 0x3bffffff
	v_cmp_lt_u32_e32 vcc, s10, v6
	s_mov_b64 s[10:11], 0
                                        ; implicit-def: $vgpr6
	s_and_saveexec_b64 s[12:13], vcc
	s_xor_b64 s[12:13], exec, s[12:13]
	s_cbranch_execz .LBB182_1997
; %bb.1772:
	v_bfe_u32 v6, v1, 20, 1
	s_mov_b32 s22, 0x487ffff
	v_add3_u32 v6, v1, v6, s22
	s_mov_b64 s[10:11], exec
	v_lshrrev_b32_e32 v6, 20, v6
	s_andn2_saveexec_b64 s[12:13], s[12:13]
	s_cbranch_execnz .LBB182_1998
.LBB182_1773:
	s_or_b64 exec, exec, s[12:13]
	v_mov_b32_e32 v7, 0
	s_and_saveexec_b64 s[12:13], s[10:11]
.LBB182_1774:
	v_lshrrev_b32_e32 v1, 24, v1
	s_movk_i32 s10, 0x80
	v_and_or_b32 v7, v1, s10, v6
.LBB182_1775:
	s_or_b64 exec, exec, s[12:13]
.LBB182_1776:
	s_or_b64 exec, exec, s[4:5]
	global_store_byte v[2:3], v7, off
.LBB182_1777:
	s_mov_b64 s[4:5], -1
.LBB182_1778:
	s_mov_b64 s[10:11], 0
.LBB182_1779:
	s_and_b64 vcc, exec, s[10:11]
	s_cbranch_vccz .LBB182_1819
; %bb.1780:
	s_cmp_gt_i32 s19, 22
	s_mov_b64 s[2:3], -1
	s_cbranch_scc0 .LBB182_1812
; %bb.1781:
	s_cmp_lt_i32 s19, 24
	s_cbranch_scc1 .LBB182_1801
; %bb.1782:
	s_cmp_gt_i32 s19, 24
	s_cbranch_scc0 .LBB182_1790
; %bb.1783:
	v_cvt_f32_i32_e32 v1, v0
	s_mov_b32 s2, 0x47800000
	v_mov_b32_e32 v7, 0x80
	v_and_b32_e32 v6, 0x7fffffff, v1
	v_cmp_gt_u32_e32 vcc, s2, v6
	s_and_saveexec_b64 s[2:3], vcc
	s_cbranch_execz .LBB182_1789
; %bb.1784:
	s_mov_b32 s4, 0x37ffffff
	v_cmp_lt_u32_e32 vcc, s4, v6
	s_mov_b64 s[4:5], 0
                                        ; implicit-def: $vgpr6
	s_and_saveexec_b64 s[10:11], vcc
	s_xor_b64 s[10:11], exec, s[10:11]
	s_cbranch_execz .LBB182_2000
; %bb.1785:
	v_bfe_u32 v6, v1, 21, 1
	s_mov_b32 s12, 0x88fffff
	v_add3_u32 v6, v1, v6, s12
	s_mov_b64 s[4:5], exec
	v_lshrrev_b32_e32 v6, 21, v6
	s_andn2_saveexec_b64 s[10:11], s[10:11]
	s_cbranch_execnz .LBB182_2001
.LBB182_1786:
	s_or_b64 exec, exec, s[10:11]
	v_mov_b32_e32 v7, 0
	s_and_saveexec_b64 s[10:11], s[4:5]
.LBB182_1787:
	v_lshrrev_b32_e32 v1, 24, v1
	s_movk_i32 s4, 0x80
	v_and_or_b32 v7, v1, s4, v6
.LBB182_1788:
	s_or_b64 exec, exec, s[10:11]
.LBB182_1789:
	s_or_b64 exec, exec, s[2:3]
	s_mov_b64 s[2:3], 0
	global_store_byte v[2:3], v7, off
.LBB182_1790:
	s_and_b64 vcc, exec, s[2:3]
	s_cbranch_vccz .LBB182_1800
; %bb.1791:
	v_cvt_f32_i32_e32 v1, v0
	s_mov_b32 s2, 0x43f00000
                                        ; implicit-def: $vgpr6
	v_and_b32_e32 v7, 0x7fffffff, v1
	v_cmp_gt_u32_e32 vcc, s2, v7
	s_and_saveexec_b64 s[2:3], vcc
	s_xor_b64 s[2:3], exec, s[2:3]
	s_cbranch_execz .LBB182_1797
; %bb.1792:
	s_mov_b32 s4, 0x3c7fffff
	v_cmp_lt_u32_e32 vcc, s4, v7
                                        ; implicit-def: $vgpr6
	s_and_saveexec_b64 s[4:5], vcc
	s_xor_b64 s[4:5], exec, s[4:5]
; %bb.1793:
	v_bfe_u32 v6, v1, 20, 1
	s_mov_b32 s10, 0x407ffff
	v_add3_u32 v6, v1, v6, s10
	v_lshrrev_b32_e32 v7, 20, v6
	v_and_b32_e32 v6, 0xff00000, v6
	s_mov_b32 s10, 0x7f00000
	v_mov_b32_e32 v8, 0x7e
	v_cmp_ne_u32_e32 vcc, s10, v6
	v_cndmask_b32_e32 v6, v8, v7, vcc
; %bb.1794:
	s_andn2_saveexec_b64 s[4:5], s[4:5]
; %bb.1795:
	s_mov_b32 s10, 0x46800000
	v_add_f32_e64 v6, |v1|, s10
; %bb.1796:
	s_or_b64 exec, exec, s[4:5]
                                        ; implicit-def: $vgpr7
.LBB182_1797:
	s_andn2_saveexec_b64 s[2:3], s[2:3]
; %bb.1798:
	s_mov_b32 s4, 0x7f800000
	v_mov_b32_e32 v6, 0x7e
	v_mov_b32_e32 v8, 0x7f
	v_cmp_lt_u32_e32 vcc, s4, v7
	v_cndmask_b32_e32 v6, v6, v8, vcc
; %bb.1799:
	s_or_b64 exec, exec, s[2:3]
	v_lshrrev_b32_e32 v1, 24, v1
	s_movk_i32 s2, 0x80
	v_and_or_b32 v1, v1, s2, v6
	global_store_byte v[2:3], v1, off
.LBB182_1800:
	s_mov_b64 s[2:3], 0
.LBB182_1801:
	s_andn2_b64 vcc, exec, s[2:3]
	s_cbranch_vccnz .LBB182_1811
; %bb.1802:
	v_cvt_f32_i32_e32 v1, v0
	s_mov_b32 s2, 0x47800000
                                        ; implicit-def: $vgpr6
	v_and_b32_e32 v7, 0x7fffffff, v1
	v_cmp_gt_u32_e32 vcc, s2, v7
	s_and_saveexec_b64 s[2:3], vcc
	s_xor_b64 s[2:3], exec, s[2:3]
	s_cbranch_execz .LBB182_1808
; %bb.1803:
	s_mov_b32 s4, 0x387fffff
	v_cmp_lt_u32_e32 vcc, s4, v7
                                        ; implicit-def: $vgpr6
	s_and_saveexec_b64 s[4:5], vcc
	s_xor_b64 s[4:5], exec, s[4:5]
; %bb.1804:
	v_bfe_u32 v6, v1, 21, 1
	s_mov_b32 s10, 0x80fffff
	v_add3_u32 v6, v1, v6, s10
	v_lshrrev_b32_e32 v6, 21, v6
; %bb.1805:
	s_andn2_saveexec_b64 s[4:5], s[4:5]
; %bb.1806:
	s_mov_b32 s10, 0x43000000
	v_add_f32_e64 v6, |v1|, s10
; %bb.1807:
	s_or_b64 exec, exec, s[4:5]
                                        ; implicit-def: $vgpr7
.LBB182_1808:
	s_andn2_saveexec_b64 s[2:3], s[2:3]
; %bb.1809:
	s_mov_b32 s4, 0x7f800000
	v_mov_b32_e32 v6, 0x7c
	v_mov_b32_e32 v8, 0x7f
	v_cmp_lt_u32_e32 vcc, s4, v7
	v_cndmask_b32_e32 v6, v6, v8, vcc
; %bb.1810:
	s_or_b64 exec, exec, s[2:3]
	v_lshrrev_b32_e32 v1, 24, v1
	s_movk_i32 s2, 0x80
	v_and_or_b32 v1, v1, s2, v6
	global_store_byte v[2:3], v1, off
.LBB182_1811:
	s_mov_b64 s[2:3], 0
	s_mov_b64 s[4:5], -1
.LBB182_1812:
	s_andn2_b64 vcc, exec, s[2:3]
	s_mov_b64 s[2:3], 0
	s_cbranch_vccnz .LBB182_1819
; %bb.1813:
	s_cmp_gt_i32 s19, 14
	s_mov_b64 s[10:11], -1
	s_cbranch_scc0 .LBB182_1817
; %bb.1814:
	s_cmp_eq_u32 s19, 15
	s_mov_b64 s[0:1], -1
	s_cbranch_scc0 .LBB182_1816
; %bb.1815:
	v_cvt_f32_i32_e32 v1, v0
	s_movk_i32 s2, 0x7fff
	s_mov_b64 s[0:1], 0
	s_mov_b64 s[4:5], -1
	v_bfe_u32 v6, v1, 16, 1
	v_add3_u32 v1, v1, v6, s2
	global_store_short_d16_hi v[2:3], v1, off
.LBB182_1816:
	s_mov_b64 s[10:11], 0
.LBB182_1817:
	s_mov_b64 s[2:3], 0
	s_and_b64 vcc, exec, s[10:11]
	s_cbranch_vccz .LBB182_1819
; %bb.1818:
	s_cmp_lg_u32 s19, 11
	s_mov_b64 s[2:3], -1
	s_cselect_b64 s[0:1], -1, 0
.LBB182_1819:
	s_and_b64 vcc, exec, s[0:1]
	s_cbranch_vccnz .LBB182_1999
; %bb.1820:
	s_andn2_b64 vcc, exec, s[2:3]
	s_cbranch_vccnz .LBB182_1822
.LBB182_1821:
	v_cmp_ne_u32_e32 vcc, 0, v0
	v_cndmask_b32_e64 v1, 0, 1, vcc
	s_mov_b64 s[4:5], -1
	global_store_byte v[2:3], v1, off
.LBB182_1822:
	s_mov_b64 s[0:1], 0
	s_branch .LBB182_1824
.LBB182_1823:
	s_mov_b64 s[0:1], -1
	s_mov_b64 s[4:5], 0
.LBB182_1824:
	s_and_b64 vcc, exec, s[0:1]
	s_cbranch_vccz .LBB182_1863
; %bb.1825:
	s_and_b32 s2, 0xffff, s20
	s_cmp_lt_i32 s2, 5
	s_mov_b64 s[0:1], -1
	s_cbranch_scc1 .LBB182_1846
; %bb.1826:
	s_cmp_lt_i32 s2, 8
	s_cbranch_scc1 .LBB182_1836
; %bb.1827:
	s_cmp_lt_i32 s2, 9
	s_cbranch_scc1 .LBB182_1833
; %bb.1828:
	s_cmp_gt_i32 s2, 9
	s_cbranch_scc0 .LBB182_1830
; %bb.1829:
	v_cvt_f64_i32_e32 v[6:7], v0
	v_mov_b32_e32 v8, 0
	v_mov_b32_e32 v9, v8
	s_mov_b64 s[0:1], 0
	global_store_dwordx4 v[2:3], v[6:9], off
.LBB182_1830:
	s_andn2_b64 vcc, exec, s[0:1]
	s_cbranch_vccnz .LBB182_1832
; %bb.1831:
	v_cvt_f32_i32_e32 v6, v0
	v_mov_b32_e32 v7, 0
	global_store_dwordx2 v[2:3], v[6:7], off
.LBB182_1832:
	s_mov_b64 s[0:1], 0
.LBB182_1833:
	s_andn2_b64 vcc, exec, s[0:1]
	s_cbranch_vccnz .LBB182_1835
; %bb.1834:
	v_cvt_f32_i32_e32 v1, v0
	v_cvt_f16_f32_e32 v1, v1
	global_store_dword v[2:3], v1, off
.LBB182_1835:
	s_mov_b64 s[0:1], 0
.LBB182_1836:
	s_andn2_b64 vcc, exec, s[0:1]
	s_cbranch_vccnz .LBB182_1845
; %bb.1837:
	s_cmp_lt_i32 s2, 6
	s_mov_b64 s[0:1], -1
	s_cbranch_scc1 .LBB182_1843
; %bb.1838:
	s_cmp_gt_i32 s2, 6
	s_cbranch_scc0 .LBB182_1840
; %bb.1839:
	v_cvt_f64_i32_e32 v[6:7], v0
	s_mov_b64 s[0:1], 0
	global_store_dwordx2 v[2:3], v[6:7], off
.LBB182_1840:
	s_andn2_b64 vcc, exec, s[0:1]
	s_cbranch_vccnz .LBB182_1842
; %bb.1841:
	v_cvt_f32_i32_e32 v1, v0
	global_store_dword v[2:3], v1, off
.LBB182_1842:
	s_mov_b64 s[0:1], 0
.LBB182_1843:
	s_andn2_b64 vcc, exec, s[0:1]
	s_cbranch_vccnz .LBB182_1845
; %bb.1844:
	v_cvt_f32_i32_e32 v1, v0
	v_cvt_f16_f32_e32 v1, v1
	global_store_short v[2:3], v1, off
.LBB182_1845:
	s_mov_b64 s[0:1], 0
.LBB182_1846:
	s_andn2_b64 vcc, exec, s[0:1]
	s_cbranch_vccnz .LBB182_1862
; %bb.1847:
	s_cmp_lt_i32 s2, 2
	s_mov_b64 s[0:1], -1
	s_cbranch_scc1 .LBB182_1857
; %bb.1848:
	s_cmp_lt_i32 s2, 3
	s_cbranch_scc1 .LBB182_1854
; %bb.1849:
	s_cmp_gt_i32 s2, 3
	s_cbranch_scc0 .LBB182_1851
; %bb.1850:
	v_ashrrev_i32_e32 v1, 31, v0
	global_store_dwordx2 v[2:3], v[0:1], off
	s_mov_b64 s[0:1], 0
.LBB182_1851:
	s_andn2_b64 vcc, exec, s[0:1]
	s_cbranch_vccnz .LBB182_1853
; %bb.1852:
	global_store_dword v[2:3], v0, off
.LBB182_1853:
	s_mov_b64 s[0:1], 0
.LBB182_1854:
	s_andn2_b64 vcc, exec, s[0:1]
	s_cbranch_vccnz .LBB182_1856
; %bb.1855:
	global_store_short v[2:3], v0, off
.LBB182_1856:
	s_mov_b64 s[0:1], 0
.LBB182_1857:
	s_andn2_b64 vcc, exec, s[0:1]
	s_cbranch_vccnz .LBB182_1862
; %bb.1858:
	s_cmp_gt_i32 s2, 0
	s_mov_b64 s[0:1], -1
	s_cbranch_scc0 .LBB182_1860
; %bb.1859:
	global_store_byte v[2:3], v0, off
	s_mov_b64 s[0:1], 0
.LBB182_1860:
	s_andn2_b64 vcc, exec, s[0:1]
	s_cbranch_vccnz .LBB182_1862
; %bb.1861:
	global_store_byte v[2:3], v0, off
.LBB182_1862:
	s_mov_b64 s[4:5], -1
.LBB182_1863:
	s_andn2_b64 vcc, exec, s[4:5]
	s_cbranch_vccnz .LBB182_1940
; %bb.1864:
	v_add_u32_e32 v1, s18, v4
	v_ashrrev_i32_e32 v3, 31, v1
	v_mov_b32_e32 v4, s9
	v_add_co_u32_e32 v2, vcc, s8, v1
	v_ashrrev_i32_e32 v0, s21, v5
	s_cmp_lt_i32 s20, 11
	v_addc_co_u32_e32 v3, vcc, v4, v3, vcc
	s_cbranch_scc1 .LBB182_1985
; %bb.1865:
	s_and_b32 s12, 0xffff, s20
	s_mov_b64 s[4:5], -1
	s_mov_b64 s[2:3], 0
	s_cmp_gt_i32 s12, 25
	s_mov_b64 s[0:1], 0
	s_cbranch_scc0 .LBB182_1898
; %bb.1866:
	s_cmp_gt_i32 s12, 28
	s_cbranch_scc0 .LBB182_1882
; %bb.1867:
	s_cmp_gt_i32 s12, 43
	;; [unrolled: 3-line block ×3, first 2 shown]
	s_cbranch_scc0 .LBB182_1872
; %bb.1869:
	s_cmp_eq_u32 s12, 46
	s_mov_b64 s[0:1], -1
	s_cbranch_scc0 .LBB182_1871
; %bb.1870:
	v_cvt_f32_i32_e32 v1, v0
	s_movk_i32 s0, 0x7fff
	v_bfe_u32 v4, v1, 16, 1
	v_add3_u32 v1, v1, v4, s0
	v_lshrrev_b32_e32 v1, 16, v1
	global_store_dword v[2:3], v1, off
	s_mov_b64 s[0:1], 0
.LBB182_1871:
	s_mov_b64 s[4:5], 0
.LBB182_1872:
	s_and_b64 vcc, exec, s[4:5]
	s_cbranch_vccz .LBB182_1877
; %bb.1873:
	s_cmp_eq_u32 s12, 44
	s_mov_b64 s[0:1], -1
	s_cbranch_scc0 .LBB182_1877
; %bb.1874:
	v_cvt_f32_i32_e32 v1, v0
	s_movk_i32 s0, 0xff
	v_mov_b32_e32 v5, 0xff
	v_bfe_u32 v4, v1, 23, 8
	v_cmp_ne_u32_e32 vcc, s0, v4
	s_and_saveexec_b64 s[4:5], vcc
; %bb.1875:
	s_mov_b32 s0, 0x3fffff
	v_lshrrev_b32_e32 v5, 23, v1
	v_and_b32_e32 v6, 0x400000, v1
	v_and_or_b32 v1, v1, s0, v4
	v_cmp_ne_u32_e32 vcc, 0, v6
	v_cmp_ne_u32_e64 s[0:1], 0, v1
	s_and_b64 s[0:1], vcc, s[0:1]
	v_cndmask_b32_e64 v1, 0, 1, s[0:1]
	v_add_u32_e32 v5, v5, v1
; %bb.1876:
	s_or_b64 exec, exec, s[4:5]
	s_mov_b64 s[0:1], 0
	global_store_byte v[2:3], v5, off
.LBB182_1877:
	s_mov_b64 s[4:5], 0
.LBB182_1878:
	s_and_b64 vcc, exec, s[4:5]
	s_cbranch_vccz .LBB182_1881
; %bb.1879:
	s_cmp_eq_u32 s12, 29
	s_mov_b64 s[0:1], -1
	s_cbranch_scc0 .LBB182_1881
; %bb.1880:
	v_ashrrev_i32_e32 v1, 31, v0
	global_store_dwordx2 v[2:3], v[0:1], off
	s_mov_b64 s[0:1], 0
.LBB182_1881:
	s_mov_b64 s[4:5], 0
.LBB182_1882:
	s_and_b64 vcc, exec, s[4:5]
	s_cbranch_vccz .LBB182_1897
; %bb.1883:
	s_cmp_lt_i32 s12, 27
	s_mov_b64 s[4:5], -1
	s_cbranch_scc1 .LBB182_1889
; %bb.1884:
	s_cmp_gt_i32 s12, 27
	s_cbranch_scc0 .LBB182_1886
; %bb.1885:
	global_store_dword v[2:3], v0, off
	s_mov_b64 s[4:5], 0
.LBB182_1886:
	s_andn2_b64 vcc, exec, s[4:5]
	s_cbranch_vccnz .LBB182_1888
; %bb.1887:
	global_store_short v[2:3], v0, off
.LBB182_1888:
	s_mov_b64 s[4:5], 0
.LBB182_1889:
	s_andn2_b64 vcc, exec, s[4:5]
	s_cbranch_vccnz .LBB182_1897
; %bb.1890:
	v_cvt_f32_i32_e32 v1, v0
	s_mov_b32 s4, 0x43800000
	v_mov_b32_e32 v5, 0x80
	v_and_b32_e32 v4, 0x7fffffff, v1
	v_cmp_gt_u32_e32 vcc, s4, v4
	s_and_saveexec_b64 s[4:5], vcc
	s_cbranch_execz .LBB182_1896
; %bb.1891:
	s_mov_b32 s8, 0x3bffffff
	v_cmp_lt_u32_e32 vcc, s8, v4
	s_mov_b64 s[8:9], 0
                                        ; implicit-def: $vgpr4
	s_and_saveexec_b64 s[10:11], vcc
	s_xor_b64 s[10:11], exec, s[10:11]
	s_cbranch_execz .LBB182_2002
; %bb.1892:
	v_bfe_u32 v4, v1, 20, 1
	s_mov_b32 s13, 0x487ffff
	v_add3_u32 v4, v1, v4, s13
	s_mov_b64 s[8:9], exec
	v_lshrrev_b32_e32 v4, 20, v4
	s_andn2_saveexec_b64 s[10:11], s[10:11]
	s_cbranch_execnz .LBB182_2003
.LBB182_1893:
	s_or_b64 exec, exec, s[10:11]
	v_mov_b32_e32 v5, 0
	s_and_saveexec_b64 s[10:11], s[8:9]
.LBB182_1894:
	v_lshrrev_b32_e32 v1, 24, v1
	s_movk_i32 s8, 0x80
	v_and_or_b32 v5, v1, s8, v4
.LBB182_1895:
	s_or_b64 exec, exec, s[10:11]
.LBB182_1896:
	s_or_b64 exec, exec, s[4:5]
	global_store_byte v[2:3], v5, off
.LBB182_1897:
	s_mov_b64 s[4:5], 0
.LBB182_1898:
	s_and_b64 vcc, exec, s[4:5]
	s_cbranch_vccz .LBB182_1938
; %bb.1899:
	s_cmp_gt_i32 s12, 22
	s_mov_b64 s[2:3], -1
	s_cbranch_scc0 .LBB182_1931
; %bb.1900:
	s_cmp_lt_i32 s12, 24
	s_cbranch_scc1 .LBB182_1920
; %bb.1901:
	s_cmp_gt_i32 s12, 24
	s_cbranch_scc0 .LBB182_1909
; %bb.1902:
	v_cvt_f32_i32_e32 v1, v0
	s_mov_b32 s2, 0x47800000
	v_mov_b32_e32 v5, 0x80
	v_and_b32_e32 v4, 0x7fffffff, v1
	v_cmp_gt_u32_e32 vcc, s2, v4
	s_and_saveexec_b64 s[2:3], vcc
	s_cbranch_execz .LBB182_1908
; %bb.1903:
	s_mov_b32 s4, 0x37ffffff
	v_cmp_lt_u32_e32 vcc, s4, v4
	s_mov_b64 s[4:5], 0
                                        ; implicit-def: $vgpr4
	s_and_saveexec_b64 s[8:9], vcc
	s_xor_b64 s[8:9], exec, s[8:9]
	s_cbranch_execz .LBB182_2005
; %bb.1904:
	v_bfe_u32 v4, v1, 21, 1
	s_mov_b32 s10, 0x88fffff
	v_add3_u32 v4, v1, v4, s10
	s_mov_b64 s[4:5], exec
	v_lshrrev_b32_e32 v4, 21, v4
	s_andn2_saveexec_b64 s[8:9], s[8:9]
	s_cbranch_execnz .LBB182_2006
.LBB182_1905:
	s_or_b64 exec, exec, s[8:9]
	v_mov_b32_e32 v5, 0
	s_and_saveexec_b64 s[8:9], s[4:5]
.LBB182_1906:
	v_lshrrev_b32_e32 v1, 24, v1
	s_movk_i32 s4, 0x80
	v_and_or_b32 v5, v1, s4, v4
.LBB182_1907:
	s_or_b64 exec, exec, s[8:9]
.LBB182_1908:
	s_or_b64 exec, exec, s[2:3]
	s_mov_b64 s[2:3], 0
	global_store_byte v[2:3], v5, off
.LBB182_1909:
	s_and_b64 vcc, exec, s[2:3]
	s_cbranch_vccz .LBB182_1919
; %bb.1910:
	v_cvt_f32_i32_e32 v1, v0
	s_mov_b32 s2, 0x43f00000
                                        ; implicit-def: $vgpr4
	v_and_b32_e32 v5, 0x7fffffff, v1
	v_cmp_gt_u32_e32 vcc, s2, v5
	s_and_saveexec_b64 s[2:3], vcc
	s_xor_b64 s[2:3], exec, s[2:3]
	s_cbranch_execz .LBB182_1916
; %bb.1911:
	s_mov_b32 s4, 0x3c7fffff
	v_cmp_lt_u32_e32 vcc, s4, v5
                                        ; implicit-def: $vgpr4
	s_and_saveexec_b64 s[4:5], vcc
	s_xor_b64 s[4:5], exec, s[4:5]
; %bb.1912:
	v_bfe_u32 v4, v1, 20, 1
	s_mov_b32 s8, 0x407ffff
	v_add3_u32 v4, v1, v4, s8
	v_lshrrev_b32_e32 v5, 20, v4
	v_and_b32_e32 v4, 0xff00000, v4
	s_mov_b32 s8, 0x7f00000
	v_mov_b32_e32 v6, 0x7e
	v_cmp_ne_u32_e32 vcc, s8, v4
	v_cndmask_b32_e32 v4, v6, v5, vcc
; %bb.1913:
	s_andn2_saveexec_b64 s[4:5], s[4:5]
; %bb.1914:
	s_mov_b32 s8, 0x46800000
	v_add_f32_e64 v4, |v1|, s8
; %bb.1915:
	s_or_b64 exec, exec, s[4:5]
                                        ; implicit-def: $vgpr5
.LBB182_1916:
	s_andn2_saveexec_b64 s[2:3], s[2:3]
; %bb.1917:
	s_mov_b32 s4, 0x7f800000
	v_mov_b32_e32 v4, 0x7e
	v_mov_b32_e32 v6, 0x7f
	v_cmp_lt_u32_e32 vcc, s4, v5
	v_cndmask_b32_e32 v4, v4, v6, vcc
; %bb.1918:
	s_or_b64 exec, exec, s[2:3]
	v_lshrrev_b32_e32 v1, 24, v1
	s_movk_i32 s2, 0x80
	v_and_or_b32 v1, v1, s2, v4
	global_store_byte v[2:3], v1, off
.LBB182_1919:
	s_mov_b64 s[2:3], 0
.LBB182_1920:
	s_andn2_b64 vcc, exec, s[2:3]
	s_cbranch_vccnz .LBB182_1930
; %bb.1921:
	v_cvt_f32_i32_e32 v1, v0
	s_mov_b32 s2, 0x47800000
                                        ; implicit-def: $vgpr4
	v_and_b32_e32 v5, 0x7fffffff, v1
	v_cmp_gt_u32_e32 vcc, s2, v5
	s_and_saveexec_b64 s[2:3], vcc
	s_xor_b64 s[2:3], exec, s[2:3]
	s_cbranch_execz .LBB182_1927
; %bb.1922:
	s_mov_b32 s4, 0x387fffff
	v_cmp_lt_u32_e32 vcc, s4, v5
                                        ; implicit-def: $vgpr4
	s_and_saveexec_b64 s[4:5], vcc
	s_xor_b64 s[4:5], exec, s[4:5]
; %bb.1923:
	v_bfe_u32 v4, v1, 21, 1
	s_mov_b32 s8, 0x80fffff
	v_add3_u32 v4, v1, v4, s8
	v_lshrrev_b32_e32 v4, 21, v4
; %bb.1924:
	s_andn2_saveexec_b64 s[4:5], s[4:5]
; %bb.1925:
	s_mov_b32 s8, 0x43000000
	v_add_f32_e64 v4, |v1|, s8
; %bb.1926:
	s_or_b64 exec, exec, s[4:5]
                                        ; implicit-def: $vgpr5
.LBB182_1927:
	s_andn2_saveexec_b64 s[2:3], s[2:3]
; %bb.1928:
	s_mov_b32 s4, 0x7f800000
	v_mov_b32_e32 v4, 0x7c
	v_mov_b32_e32 v6, 0x7f
	v_cmp_lt_u32_e32 vcc, s4, v5
	v_cndmask_b32_e32 v4, v4, v6, vcc
; %bb.1929:
	s_or_b64 exec, exec, s[2:3]
	v_lshrrev_b32_e32 v1, 24, v1
	s_movk_i32 s2, 0x80
	v_and_or_b32 v1, v1, s2, v4
	global_store_byte v[2:3], v1, off
.LBB182_1930:
	s_mov_b64 s[2:3], 0
.LBB182_1931:
	s_andn2_b64 vcc, exec, s[2:3]
	s_mov_b64 s[2:3], 0
	s_cbranch_vccnz .LBB182_1938
; %bb.1932:
	s_cmp_gt_i32 s12, 14
	s_mov_b64 s[4:5], -1
	s_cbranch_scc0 .LBB182_1936
; %bb.1933:
	s_cmp_eq_u32 s12, 15
	s_mov_b64 s[0:1], -1
	s_cbranch_scc0 .LBB182_1935
; %bb.1934:
	v_cvt_f32_i32_e32 v1, v0
	s_movk_i32 s0, 0x7fff
	v_bfe_u32 v4, v1, 16, 1
	v_add3_u32 v1, v1, v4, s0
	global_store_short_d16_hi v[2:3], v1, off
	s_mov_b64 s[0:1], 0
.LBB182_1935:
	s_mov_b64 s[4:5], 0
.LBB182_1936:
	s_and_b64 vcc, exec, s[4:5]
	s_cbranch_vccz .LBB182_1938
; %bb.1937:
	s_cmp_lg_u32 s12, 11
	s_mov_b64 s[2:3], -1
	s_cselect_b64 s[0:1], -1, 0
.LBB182_1938:
	s_and_b64 vcc, exec, s[0:1]
	s_cbranch_vccnz .LBB182_2004
.LBB182_1939:
	s_mov_b64 s[0:1], 0
	s_branch .LBB182_1941
.LBB182_1940:
	s_mov_b64 s[0:1], 0
	s_mov_b64 s[2:3], 0
                                        ; implicit-def: $sgpr20
                                        ; implicit-def: $vgpr2_vgpr3
                                        ; implicit-def: $vgpr0
.LBB182_1941:
	s_and_b64 s[4:5], s[2:3], exec
	s_andn2_b64 s[2:3], s[14:15], exec
	s_and_b64 s[8:9], s[16:17], exec
	s_and_b64 s[0:1], s[0:1], exec
	s_or_b64 s[14:15], s[2:3], s[8:9]
.LBB182_1942:
	s_or_b64 exec, exec, s[6:7]
	s_and_saveexec_b64 s[2:3], s[14:15]
	s_cbranch_execz .LBB182_1945
; %bb.1943:
	; divergent unreachable
	s_or_b64 exec, exec, s[2:3]
	s_and_saveexec_b64 s[2:3], s[4:5]
	s_xor_b64 s[2:3], exec, s[2:3]
	s_cbranch_execnz .LBB182_1946
.LBB182_1944:
	s_or_b64 exec, exec, s[2:3]
	s_and_saveexec_b64 s[2:3], s[0:1]
	s_cbranch_execnz .LBB182_1947
	s_branch .LBB182_1984
.LBB182_1945:
	s_or_b64 exec, exec, s[2:3]
	s_and_saveexec_b64 s[2:3], s[4:5]
	s_xor_b64 s[2:3], exec, s[2:3]
	s_cbranch_execz .LBB182_1944
.LBB182_1946:
	v_cmp_ne_u32_e32 vcc, 0, v0
	v_cndmask_b32_e64 v1, 0, 1, vcc
	s_waitcnt vmcnt(0)
	global_store_byte v[2:3], v1, off
	s_or_b64 exec, exec, s[2:3]
	s_and_saveexec_b64 s[2:3], s[0:1]
	s_cbranch_execz .LBB182_1984
.LBB182_1947:
	s_sext_i32_i16 s2, s20
	s_cmp_lt_i32 s2, 5
	s_mov_b64 s[0:1], -1
	s_cbranch_scc1 .LBB182_1968
; %bb.1948:
	s_cmp_lt_i32 s2, 8
	s_cbranch_scc1 .LBB182_1958
; %bb.1949:
	s_cmp_lt_i32 s2, 9
	s_cbranch_scc1 .LBB182_1955
; %bb.1950:
	s_cmp_gt_i32 s2, 9
	s_cbranch_scc0 .LBB182_1952
; %bb.1951:
	s_waitcnt vmcnt(0)
	v_cvt_f64_i32_e32 v[4:5], v0
	v_mov_b32_e32 v6, 0
	v_mov_b32_e32 v7, v6
	s_mov_b64 s[0:1], 0
	global_store_dwordx4 v[2:3], v[4:7], off
.LBB182_1952:
	s_andn2_b64 vcc, exec, s[0:1]
	s_cbranch_vccnz .LBB182_1954
; %bb.1953:
	v_cvt_f32_i32_e32 v4, v0
	s_waitcnt vmcnt(0)
	v_mov_b32_e32 v5, 0
	global_store_dwordx2 v[2:3], v[4:5], off
.LBB182_1954:
	s_mov_b64 s[0:1], 0
.LBB182_1955:
	s_andn2_b64 vcc, exec, s[0:1]
	s_cbranch_vccnz .LBB182_1957
; %bb.1956:
	v_cvt_f32_i32_e32 v1, v0
	v_cvt_f16_f32_e32 v1, v1
	s_waitcnt vmcnt(0)
	global_store_dword v[2:3], v1, off
.LBB182_1957:
	s_mov_b64 s[0:1], 0
.LBB182_1958:
	s_andn2_b64 vcc, exec, s[0:1]
	s_cbranch_vccnz .LBB182_1967
; %bb.1959:
	s_sext_i32_i16 s2, s20
	s_cmp_lt_i32 s2, 6
	s_mov_b64 s[0:1], -1
	s_cbranch_scc1 .LBB182_1965
; %bb.1960:
	s_cmp_gt_i32 s2, 6
	s_cbranch_scc0 .LBB182_1962
; %bb.1961:
	s_waitcnt vmcnt(0)
	v_cvt_f64_i32_e32 v[4:5], v0
	s_mov_b64 s[0:1], 0
	global_store_dwordx2 v[2:3], v[4:5], off
.LBB182_1962:
	s_andn2_b64 vcc, exec, s[0:1]
	s_cbranch_vccnz .LBB182_1964
; %bb.1963:
	v_cvt_f32_i32_e32 v1, v0
	s_waitcnt vmcnt(0)
	global_store_dword v[2:3], v1, off
.LBB182_1964:
	s_mov_b64 s[0:1], 0
.LBB182_1965:
	s_andn2_b64 vcc, exec, s[0:1]
	s_cbranch_vccnz .LBB182_1967
; %bb.1966:
	v_cvt_f32_i32_e32 v1, v0
	v_cvt_f16_f32_e32 v1, v1
	s_waitcnt vmcnt(0)
	global_store_short v[2:3], v1, off
.LBB182_1967:
	s_mov_b64 s[0:1], 0
.LBB182_1968:
	s_andn2_b64 vcc, exec, s[0:1]
	s_cbranch_vccnz .LBB182_1984
; %bb.1969:
	s_sext_i32_i16 s2, s20
	s_cmp_lt_i32 s2, 2
	s_mov_b64 s[0:1], -1
	s_cbranch_scc1 .LBB182_1979
; %bb.1970:
	s_cmp_lt_i32 s2, 3
	s_cbranch_scc1 .LBB182_1976
; %bb.1971:
	s_cmp_gt_i32 s2, 3
	s_cbranch_scc0 .LBB182_1973
; %bb.1972:
	v_ashrrev_i32_e32 v1, 31, v0
	s_waitcnt vmcnt(0)
	global_store_dwordx2 v[2:3], v[0:1], off
	s_mov_b64 s[0:1], 0
.LBB182_1973:
	s_andn2_b64 vcc, exec, s[0:1]
	s_cbranch_vccnz .LBB182_1975
; %bb.1974:
	s_waitcnt vmcnt(0)
	global_store_dword v[2:3], v0, off
.LBB182_1975:
	s_mov_b64 s[0:1], 0
.LBB182_1976:
	s_andn2_b64 vcc, exec, s[0:1]
	s_cbranch_vccnz .LBB182_1978
; %bb.1977:
	s_waitcnt vmcnt(0)
	global_store_short v[2:3], v0, off
.LBB182_1978:
	s_mov_b64 s[0:1], 0
.LBB182_1979:
	s_andn2_b64 vcc, exec, s[0:1]
	s_cbranch_vccnz .LBB182_1984
; %bb.1980:
	s_sext_i32_i16 s0, s20
	s_cmp_gt_i32 s0, 0
	s_mov_b64 s[0:1], -1
	s_cbranch_scc0 .LBB182_1982
; %bb.1981:
	s_waitcnt vmcnt(0)
	global_store_byte v[2:3], v0, off
	s_mov_b64 s[0:1], 0
.LBB182_1982:
	s_andn2_b64 vcc, exec, s[0:1]
	s_cbranch_vccnz .LBB182_1984
; %bb.1983:
	s_waitcnt vmcnt(0)
	global_store_byte v[2:3], v0, off
	s_endpgm
.LBB182_1984:
	s_endpgm
.LBB182_1985:
	s_mov_b64 s[2:3], 0
	s_mov_b64 s[0:1], -1
	s_branch .LBB182_1941
.LBB182_1986:
	s_trap 2
	s_or_b64 s[16:17], s[16:17], exec
	s_cbranch_execz .LBB182_1455
	s_branch .LBB182_1456
.LBB182_1987:
	s_andn2_saveexec_b64 s[18:19], s[18:19]
	s_cbranch_execz .LBB182_1535
.LBB182_1988:
	s_mov_b32 s22, 0x46000000
	v_add_f32_e64 v8, |v1|, s22
	v_and_b32_e32 v8, 0xff, v8
	v_cmp_ne_u32_e32 vcc, 0, v8
	s_andn2_b64 s[12:13], s[12:13], exec
	s_and_b64 s[22:23], vcc, exec
	s_or_b64 s[12:13], s[12:13], s[22:23]
	s_or_b64 exec, exec, s[18:19]
	v_mov_b32_e32 v9, 0
	s_and_saveexec_b64 s[18:19], s[12:13]
	s_cbranch_execnz .LBB182_1536
	s_branch .LBB182_1537
.LBB182_1989:
	s_trap 2
	s_or_b64 s[16:17], s[16:17], exec
	s_cbranch_execz .LBB182_1583
	s_branch .LBB182_1584
.LBB182_1990:
	s_andn2_saveexec_b64 s[12:13], s[12:13]
	s_cbranch_execz .LBB182_1548
.LBB182_1991:
	s_mov_b32 s18, 0x42800000
	v_add_f32_e64 v8, |v1|, s18
	v_and_b32_e32 v8, 0xff, v8
	v_cmp_ne_u32_e32 vcc, 0, v8
	s_andn2_b64 s[10:11], s[10:11], exec
	s_and_b64 s[18:19], vcc, exec
	s_or_b64 s[10:11], s[10:11], s[18:19]
	s_or_b64 exec, exec, s[12:13]
	v_mov_b32_e32 v9, 0
	s_and_saveexec_b64 s[12:13], s[10:11]
	s_cbranch_execnz .LBB182_1549
	s_branch .LBB182_1550
.LBB182_1992:
	s_andn2_saveexec_b64 s[12:13], s[12:13]
	s_cbranch_execz .LBB182_1654
.LBB182_1993:
	s_mov_b32 s22, 0x46000000
	v_add_f32_e64 v7, |v1|, s22
	v_and_b32_e32 v7, 0xff, v7
	v_cmp_ne_u32_e32 vcc, 0, v7
	s_andn2_b64 s[10:11], s[10:11], exec
	s_and_b64 s[22:23], vcc, exec
	s_or_b64 s[10:11], s[10:11], s[22:23]
	s_or_b64 exec, exec, s[12:13]
	v_mov_b32_e32 v8, 0
	s_and_saveexec_b64 s[12:13], s[10:11]
	s_cbranch_execnz .LBB182_1655
	s_branch .LBB182_1656
.LBB182_1994:
	s_trap 2
	s_or_b64 s[16:17], s[16:17], exec
	s_cbranch_execz .LBB182_1702
	s_branch .LBB182_1703
.LBB182_1995:
	s_andn2_saveexec_b64 s[10:11], s[10:11]
	s_cbranch_execz .LBB182_1667
.LBB182_1996:
	s_mov_b32 s12, 0x42800000
	v_add_f32_e64 v7, |v1|, s12
	v_and_b32_e32 v7, 0xff, v7
	v_cmp_ne_u32_e32 vcc, 0, v7
	s_andn2_b64 s[4:5], s[4:5], exec
	s_and_b64 s[12:13], vcc, exec
	s_or_b64 s[4:5], s[4:5], s[12:13]
	s_or_b64 exec, exec, s[10:11]
	v_mov_b32_e32 v8, 0
	s_and_saveexec_b64 s[10:11], s[4:5]
	s_cbranch_execnz .LBB182_1668
	s_branch .LBB182_1669
.LBB182_1997:
	s_andn2_saveexec_b64 s[12:13], s[12:13]
	s_cbranch_execz .LBB182_1773
.LBB182_1998:
	s_mov_b32 s22, 0x46000000
	v_add_f32_e64 v6, |v1|, s22
	v_and_b32_e32 v6, 0xff, v6
	v_cmp_ne_u32_e32 vcc, 0, v6
	s_andn2_b64 s[10:11], s[10:11], exec
	s_and_b64 s[22:23], vcc, exec
	s_or_b64 s[10:11], s[10:11], s[22:23]
	s_or_b64 exec, exec, s[12:13]
	v_mov_b32_e32 v7, 0
	s_and_saveexec_b64 s[12:13], s[10:11]
	s_cbranch_execnz .LBB182_1774
	s_branch .LBB182_1775
.LBB182_1999:
	s_trap 2
	s_or_b64 s[16:17], s[16:17], exec
	s_cbranch_execz .LBB182_1821
	s_branch .LBB182_1822
.LBB182_2000:
	s_andn2_saveexec_b64 s[10:11], s[10:11]
	s_cbranch_execz .LBB182_1786
.LBB182_2001:
	s_mov_b32 s12, 0x42800000
	v_add_f32_e64 v6, |v1|, s12
	v_and_b32_e32 v6, 0xff, v6
	v_cmp_ne_u32_e32 vcc, 0, v6
	s_andn2_b64 s[4:5], s[4:5], exec
	s_and_b64 s[12:13], vcc, exec
	s_or_b64 s[4:5], s[4:5], s[12:13]
	s_or_b64 exec, exec, s[10:11]
	v_mov_b32_e32 v7, 0
	s_and_saveexec_b64 s[10:11], s[4:5]
	s_cbranch_execnz .LBB182_1787
	s_branch .LBB182_1788
.LBB182_2002:
	s_andn2_saveexec_b64 s[10:11], s[10:11]
	s_cbranch_execz .LBB182_1893
.LBB182_2003:
	s_mov_b32 s13, 0x46000000
	v_add_f32_e64 v4, |v1|, s13
	v_and_b32_e32 v4, 0xff, v4
	v_cmp_ne_u32_e32 vcc, 0, v4
	s_andn2_b64 s[8:9], s[8:9], exec
	s_and_b64 s[18:19], vcc, exec
	s_or_b64 s[8:9], s[8:9], s[18:19]
	s_or_b64 exec, exec, s[10:11]
	v_mov_b32_e32 v5, 0
	s_and_saveexec_b64 s[10:11], s[8:9]
	s_cbranch_execnz .LBB182_1894
	s_branch .LBB182_1895
.LBB182_2004:
	s_mov_b64 s[2:3], 0
	s_or_b64 s[16:17], s[16:17], exec
	s_trap 2
	s_branch .LBB182_1939
.LBB182_2005:
	s_andn2_saveexec_b64 s[8:9], s[8:9]
	s_cbranch_execz .LBB182_1905
.LBB182_2006:
	s_mov_b32 s10, 0x42800000
	v_add_f32_e64 v4, |v1|, s10
	v_and_b32_e32 v4, 0xff, v4
	v_cmp_ne_u32_e32 vcc, 0, v4
	s_andn2_b64 s[4:5], s[4:5], exec
	s_and_b64 s[10:11], vcc, exec
	s_or_b64 s[4:5], s[4:5], s[10:11]
	s_or_b64 exec, exec, s[8:9]
	v_mov_b32_e32 v5, 0
	s_and_saveexec_b64 s[8:9], s[4:5]
	s_cbranch_execnz .LBB182_1906
	s_branch .LBB182_1907
	.section	.rodata,"a",@progbits
	.p2align	6, 0x0
	.amdhsa_kernel _ZN2at6native32elementwise_kernel_manual_unrollILi128ELi4EZNS0_15gpu_kernel_implINS0_13BUnaryFunctorIiiiZZZNS0_18rshift_kernel_cudaERNS_18TensorIteratorBaseEENKUlvE_clEvENKUlvE1_clEvEUliiE_EEEEvS5_RKT_EUlibE_EEviT1_
		.amdhsa_group_segment_fixed_size 0
		.amdhsa_private_segment_fixed_size 0
		.amdhsa_kernarg_size 48
		.amdhsa_user_sgpr_count 6
		.amdhsa_user_sgpr_private_segment_buffer 1
		.amdhsa_user_sgpr_dispatch_ptr 0
		.amdhsa_user_sgpr_queue_ptr 0
		.amdhsa_user_sgpr_kernarg_segment_ptr 1
		.amdhsa_user_sgpr_dispatch_id 0
		.amdhsa_user_sgpr_flat_scratch_init 0
		.amdhsa_user_sgpr_private_segment_size 0
		.amdhsa_uses_dynamic_stack 0
		.amdhsa_system_sgpr_private_segment_wavefront_offset 0
		.amdhsa_system_sgpr_workgroup_id_x 1
		.amdhsa_system_sgpr_workgroup_id_y 0
		.amdhsa_system_sgpr_workgroup_id_z 0
		.amdhsa_system_sgpr_workgroup_info 0
		.amdhsa_system_vgpr_workitem_id 0
		.amdhsa_next_free_vgpr 12
		.amdhsa_next_free_sgpr 48
		.amdhsa_reserve_vcc 1
		.amdhsa_reserve_flat_scratch 0
		.amdhsa_float_round_mode_32 0
		.amdhsa_float_round_mode_16_64 0
		.amdhsa_float_denorm_mode_32 3
		.amdhsa_float_denorm_mode_16_64 3
		.amdhsa_dx10_clamp 1
		.amdhsa_ieee_mode 1
		.amdhsa_fp16_overflow 0
		.amdhsa_exception_fp_ieee_invalid_op 0
		.amdhsa_exception_fp_denorm_src 0
		.amdhsa_exception_fp_ieee_div_zero 0
		.amdhsa_exception_fp_ieee_overflow 0
		.amdhsa_exception_fp_ieee_underflow 0
		.amdhsa_exception_fp_ieee_inexact 0
		.amdhsa_exception_int_div_zero 0
	.end_amdhsa_kernel
	.section	.text._ZN2at6native32elementwise_kernel_manual_unrollILi128ELi4EZNS0_15gpu_kernel_implINS0_13BUnaryFunctorIiiiZZZNS0_18rshift_kernel_cudaERNS_18TensorIteratorBaseEENKUlvE_clEvENKUlvE1_clEvEUliiE_EEEEvS5_RKT_EUlibE_EEviT1_,"axG",@progbits,_ZN2at6native32elementwise_kernel_manual_unrollILi128ELi4EZNS0_15gpu_kernel_implINS0_13BUnaryFunctorIiiiZZZNS0_18rshift_kernel_cudaERNS_18TensorIteratorBaseEENKUlvE_clEvENKUlvE1_clEvEUliiE_EEEEvS5_RKT_EUlibE_EEviT1_,comdat
.Lfunc_end182:
	.size	_ZN2at6native32elementwise_kernel_manual_unrollILi128ELi4EZNS0_15gpu_kernel_implINS0_13BUnaryFunctorIiiiZZZNS0_18rshift_kernel_cudaERNS_18TensorIteratorBaseEENKUlvE_clEvENKUlvE1_clEvEUliiE_EEEEvS5_RKT_EUlibE_EEviT1_, .Lfunc_end182-_ZN2at6native32elementwise_kernel_manual_unrollILi128ELi4EZNS0_15gpu_kernel_implINS0_13BUnaryFunctorIiiiZZZNS0_18rshift_kernel_cudaERNS_18TensorIteratorBaseEENKUlvE_clEvENKUlvE1_clEvEUliiE_EEEEvS5_RKT_EUlibE_EEviT1_
                                        ; -- End function
	.set _ZN2at6native32elementwise_kernel_manual_unrollILi128ELi4EZNS0_15gpu_kernel_implINS0_13BUnaryFunctorIiiiZZZNS0_18rshift_kernel_cudaERNS_18TensorIteratorBaseEENKUlvE_clEvENKUlvE1_clEvEUliiE_EEEEvS5_RKT_EUlibE_EEviT1_.num_vgpr, 12
	.set _ZN2at6native32elementwise_kernel_manual_unrollILi128ELi4EZNS0_15gpu_kernel_implINS0_13BUnaryFunctorIiiiZZZNS0_18rshift_kernel_cudaERNS_18TensorIteratorBaseEENKUlvE_clEvENKUlvE1_clEvEUliiE_EEEEvS5_RKT_EUlibE_EEviT1_.num_agpr, 0
	.set _ZN2at6native32elementwise_kernel_manual_unrollILi128ELi4EZNS0_15gpu_kernel_implINS0_13BUnaryFunctorIiiiZZZNS0_18rshift_kernel_cudaERNS_18TensorIteratorBaseEENKUlvE_clEvENKUlvE1_clEvEUliiE_EEEEvS5_RKT_EUlibE_EEviT1_.numbered_sgpr, 48
	.set _ZN2at6native32elementwise_kernel_manual_unrollILi128ELi4EZNS0_15gpu_kernel_implINS0_13BUnaryFunctorIiiiZZZNS0_18rshift_kernel_cudaERNS_18TensorIteratorBaseEENKUlvE_clEvENKUlvE1_clEvEUliiE_EEEEvS5_RKT_EUlibE_EEviT1_.num_named_barrier, 0
	.set _ZN2at6native32elementwise_kernel_manual_unrollILi128ELi4EZNS0_15gpu_kernel_implINS0_13BUnaryFunctorIiiiZZZNS0_18rshift_kernel_cudaERNS_18TensorIteratorBaseEENKUlvE_clEvENKUlvE1_clEvEUliiE_EEEEvS5_RKT_EUlibE_EEviT1_.private_seg_size, 0
	.set _ZN2at6native32elementwise_kernel_manual_unrollILi128ELi4EZNS0_15gpu_kernel_implINS0_13BUnaryFunctorIiiiZZZNS0_18rshift_kernel_cudaERNS_18TensorIteratorBaseEENKUlvE_clEvENKUlvE1_clEvEUliiE_EEEEvS5_RKT_EUlibE_EEviT1_.uses_vcc, 1
	.set _ZN2at6native32elementwise_kernel_manual_unrollILi128ELi4EZNS0_15gpu_kernel_implINS0_13BUnaryFunctorIiiiZZZNS0_18rshift_kernel_cudaERNS_18TensorIteratorBaseEENKUlvE_clEvENKUlvE1_clEvEUliiE_EEEEvS5_RKT_EUlibE_EEviT1_.uses_flat_scratch, 0
	.set _ZN2at6native32elementwise_kernel_manual_unrollILi128ELi4EZNS0_15gpu_kernel_implINS0_13BUnaryFunctorIiiiZZZNS0_18rshift_kernel_cudaERNS_18TensorIteratorBaseEENKUlvE_clEvENKUlvE1_clEvEUliiE_EEEEvS5_RKT_EUlibE_EEviT1_.has_dyn_sized_stack, 0
	.set _ZN2at6native32elementwise_kernel_manual_unrollILi128ELi4EZNS0_15gpu_kernel_implINS0_13BUnaryFunctorIiiiZZZNS0_18rshift_kernel_cudaERNS_18TensorIteratorBaseEENKUlvE_clEvENKUlvE1_clEvEUliiE_EEEEvS5_RKT_EUlibE_EEviT1_.has_recursion, 0
	.set _ZN2at6native32elementwise_kernel_manual_unrollILi128ELi4EZNS0_15gpu_kernel_implINS0_13BUnaryFunctorIiiiZZZNS0_18rshift_kernel_cudaERNS_18TensorIteratorBaseEENKUlvE_clEvENKUlvE1_clEvEUliiE_EEEEvS5_RKT_EUlibE_EEviT1_.has_indirect_call, 0
	.section	.AMDGPU.csdata,"",@progbits
; Kernel info:
; codeLenInByte = 29312
; TotalNumSgprs: 52
; NumVgprs: 12
; ScratchSize: 0
; MemoryBound: 1
; FloatMode: 240
; IeeeMode: 1
; LDSByteSize: 0 bytes/workgroup (compile time only)
; SGPRBlocks: 6
; VGPRBlocks: 2
; NumSGPRsForWavesPerEU: 52
; NumVGPRsForWavesPerEU: 12
; Occupancy: 10
; WaveLimiterHint : 0
; COMPUTE_PGM_RSRC2:SCRATCH_EN: 0
; COMPUTE_PGM_RSRC2:USER_SGPR: 6
; COMPUTE_PGM_RSRC2:TRAP_HANDLER: 0
; COMPUTE_PGM_RSRC2:TGID_X_EN: 1
; COMPUTE_PGM_RSRC2:TGID_Y_EN: 0
; COMPUTE_PGM_RSRC2:TGID_Z_EN: 0
; COMPUTE_PGM_RSRC2:TIDIG_COMP_CNT: 0
	.section	.text._ZN2at6native32elementwise_kernel_manual_unrollILi128ELi4EZNS0_15gpu_kernel_implINS0_13BUnaryFunctorIiiiZZZNS0_18rshift_kernel_cudaERNS_18TensorIteratorBaseEENKUlvE_clEvENKUlvE1_clEvEUliiE_EEEEvS5_RKT_EUlibE0_EEviT1_,"axG",@progbits,_ZN2at6native32elementwise_kernel_manual_unrollILi128ELi4EZNS0_15gpu_kernel_implINS0_13BUnaryFunctorIiiiZZZNS0_18rshift_kernel_cudaERNS_18TensorIteratorBaseEENKUlvE_clEvENKUlvE1_clEvEUliiE_EEEEvS5_RKT_EUlibE0_EEviT1_,comdat
	.globl	_ZN2at6native32elementwise_kernel_manual_unrollILi128ELi4EZNS0_15gpu_kernel_implINS0_13BUnaryFunctorIiiiZZZNS0_18rshift_kernel_cudaERNS_18TensorIteratorBaseEENKUlvE_clEvENKUlvE1_clEvEUliiE_EEEEvS5_RKT_EUlibE0_EEviT1_ ; -- Begin function _ZN2at6native32elementwise_kernel_manual_unrollILi128ELi4EZNS0_15gpu_kernel_implINS0_13BUnaryFunctorIiiiZZZNS0_18rshift_kernel_cudaERNS_18TensorIteratorBaseEENKUlvE_clEvENKUlvE1_clEvEUliiE_EEEEvS5_RKT_EUlibE0_EEviT1_
	.p2align	8
	.type	_ZN2at6native32elementwise_kernel_manual_unrollILi128ELi4EZNS0_15gpu_kernel_implINS0_13BUnaryFunctorIiiiZZZNS0_18rshift_kernel_cudaERNS_18TensorIteratorBaseEENKUlvE_clEvENKUlvE1_clEvEUliiE_EEEEvS5_RKT_EUlibE0_EEviT1_,@function
_ZN2at6native32elementwise_kernel_manual_unrollILi128ELi4EZNS0_15gpu_kernel_implINS0_13BUnaryFunctorIiiiZZZNS0_18rshift_kernel_cudaERNS_18TensorIteratorBaseEENKUlvE_clEvENKUlvE1_clEvEUliiE_EEEEvS5_RKT_EUlibE0_EEviT1_: ; @_ZN2at6native32elementwise_kernel_manual_unrollILi128ELi4EZNS0_15gpu_kernel_implINS0_13BUnaryFunctorIiiiZZZNS0_18rshift_kernel_cudaERNS_18TensorIteratorBaseEENKUlvE_clEvENKUlvE1_clEvEUliiE_EEEEvS5_RKT_EUlibE0_EEviT1_
; %bb.0:
	s_load_dword s72, s[4:5], 0x0
	s_load_dword s33, s[4:5], 0x8
	s_add_u32 s34, s4, 8
	s_addc_u32 s35, s5, 0
	v_lshl_or_b32 v8, s6, 9, v0
	v_or_b32_e32 v15, 0x180, v8
	s_waitcnt lgkmcnt(0)
	s_add_i32 s74, s33, -1
	s_cmp_gt_u32 s74, 1
	v_cmp_le_i32_e32 vcc, s72, v15
	s_cselect_b64 s[40:41], -1, 0
	s_mov_b64 s[6:7], 0
	s_mov_b64 s[28:29], 0
	s_and_saveexec_b64 s[0:1], vcc
	s_xor_b64 s[42:43], exec, s[0:1]
	s_cbranch_execz .LBB183_1070
; %bb.1:
	s_load_dwordx4 s[28:31], s[34:35], 0x4
	s_load_dwordx2 s[46:47], s[34:35], 0x14
	s_load_dwordx2 s[44:45], s[34:35], 0x15c
	s_cmp_lg_u32 s33, 0
	s_load_dwordx4 s[36:39], s[34:35], 0xc4
	s_load_dwordx4 s[24:27], s[34:35], 0x148
	s_cselect_b64 s[52:53], -1, 0
	s_add_u32 s50, s34, 0xc4
	s_addc_u32 s51, s35, 0
	s_min_u32 s76, s74, 15
	s_cmp_gt_u32 s33, 1
	s_cselect_b64 s[48:49], -1, 0
	s_waitcnt lgkmcnt(0)
	s_bfe_u32 s75, s45, 0x80008
	s_min_u32 s44, s44, 31
	v_cmp_gt_i32_e32 vcc, s72, v8
	s_mov_b64 s[2:3], -1
	s_mov_b64 s[62:63], 0
	s_mov_b64 s[56:57], 0
	;; [unrolled: 1-line block ×3, first 2 shown]
	s_and_saveexec_b64 s[58:59], vcc
	s_cbranch_execz .LBB183_262
; %bb.2:
	s_andn2_b64 vcc, exec, s[40:41]
	s_cbranch_vccnz .LBB183_7
; %bb.3:
	s_andn2_b64 vcc, exec, s[52:53]
	s_cbranch_vccnz .LBB183_8
; %bb.4:
	s_add_i32 s61, s76, 1
	s_cmp_eq_u32 s74, 2
	s_cbranch_scc1 .LBB183_9
; %bb.5:
	s_and_b32 s60, s61, 28
	v_mov_b32_e32 v2, 0
	s_mov_b32 s64, 0
	s_mov_b64 s[54:55], s[34:35]
	s_mov_b64 s[56:57], s[50:51]
	v_mov_b32_e32 v0, 0
	v_mov_b32_e32 v1, v8
.LBB183_6:                              ; =>This Inner Loop Header: Depth=1
	s_load_dwordx8 s[16:23], s[54:55], 0x4
	s_load_dwordx4 s[0:3], s[54:55], 0x24
	s_load_dwordx8 s[8:15], s[56:57], 0x0
	s_add_u32 s54, s54, 48
	s_addc_u32 s55, s55, 0
	s_waitcnt lgkmcnt(0)
	v_mul_hi_u32 v3, s17, v1
	s_add_i32 s64, s64, 4
	s_add_u32 s56, s56, 32
	s_addc_u32 s57, s57, 0
	v_add_u32_e32 v3, v1, v3
	v_lshrrev_b32_e32 v3, s18, v3
	v_mul_lo_u32 v4, v3, s16
	v_mul_hi_u32 v5, s20, v3
	s_cmp_lg_u32 s60, s64
	v_sub_u32_e32 v1, v1, v4
	v_add_u32_e32 v4, v3, v5
	v_mul_lo_u32 v5, v1, s8
	v_mul_lo_u32 v6, v1, s9
	v_lshrrev_b32_e32 v1, s21, v4
	v_mul_lo_u32 v4, v1, s19
	v_mul_hi_u32 v7, s23, v1
	v_sub_u32_e32 v3, v3, v4
	v_add_u32_e32 v4, v1, v7
	v_lshrrev_b32_e32 v4, s0, v4
	v_mul_hi_u32 v9, s2, v4
	v_mul_lo_u32 v10, v4, s22
	v_mul_lo_u32 v7, v3, s10
	v_mul_lo_u32 v3, v3, s11
	v_sub_u32_e32 v10, v1, v10
	v_add_u32_e32 v1, v4, v9
	v_lshrrev_b32_e32 v1, s3, v1
	v_mul_lo_u32 v9, v1, s1
	v_mul_lo_u32 v11, v10, s12
	v_mul_lo_u32 v10, v10, s13
	v_add3_u32 v0, v5, v0, v7
	v_sub_u32_e32 v4, v4, v9
	v_mul_lo_u32 v9, v4, s14
	v_mul_lo_u32 v4, v4, s15
	v_add3_u32 v2, v6, v2, v3
	v_add3_u32 v0, v11, v0, v9
	;; [unrolled: 1-line block ×3, first 2 shown]
	s_cbranch_scc1 .LBB183_6
	s_branch .LBB183_10
.LBB183_7:
                                        ; implicit-def: $vgpr0
                                        ; implicit-def: $vgpr2
	s_branch .LBB183_14
.LBB183_8:
	v_mov_b32_e32 v0, 0
	v_mov_b32_e32 v2, 0
	s_branch .LBB183_13
.LBB183_9:
	s_mov_b32 s60, 0
	v_mov_b32_e32 v0, 0
	v_mov_b32_e32 v2, 0
	;; [unrolled: 1-line block ×3, first 2 shown]
.LBB183_10:
	s_and_b32 s8, s61, 3
	s_cmp_eq_u32 s8, 0
	s_cbranch_scc1 .LBB183_13
; %bb.11:
	s_lshl_b32 s0, s60, 3
	s_add_u32 s0, s34, s0
	s_addc_u32 s1, s35, 0
	s_add_u32 s0, s0, 0xc4
	s_addc_u32 s1, s1, 0
	s_mul_i32 s2, s60, 12
	s_add_u32 s2, s34, s2
	s_addc_u32 s3, s35, 0
.LBB183_12:                             ; =>This Inner Loop Header: Depth=1
	s_load_dwordx2 s[10:11], s[2:3], 0x4
	s_load_dword s9, s[2:3], 0xc
	s_load_dwordx2 s[12:13], s[0:1], 0x0
	s_add_u32 s2, s2, 12
	s_addc_u32 s3, s3, 0
	s_waitcnt lgkmcnt(0)
	v_mul_hi_u32 v3, s11, v1
	s_add_u32 s0, s0, 8
	s_addc_u32 s1, s1, 0
	s_add_i32 s8, s8, -1
	v_add_u32_e32 v3, v1, v3
	v_lshrrev_b32_e32 v4, s9, v3
	v_mul_lo_u32 v3, v4, s10
	s_cmp_lg_u32 s8, 0
	v_sub_u32_e32 v3, v1, v3
	v_mad_u64_u32 v[0:1], s[10:11], v3, s12, v[0:1]
	v_mad_u64_u32 v[2:3], s[10:11], v3, s13, v[2:3]
	v_mov_b32_e32 v1, v4
	s_cbranch_scc1 .LBB183_12
.LBB183_13:
	s_cbranch_execnz .LBB183_16
.LBB183_14:
	v_mul_hi_u32 v0, s29, v8
	s_andn2_b64 vcc, exec, s[48:49]
	v_add_u32_e32 v0, v8, v0
	v_lshrrev_b32_e32 v1, s30, v0
	v_mul_lo_u32 v0, v1, s28
	v_sub_u32_e32 v2, v8, v0
	v_mul_lo_u32 v0, v2, s36
	v_mul_lo_u32 v2, v2, s37
	s_cbranch_vccnz .LBB183_16
; %bb.15:
	v_mul_hi_u32 v3, s46, v1
	v_add_u32_e32 v3, v1, v3
	v_lshrrev_b32_e32 v3, s47, v3
	v_mul_lo_u32 v3, v3, s31
	v_sub_u32_e32 v3, v1, v3
	v_mad_u64_u32 v[0:1], s[0:1], v3, s38, v[0:1]
	v_mad_u64_u32 v[2:3], s[0:1], v3, s39, v[2:3]
.LBB183_16:
	v_mov_b32_e32 v3, s27
	s_and_b32 s10, 0xffff, s75
	v_add_co_u32_e32 v1, vcc, s26, v2
	s_cmp_lt_i32 s10, 11
	v_addc_co_u32_e32 v2, vcc, 0, v3, vcc
	s_cbranch_scc1 .LBB183_23
; %bb.17:
	s_cmp_gt_i32 s10, 25
	s_cbranch_scc0 .LBB183_32
; %bb.18:
	s_cmp_gt_i32 s10, 28
	s_cbranch_scc0 .LBB183_35
; %bb.19:
	s_cmp_gt_i32 s10, 43
	s_cbranch_scc0 .LBB183_37
; %bb.20:
	s_cmp_gt_i32 s10, 45
	s_cbranch_scc0 .LBB183_39
; %bb.21:
	s_cmp_eq_u32 s10, 46
	s_mov_b64 s[8:9], 0
	s_cbranch_scc0 .LBB183_41
; %bb.22:
	global_load_dword v3, v[1:2], off
	s_mov_b64 s[0:1], -1
	s_mov_b64 s[2:3], 0
	s_waitcnt vmcnt(0)
	v_lshlrev_b32_e32 v3, 16, v3
	v_cvt_i32_f32_e32 v3, v3
	s_branch .LBB183_43
.LBB183_23:
	s_mov_b64 s[2:3], 0
                                        ; implicit-def: $vgpr3
	s_mov_b64 s[0:1], 0
	s_cbranch_execnz .LBB183_212
.LBB183_24:
	s_andn2_b64 vcc, exec, s[0:1]
	s_cbranch_vccnz .LBB183_259
.LBB183_25:
	s_waitcnt vmcnt(0)
	v_ashrrev_i32_e32 v1, s44, v3
	v_mov_b32_e32 v2, s25
	s_and_b32 s14, s45, 0xff
	v_add_co_u32_e32 v3, vcc, s24, v0
	s_cmp_lt_i32 s14, 11
	v_addc_co_u32_e32 v4, vcc, 0, v2, vcc
	s_cbranch_scc1 .LBB183_33
; %bb.26:
	s_and_b32 s15, 0xffff, s14
	s_cmp_gt_i32 s15, 25
	s_cbranch_scc0 .LBB183_36
; %bb.27:
	s_cmp_gt_i32 s15, 28
	s_cbranch_scc0 .LBB183_38
; %bb.28:
	;; [unrolled: 3-line block ×4, first 2 shown]
	s_mov_b64 s[10:11], 0
	s_mov_b64 s[0:1], -1
	s_cmp_eq_u32 s15, 46
	s_mov_b64 s[8:9], 0
	s_cbranch_scc0 .LBB183_47
; %bb.31:
	v_cvt_f32_i32_e32 v0, v1
	s_movk_i32 s0, 0x7fff
	s_mov_b64 s[8:9], -1
	v_bfe_u32 v2, v0, 16, 1
	v_add3_u32 v0, v0, v2, s0
	v_lshrrev_b32_e32 v0, 16, v0
	global_store_dword v[3:4], v0, off
	s_mov_b64 s[0:1], 0
	s_branch .LBB183_47
.LBB183_32:
	s_mov_b64 s[2:3], 0
	s_mov_b64 s[0:1], 0
                                        ; implicit-def: $vgpr3
	s_cbranch_execnz .LBB183_179
	s_branch .LBB183_211
.LBB183_33:
	s_mov_b64 s[0:1], 0
	s_mov_b64 s[8:9], 0
	s_cbranch_execnz .LBB183_116
.LBB183_34:
	s_andn2_b64 vcc, exec, s[8:9]
	s_cbranch_vccnz .LBB183_260
	s_branch .LBB183_154
.LBB183_35:
	s_mov_b64 s[8:9], -1
	s_mov_b64 s[2:3], 0
	s_mov_b64 s[0:1], 0
                                        ; implicit-def: $vgpr3
	s_branch .LBB183_162
.LBB183_36:
	s_mov_b64 s[10:11], -1
	s_mov_b64 s[0:1], 0
	s_mov_b64 s[8:9], 0
	s_branch .LBB183_74
.LBB183_37:
	s_mov_b64 s[8:9], -1
	s_mov_b64 s[2:3], 0
	s_mov_b64 s[0:1], 0
                                        ; implicit-def: $vgpr3
	s_branch .LBB183_157
.LBB183_38:
	s_mov_b64 s[10:11], -1
	s_mov_b64 s[0:1], 0
	s_mov_b64 s[8:9], 0
	s_branch .LBB183_57
.LBB183_39:
	s_mov_b64 s[8:9], -1
	s_mov_b64 s[2:3], 0
	s_branch .LBB183_42
.LBB183_40:
	s_mov_b64 s[10:11], -1
	s_mov_b64 s[0:1], 0
	s_mov_b64 s[8:9], 0
	s_branch .LBB183_53
.LBB183_41:
	s_mov_b64 s[2:3], -1
.LBB183_42:
	s_mov_b64 s[0:1], 0
                                        ; implicit-def: $vgpr3
.LBB183_43:
	s_and_b64 vcc, exec, s[8:9]
	s_cbranch_vccz .LBB183_156
; %bb.44:
	s_cmp_eq_u32 s10, 44
	s_cbranch_scc0 .LBB183_155
; %bb.45:
	global_load_ubyte v3, v[1:2], off
	s_mov_b64 s[0:1], -1
	s_mov_b64 s[2:3], 0
	s_waitcnt vmcnt(0)
	v_lshlrev_b32_e32 v4, 23, v3
	v_cvt_i32_f32_e32 v4, v4
	v_cmp_ne_u32_e32 vcc, 0, v3
	v_cndmask_b32_e32 v3, 0, v4, vcc
	s_branch .LBB183_156
.LBB183_46:
	s_mov_b64 s[10:11], -1
	s_mov_b64 s[0:1], 0
	s_mov_b64 s[8:9], 0
.LBB183_47:
	s_and_b64 vcc, exec, s[10:11]
	s_cbranch_vccz .LBB183_52
; %bb.48:
	s_cmp_eq_u32 s15, 44
	s_mov_b64 s[0:1], -1
	s_cbranch_scc0 .LBB183_52
; %bb.49:
	v_cvt_f32_i32_e32 v0, v1
	s_movk_i32 s0, 0xff
	v_mov_b32_e32 v5, 0xff
	v_bfe_u32 v2, v0, 23, 8
	v_cmp_ne_u32_e32 vcc, s0, v2
	s_and_saveexec_b64 s[8:9], vcc
; %bb.50:
	s_mov_b32 s0, 0x3fffff
	v_lshrrev_b32_e32 v5, 23, v0
	v_and_b32_e32 v6, 0x400000, v0
	v_and_or_b32 v0, v0, s0, v2
	v_cmp_ne_u32_e32 vcc, 0, v6
	v_cmp_ne_u32_e64 s[0:1], 0, v0
	s_and_b64 s[0:1], vcc, s[0:1]
	v_cndmask_b32_e64 v0, 0, 1, s[0:1]
	v_add_u32_e32 v5, v5, v0
; %bb.51:
	s_or_b64 exec, exec, s[8:9]
	s_mov_b64 s[8:9], -1
	s_mov_b64 s[0:1], 0
	global_store_byte v[3:4], v5, off
.LBB183_52:
	s_mov_b64 s[10:11], 0
.LBB183_53:
	s_and_b64 vcc, exec, s[10:11]
	s_cbranch_vccz .LBB183_56
; %bb.54:
	s_cmp_eq_u32 s15, 29
	s_mov_b64 s[0:1], -1
	s_cbranch_scc0 .LBB183_56
; %bb.55:
	v_ashrrev_i32_e32 v2, 31, v1
	global_store_dwordx2 v[3:4], v[1:2], off
	s_mov_b64 s[8:9], -1
	s_mov_b64 s[0:1], 0
.LBB183_56:
	s_mov_b64 s[10:11], 0
.LBB183_57:
	s_and_b64 vcc, exec, s[10:11]
	s_cbranch_vccz .LBB183_73
; %bb.58:
	s_cmp_lt_i32 s15, 27
	s_mov_b64 s[8:9], -1
	s_cbranch_scc1 .LBB183_64
; %bb.59:
	s_cmp_gt_i32 s15, 27
	s_cbranch_scc0 .LBB183_61
; %bb.60:
	s_mov_b64 s[8:9], 0
	global_store_dword v[3:4], v1, off
.LBB183_61:
	s_andn2_b64 vcc, exec, s[8:9]
	s_cbranch_vccnz .LBB183_63
; %bb.62:
	global_store_short v[3:4], v1, off
.LBB183_63:
	s_mov_b64 s[8:9], 0
.LBB183_64:
	s_andn2_b64 vcc, exec, s[8:9]
	s_cbranch_vccnz .LBB183_72
; %bb.65:
	v_cvt_f32_i32_e32 v0, v1
	s_mov_b32 s8, 0x43800000
	v_mov_b32_e32 v5, 0x80
	v_and_b32_e32 v2, 0x7fffffff, v0
	v_cmp_gt_u32_e32 vcc, s8, v2
	s_and_saveexec_b64 s[8:9], vcc
	s_cbranch_execz .LBB183_71
; %bb.66:
	s_mov_b32 s10, 0x3bffffff
	v_cmp_lt_u32_e32 vcc, s10, v2
	s_mov_b64 s[10:11], 0
                                        ; implicit-def: $vgpr2
	s_and_saveexec_b64 s[12:13], vcc
	s_xor_b64 s[12:13], exec, s[12:13]
	s_cbranch_execz .LBB183_303
; %bb.67:
	v_bfe_u32 v2, v0, 20, 1
	s_mov_b32 s16, 0x487ffff
	v_add3_u32 v2, v0, v2, s16
	s_mov_b64 s[10:11], exec
	v_lshrrev_b32_e32 v2, 20, v2
	s_andn2_saveexec_b64 s[12:13], s[12:13]
	s_cbranch_execnz .LBB183_304
.LBB183_68:
	s_or_b64 exec, exec, s[12:13]
	v_mov_b32_e32 v5, 0
	s_and_saveexec_b64 s[12:13], s[10:11]
.LBB183_69:
	v_lshrrev_b32_e32 v0, 24, v0
	s_movk_i32 s10, 0x80
	v_and_or_b32 v5, v0, s10, v2
.LBB183_70:
	s_or_b64 exec, exec, s[12:13]
.LBB183_71:
	s_or_b64 exec, exec, s[8:9]
	global_store_byte v[3:4], v5, off
.LBB183_72:
	s_mov_b64 s[8:9], -1
.LBB183_73:
	s_mov_b64 s[10:11], 0
.LBB183_74:
	s_and_b64 vcc, exec, s[10:11]
	s_cbranch_vccz .LBB183_115
; %bb.75:
	s_cmp_gt_i32 s15, 22
	s_mov_b64 s[10:11], -1
	s_cbranch_scc0 .LBB183_107
; %bb.76:
	s_cmp_lt_i32 s15, 24
	s_mov_b64 s[8:9], -1
	s_cbranch_scc1 .LBB183_96
; %bb.77:
	s_cmp_gt_i32 s15, 24
	s_cbranch_scc0 .LBB183_85
; %bb.78:
	v_cvt_f32_i32_e32 v0, v1
	s_mov_b32 s8, 0x47800000
	v_mov_b32_e32 v5, 0x80
	v_and_b32_e32 v2, 0x7fffffff, v0
	v_cmp_gt_u32_e32 vcc, s8, v2
	s_and_saveexec_b64 s[8:9], vcc
	s_cbranch_execz .LBB183_84
; %bb.79:
	s_mov_b32 s10, 0x37ffffff
	v_cmp_lt_u32_e32 vcc, s10, v2
	s_mov_b64 s[10:11], 0
                                        ; implicit-def: $vgpr2
	s_and_saveexec_b64 s[12:13], vcc
	s_xor_b64 s[12:13], exec, s[12:13]
	s_cbranch_execz .LBB183_307
; %bb.80:
	v_bfe_u32 v2, v0, 21, 1
	s_mov_b32 s16, 0x88fffff
	v_add3_u32 v2, v0, v2, s16
	s_mov_b64 s[10:11], exec
	v_lshrrev_b32_e32 v2, 21, v2
	s_andn2_saveexec_b64 s[12:13], s[12:13]
	s_cbranch_execnz .LBB183_308
.LBB183_81:
	s_or_b64 exec, exec, s[12:13]
	v_mov_b32_e32 v5, 0
	s_and_saveexec_b64 s[12:13], s[10:11]
.LBB183_82:
	v_lshrrev_b32_e32 v0, 24, v0
	s_movk_i32 s10, 0x80
	v_and_or_b32 v5, v0, s10, v2
.LBB183_83:
	s_or_b64 exec, exec, s[12:13]
.LBB183_84:
	s_or_b64 exec, exec, s[8:9]
	s_mov_b64 s[8:9], 0
	global_store_byte v[3:4], v5, off
.LBB183_85:
	s_and_b64 vcc, exec, s[8:9]
	s_cbranch_vccz .LBB183_95
; %bb.86:
	v_cvt_f32_i32_e32 v0, v1
	s_mov_b32 s8, 0x43f00000
                                        ; implicit-def: $vgpr2
	v_and_b32_e32 v5, 0x7fffffff, v0
	v_cmp_gt_u32_e32 vcc, s8, v5
	s_and_saveexec_b64 s[8:9], vcc
	s_xor_b64 s[8:9], exec, s[8:9]
	s_cbranch_execz .LBB183_92
; %bb.87:
	s_mov_b32 s10, 0x3c7fffff
	v_cmp_lt_u32_e32 vcc, s10, v5
                                        ; implicit-def: $vgpr2
	s_and_saveexec_b64 s[10:11], vcc
	s_xor_b64 s[10:11], exec, s[10:11]
; %bb.88:
	v_bfe_u32 v2, v0, 20, 1
	s_mov_b32 s12, 0x407ffff
	v_add3_u32 v2, v0, v2, s12
	v_lshrrev_b32_e32 v5, 20, v2
	v_and_b32_e32 v2, 0xff00000, v2
	s_mov_b32 s12, 0x7f00000
	v_mov_b32_e32 v6, 0x7e
	v_cmp_ne_u32_e32 vcc, s12, v2
	v_cndmask_b32_e32 v2, v6, v5, vcc
; %bb.89:
	s_andn2_saveexec_b64 s[10:11], s[10:11]
; %bb.90:
	s_mov_b32 s12, 0x46800000
	v_add_f32_e64 v2, |v0|, s12
; %bb.91:
	s_or_b64 exec, exec, s[10:11]
                                        ; implicit-def: $vgpr5
.LBB183_92:
	s_andn2_saveexec_b64 s[8:9], s[8:9]
; %bb.93:
	s_mov_b32 s10, 0x7f800000
	v_mov_b32_e32 v2, 0x7e
	v_mov_b32_e32 v6, 0x7f
	v_cmp_lt_u32_e32 vcc, s10, v5
	v_cndmask_b32_e32 v2, v2, v6, vcc
; %bb.94:
	s_or_b64 exec, exec, s[8:9]
	v_lshrrev_b32_e32 v0, 24, v0
	s_movk_i32 s8, 0x80
	v_and_or_b32 v0, v0, s8, v2
	global_store_byte v[3:4], v0, off
.LBB183_95:
	s_mov_b64 s[8:9], 0
.LBB183_96:
	s_andn2_b64 vcc, exec, s[8:9]
	s_cbranch_vccnz .LBB183_106
; %bb.97:
	v_cvt_f32_i32_e32 v0, v1
	s_mov_b32 s8, 0x47800000
                                        ; implicit-def: $vgpr2
	v_and_b32_e32 v5, 0x7fffffff, v0
	v_cmp_gt_u32_e32 vcc, s8, v5
	s_and_saveexec_b64 s[8:9], vcc
	s_xor_b64 s[8:9], exec, s[8:9]
	s_cbranch_execz .LBB183_103
; %bb.98:
	s_mov_b32 s10, 0x387fffff
	v_cmp_lt_u32_e32 vcc, s10, v5
                                        ; implicit-def: $vgpr2
	s_and_saveexec_b64 s[10:11], vcc
	s_xor_b64 s[10:11], exec, s[10:11]
; %bb.99:
	v_bfe_u32 v2, v0, 21, 1
	s_mov_b32 s12, 0x80fffff
	v_add3_u32 v2, v0, v2, s12
	v_lshrrev_b32_e32 v2, 21, v2
; %bb.100:
	s_andn2_saveexec_b64 s[10:11], s[10:11]
; %bb.101:
	s_mov_b32 s12, 0x43000000
	v_add_f32_e64 v2, |v0|, s12
; %bb.102:
	s_or_b64 exec, exec, s[10:11]
                                        ; implicit-def: $vgpr5
.LBB183_103:
	s_andn2_saveexec_b64 s[8:9], s[8:9]
; %bb.104:
	s_mov_b32 s10, 0x7f800000
	v_mov_b32_e32 v2, 0x7c
	v_mov_b32_e32 v6, 0x7f
	v_cmp_lt_u32_e32 vcc, s10, v5
	v_cndmask_b32_e32 v2, v2, v6, vcc
; %bb.105:
	s_or_b64 exec, exec, s[8:9]
	v_lshrrev_b32_e32 v0, 24, v0
	s_movk_i32 s8, 0x80
	v_and_or_b32 v0, v0, s8, v2
	global_store_byte v[3:4], v0, off
.LBB183_106:
	s_mov_b64 s[10:11], 0
	s_mov_b64 s[8:9], -1
.LBB183_107:
	s_andn2_b64 vcc, exec, s[10:11]
	s_cbranch_vccnz .LBB183_115
; %bb.108:
	s_cmp_gt_i32 s15, 14
	s_mov_b64 s[10:11], -1
	s_cbranch_scc0 .LBB183_112
; %bb.109:
	s_cmp_eq_u32 s15, 15
	s_mov_b64 s[0:1], -1
	s_cbranch_scc0 .LBB183_111
; %bb.110:
	v_cvt_f32_i32_e32 v0, v1
	s_movk_i32 s0, 0x7fff
	s_mov_b64 s[8:9], -1
	v_bfe_u32 v2, v0, 16, 1
	v_add3_u32 v0, v0, v2, s0
	global_store_short_d16_hi v[3:4], v0, off
	s_mov_b64 s[0:1], 0
.LBB183_111:
	s_mov_b64 s[10:11], 0
.LBB183_112:
	s_and_b64 vcc, exec, s[10:11]
	s_cbranch_vccz .LBB183_115
; %bb.113:
	s_cmp_eq_u32 s15, 11
	s_mov_b64 s[0:1], -1
	s_cbranch_scc0 .LBB183_115
; %bb.114:
	v_cmp_ne_u32_e32 vcc, 0, v1
	v_cndmask_b32_e64 v0, 0, 1, vcc
	s_mov_b64 s[8:9], -1
	s_mov_b64 s[0:1], 0
	global_store_byte v[3:4], v0, off
.LBB183_115:
	s_branch .LBB183_34
.LBB183_116:
	s_and_b32 s10, 0xffff, s14
	s_cmp_lt_i32 s10, 5
	s_mov_b64 s[8:9], -1
	s_cbranch_scc1 .LBB183_137
; %bb.117:
	s_cmp_lt_i32 s10, 8
	s_cbranch_scc1 .LBB183_127
; %bb.118:
	s_cmp_lt_i32 s10, 9
	s_cbranch_scc1 .LBB183_124
; %bb.119:
	s_cmp_gt_i32 s10, 9
	s_cbranch_scc0 .LBB183_121
; %bb.120:
	v_cvt_f64_i32_e32 v[9:10], v1
	v_mov_b32_e32 v11, 0
	v_mov_b32_e32 v12, v11
	s_mov_b64 s[8:9], 0
	global_store_dwordx4 v[3:4], v[9:12], off
.LBB183_121:
	s_andn2_b64 vcc, exec, s[8:9]
	s_cbranch_vccnz .LBB183_123
; %bb.122:
	v_cvt_f32_i32_e32 v5, v1
	v_mov_b32_e32 v6, 0
	global_store_dwordx2 v[3:4], v[5:6], off
.LBB183_123:
	s_mov_b64 s[8:9], 0
.LBB183_124:
	s_andn2_b64 vcc, exec, s[8:9]
	s_cbranch_vccnz .LBB183_126
; %bb.125:
	v_cvt_f32_i32_e32 v0, v1
	v_cvt_f16_f32_e32 v0, v0
	global_store_dword v[3:4], v0, off
.LBB183_126:
	s_mov_b64 s[8:9], 0
.LBB183_127:
	s_andn2_b64 vcc, exec, s[8:9]
	s_cbranch_vccnz .LBB183_136
; %bb.128:
	s_cmp_lt_i32 s10, 6
	s_mov_b64 s[8:9], -1
	s_cbranch_scc1 .LBB183_134
; %bb.129:
	s_cmp_gt_i32 s10, 6
	s_cbranch_scc0 .LBB183_131
; %bb.130:
	v_cvt_f64_i32_e32 v[5:6], v1
	s_mov_b64 s[8:9], 0
	global_store_dwordx2 v[3:4], v[5:6], off
.LBB183_131:
	s_andn2_b64 vcc, exec, s[8:9]
	s_cbranch_vccnz .LBB183_133
; %bb.132:
	v_cvt_f32_i32_e32 v0, v1
	global_store_dword v[3:4], v0, off
.LBB183_133:
	s_mov_b64 s[8:9], 0
.LBB183_134:
	s_andn2_b64 vcc, exec, s[8:9]
	s_cbranch_vccnz .LBB183_136
; %bb.135:
	v_cvt_f32_i32_e32 v0, v1
	v_cvt_f16_f32_e32 v0, v0
	global_store_short v[3:4], v0, off
.LBB183_136:
	s_mov_b64 s[8:9], 0
.LBB183_137:
	s_andn2_b64 vcc, exec, s[8:9]
	s_cbranch_vccnz .LBB183_153
; %bb.138:
	s_cmp_lt_i32 s10, 2
	s_mov_b64 s[8:9], -1
	s_cbranch_scc1 .LBB183_148
; %bb.139:
	s_cmp_lt_i32 s10, 3
	s_cbranch_scc1 .LBB183_145
; %bb.140:
	s_cmp_gt_i32 s10, 3
	s_cbranch_scc0 .LBB183_142
; %bb.141:
	v_ashrrev_i32_e32 v2, 31, v1
	global_store_dwordx2 v[3:4], v[1:2], off
	s_mov_b64 s[8:9], 0
.LBB183_142:
	s_andn2_b64 vcc, exec, s[8:9]
	s_cbranch_vccnz .LBB183_144
; %bb.143:
	global_store_dword v[3:4], v1, off
.LBB183_144:
	s_mov_b64 s[8:9], 0
.LBB183_145:
	s_andn2_b64 vcc, exec, s[8:9]
	s_cbranch_vccnz .LBB183_147
; %bb.146:
	global_store_short v[3:4], v1, off
.LBB183_147:
	s_mov_b64 s[8:9], 0
.LBB183_148:
	s_andn2_b64 vcc, exec, s[8:9]
	s_cbranch_vccnz .LBB183_153
; %bb.149:
	s_cmp_gt_i32 s10, 0
	s_mov_b64 s[8:9], -1
	s_cbranch_scc0 .LBB183_151
; %bb.150:
	global_store_byte v[3:4], v1, off
	s_mov_b64 s[8:9], 0
.LBB183_151:
	s_andn2_b64 vcc, exec, s[8:9]
	s_cbranch_vccnz .LBB183_153
; %bb.152:
	global_store_byte v[3:4], v1, off
.LBB183_153:
.LBB183_154:
	v_add_u32_e32 v8, 0x80, v8
	s_mov_b64 s[8:9], -1
	s_branch .LBB183_261
.LBB183_155:
	s_mov_b64 s[2:3], -1
                                        ; implicit-def: $vgpr3
.LBB183_156:
	s_mov_b64 s[8:9], 0
.LBB183_157:
	s_and_b64 vcc, exec, s[8:9]
	s_cbranch_vccz .LBB183_161
; %bb.158:
	s_cmp_eq_u32 s10, 29
	s_cbranch_scc0 .LBB183_160
; %bb.159:
	global_load_dword v3, v[1:2], off
	s_mov_b64 s[0:1], -1
	s_mov_b64 s[2:3], 0
	s_branch .LBB183_161
.LBB183_160:
	s_mov_b64 s[2:3], -1
                                        ; implicit-def: $vgpr3
.LBB183_161:
	s_mov_b64 s[8:9], 0
.LBB183_162:
	s_and_b64 vcc, exec, s[8:9]
	s_cbranch_vccz .LBB183_178
; %bb.163:
	s_cmp_lt_i32 s10, 27
	s_cbranch_scc1 .LBB183_166
; %bb.164:
	s_cmp_gt_i32 s10, 27
	s_cbranch_scc0 .LBB183_167
; %bb.165:
	global_load_dword v3, v[1:2], off
	s_mov_b64 s[0:1], 0
	s_branch .LBB183_168
.LBB183_166:
	s_mov_b64 s[0:1], -1
                                        ; implicit-def: $vgpr3
	s_branch .LBB183_171
.LBB183_167:
	s_mov_b64 s[0:1], -1
                                        ; implicit-def: $vgpr3
.LBB183_168:
	s_andn2_b64 vcc, exec, s[0:1]
	s_cbranch_vccnz .LBB183_170
; %bb.169:
	global_load_ushort v3, v[1:2], off
.LBB183_170:
	s_mov_b64 s[0:1], 0
.LBB183_171:
	s_andn2_b64 vcc, exec, s[0:1]
	s_cbranch_vccnz .LBB183_177
; %bb.172:
	global_load_ubyte v4, v[1:2], off
	s_movk_i32 s0, 0x7f
	s_mov_b64 s[8:9], 0
	s_waitcnt vmcnt(0)
	v_cmp_lt_i16_e32 vcc, s0, v4
	s_and_saveexec_b64 s[0:1], vcc
	s_xor_b64 s[0:1], exec, s[0:1]
	s_cbranch_execz .LBB183_188
; %bb.173:
	s_movk_i32 s8, 0x80
	v_cmp_ne_u16_e32 vcc, s8, v4
	s_and_b64 s[8:9], vcc, exec
	s_andn2_saveexec_b64 s[0:1], s[0:1]
	s_cbranch_execnz .LBB183_189
.LBB183_174:
	s_or_b64 exec, exec, s[0:1]
	v_mov_b32_e32 v3, 0
	s_and_saveexec_b64 s[0:1], s[8:9]
	s_cbranch_execz .LBB183_176
.LBB183_175:
	v_lshlrev_b32_e32 v3, 24, v4
	v_and_b32_e32 v4, 0xffff, v4
	v_and_b32_e32 v5, 7, v4
	v_ffbh_u32_e32 v7, v5
	v_min_u32_e32 v7, 32, v7
	v_subrev_u32_e32 v9, 28, v7
	v_bfe_u32 v6, v4, 3, 4
	v_lshlrev_b32_e32 v4, v9, v4
	v_sub_u32_e32 v7, 29, v7
	v_and_b32_e32 v4, 7, v4
	v_cmp_eq_u32_e32 vcc, 0, v6
	v_cndmask_b32_e32 v6, v6, v7, vcc
	v_cndmask_b32_e32 v4, v5, v4, vcc
	v_mov_b32_e32 v5, 0x3b800000
	v_lshlrev_b32_e32 v4, 20, v4
	v_and_b32_e32 v3, 0x80000000, v3
	v_lshl_add_u32 v5, v6, 23, v5
	v_or3_b32 v3, v3, v5, v4
	v_cvt_i32_f32_e32 v3, v3
.LBB183_176:
	s_or_b64 exec, exec, s[0:1]
.LBB183_177:
	s_mov_b64 s[0:1], -1
.LBB183_178:
	s_branch .LBB183_211
.LBB183_179:
	s_cmp_gt_i32 s10, 22
	s_cbranch_scc0 .LBB183_187
; %bb.180:
	s_cmp_lt_i32 s10, 24
	s_cbranch_scc1 .LBB183_190
; %bb.181:
	s_cmp_gt_i32 s10, 24
	s_cbranch_scc0 .LBB183_191
; %bb.182:
	global_load_ubyte v4, v[1:2], off
	s_movk_i32 s0, 0x7f
	s_mov_b64 s[8:9], 0
	s_waitcnt vmcnt(0)
	v_cmp_lt_i16_e32 vcc, s0, v4
	s_and_saveexec_b64 s[0:1], vcc
	s_xor_b64 s[0:1], exec, s[0:1]
	s_cbranch_execz .LBB183_203
; %bb.183:
	s_movk_i32 s8, 0x80
	v_cmp_ne_u16_e32 vcc, s8, v4
	s_and_b64 s[8:9], vcc, exec
	s_andn2_saveexec_b64 s[0:1], s[0:1]
	s_cbranch_execnz .LBB183_204
.LBB183_184:
	s_or_b64 exec, exec, s[0:1]
	v_mov_b32_e32 v3, 0
	s_and_saveexec_b64 s[0:1], s[8:9]
	s_cbranch_execz .LBB183_186
.LBB183_185:
	v_lshlrev_b32_e32 v3, 24, v4
	v_and_b32_e32 v4, 0xffff, v4
	v_and_b32_e32 v5, 3, v4
	v_ffbh_u32_e32 v7, v5
	v_min_u32_e32 v7, 32, v7
	v_subrev_u32_e32 v9, 29, v7
	v_bfe_u32 v6, v4, 2, 5
	v_lshlrev_b32_e32 v4, v9, v4
	v_sub_u32_e32 v7, 30, v7
	v_and_b32_e32 v4, 3, v4
	v_cmp_eq_u32_e32 vcc, 0, v6
	v_cndmask_b32_e32 v6, v6, v7, vcc
	v_cndmask_b32_e32 v4, v5, v4, vcc
	v_mov_b32_e32 v5, 0x37800000
	v_lshlrev_b32_e32 v4, 21, v4
	v_and_b32_e32 v3, 0x80000000, v3
	v_lshl_add_u32 v5, v6, 23, v5
	v_or3_b32 v3, v3, v5, v4
	v_cvt_i32_f32_e32 v3, v3
.LBB183_186:
	s_or_b64 exec, exec, s[0:1]
	s_mov_b64 s[0:1], 0
	s_branch .LBB183_192
.LBB183_187:
	s_mov_b64 s[8:9], -1
                                        ; implicit-def: $vgpr3
	s_branch .LBB183_198
.LBB183_188:
	s_andn2_saveexec_b64 s[0:1], s[0:1]
	s_cbranch_execz .LBB183_174
.LBB183_189:
	v_cmp_ne_u16_e32 vcc, 0, v4
	s_andn2_b64 s[8:9], s[8:9], exec
	s_and_b64 s[12:13], vcc, exec
	s_or_b64 s[8:9], s[8:9], s[12:13]
	s_or_b64 exec, exec, s[0:1]
	v_mov_b32_e32 v3, 0
	s_and_saveexec_b64 s[0:1], s[8:9]
	s_cbranch_execnz .LBB183_175
	s_branch .LBB183_176
.LBB183_190:
	s_mov_b64 s[0:1], -1
                                        ; implicit-def: $vgpr3
	s_branch .LBB183_195
.LBB183_191:
	s_mov_b64 s[0:1], -1
                                        ; implicit-def: $vgpr3
.LBB183_192:
	s_and_b64 vcc, exec, s[0:1]
	s_cbranch_vccz .LBB183_194
; %bb.193:
	global_load_ubyte v3, v[1:2], off
	s_mov_b32 s0, 0x7f800000
	s_waitcnt vmcnt(0)
	v_lshlrev_b32_e32 v3, 24, v3
	v_and_b32_e32 v4, 0x7f000000, v3
	v_ffbh_u32_e32 v5, v4
	v_min_u32_e32 v5, 32, v5
	v_sub_u32_e64 v5, v5, 4 clamp
	v_lshlrev_b32_e32 v7, v5, v4
	v_lshlrev_b32_e32 v5, 23, v5
	v_lshrrev_b32_e32 v7, 4, v7
	v_add_u32_e32 v6, 0x1000000, v4
	v_sub_u32_e32 v5, v7, v5
	v_ashrrev_i32_e32 v6, 8, v6
	v_add_u32_e32 v5, 0x3c000000, v5
	v_and_or_b32 v5, v6, s0, v5
	v_cmp_ne_u32_e32 vcc, 0, v4
	v_cndmask_b32_e32 v4, 0, v5, vcc
	s_brev_b32 s0, 1
	v_and_or_b32 v3, v3, s0, v4
	v_cvt_i32_f32_e32 v3, v3
.LBB183_194:
	s_mov_b64 s[0:1], 0
.LBB183_195:
	s_andn2_b64 vcc, exec, s[0:1]
	s_cbranch_vccnz .LBB183_197
; %bb.196:
	global_load_ubyte v3, v[1:2], off
	s_movk_i32 s0, 0x7f00
	s_brev_b32 s1, 16
	s_waitcnt vmcnt(0)
	v_lshlrev_b16_e32 v4, 8, v3
	v_lshlrev_b32_e32 v3, 25, v3
	v_lshrrev_b32_e32 v5, 4, v3
	v_and_or_b32 v6, v4, s0, 0.5
	v_or_b32_e32 v5, 0x70000000, v5
	v_add_f32_e32 v6, -0.5, v6
	v_mul_f32_e32 v5, 0x7800000, v5
	v_cmp_gt_u32_e32 vcc, s1, v3
	v_bfe_i32 v4, v4, 0, 16
	v_cndmask_b32_e32 v3, v5, v6, vcc
	s_brev_b32 s0, 1
	v_and_or_b32 v3, v4, s0, v3
	v_cvt_i32_f32_e32 v3, v3
.LBB183_197:
	s_mov_b64 s[8:9], 0
	s_mov_b64 s[0:1], -1
.LBB183_198:
	s_andn2_b64 vcc, exec, s[8:9]
	s_cbranch_vccnz .LBB183_211
; %bb.199:
	s_cmp_gt_i32 s10, 14
	s_cbranch_scc0 .LBB183_202
; %bb.200:
	s_cmp_eq_u32 s10, 15
	s_cbranch_scc0 .LBB183_205
; %bb.201:
	global_load_ushort v3, v[1:2], off
	s_mov_b64 s[0:1], -1
	s_mov_b64 s[2:3], 0
	s_waitcnt vmcnt(0)
	v_lshlrev_b32_e32 v3, 16, v3
	v_cvt_i32_f32_e32 v3, v3
	s_branch .LBB183_206
.LBB183_202:
	s_mov_b64 s[8:9], -1
                                        ; implicit-def: $vgpr3
	s_branch .LBB183_207
.LBB183_203:
	s_andn2_saveexec_b64 s[0:1], s[0:1]
	s_cbranch_execz .LBB183_184
.LBB183_204:
	v_cmp_ne_u16_e32 vcc, 0, v4
	s_andn2_b64 s[8:9], s[8:9], exec
	s_and_b64 s[12:13], vcc, exec
	s_or_b64 s[8:9], s[8:9], s[12:13]
	s_or_b64 exec, exec, s[0:1]
	v_mov_b32_e32 v3, 0
	s_and_saveexec_b64 s[0:1], s[8:9]
	s_cbranch_execnz .LBB183_185
	s_branch .LBB183_186
.LBB183_205:
	s_mov_b64 s[2:3], -1
                                        ; implicit-def: $vgpr3
.LBB183_206:
	s_mov_b64 s[8:9], 0
.LBB183_207:
	s_and_b64 vcc, exec, s[8:9]
	s_cbranch_vccz .LBB183_211
; %bb.208:
	s_cmp_eq_u32 s10, 11
	s_cbranch_scc0 .LBB183_210
; %bb.209:
	global_load_ubyte v3, v[1:2], off
	s_mov_b64 s[0:1], -1
	s_mov_b64 s[2:3], 0
	s_waitcnt vmcnt(0)
	v_cmp_ne_u16_e32 vcc, 0, v3
	v_cndmask_b32_e64 v3, 0, 1, vcc
	s_branch .LBB183_211
.LBB183_210:
	s_mov_b64 s[2:3], -1
                                        ; implicit-def: $vgpr3
.LBB183_211:
	s_branch .LBB183_24
.LBB183_212:
	s_cmp_lt_i32 s10, 5
	s_cbranch_scc1 .LBB183_217
; %bb.213:
	s_cmp_lt_i32 s10, 8
	s_cbranch_scc1 .LBB183_218
; %bb.214:
	;; [unrolled: 3-line block ×3, first 2 shown]
	s_cmp_gt_i32 s10, 9
	s_cbranch_scc0 .LBB183_220
; %bb.216:
	global_load_dwordx2 v[3:4], v[1:2], off
	s_mov_b64 s[0:1], 0
	s_waitcnt vmcnt(0)
	v_cvt_i32_f64_e32 v3, v[3:4]
	s_branch .LBB183_221
.LBB183_217:
                                        ; implicit-def: $vgpr3
	s_branch .LBB183_239
.LBB183_218:
	s_mov_b64 s[0:1], -1
                                        ; implicit-def: $vgpr3
	s_branch .LBB183_227
.LBB183_219:
	s_mov_b64 s[0:1], -1
                                        ; implicit-def: $vgpr3
	s_branch .LBB183_224
.LBB183_220:
	s_mov_b64 s[0:1], -1
                                        ; implicit-def: $vgpr3
.LBB183_221:
	s_andn2_b64 vcc, exec, s[0:1]
	s_cbranch_vccnz .LBB183_223
; %bb.222:
	global_load_dword v3, v[1:2], off
	s_waitcnt vmcnt(0)
	v_cvt_i32_f32_e32 v3, v3
.LBB183_223:
	s_mov_b64 s[0:1], 0
.LBB183_224:
	s_andn2_b64 vcc, exec, s[0:1]
	s_cbranch_vccnz .LBB183_226
; %bb.225:
	global_load_dword v3, v[1:2], off
	s_waitcnt vmcnt(0)
	v_cvt_f32_f16_e32 v3, v3
	v_cvt_i32_f32_e32 v3, v3
.LBB183_226:
	s_mov_b64 s[0:1], 0
.LBB183_227:
	s_andn2_b64 vcc, exec, s[0:1]
	s_cbranch_vccnz .LBB183_238
; %bb.228:
	s_cmp_lt_i32 s10, 6
	s_cbranch_scc1 .LBB183_231
; %bb.229:
	s_cmp_gt_i32 s10, 6
	s_cbranch_scc0 .LBB183_232
; %bb.230:
	global_load_dwordx2 v[3:4], v[1:2], off
	s_mov_b64 s[0:1], 0
	s_waitcnt vmcnt(0)
	v_cvt_i32_f64_e32 v3, v[3:4]
	s_branch .LBB183_233
.LBB183_231:
	s_mov_b64 s[0:1], -1
                                        ; implicit-def: $vgpr3
	s_branch .LBB183_236
.LBB183_232:
	s_mov_b64 s[0:1], -1
                                        ; implicit-def: $vgpr3
.LBB183_233:
	s_andn2_b64 vcc, exec, s[0:1]
	s_cbranch_vccnz .LBB183_235
; %bb.234:
	global_load_dword v3, v[1:2], off
	s_waitcnt vmcnt(0)
	v_cvt_i32_f32_e32 v3, v3
.LBB183_235:
	s_mov_b64 s[0:1], 0
.LBB183_236:
	s_andn2_b64 vcc, exec, s[0:1]
	s_cbranch_vccnz .LBB183_238
; %bb.237:
	global_load_ushort v3, v[1:2], off
	s_waitcnt vmcnt(0)
	v_cvt_f32_f16_e32 v3, v3
	v_cvt_i32_f32_e32 v3, v3
.LBB183_238:
	s_cbranch_execnz .LBB183_258
.LBB183_239:
	s_cmp_lt_i32 s10, 2
	s_cbranch_scc1 .LBB183_243
; %bb.240:
	s_cmp_lt_i32 s10, 3
	s_cbranch_scc1 .LBB183_244
; %bb.241:
	s_cmp_gt_i32 s10, 3
	s_cbranch_scc0 .LBB183_245
; %bb.242:
	global_load_dword v3, v[1:2], off
	s_mov_b64 s[0:1], 0
	s_branch .LBB183_246
.LBB183_243:
	s_mov_b64 s[0:1], -1
                                        ; implicit-def: $vgpr3
	s_branch .LBB183_252
.LBB183_244:
	s_mov_b64 s[0:1], -1
                                        ; implicit-def: $vgpr3
	s_branch .LBB183_249
.LBB183_245:
	s_mov_b64 s[0:1], -1
                                        ; implicit-def: $vgpr3
.LBB183_246:
	s_andn2_b64 vcc, exec, s[0:1]
	s_cbranch_vccnz .LBB183_248
; %bb.247:
	global_load_dword v3, v[1:2], off
.LBB183_248:
	s_mov_b64 s[0:1], 0
.LBB183_249:
	s_andn2_b64 vcc, exec, s[0:1]
	s_cbranch_vccnz .LBB183_251
; %bb.250:
	global_load_sshort v3, v[1:2], off
.LBB183_251:
	s_mov_b64 s[0:1], 0
.LBB183_252:
	s_andn2_b64 vcc, exec, s[0:1]
	s_cbranch_vccnz .LBB183_258
; %bb.253:
	s_cmp_gt_i32 s10, 0
	s_cbranch_scc0 .LBB183_255
; %bb.254:
	global_load_sbyte v3, v[1:2], off
	s_mov_b64 s[0:1], 0
	s_branch .LBB183_256
.LBB183_255:
	s_mov_b64 s[0:1], -1
                                        ; implicit-def: $vgpr3
.LBB183_256:
	s_andn2_b64 vcc, exec, s[0:1]
	s_cbranch_vccnz .LBB183_258
; %bb.257:
	global_load_ubyte v3, v[1:2], off
.LBB183_258:
	s_branch .LBB183_25
.LBB183_259:
	s_mov_b64 s[0:1], 0
.LBB183_260:
	s_mov_b64 s[8:9], 0
                                        ; implicit-def: $vgpr8
.LBB183_261:
	s_and_b64 s[54:55], s[0:1], exec
	s_and_b64 s[56:57], s[2:3], exec
	s_orn2_b64 s[2:3], s[8:9], exec
.LBB183_262:
	s_or_b64 exec, exec, s[58:59]
	s_mov_b64 s[10:11], 0
	s_mov_b64 s[0:1], 0
                                        ; implicit-def: $vgpr1_vgpr2
                                        ; implicit-def: $vgpr0
                                        ; implicit-def: $vgpr5
	s_and_saveexec_b64 s[58:59], s[2:3]
	s_cbranch_execz .LBB183_269
; %bb.263:
	v_cmp_gt_i32_e32 vcc, s72, v8
	s_mov_b64 s[0:1], -1
	s_mov_b64 s[60:61], s[56:57]
	s_mov_b64 s[62:63], s[54:55]
	s_and_saveexec_b64 s[64:65], vcc
	s_cbranch_execz .LBB183_534
; %bb.264:
	s_andn2_b64 vcc, exec, s[40:41]
	s_cbranch_vccnz .LBB183_272
; %bb.265:
	s_andn2_b64 vcc, exec, s[52:53]
	s_cbranch_vccnz .LBB183_273
; %bb.266:
	s_add_i32 s67, s76, 1
	s_cmp_eq_u32 s74, 2
	s_cbranch_scc1 .LBB183_274
; %bb.267:
	s_and_b32 s66, s67, 28
	v_mov_b32_e32 v2, 0
	s_mov_b32 s68, 0
	s_mov_b64 s[60:61], s[34:35]
	s_mov_b64 s[62:63], s[50:51]
	v_mov_b32_e32 v0, 0
	v_mov_b32_e32 v1, v8
.LBB183_268:                            ; =>This Inner Loop Header: Depth=1
	s_load_dwordx8 s[16:23], s[60:61], 0x4
	s_load_dwordx4 s[0:3], s[60:61], 0x24
	s_load_dwordx8 s[8:15], s[62:63], 0x0
	s_add_u32 s60, s60, 48
	s_addc_u32 s61, s61, 0
	s_waitcnt vmcnt(0) lgkmcnt(0)
	v_mul_hi_u32 v3, s17, v1
	s_add_i32 s68, s68, 4
	s_add_u32 s62, s62, 32
	s_addc_u32 s63, s63, 0
	v_add_u32_e32 v3, v1, v3
	v_lshrrev_b32_e32 v3, s18, v3
	v_mul_lo_u32 v4, v3, s16
	v_mul_hi_u32 v5, s20, v3
	s_cmp_eq_u32 s66, s68
	v_sub_u32_e32 v1, v1, v4
	v_add_u32_e32 v4, v3, v5
	v_mul_lo_u32 v5, v1, s8
	v_mul_lo_u32 v6, v1, s9
	v_lshrrev_b32_e32 v1, s21, v4
	v_mul_lo_u32 v4, v1, s19
	v_mul_hi_u32 v7, s23, v1
	v_sub_u32_e32 v3, v3, v4
	v_add_u32_e32 v4, v1, v7
	v_lshrrev_b32_e32 v4, s0, v4
	v_mul_hi_u32 v9, s2, v4
	v_mul_lo_u32 v10, v4, s22
	v_mul_lo_u32 v7, v3, s10
	;; [unrolled: 1-line block ×3, first 2 shown]
	v_sub_u32_e32 v10, v1, v10
	v_add_u32_e32 v1, v4, v9
	v_lshrrev_b32_e32 v1, s3, v1
	v_mul_lo_u32 v9, v1, s1
	v_mul_lo_u32 v11, v10, s12
	;; [unrolled: 1-line block ×3, first 2 shown]
	v_add3_u32 v0, v5, v0, v7
	v_sub_u32_e32 v4, v4, v9
	v_mul_lo_u32 v9, v4, s14
	v_mul_lo_u32 v4, v4, s15
	v_add3_u32 v2, v6, v2, v3
	v_add3_u32 v0, v11, v0, v9
	;; [unrolled: 1-line block ×3, first 2 shown]
	s_cbranch_scc0 .LBB183_268
	s_branch .LBB183_275
.LBB183_269:
	s_or_b64 exec, exec, s[58:59]
	s_mov_b64 s[2:3], 0
	s_and_saveexec_b64 s[8:9], s[56:57]
	s_cbranch_execnz .LBB183_902
.LBB183_270:
	s_or_b64 exec, exec, s[8:9]
	s_and_saveexec_b64 s[8:9], s[62:63]
	s_xor_b64 s[8:9], exec, s[8:9]
	s_cbranch_execz .LBB183_903
.LBB183_271:
	global_load_ubyte v3, v[1:2], off
	s_or_b64 s[0:1], s[0:1], exec
	s_waitcnt vmcnt(0)
	v_cmp_ne_u16_e32 vcc, 0, v3
	v_cndmask_b32_e64 v5, 0, 1, vcc
	s_or_b64 exec, exec, s[8:9]
	s_and_saveexec_b64 s[8:9], s[10:11]
	s_cbranch_execz .LBB183_949
	s_branch .LBB183_904
.LBB183_272:
                                        ; implicit-def: $vgpr0
                                        ; implicit-def: $vgpr2
	s_andn2_b64 vcc, exec, s[0:1]
	s_cbranch_vccz .LBB183_279
	s_branch .LBB183_281
.LBB183_273:
	v_mov_b32_e32 v0, 0
	v_mov_b32_e32 v2, 0
	s_branch .LBB183_278
.LBB183_274:
	s_mov_b32 s66, 0
	v_mov_b32_e32 v0, 0
	v_mov_b32_e32 v2, 0
	;; [unrolled: 1-line block ×3, first 2 shown]
.LBB183_275:
	s_and_b32 s8, s67, 3
	s_cmp_eq_u32 s8, 0
	s_cbranch_scc1 .LBB183_278
; %bb.276:
	s_lshl_b32 s0, s66, 3
	s_add_u32 s0, s34, s0
	s_addc_u32 s1, s35, 0
	s_add_u32 s0, s0, 0xc4
	s_addc_u32 s1, s1, 0
	s_mul_i32 s2, s66, 12
	s_add_u32 s2, s34, s2
	s_addc_u32 s3, s35, 0
.LBB183_277:                            ; =>This Inner Loop Header: Depth=1
	s_load_dwordx2 s[10:11], s[2:3], 0x4
	s_load_dword s9, s[2:3], 0xc
	s_load_dwordx2 s[12:13], s[0:1], 0x0
	s_add_u32 s2, s2, 12
	s_addc_u32 s3, s3, 0
	s_waitcnt vmcnt(0) lgkmcnt(0)
	v_mul_hi_u32 v3, s11, v1
	s_add_u32 s0, s0, 8
	s_addc_u32 s1, s1, 0
	s_add_i32 s8, s8, -1
	v_add_u32_e32 v3, v1, v3
	v_lshrrev_b32_e32 v4, s9, v3
	v_mul_lo_u32 v3, v4, s10
	s_cmp_lg_u32 s8, 0
	v_sub_u32_e32 v3, v1, v3
	v_mad_u64_u32 v[0:1], s[10:11], v3, s12, v[0:1]
	v_mad_u64_u32 v[2:3], s[10:11], v3, s13, v[2:3]
	v_mov_b32_e32 v1, v4
	s_cbranch_scc1 .LBB183_277
.LBB183_278:
	s_cbranch_execnz .LBB183_281
.LBB183_279:
	v_mul_hi_u32 v0, s29, v8
	s_andn2_b64 vcc, exec, s[48:49]
	v_add_u32_e32 v0, v8, v0
	v_lshrrev_b32_e32 v1, s30, v0
	v_mul_lo_u32 v0, v1, s28
	v_sub_u32_e32 v2, v8, v0
	v_mul_lo_u32 v0, v2, s36
	v_mul_lo_u32 v2, v2, s37
	s_cbranch_vccnz .LBB183_281
; %bb.280:
	s_waitcnt vmcnt(0)
	v_mul_hi_u32 v3, s46, v1
	v_add_u32_e32 v3, v1, v3
	v_lshrrev_b32_e32 v3, s47, v3
	v_mul_lo_u32 v3, v3, s31
	v_sub_u32_e32 v3, v1, v3
	v_mad_u64_u32 v[0:1], s[0:1], v3, s38, v[0:1]
	v_mad_u64_u32 v[2:3], s[0:1], v3, s39, v[2:3]
.LBB183_281:
	s_waitcnt vmcnt(0)
	v_mov_b32_e32 v3, s27
	s_and_b32 s10, 0xffff, s75
	v_add_co_u32_e32 v1, vcc, s26, v2
	s_cmp_lt_i32 s10, 11
	v_addc_co_u32_e32 v2, vcc, 0, v3, vcc
	s_cbranch_scc1 .LBB183_288
; %bb.282:
	s_cmp_gt_i32 s10, 25
	s_cbranch_scc0 .LBB183_297
; %bb.283:
	s_cmp_gt_i32 s10, 28
	s_cbranch_scc0 .LBB183_299
; %bb.284:
	s_cmp_gt_i32 s10, 43
	s_cbranch_scc0 .LBB183_301
; %bb.285:
	s_cmp_gt_i32 s10, 45
	s_cbranch_scc0 .LBB183_305
; %bb.286:
	s_cmp_eq_u32 s10, 46
	s_mov_b64 s[8:9], 0
	s_cbranch_scc0 .LBB183_309
; %bb.287:
	global_load_dword v3, v[1:2], off
	s_mov_b64 s[0:1], -1
	s_mov_b64 s[2:3], 0
	s_waitcnt vmcnt(0)
	v_lshlrev_b32_e32 v3, 16, v3
	v_cvt_i32_f32_e32 v3, v3
	s_branch .LBB183_310
.LBB183_288:
	s_mov_b64 s[0:1], 0
                                        ; implicit-def: $vgpr3
	s_mov_b64 s[2:3], s[56:57]
	s_cbranch_execnz .LBB183_483
.LBB183_289:
	s_andn2_b64 vcc, exec, s[0:1]
	s_cbranch_vccnz .LBB183_531
.LBB183_290:
	s_waitcnt vmcnt(0)
	v_ashrrev_i32_e32 v1, s44, v3
	v_mov_b32_e32 v2, s25
	s_and_b32 s14, s45, 0xff
	v_add_co_u32_e32 v3, vcc, s24, v0
	s_cmp_lt_i32 s14, 11
	v_addc_co_u32_e32 v4, vcc, 0, v2, vcc
	s_cbranch_scc1 .LBB183_298
; %bb.291:
	s_and_b32 s15, 0xffff, s14
	s_cmp_gt_i32 s15, 25
	s_cbranch_scc0 .LBB183_300
; %bb.292:
	s_cmp_gt_i32 s15, 28
	s_cbranch_scc0 .LBB183_302
; %bb.293:
	s_cmp_gt_i32 s15, 43
	s_cbranch_scc0 .LBB183_306
; %bb.294:
	s_cmp_gt_i32 s15, 45
	s_cbranch_scc0 .LBB183_313
; %bb.295:
	s_mov_b64 s[10:11], 0
	s_mov_b64 s[0:1], -1
	s_cmp_eq_u32 s15, 46
	s_mov_b64 s[8:9], 0
	s_cbranch_scc0 .LBB183_314
; %bb.296:
	v_cvt_f32_i32_e32 v0, v1
	s_movk_i32 s0, 0x7fff
	s_mov_b64 s[8:9], -1
	v_bfe_u32 v2, v0, 16, 1
	v_add3_u32 v0, v0, v2, s0
	v_lshrrev_b32_e32 v0, 16, v0
	global_store_dword v[3:4], v0, off
	s_mov_b64 s[0:1], 0
	s_branch .LBB183_314
.LBB183_297:
	s_mov_b64 s[8:9], -1
	s_mov_b64 s[0:1], 0
	s_mov_b64 s[2:3], s[56:57]
                                        ; implicit-def: $vgpr3
	s_branch .LBB183_449
.LBB183_298:
	s_mov_b64 s[10:11], -1
	s_mov_b64 s[8:9], 0
	s_mov_b64 s[0:1], s[54:55]
	s_branch .LBB183_383
.LBB183_299:
	s_mov_b64 s[8:9], -1
	s_mov_b64 s[0:1], 0
	s_mov_b64 s[2:3], s[56:57]
                                        ; implicit-def: $vgpr3
	s_branch .LBB183_432
.LBB183_300:
	s_mov_b64 s[10:11], -1
	s_mov_b64 s[8:9], 0
	s_mov_b64 s[0:1], s[54:55]
	s_branch .LBB183_341
.LBB183_301:
	s_mov_b64 s[8:9], -1
	s_mov_b64 s[0:1], 0
	s_mov_b64 s[2:3], s[56:57]
                                        ; implicit-def: $vgpr3
	s_branch .LBB183_427
.LBB183_302:
	s_mov_b64 s[10:11], -1
	s_mov_b64 s[8:9], 0
	s_mov_b64 s[0:1], s[54:55]
	s_branch .LBB183_324
.LBB183_303:
	s_andn2_saveexec_b64 s[12:13], s[12:13]
	s_cbranch_execz .LBB183_68
.LBB183_304:
	s_mov_b32 s16, 0x46000000
	v_add_f32_e64 v2, |v0|, s16
	v_and_b32_e32 v2, 0xff, v2
	v_cmp_ne_u32_e32 vcc, 0, v2
	s_andn2_b64 s[10:11], s[10:11], exec
	s_and_b64 s[16:17], vcc, exec
	s_or_b64 s[10:11], s[10:11], s[16:17]
	s_or_b64 exec, exec, s[12:13]
	v_mov_b32_e32 v5, 0
	s_and_saveexec_b64 s[12:13], s[10:11]
	s_cbranch_execnz .LBB183_69
	s_branch .LBB183_70
.LBB183_305:
	s_mov_b64 s[8:9], -1
	s_mov_b64 s[0:1], 0
	s_mov_b64 s[2:3], s[56:57]
                                        ; implicit-def: $vgpr3
	s_branch .LBB183_310
.LBB183_306:
	s_mov_b64 s[10:11], -1
	s_mov_b64 s[8:9], 0
	s_mov_b64 s[0:1], s[54:55]
	s_branch .LBB183_320
.LBB183_307:
	s_andn2_saveexec_b64 s[12:13], s[12:13]
	s_cbranch_execz .LBB183_81
.LBB183_308:
	s_mov_b32 s16, 0x42800000
	v_add_f32_e64 v2, |v0|, s16
	v_and_b32_e32 v2, 0xff, v2
	v_cmp_ne_u32_e32 vcc, 0, v2
	s_andn2_b64 s[10:11], s[10:11], exec
	s_and_b64 s[16:17], vcc, exec
	s_or_b64 s[10:11], s[10:11], s[16:17]
	s_or_b64 exec, exec, s[12:13]
	v_mov_b32_e32 v5, 0
	s_and_saveexec_b64 s[12:13], s[10:11]
	s_cbranch_execnz .LBB183_82
	s_branch .LBB183_83
.LBB183_309:
	s_mov_b64 s[2:3], -1
                                        ; implicit-def: $vgpr3
	s_mov_b64 s[0:1], 0
.LBB183_310:
	s_and_b64 vcc, exec, s[8:9]
	s_cbranch_vccz .LBB183_426
; %bb.311:
	s_cmp_eq_u32 s10, 44
	s_cbranch_scc0 .LBB183_425
; %bb.312:
	global_load_ubyte v3, v[1:2], off
	s_mov_b64 s[0:1], -1
	s_mov_b64 s[2:3], 0
	s_waitcnt vmcnt(0)
	v_lshlrev_b32_e32 v4, 23, v3
	v_cvt_i32_f32_e32 v4, v4
	v_cmp_ne_u32_e32 vcc, 0, v3
	v_cndmask_b32_e32 v3, 0, v4, vcc
	s_branch .LBB183_426
.LBB183_313:
	s_mov_b64 s[10:11], -1
	s_mov_b64 s[8:9], 0
	s_mov_b64 s[0:1], s[54:55]
.LBB183_314:
	s_and_b64 vcc, exec, s[10:11]
	s_cbranch_vccz .LBB183_319
; %bb.315:
	s_cmp_eq_u32 s15, 44
	s_mov_b64 s[0:1], -1
	s_cbranch_scc0 .LBB183_319
; %bb.316:
	v_cvt_f32_i32_e32 v0, v1
	s_movk_i32 s0, 0xff
	v_mov_b32_e32 v5, 0xff
	v_bfe_u32 v2, v0, 23, 8
	v_cmp_ne_u32_e32 vcc, s0, v2
	s_and_saveexec_b64 s[8:9], vcc
; %bb.317:
	s_mov_b32 s0, 0x3fffff
	v_lshrrev_b32_e32 v5, 23, v0
	v_and_b32_e32 v6, 0x400000, v0
	v_and_or_b32 v0, v0, s0, v2
	v_cmp_ne_u32_e32 vcc, 0, v6
	v_cmp_ne_u32_e64 s[0:1], 0, v0
	s_and_b64 s[0:1], vcc, s[0:1]
	v_cndmask_b32_e64 v0, 0, 1, s[0:1]
	v_add_u32_e32 v5, v5, v0
; %bb.318:
	s_or_b64 exec, exec, s[8:9]
	s_mov_b64 s[8:9], -1
	s_mov_b64 s[0:1], 0
	global_store_byte v[3:4], v5, off
.LBB183_319:
	s_mov_b64 s[10:11], 0
.LBB183_320:
	s_and_b64 vcc, exec, s[10:11]
	s_cbranch_vccz .LBB183_323
; %bb.321:
	s_cmp_eq_u32 s15, 29
	s_mov_b64 s[0:1], -1
	s_cbranch_scc0 .LBB183_323
; %bb.322:
	v_ashrrev_i32_e32 v2, 31, v1
	global_store_dwordx2 v[3:4], v[1:2], off
	s_mov_b64 s[8:9], -1
	s_mov_b64 s[0:1], 0
.LBB183_323:
	s_mov_b64 s[10:11], 0
.LBB183_324:
	s_and_b64 vcc, exec, s[10:11]
	s_cbranch_vccz .LBB183_340
; %bb.325:
	s_cmp_lt_i32 s15, 27
	s_mov_b64 s[8:9], -1
	s_cbranch_scc1 .LBB183_331
; %bb.326:
	s_cmp_gt_i32 s15, 27
	s_cbranch_scc0 .LBB183_328
; %bb.327:
	s_mov_b64 s[8:9], 0
	global_store_dword v[3:4], v1, off
.LBB183_328:
	s_andn2_b64 vcc, exec, s[8:9]
	s_cbranch_vccnz .LBB183_330
; %bb.329:
	global_store_short v[3:4], v1, off
.LBB183_330:
	s_mov_b64 s[8:9], 0
.LBB183_331:
	s_andn2_b64 vcc, exec, s[8:9]
	s_cbranch_vccnz .LBB183_339
; %bb.332:
	v_cvt_f32_i32_e32 v0, v1
	s_mov_b32 s8, 0x43800000
	v_mov_b32_e32 v5, 0x80
	v_and_b32_e32 v2, 0x7fffffff, v0
	v_cmp_gt_u32_e32 vcc, s8, v2
	s_and_saveexec_b64 s[8:9], vcc
	s_cbranch_execz .LBB183_338
; %bb.333:
	s_mov_b32 s10, 0x3bffffff
	v_cmp_lt_u32_e32 vcc, s10, v2
	s_mov_b64 s[10:11], 0
                                        ; implicit-def: $vgpr2
	s_and_saveexec_b64 s[12:13], vcc
	s_xor_b64 s[12:13], exec, s[12:13]
	s_cbranch_execz .LBB183_562
; %bb.334:
	v_bfe_u32 v2, v0, 20, 1
	s_mov_b32 s16, 0x487ffff
	v_add3_u32 v2, v0, v2, s16
	s_mov_b64 s[10:11], exec
	v_lshrrev_b32_e32 v2, 20, v2
	s_andn2_saveexec_b64 s[12:13], s[12:13]
	s_cbranch_execnz .LBB183_563
.LBB183_335:
	s_or_b64 exec, exec, s[12:13]
	v_mov_b32_e32 v5, 0
	s_and_saveexec_b64 s[12:13], s[10:11]
.LBB183_336:
	v_lshrrev_b32_e32 v0, 24, v0
	s_movk_i32 s10, 0x80
	v_and_or_b32 v5, v0, s10, v2
.LBB183_337:
	s_or_b64 exec, exec, s[12:13]
.LBB183_338:
	s_or_b64 exec, exec, s[8:9]
	global_store_byte v[3:4], v5, off
.LBB183_339:
	s_mov_b64 s[8:9], -1
.LBB183_340:
	s_mov_b64 s[10:11], 0
.LBB183_341:
	s_and_b64 vcc, exec, s[10:11]
	s_cbranch_vccz .LBB183_382
; %bb.342:
	s_cmp_gt_i32 s15, 22
	s_mov_b64 s[10:11], -1
	s_cbranch_scc0 .LBB183_374
; %bb.343:
	s_cmp_lt_i32 s15, 24
	s_mov_b64 s[8:9], -1
	s_cbranch_scc1 .LBB183_363
; %bb.344:
	s_cmp_gt_i32 s15, 24
	s_cbranch_scc0 .LBB183_352
; %bb.345:
	v_cvt_f32_i32_e32 v0, v1
	s_mov_b32 s8, 0x47800000
	v_mov_b32_e32 v5, 0x80
	v_and_b32_e32 v2, 0x7fffffff, v0
	v_cmp_gt_u32_e32 vcc, s8, v2
	s_and_saveexec_b64 s[8:9], vcc
	s_cbranch_execz .LBB183_351
; %bb.346:
	s_mov_b32 s10, 0x37ffffff
	v_cmp_lt_u32_e32 vcc, s10, v2
	s_mov_b64 s[10:11], 0
                                        ; implicit-def: $vgpr2
	s_and_saveexec_b64 s[12:13], vcc
	s_xor_b64 s[12:13], exec, s[12:13]
	s_cbranch_execz .LBB183_565
; %bb.347:
	v_bfe_u32 v2, v0, 21, 1
	s_mov_b32 s16, 0x88fffff
	v_add3_u32 v2, v0, v2, s16
	s_mov_b64 s[10:11], exec
	v_lshrrev_b32_e32 v2, 21, v2
	s_andn2_saveexec_b64 s[12:13], s[12:13]
	s_cbranch_execnz .LBB183_566
.LBB183_348:
	s_or_b64 exec, exec, s[12:13]
	v_mov_b32_e32 v5, 0
	s_and_saveexec_b64 s[12:13], s[10:11]
.LBB183_349:
	v_lshrrev_b32_e32 v0, 24, v0
	s_movk_i32 s10, 0x80
	v_and_or_b32 v5, v0, s10, v2
.LBB183_350:
	s_or_b64 exec, exec, s[12:13]
.LBB183_351:
	s_or_b64 exec, exec, s[8:9]
	s_mov_b64 s[8:9], 0
	global_store_byte v[3:4], v5, off
.LBB183_352:
	s_and_b64 vcc, exec, s[8:9]
	s_cbranch_vccz .LBB183_362
; %bb.353:
	v_cvt_f32_i32_e32 v0, v1
	s_mov_b32 s8, 0x43f00000
                                        ; implicit-def: $vgpr2
	v_and_b32_e32 v5, 0x7fffffff, v0
	v_cmp_gt_u32_e32 vcc, s8, v5
	s_and_saveexec_b64 s[8:9], vcc
	s_xor_b64 s[8:9], exec, s[8:9]
	s_cbranch_execz .LBB183_359
; %bb.354:
	s_mov_b32 s10, 0x3c7fffff
	v_cmp_lt_u32_e32 vcc, s10, v5
                                        ; implicit-def: $vgpr2
	s_and_saveexec_b64 s[10:11], vcc
	s_xor_b64 s[10:11], exec, s[10:11]
; %bb.355:
	v_bfe_u32 v2, v0, 20, 1
	s_mov_b32 s12, 0x407ffff
	v_add3_u32 v2, v0, v2, s12
	v_lshrrev_b32_e32 v5, 20, v2
	v_and_b32_e32 v2, 0xff00000, v2
	s_mov_b32 s12, 0x7f00000
	v_mov_b32_e32 v6, 0x7e
	v_cmp_ne_u32_e32 vcc, s12, v2
	v_cndmask_b32_e32 v2, v6, v5, vcc
; %bb.356:
	s_andn2_saveexec_b64 s[10:11], s[10:11]
; %bb.357:
	s_mov_b32 s12, 0x46800000
	v_add_f32_e64 v2, |v0|, s12
; %bb.358:
	s_or_b64 exec, exec, s[10:11]
                                        ; implicit-def: $vgpr5
.LBB183_359:
	s_andn2_saveexec_b64 s[8:9], s[8:9]
; %bb.360:
	s_mov_b32 s10, 0x7f800000
	v_mov_b32_e32 v2, 0x7e
	v_mov_b32_e32 v6, 0x7f
	v_cmp_lt_u32_e32 vcc, s10, v5
	v_cndmask_b32_e32 v2, v2, v6, vcc
; %bb.361:
	s_or_b64 exec, exec, s[8:9]
	v_lshrrev_b32_e32 v0, 24, v0
	s_movk_i32 s8, 0x80
	v_and_or_b32 v0, v0, s8, v2
	global_store_byte v[3:4], v0, off
.LBB183_362:
	s_mov_b64 s[8:9], 0
.LBB183_363:
	s_andn2_b64 vcc, exec, s[8:9]
	s_cbranch_vccnz .LBB183_373
; %bb.364:
	v_cvt_f32_i32_e32 v0, v1
	s_mov_b32 s8, 0x47800000
                                        ; implicit-def: $vgpr2
	v_and_b32_e32 v5, 0x7fffffff, v0
	v_cmp_gt_u32_e32 vcc, s8, v5
	s_and_saveexec_b64 s[8:9], vcc
	s_xor_b64 s[8:9], exec, s[8:9]
	s_cbranch_execz .LBB183_370
; %bb.365:
	s_mov_b32 s10, 0x387fffff
	v_cmp_lt_u32_e32 vcc, s10, v5
                                        ; implicit-def: $vgpr2
	s_and_saveexec_b64 s[10:11], vcc
	s_xor_b64 s[10:11], exec, s[10:11]
; %bb.366:
	v_bfe_u32 v2, v0, 21, 1
	s_mov_b32 s12, 0x80fffff
	v_add3_u32 v2, v0, v2, s12
	v_lshrrev_b32_e32 v2, 21, v2
; %bb.367:
	s_andn2_saveexec_b64 s[10:11], s[10:11]
; %bb.368:
	s_mov_b32 s12, 0x43000000
	v_add_f32_e64 v2, |v0|, s12
; %bb.369:
	s_or_b64 exec, exec, s[10:11]
                                        ; implicit-def: $vgpr5
.LBB183_370:
	s_andn2_saveexec_b64 s[8:9], s[8:9]
; %bb.371:
	s_mov_b32 s10, 0x7f800000
	v_mov_b32_e32 v2, 0x7c
	v_mov_b32_e32 v6, 0x7f
	v_cmp_lt_u32_e32 vcc, s10, v5
	v_cndmask_b32_e32 v2, v2, v6, vcc
; %bb.372:
	s_or_b64 exec, exec, s[8:9]
	v_lshrrev_b32_e32 v0, 24, v0
	s_movk_i32 s8, 0x80
	v_and_or_b32 v0, v0, s8, v2
	global_store_byte v[3:4], v0, off
.LBB183_373:
	s_mov_b64 s[10:11], 0
	s_mov_b64 s[8:9], -1
.LBB183_374:
	s_andn2_b64 vcc, exec, s[10:11]
	s_cbranch_vccnz .LBB183_382
; %bb.375:
	s_cmp_gt_i32 s15, 14
	s_mov_b64 s[10:11], -1
	s_cbranch_scc0 .LBB183_379
; %bb.376:
	s_cmp_eq_u32 s15, 15
	s_mov_b64 s[0:1], -1
	s_cbranch_scc0 .LBB183_378
; %bb.377:
	v_cvt_f32_i32_e32 v0, v1
	s_movk_i32 s0, 0x7fff
	s_mov_b64 s[8:9], -1
	v_bfe_u32 v2, v0, 16, 1
	v_add3_u32 v0, v0, v2, s0
	global_store_short_d16_hi v[3:4], v0, off
	s_mov_b64 s[0:1], 0
.LBB183_378:
	s_mov_b64 s[10:11], 0
.LBB183_379:
	s_and_b64 vcc, exec, s[10:11]
	s_cbranch_vccz .LBB183_382
; %bb.380:
	s_cmp_eq_u32 s15, 11
	s_mov_b64 s[0:1], -1
	s_cbranch_scc0 .LBB183_382
; %bb.381:
	v_cmp_ne_u32_e32 vcc, 0, v1
	v_cndmask_b32_e64 v0, 0, 1, vcc
	s_mov_b64 s[8:9], -1
	s_mov_b64 s[0:1], 0
	global_store_byte v[3:4], v0, off
.LBB183_382:
	s_mov_b64 s[10:11], 0
.LBB183_383:
	s_and_b64 vcc, exec, s[10:11]
	s_cbranch_vccz .LBB183_422
; %bb.384:
	s_and_b32 s10, 0xffff, s14
	s_cmp_lt_i32 s10, 5
	s_mov_b64 s[8:9], -1
	s_cbranch_scc1 .LBB183_405
; %bb.385:
	s_cmp_lt_i32 s10, 8
	s_cbranch_scc1 .LBB183_395
; %bb.386:
	s_cmp_lt_i32 s10, 9
	s_cbranch_scc1 .LBB183_392
; %bb.387:
	s_cmp_gt_i32 s10, 9
	s_cbranch_scc0 .LBB183_389
; %bb.388:
	v_cvt_f64_i32_e32 v[9:10], v1
	v_mov_b32_e32 v11, 0
	v_mov_b32_e32 v12, v11
	s_mov_b64 s[8:9], 0
	global_store_dwordx4 v[3:4], v[9:12], off
.LBB183_389:
	s_andn2_b64 vcc, exec, s[8:9]
	s_cbranch_vccnz .LBB183_391
; %bb.390:
	v_cvt_f32_i32_e32 v5, v1
	v_mov_b32_e32 v6, 0
	global_store_dwordx2 v[3:4], v[5:6], off
.LBB183_391:
	s_mov_b64 s[8:9], 0
.LBB183_392:
	s_andn2_b64 vcc, exec, s[8:9]
	s_cbranch_vccnz .LBB183_394
; %bb.393:
	v_cvt_f32_i32_e32 v0, v1
	v_cvt_f16_f32_e32 v0, v0
	global_store_dword v[3:4], v0, off
.LBB183_394:
	s_mov_b64 s[8:9], 0
.LBB183_395:
	s_andn2_b64 vcc, exec, s[8:9]
	s_cbranch_vccnz .LBB183_404
; %bb.396:
	s_cmp_lt_i32 s10, 6
	s_mov_b64 s[8:9], -1
	s_cbranch_scc1 .LBB183_402
; %bb.397:
	s_cmp_gt_i32 s10, 6
	s_cbranch_scc0 .LBB183_399
; %bb.398:
	v_cvt_f64_i32_e32 v[5:6], v1
	s_mov_b64 s[8:9], 0
	global_store_dwordx2 v[3:4], v[5:6], off
.LBB183_399:
	s_andn2_b64 vcc, exec, s[8:9]
	s_cbranch_vccnz .LBB183_401
; %bb.400:
	v_cvt_f32_i32_e32 v0, v1
	global_store_dword v[3:4], v0, off
.LBB183_401:
	s_mov_b64 s[8:9], 0
.LBB183_402:
	s_andn2_b64 vcc, exec, s[8:9]
	s_cbranch_vccnz .LBB183_404
; %bb.403:
	v_cvt_f32_i32_e32 v0, v1
	v_cvt_f16_f32_e32 v0, v0
	global_store_short v[3:4], v0, off
.LBB183_404:
	s_mov_b64 s[8:9], 0
.LBB183_405:
	s_andn2_b64 vcc, exec, s[8:9]
	s_cbranch_vccnz .LBB183_421
; %bb.406:
	s_cmp_lt_i32 s10, 2
	s_mov_b64 s[8:9], -1
	s_cbranch_scc1 .LBB183_416
; %bb.407:
	s_cmp_lt_i32 s10, 3
	s_cbranch_scc1 .LBB183_413
; %bb.408:
	s_cmp_gt_i32 s10, 3
	s_cbranch_scc0 .LBB183_410
; %bb.409:
	v_ashrrev_i32_e32 v2, 31, v1
	s_mov_b64 s[8:9], 0
	global_store_dwordx2 v[3:4], v[1:2], off
.LBB183_410:
	s_andn2_b64 vcc, exec, s[8:9]
	s_cbranch_vccnz .LBB183_412
; %bb.411:
	global_store_dword v[3:4], v1, off
.LBB183_412:
	s_mov_b64 s[8:9], 0
.LBB183_413:
	s_andn2_b64 vcc, exec, s[8:9]
	s_cbranch_vccnz .LBB183_415
; %bb.414:
	global_store_short v[3:4], v1, off
.LBB183_415:
	s_mov_b64 s[8:9], 0
.LBB183_416:
	s_andn2_b64 vcc, exec, s[8:9]
	s_cbranch_vccnz .LBB183_421
; %bb.417:
	s_cmp_gt_i32 s10, 0
	s_mov_b64 s[8:9], -1
	s_cbranch_scc0 .LBB183_419
; %bb.418:
	s_mov_b64 s[8:9], 0
	global_store_byte v[3:4], v1, off
.LBB183_419:
	s_andn2_b64 vcc, exec, s[8:9]
	s_cbranch_vccnz .LBB183_421
; %bb.420:
	global_store_byte v[3:4], v1, off
.LBB183_421:
	s_mov_b64 s[8:9], -1
.LBB183_422:
	s_andn2_b64 vcc, exec, s[8:9]
	s_cbranch_vccnz .LBB183_424
; %bb.423:
	v_add_u32_e32 v8, 0x80, v8
	s_mov_b64 s[8:9], -1
	s_branch .LBB183_533
.LBB183_424:
	s_mov_b64 s[8:9], 0
	s_branch .LBB183_532
.LBB183_425:
	s_mov_b64 s[2:3], -1
                                        ; implicit-def: $vgpr3
.LBB183_426:
	s_mov_b64 s[8:9], 0
.LBB183_427:
	s_and_b64 vcc, exec, s[8:9]
	s_cbranch_vccz .LBB183_431
; %bb.428:
	s_cmp_eq_u32 s10, 29
	s_cbranch_scc0 .LBB183_430
; %bb.429:
	global_load_dword v3, v[1:2], off
	s_mov_b64 s[0:1], -1
	s_mov_b64 s[2:3], 0
	s_branch .LBB183_431
.LBB183_430:
	s_mov_b64 s[2:3], -1
                                        ; implicit-def: $vgpr3
.LBB183_431:
	s_mov_b64 s[8:9], 0
.LBB183_432:
	s_and_b64 vcc, exec, s[8:9]
	s_cbranch_vccz .LBB183_448
; %bb.433:
	s_cmp_lt_i32 s10, 27
	s_cbranch_scc1 .LBB183_436
; %bb.434:
	s_cmp_gt_i32 s10, 27
	s_cbranch_scc0 .LBB183_437
; %bb.435:
	global_load_dword v3, v[1:2], off
	s_mov_b64 s[0:1], 0
	s_branch .LBB183_438
.LBB183_436:
	s_mov_b64 s[0:1], -1
                                        ; implicit-def: $vgpr3
	s_branch .LBB183_441
.LBB183_437:
	s_mov_b64 s[0:1], -1
                                        ; implicit-def: $vgpr3
.LBB183_438:
	s_andn2_b64 vcc, exec, s[0:1]
	s_cbranch_vccnz .LBB183_440
; %bb.439:
	global_load_ushort v3, v[1:2], off
.LBB183_440:
	s_mov_b64 s[0:1], 0
.LBB183_441:
	s_andn2_b64 vcc, exec, s[0:1]
	s_cbranch_vccnz .LBB183_447
; %bb.442:
	global_load_ubyte v4, v[1:2], off
	s_movk_i32 s0, 0x7f
	s_mov_b64 s[8:9], 0
	s_waitcnt vmcnt(0)
	v_cmp_lt_i16_e32 vcc, s0, v4
	s_and_saveexec_b64 s[0:1], vcc
	s_xor_b64 s[0:1], exec, s[0:1]
	s_cbranch_execz .LBB183_459
; %bb.443:
	s_movk_i32 s8, 0x80
	v_cmp_ne_u16_e32 vcc, s8, v4
	s_and_b64 s[8:9], vcc, exec
	s_andn2_saveexec_b64 s[0:1], s[0:1]
	s_cbranch_execnz .LBB183_460
.LBB183_444:
	s_or_b64 exec, exec, s[0:1]
	v_mov_b32_e32 v3, 0
	s_and_saveexec_b64 s[0:1], s[8:9]
	s_cbranch_execz .LBB183_446
.LBB183_445:
	v_lshlrev_b32_e32 v3, 24, v4
	v_and_b32_e32 v4, 0xffff, v4
	v_and_b32_e32 v5, 7, v4
	v_ffbh_u32_e32 v7, v5
	v_min_u32_e32 v7, 32, v7
	v_subrev_u32_e32 v9, 28, v7
	v_bfe_u32 v6, v4, 3, 4
	v_lshlrev_b32_e32 v4, v9, v4
	v_sub_u32_e32 v7, 29, v7
	v_and_b32_e32 v4, 7, v4
	v_cmp_eq_u32_e32 vcc, 0, v6
	v_cndmask_b32_e32 v6, v6, v7, vcc
	v_cndmask_b32_e32 v4, v5, v4, vcc
	v_mov_b32_e32 v5, 0x3b800000
	v_lshlrev_b32_e32 v4, 20, v4
	v_and_b32_e32 v3, 0x80000000, v3
	v_lshl_add_u32 v5, v6, 23, v5
	v_or3_b32 v3, v3, v5, v4
	v_cvt_i32_f32_e32 v3, v3
.LBB183_446:
	s_or_b64 exec, exec, s[0:1]
.LBB183_447:
	s_mov_b64 s[0:1], -1
.LBB183_448:
	s_mov_b64 s[8:9], 0
.LBB183_449:
	s_and_b64 vcc, exec, s[8:9]
	s_cbranch_vccz .LBB183_482
; %bb.450:
	s_cmp_gt_i32 s10, 22
	s_cbranch_scc0 .LBB183_458
; %bb.451:
	s_cmp_lt_i32 s10, 24
	s_cbranch_scc1 .LBB183_461
; %bb.452:
	s_cmp_gt_i32 s10, 24
	s_cbranch_scc0 .LBB183_462
; %bb.453:
	global_load_ubyte v4, v[1:2], off
	s_movk_i32 s0, 0x7f
	s_mov_b64 s[8:9], 0
	s_waitcnt vmcnt(0)
	v_cmp_lt_i16_e32 vcc, s0, v4
	s_and_saveexec_b64 s[0:1], vcc
	s_xor_b64 s[0:1], exec, s[0:1]
	s_cbranch_execz .LBB183_474
; %bb.454:
	s_movk_i32 s8, 0x80
	v_cmp_ne_u16_e32 vcc, s8, v4
	s_and_b64 s[8:9], vcc, exec
	s_andn2_saveexec_b64 s[0:1], s[0:1]
	s_cbranch_execnz .LBB183_475
.LBB183_455:
	s_or_b64 exec, exec, s[0:1]
	v_mov_b32_e32 v3, 0
	s_and_saveexec_b64 s[0:1], s[8:9]
	s_cbranch_execz .LBB183_457
.LBB183_456:
	v_lshlrev_b32_e32 v3, 24, v4
	v_and_b32_e32 v4, 0xffff, v4
	v_and_b32_e32 v5, 3, v4
	v_ffbh_u32_e32 v7, v5
	v_min_u32_e32 v7, 32, v7
	v_subrev_u32_e32 v9, 29, v7
	v_bfe_u32 v6, v4, 2, 5
	v_lshlrev_b32_e32 v4, v9, v4
	v_sub_u32_e32 v7, 30, v7
	v_and_b32_e32 v4, 3, v4
	v_cmp_eq_u32_e32 vcc, 0, v6
	v_cndmask_b32_e32 v6, v6, v7, vcc
	v_cndmask_b32_e32 v4, v5, v4, vcc
	v_mov_b32_e32 v5, 0x37800000
	v_lshlrev_b32_e32 v4, 21, v4
	v_and_b32_e32 v3, 0x80000000, v3
	v_lshl_add_u32 v5, v6, 23, v5
	v_or3_b32 v3, v3, v5, v4
	v_cvt_i32_f32_e32 v3, v3
.LBB183_457:
	s_or_b64 exec, exec, s[0:1]
	s_mov_b64 s[0:1], 0
	s_branch .LBB183_463
.LBB183_458:
	s_mov_b64 s[8:9], -1
                                        ; implicit-def: $vgpr3
	s_branch .LBB183_469
.LBB183_459:
	s_andn2_saveexec_b64 s[0:1], s[0:1]
	s_cbranch_execz .LBB183_444
.LBB183_460:
	v_cmp_ne_u16_e32 vcc, 0, v4
	s_andn2_b64 s[8:9], s[8:9], exec
	s_and_b64 s[12:13], vcc, exec
	s_or_b64 s[8:9], s[8:9], s[12:13]
	s_or_b64 exec, exec, s[0:1]
	v_mov_b32_e32 v3, 0
	s_and_saveexec_b64 s[0:1], s[8:9]
	s_cbranch_execnz .LBB183_445
	s_branch .LBB183_446
.LBB183_461:
	s_mov_b64 s[0:1], -1
                                        ; implicit-def: $vgpr3
	s_branch .LBB183_466
.LBB183_462:
	s_mov_b64 s[0:1], -1
                                        ; implicit-def: $vgpr3
.LBB183_463:
	s_and_b64 vcc, exec, s[0:1]
	s_cbranch_vccz .LBB183_465
; %bb.464:
	global_load_ubyte v3, v[1:2], off
	s_mov_b32 s0, 0x7f800000
	s_waitcnt vmcnt(0)
	v_lshlrev_b32_e32 v3, 24, v3
	v_and_b32_e32 v4, 0x7f000000, v3
	v_ffbh_u32_e32 v5, v4
	v_min_u32_e32 v5, 32, v5
	v_sub_u32_e64 v5, v5, 4 clamp
	v_lshlrev_b32_e32 v7, v5, v4
	v_lshlrev_b32_e32 v5, 23, v5
	v_lshrrev_b32_e32 v7, 4, v7
	v_add_u32_e32 v6, 0x1000000, v4
	v_sub_u32_e32 v5, v7, v5
	v_ashrrev_i32_e32 v6, 8, v6
	v_add_u32_e32 v5, 0x3c000000, v5
	v_and_or_b32 v5, v6, s0, v5
	v_cmp_ne_u32_e32 vcc, 0, v4
	v_cndmask_b32_e32 v4, 0, v5, vcc
	s_brev_b32 s0, 1
	v_and_or_b32 v3, v3, s0, v4
	v_cvt_i32_f32_e32 v3, v3
.LBB183_465:
	s_mov_b64 s[0:1], 0
.LBB183_466:
	s_andn2_b64 vcc, exec, s[0:1]
	s_cbranch_vccnz .LBB183_468
; %bb.467:
	global_load_ubyte v3, v[1:2], off
	s_movk_i32 s0, 0x7f00
	s_brev_b32 s1, 16
	s_waitcnt vmcnt(0)
	v_lshlrev_b16_e32 v4, 8, v3
	v_lshlrev_b32_e32 v3, 25, v3
	v_lshrrev_b32_e32 v5, 4, v3
	v_and_or_b32 v6, v4, s0, 0.5
	v_or_b32_e32 v5, 0x70000000, v5
	v_add_f32_e32 v6, -0.5, v6
	v_mul_f32_e32 v5, 0x7800000, v5
	v_cmp_gt_u32_e32 vcc, s1, v3
	v_bfe_i32 v4, v4, 0, 16
	v_cndmask_b32_e32 v3, v5, v6, vcc
	s_brev_b32 s0, 1
	v_and_or_b32 v3, v4, s0, v3
	v_cvt_i32_f32_e32 v3, v3
.LBB183_468:
	s_mov_b64 s[8:9], 0
	s_mov_b64 s[0:1], -1
.LBB183_469:
	s_andn2_b64 vcc, exec, s[8:9]
	s_cbranch_vccnz .LBB183_482
; %bb.470:
	s_cmp_gt_i32 s10, 14
	s_cbranch_scc0 .LBB183_473
; %bb.471:
	s_cmp_eq_u32 s10, 15
	s_cbranch_scc0 .LBB183_476
; %bb.472:
	global_load_ushort v3, v[1:2], off
	s_mov_b64 s[0:1], -1
	s_mov_b64 s[2:3], 0
	s_waitcnt vmcnt(0)
	v_lshlrev_b32_e32 v3, 16, v3
	v_cvt_i32_f32_e32 v3, v3
	s_branch .LBB183_477
.LBB183_473:
	s_mov_b64 s[8:9], -1
                                        ; implicit-def: $vgpr3
	s_branch .LBB183_478
.LBB183_474:
	s_andn2_saveexec_b64 s[0:1], s[0:1]
	s_cbranch_execz .LBB183_455
.LBB183_475:
	v_cmp_ne_u16_e32 vcc, 0, v4
	s_andn2_b64 s[8:9], s[8:9], exec
	s_and_b64 s[12:13], vcc, exec
	s_or_b64 s[8:9], s[8:9], s[12:13]
	s_or_b64 exec, exec, s[0:1]
	v_mov_b32_e32 v3, 0
	s_and_saveexec_b64 s[0:1], s[8:9]
	s_cbranch_execnz .LBB183_456
	s_branch .LBB183_457
.LBB183_476:
	s_mov_b64 s[2:3], -1
                                        ; implicit-def: $vgpr3
.LBB183_477:
	s_mov_b64 s[8:9], 0
.LBB183_478:
	s_and_b64 vcc, exec, s[8:9]
	s_cbranch_vccz .LBB183_482
; %bb.479:
	s_cmp_eq_u32 s10, 11
	s_cbranch_scc0 .LBB183_481
; %bb.480:
	global_load_ubyte v3, v[1:2], off
	s_mov_b64 s[0:1], -1
	s_mov_b64 s[2:3], 0
	s_waitcnt vmcnt(0)
	v_cmp_ne_u16_e32 vcc, 0, v3
	v_cndmask_b32_e64 v3, 0, 1, vcc
	s_branch .LBB183_482
.LBB183_481:
	s_mov_b64 s[2:3], -1
                                        ; implicit-def: $vgpr3
.LBB183_482:
	s_branch .LBB183_289
.LBB183_483:
	s_cmp_lt_i32 s10, 5
	s_cbranch_scc1 .LBB183_488
; %bb.484:
	s_cmp_lt_i32 s10, 8
	s_cbranch_scc1 .LBB183_489
; %bb.485:
	;; [unrolled: 3-line block ×3, first 2 shown]
	s_cmp_gt_i32 s10, 9
	s_cbranch_scc0 .LBB183_491
; %bb.487:
	global_load_dwordx2 v[3:4], v[1:2], off
	s_mov_b64 s[0:1], 0
	s_waitcnt vmcnt(0)
	v_cvt_i32_f64_e32 v3, v[3:4]
	s_branch .LBB183_492
.LBB183_488:
	s_mov_b64 s[0:1], -1
                                        ; implicit-def: $vgpr3
	s_branch .LBB183_510
.LBB183_489:
	s_mov_b64 s[0:1], -1
                                        ; implicit-def: $vgpr3
	s_branch .LBB183_498
.LBB183_490:
	s_mov_b64 s[0:1], -1
                                        ; implicit-def: $vgpr3
	s_branch .LBB183_495
.LBB183_491:
	s_mov_b64 s[0:1], -1
                                        ; implicit-def: $vgpr3
.LBB183_492:
	s_andn2_b64 vcc, exec, s[0:1]
	s_cbranch_vccnz .LBB183_494
; %bb.493:
	global_load_dword v3, v[1:2], off
	s_waitcnt vmcnt(0)
	v_cvt_i32_f32_e32 v3, v3
.LBB183_494:
	s_mov_b64 s[0:1], 0
.LBB183_495:
	s_andn2_b64 vcc, exec, s[0:1]
	s_cbranch_vccnz .LBB183_497
; %bb.496:
	global_load_dword v3, v[1:2], off
	s_waitcnt vmcnt(0)
	v_cvt_f32_f16_e32 v3, v3
	v_cvt_i32_f32_e32 v3, v3
.LBB183_497:
	s_mov_b64 s[0:1], 0
.LBB183_498:
	s_andn2_b64 vcc, exec, s[0:1]
	s_cbranch_vccnz .LBB183_509
; %bb.499:
	s_cmp_lt_i32 s10, 6
	s_cbranch_scc1 .LBB183_502
; %bb.500:
	s_cmp_gt_i32 s10, 6
	s_cbranch_scc0 .LBB183_503
; %bb.501:
	global_load_dwordx2 v[3:4], v[1:2], off
	s_mov_b64 s[0:1], 0
	s_waitcnt vmcnt(0)
	v_cvt_i32_f64_e32 v3, v[3:4]
	s_branch .LBB183_504
.LBB183_502:
	s_mov_b64 s[0:1], -1
                                        ; implicit-def: $vgpr3
	s_branch .LBB183_507
.LBB183_503:
	s_mov_b64 s[0:1], -1
                                        ; implicit-def: $vgpr3
.LBB183_504:
	s_andn2_b64 vcc, exec, s[0:1]
	s_cbranch_vccnz .LBB183_506
; %bb.505:
	global_load_dword v3, v[1:2], off
	s_waitcnt vmcnt(0)
	v_cvt_i32_f32_e32 v3, v3
.LBB183_506:
	s_mov_b64 s[0:1], 0
.LBB183_507:
	s_andn2_b64 vcc, exec, s[0:1]
	s_cbranch_vccnz .LBB183_509
; %bb.508:
	global_load_ushort v3, v[1:2], off
	s_waitcnt vmcnt(0)
	v_cvt_f32_f16_e32 v3, v3
	v_cvt_i32_f32_e32 v3, v3
.LBB183_509:
	s_mov_b64 s[0:1], 0
.LBB183_510:
	s_andn2_b64 vcc, exec, s[0:1]
	s_cbranch_vccnz .LBB183_530
; %bb.511:
	s_cmp_lt_i32 s10, 2
	s_cbranch_scc1 .LBB183_515
; %bb.512:
	s_cmp_lt_i32 s10, 3
	s_cbranch_scc1 .LBB183_516
; %bb.513:
	s_cmp_gt_i32 s10, 3
	s_cbranch_scc0 .LBB183_517
; %bb.514:
	global_load_dword v3, v[1:2], off
	s_mov_b64 s[0:1], 0
	s_branch .LBB183_518
.LBB183_515:
	s_mov_b64 s[0:1], -1
                                        ; implicit-def: $vgpr3
	s_branch .LBB183_524
.LBB183_516:
	s_mov_b64 s[0:1], -1
                                        ; implicit-def: $vgpr3
	s_branch .LBB183_521
.LBB183_517:
	s_mov_b64 s[0:1], -1
                                        ; implicit-def: $vgpr3
.LBB183_518:
	s_andn2_b64 vcc, exec, s[0:1]
	s_cbranch_vccnz .LBB183_520
; %bb.519:
	global_load_dword v3, v[1:2], off
.LBB183_520:
	s_mov_b64 s[0:1], 0
.LBB183_521:
	s_andn2_b64 vcc, exec, s[0:1]
	s_cbranch_vccnz .LBB183_523
; %bb.522:
	global_load_sshort v3, v[1:2], off
.LBB183_523:
	s_mov_b64 s[0:1], 0
.LBB183_524:
	s_andn2_b64 vcc, exec, s[0:1]
	s_cbranch_vccnz .LBB183_530
; %bb.525:
	s_cmp_gt_i32 s10, 0
	s_cbranch_scc0 .LBB183_527
; %bb.526:
	global_load_sbyte v3, v[1:2], off
	s_mov_b64 s[0:1], 0
	s_branch .LBB183_528
.LBB183_527:
	s_mov_b64 s[0:1], -1
                                        ; implicit-def: $vgpr3
.LBB183_528:
	s_andn2_b64 vcc, exec, s[0:1]
	s_cbranch_vccnz .LBB183_530
; %bb.529:
	global_load_ubyte v3, v[1:2], off
.LBB183_530:
	s_branch .LBB183_290
.LBB183_531:
	s_mov_b64 s[8:9], 0
	s_mov_b64 s[0:1], s[54:55]
.LBB183_532:
                                        ; implicit-def: $vgpr8
.LBB183_533:
	s_andn2_b64 s[10:11], s[54:55], exec
	s_and_b64 s[0:1], s[0:1], exec
	s_or_b64 s[62:63], s[10:11], s[0:1]
	s_andn2_b64 s[0:1], s[56:57], exec
	s_and_b64 s[2:3], s[2:3], exec
	s_or_b64 s[60:61], s[0:1], s[2:3]
	s_orn2_b64 s[0:1], s[8:9], exec
.LBB183_534:
	s_or_b64 exec, exec, s[64:65]
	s_mov_b64 s[2:3], 0
	s_mov_b64 s[8:9], 0
	;; [unrolled: 1-line block ×3, first 2 shown]
                                        ; implicit-def: $vgpr1_vgpr2
                                        ; implicit-def: $vgpr0
                                        ; implicit-def: $vgpr5
	s_and_saveexec_b64 s[64:65], s[0:1]
	s_cbranch_execz .LBB183_901
; %bb.535:
	v_cmp_gt_i32_e32 vcc, s72, v8
	s_mov_b64 s[2:3], -1
	s_mov_b64 s[68:69], s[60:61]
	s_mov_b64 s[70:71], s[62:63]
	s_and_saveexec_b64 s[66:67], vcc
	s_cbranch_execz .LBB183_805
; %bb.536:
	s_andn2_b64 vcc, exec, s[40:41]
	s_cbranch_vccnz .LBB183_541
; %bb.537:
	s_andn2_b64 vcc, exec, s[52:53]
	s_cbranch_vccnz .LBB183_542
; %bb.538:
	s_add_i32 s77, s76, 1
	s_cmp_eq_u32 s74, 2
	s_cbranch_scc1 .LBB183_543
; %bb.539:
	s_and_b32 s73, s77, 28
	v_mov_b32_e32 v2, 0
	s_mov_b32 s78, 0
	s_mov_b64 s[68:69], s[34:35]
	s_mov_b64 s[70:71], s[50:51]
	v_mov_b32_e32 v0, 0
	v_mov_b32_e32 v1, v8
.LBB183_540:                            ; =>This Inner Loop Header: Depth=1
	s_load_dwordx8 s[16:23], s[68:69], 0x4
	s_load_dwordx4 s[0:3], s[68:69], 0x24
	s_load_dwordx8 s[8:15], s[70:71], 0x0
	s_add_u32 s68, s68, 48
	s_addc_u32 s69, s69, 0
	s_waitcnt vmcnt(0) lgkmcnt(0)
	v_mul_hi_u32 v3, s17, v1
	s_add_i32 s78, s78, 4
	s_add_u32 s70, s70, 32
	s_addc_u32 s71, s71, 0
	v_add_u32_e32 v3, v1, v3
	v_lshrrev_b32_e32 v3, s18, v3
	v_mul_lo_u32 v4, v3, s16
	v_mul_hi_u32 v5, s20, v3
	s_cmp_eq_u32 s73, s78
	v_sub_u32_e32 v1, v1, v4
	v_add_u32_e32 v4, v3, v5
	v_mul_lo_u32 v5, v1, s8
	v_mul_lo_u32 v6, v1, s9
	v_lshrrev_b32_e32 v1, s21, v4
	v_mul_lo_u32 v4, v1, s19
	v_mul_hi_u32 v7, s23, v1
	v_sub_u32_e32 v3, v3, v4
	v_add_u32_e32 v4, v1, v7
	v_lshrrev_b32_e32 v4, s0, v4
	v_mul_hi_u32 v9, s2, v4
	v_mul_lo_u32 v10, v4, s22
	v_mul_lo_u32 v7, v3, s10
	;; [unrolled: 1-line block ×3, first 2 shown]
	v_sub_u32_e32 v10, v1, v10
	v_add_u32_e32 v1, v4, v9
	v_lshrrev_b32_e32 v1, s3, v1
	v_mul_lo_u32 v9, v1, s1
	v_mul_lo_u32 v11, v10, s12
	;; [unrolled: 1-line block ×3, first 2 shown]
	v_add3_u32 v0, v5, v0, v7
	v_sub_u32_e32 v4, v4, v9
	v_mul_lo_u32 v9, v4, s14
	v_mul_lo_u32 v4, v4, s15
	v_add3_u32 v2, v6, v2, v3
	v_add3_u32 v0, v11, v0, v9
	;; [unrolled: 1-line block ×3, first 2 shown]
	s_cbranch_scc0 .LBB183_540
	s_branch .LBB183_544
.LBB183_541:
	s_mov_b64 s[0:1], -1
                                        ; implicit-def: $vgpr0
                                        ; implicit-def: $vgpr2
	s_branch .LBB183_548
.LBB183_542:
	v_mov_b32_e32 v0, 0
	v_mov_b32_e32 v2, 0
	s_branch .LBB183_547
.LBB183_543:
	s_mov_b32 s73, 0
	v_mov_b32_e32 v0, 0
	v_mov_b32_e32 v2, 0
	;; [unrolled: 1-line block ×3, first 2 shown]
.LBB183_544:
	s_and_b32 s8, s77, 3
	s_cmp_eq_u32 s8, 0
	s_cbranch_scc1 .LBB183_547
; %bb.545:
	s_lshl_b32 s0, s73, 3
	s_add_u32 s0, s34, s0
	s_addc_u32 s1, s35, 0
	s_add_u32 s0, s0, 0xc4
	s_addc_u32 s1, s1, 0
	s_mul_i32 s2, s73, 12
	s_add_u32 s2, s34, s2
	s_addc_u32 s3, s35, 0
.LBB183_546:                            ; =>This Inner Loop Header: Depth=1
	s_load_dwordx2 s[10:11], s[2:3], 0x4
	s_load_dword s9, s[2:3], 0xc
	s_load_dwordx2 s[12:13], s[0:1], 0x0
	s_add_u32 s2, s2, 12
	s_addc_u32 s3, s3, 0
	s_waitcnt vmcnt(0) lgkmcnt(0)
	v_mul_hi_u32 v3, s11, v1
	s_add_u32 s0, s0, 8
	s_addc_u32 s1, s1, 0
	s_add_i32 s8, s8, -1
	v_add_u32_e32 v3, v1, v3
	v_lshrrev_b32_e32 v4, s9, v3
	v_mul_lo_u32 v3, v4, s10
	s_cmp_lg_u32 s8, 0
	v_sub_u32_e32 v3, v1, v3
	v_mad_u64_u32 v[0:1], s[10:11], v3, s12, v[0:1]
	v_mad_u64_u32 v[2:3], s[10:11], v3, s13, v[2:3]
	v_mov_b32_e32 v1, v4
	s_cbranch_scc1 .LBB183_546
.LBB183_547:
	s_mov_b64 s[0:1], 0
.LBB183_548:
	s_andn2_b64 vcc, exec, s[0:1]
	s_cbranch_vccnz .LBB183_551
; %bb.549:
	v_mul_hi_u32 v0, s29, v8
	s_andn2_b64 vcc, exec, s[48:49]
	v_add_u32_e32 v0, v8, v0
	v_lshrrev_b32_e32 v1, s30, v0
	v_mul_lo_u32 v0, v1, s28
	v_sub_u32_e32 v2, v8, v0
	v_mul_lo_u32 v0, v2, s36
	v_mul_lo_u32 v2, v2, s37
	s_cbranch_vccnz .LBB183_551
; %bb.550:
	s_waitcnt vmcnt(0)
	v_mul_hi_u32 v3, s46, v1
	v_add_u32_e32 v3, v1, v3
	v_lshrrev_b32_e32 v3, s47, v3
	v_mul_lo_u32 v3, v3, s31
	v_sub_u32_e32 v3, v1, v3
	v_mad_u64_u32 v[0:1], s[0:1], v3, s38, v[0:1]
	v_mad_u64_u32 v[2:3], s[0:1], v3, s39, v[2:3]
.LBB183_551:
	s_waitcnt vmcnt(0)
	v_mov_b32_e32 v3, s27
	s_and_b32 s10, 0xffff, s75
	v_add_co_u32_e32 v1, vcc, s26, v2
	s_cmp_lt_i32 s10, 11
	v_addc_co_u32_e32 v2, vcc, 0, v3, vcc
	s_cbranch_scc1 .LBB183_558
; %bb.552:
	s_cmp_gt_i32 s10, 25
	s_cbranch_scc0 .LBB183_559
; %bb.553:
	s_cmp_gt_i32 s10, 28
	s_cbranch_scc0 .LBB183_560
	;; [unrolled: 3-line block ×4, first 2 shown]
; %bb.556:
	s_cmp_eq_u32 s10, 46
	s_mov_b64 s[8:9], 0
	s_cbranch_scc0 .LBB183_567
; %bb.557:
	global_load_dword v3, v[1:2], off
	s_mov_b64 s[0:1], -1
	s_mov_b64 s[2:3], 0
	s_waitcnt vmcnt(0)
	v_lshlrev_b32_e32 v3, 16, v3
	v_cvt_i32_f32_e32 v3, v3
	s_branch .LBB183_568
.LBB183_558:
	s_mov_b64 s[8:9], -1
	s_mov_b64 s[0:1], 0
                                        ; implicit-def: $vgpr3
	s_mov_b64 s[2:3], s[60:61]
	s_branch .LBB183_629
.LBB183_559:
	s_mov_b64 s[8:9], -1
	s_mov_b64 s[0:1], 0
	s_mov_b64 s[2:3], s[60:61]
                                        ; implicit-def: $vgpr3
	s_branch .LBB183_595
.LBB183_560:
	s_mov_b64 s[8:9], -1
	s_mov_b64 s[0:1], 0
	s_mov_b64 s[2:3], s[60:61]
                                        ; implicit-def: $vgpr3
	s_branch .LBB183_578
.LBB183_561:
	s_mov_b64 s[8:9], -1
	s_mov_b64 s[0:1], 0
	s_mov_b64 s[2:3], s[60:61]
                                        ; implicit-def: $vgpr3
	s_branch .LBB183_573
.LBB183_562:
	s_andn2_saveexec_b64 s[12:13], s[12:13]
	s_cbranch_execz .LBB183_335
.LBB183_563:
	s_mov_b32 s16, 0x46000000
	v_add_f32_e64 v2, |v0|, s16
	v_and_b32_e32 v2, 0xff, v2
	v_cmp_ne_u32_e32 vcc, 0, v2
	s_andn2_b64 s[10:11], s[10:11], exec
	s_and_b64 s[16:17], vcc, exec
	s_or_b64 s[10:11], s[10:11], s[16:17]
	s_or_b64 exec, exec, s[12:13]
	v_mov_b32_e32 v5, 0
	s_and_saveexec_b64 s[12:13], s[10:11]
	s_cbranch_execnz .LBB183_336
	s_branch .LBB183_337
.LBB183_564:
	s_mov_b64 s[8:9], -1
	s_mov_b64 s[0:1], 0
	s_mov_b64 s[2:3], s[60:61]
                                        ; implicit-def: $vgpr3
	s_branch .LBB183_568
.LBB183_565:
	s_andn2_saveexec_b64 s[12:13], s[12:13]
	s_cbranch_execz .LBB183_348
.LBB183_566:
	s_mov_b32 s16, 0x42800000
	v_add_f32_e64 v2, |v0|, s16
	v_and_b32_e32 v2, 0xff, v2
	v_cmp_ne_u32_e32 vcc, 0, v2
	s_andn2_b64 s[10:11], s[10:11], exec
	s_and_b64 s[16:17], vcc, exec
	s_or_b64 s[10:11], s[10:11], s[16:17]
	s_or_b64 exec, exec, s[12:13]
	v_mov_b32_e32 v5, 0
	s_and_saveexec_b64 s[12:13], s[10:11]
	s_cbranch_execnz .LBB183_349
	s_branch .LBB183_350
.LBB183_567:
	s_mov_b64 s[2:3], -1
                                        ; implicit-def: $vgpr3
	s_mov_b64 s[0:1], 0
.LBB183_568:
	s_and_b64 vcc, exec, s[8:9]
	s_cbranch_vccz .LBB183_572
; %bb.569:
	s_cmp_eq_u32 s10, 44
	s_cbranch_scc0 .LBB183_571
; %bb.570:
	global_load_ubyte v3, v[1:2], off
	s_mov_b64 s[0:1], -1
	s_mov_b64 s[2:3], 0
	s_waitcnt vmcnt(0)
	v_lshlrev_b32_e32 v4, 23, v3
	v_cvt_i32_f32_e32 v4, v4
	v_cmp_ne_u32_e32 vcc, 0, v3
	v_cndmask_b32_e32 v3, 0, v4, vcc
	s_branch .LBB183_572
.LBB183_571:
	s_mov_b64 s[2:3], -1
                                        ; implicit-def: $vgpr3
.LBB183_572:
	s_mov_b64 s[8:9], 0
.LBB183_573:
	s_and_b64 vcc, exec, s[8:9]
	s_cbranch_vccz .LBB183_577
; %bb.574:
	s_cmp_eq_u32 s10, 29
	s_cbranch_scc0 .LBB183_576
; %bb.575:
	global_load_dword v3, v[1:2], off
	s_mov_b64 s[0:1], -1
	s_mov_b64 s[2:3], 0
	s_branch .LBB183_577
.LBB183_576:
	s_mov_b64 s[2:3], -1
                                        ; implicit-def: $vgpr3
.LBB183_577:
	s_mov_b64 s[8:9], 0
.LBB183_578:
	s_and_b64 vcc, exec, s[8:9]
	s_cbranch_vccz .LBB183_594
; %bb.579:
	s_cmp_lt_i32 s10, 27
	s_cbranch_scc1 .LBB183_582
; %bb.580:
	s_cmp_gt_i32 s10, 27
	s_cbranch_scc0 .LBB183_583
; %bb.581:
	global_load_dword v3, v[1:2], off
	s_mov_b64 s[0:1], 0
	s_branch .LBB183_584
.LBB183_582:
	s_mov_b64 s[0:1], -1
                                        ; implicit-def: $vgpr3
	s_branch .LBB183_587
.LBB183_583:
	s_mov_b64 s[0:1], -1
                                        ; implicit-def: $vgpr3
.LBB183_584:
	s_andn2_b64 vcc, exec, s[0:1]
	s_cbranch_vccnz .LBB183_586
; %bb.585:
	global_load_ushort v3, v[1:2], off
.LBB183_586:
	s_mov_b64 s[0:1], 0
.LBB183_587:
	s_andn2_b64 vcc, exec, s[0:1]
	s_cbranch_vccnz .LBB183_593
; %bb.588:
	global_load_ubyte v4, v[1:2], off
	s_movk_i32 s0, 0x7f
	s_mov_b64 s[8:9], 0
	s_waitcnt vmcnt(0)
	v_cmp_lt_i16_e32 vcc, s0, v4
	s_and_saveexec_b64 s[0:1], vcc
	s_xor_b64 s[0:1], exec, s[0:1]
	s_cbranch_execz .LBB183_605
; %bb.589:
	s_movk_i32 s8, 0x80
	v_cmp_ne_u16_e32 vcc, s8, v4
	s_and_b64 s[8:9], vcc, exec
	s_andn2_saveexec_b64 s[0:1], s[0:1]
	s_cbranch_execnz .LBB183_606
.LBB183_590:
	s_or_b64 exec, exec, s[0:1]
	v_mov_b32_e32 v3, 0
	s_and_saveexec_b64 s[0:1], s[8:9]
	s_cbranch_execz .LBB183_592
.LBB183_591:
	v_lshlrev_b32_e32 v3, 24, v4
	v_and_b32_e32 v4, 0xffff, v4
	v_and_b32_e32 v5, 7, v4
	v_ffbh_u32_e32 v7, v5
	v_min_u32_e32 v7, 32, v7
	v_subrev_u32_e32 v9, 28, v7
	v_bfe_u32 v6, v4, 3, 4
	v_lshlrev_b32_e32 v4, v9, v4
	v_sub_u32_e32 v7, 29, v7
	v_and_b32_e32 v4, 7, v4
	v_cmp_eq_u32_e32 vcc, 0, v6
	v_cndmask_b32_e32 v6, v6, v7, vcc
	v_cndmask_b32_e32 v4, v5, v4, vcc
	v_mov_b32_e32 v5, 0x3b800000
	v_lshlrev_b32_e32 v4, 20, v4
	v_and_b32_e32 v3, 0x80000000, v3
	v_lshl_add_u32 v5, v6, 23, v5
	v_or3_b32 v3, v3, v5, v4
	v_cvt_i32_f32_e32 v3, v3
.LBB183_592:
	s_or_b64 exec, exec, s[0:1]
.LBB183_593:
	s_mov_b64 s[0:1], -1
.LBB183_594:
	s_mov_b64 s[8:9], 0
.LBB183_595:
	s_and_b64 vcc, exec, s[8:9]
	s_cbranch_vccz .LBB183_628
; %bb.596:
	s_cmp_gt_i32 s10, 22
	s_cbranch_scc0 .LBB183_604
; %bb.597:
	s_cmp_lt_i32 s10, 24
	s_cbranch_scc1 .LBB183_607
; %bb.598:
	s_cmp_gt_i32 s10, 24
	s_cbranch_scc0 .LBB183_608
; %bb.599:
	global_load_ubyte v4, v[1:2], off
	s_movk_i32 s0, 0x7f
	s_mov_b64 s[8:9], 0
	s_waitcnt vmcnt(0)
	v_cmp_lt_i16_e32 vcc, s0, v4
	s_and_saveexec_b64 s[0:1], vcc
	s_xor_b64 s[0:1], exec, s[0:1]
	s_cbranch_execz .LBB183_620
; %bb.600:
	s_movk_i32 s8, 0x80
	v_cmp_ne_u16_e32 vcc, s8, v4
	s_and_b64 s[8:9], vcc, exec
	s_andn2_saveexec_b64 s[0:1], s[0:1]
	s_cbranch_execnz .LBB183_621
.LBB183_601:
	s_or_b64 exec, exec, s[0:1]
	v_mov_b32_e32 v3, 0
	s_and_saveexec_b64 s[0:1], s[8:9]
	s_cbranch_execz .LBB183_603
.LBB183_602:
	v_lshlrev_b32_e32 v3, 24, v4
	v_and_b32_e32 v4, 0xffff, v4
	v_and_b32_e32 v5, 3, v4
	v_ffbh_u32_e32 v7, v5
	v_min_u32_e32 v7, 32, v7
	v_subrev_u32_e32 v9, 29, v7
	v_bfe_u32 v6, v4, 2, 5
	v_lshlrev_b32_e32 v4, v9, v4
	v_sub_u32_e32 v7, 30, v7
	v_and_b32_e32 v4, 3, v4
	v_cmp_eq_u32_e32 vcc, 0, v6
	v_cndmask_b32_e32 v6, v6, v7, vcc
	v_cndmask_b32_e32 v4, v5, v4, vcc
	v_mov_b32_e32 v5, 0x37800000
	v_lshlrev_b32_e32 v4, 21, v4
	v_and_b32_e32 v3, 0x80000000, v3
	v_lshl_add_u32 v5, v6, 23, v5
	v_or3_b32 v3, v3, v5, v4
	v_cvt_i32_f32_e32 v3, v3
.LBB183_603:
	s_or_b64 exec, exec, s[0:1]
	s_mov_b64 s[0:1], 0
	s_branch .LBB183_609
.LBB183_604:
	s_mov_b64 s[8:9], -1
                                        ; implicit-def: $vgpr3
	s_branch .LBB183_615
.LBB183_605:
	s_andn2_saveexec_b64 s[0:1], s[0:1]
	s_cbranch_execz .LBB183_590
.LBB183_606:
	v_cmp_ne_u16_e32 vcc, 0, v4
	s_andn2_b64 s[8:9], s[8:9], exec
	s_and_b64 s[12:13], vcc, exec
	s_or_b64 s[8:9], s[8:9], s[12:13]
	s_or_b64 exec, exec, s[0:1]
	v_mov_b32_e32 v3, 0
	s_and_saveexec_b64 s[0:1], s[8:9]
	s_cbranch_execnz .LBB183_591
	s_branch .LBB183_592
.LBB183_607:
	s_mov_b64 s[0:1], -1
                                        ; implicit-def: $vgpr3
	s_branch .LBB183_612
.LBB183_608:
	s_mov_b64 s[0:1], -1
                                        ; implicit-def: $vgpr3
.LBB183_609:
	s_and_b64 vcc, exec, s[0:1]
	s_cbranch_vccz .LBB183_611
; %bb.610:
	global_load_ubyte v3, v[1:2], off
	s_mov_b32 s0, 0x7f800000
	s_waitcnt vmcnt(0)
	v_lshlrev_b32_e32 v3, 24, v3
	v_and_b32_e32 v4, 0x7f000000, v3
	v_ffbh_u32_e32 v5, v4
	v_min_u32_e32 v5, 32, v5
	v_sub_u32_e64 v5, v5, 4 clamp
	v_lshlrev_b32_e32 v7, v5, v4
	v_lshlrev_b32_e32 v5, 23, v5
	v_lshrrev_b32_e32 v7, 4, v7
	v_add_u32_e32 v6, 0x1000000, v4
	v_sub_u32_e32 v5, v7, v5
	v_ashrrev_i32_e32 v6, 8, v6
	v_add_u32_e32 v5, 0x3c000000, v5
	v_and_or_b32 v5, v6, s0, v5
	v_cmp_ne_u32_e32 vcc, 0, v4
	v_cndmask_b32_e32 v4, 0, v5, vcc
	s_brev_b32 s0, 1
	v_and_or_b32 v3, v3, s0, v4
	v_cvt_i32_f32_e32 v3, v3
.LBB183_611:
	s_mov_b64 s[0:1], 0
.LBB183_612:
	s_andn2_b64 vcc, exec, s[0:1]
	s_cbranch_vccnz .LBB183_614
; %bb.613:
	global_load_ubyte v3, v[1:2], off
	s_movk_i32 s0, 0x7f00
	s_brev_b32 s1, 16
	s_waitcnt vmcnt(0)
	v_lshlrev_b16_e32 v4, 8, v3
	v_lshlrev_b32_e32 v3, 25, v3
	v_lshrrev_b32_e32 v5, 4, v3
	v_and_or_b32 v6, v4, s0, 0.5
	v_or_b32_e32 v5, 0x70000000, v5
	v_add_f32_e32 v6, -0.5, v6
	v_mul_f32_e32 v5, 0x7800000, v5
	v_cmp_gt_u32_e32 vcc, s1, v3
	v_bfe_i32 v4, v4, 0, 16
	v_cndmask_b32_e32 v3, v5, v6, vcc
	s_brev_b32 s0, 1
	v_and_or_b32 v3, v4, s0, v3
	v_cvt_i32_f32_e32 v3, v3
.LBB183_614:
	s_mov_b64 s[8:9], 0
	s_mov_b64 s[0:1], -1
.LBB183_615:
	s_andn2_b64 vcc, exec, s[8:9]
	s_cbranch_vccnz .LBB183_628
; %bb.616:
	s_cmp_gt_i32 s10, 14
	s_cbranch_scc0 .LBB183_619
; %bb.617:
	s_cmp_eq_u32 s10, 15
	s_cbranch_scc0 .LBB183_622
; %bb.618:
	global_load_ushort v3, v[1:2], off
	s_mov_b64 s[0:1], -1
	s_mov_b64 s[2:3], 0
	s_waitcnt vmcnt(0)
	v_lshlrev_b32_e32 v3, 16, v3
	v_cvt_i32_f32_e32 v3, v3
	s_branch .LBB183_623
.LBB183_619:
	s_mov_b64 s[8:9], -1
                                        ; implicit-def: $vgpr3
	s_branch .LBB183_624
.LBB183_620:
	s_andn2_saveexec_b64 s[0:1], s[0:1]
	s_cbranch_execz .LBB183_601
.LBB183_621:
	v_cmp_ne_u16_e32 vcc, 0, v4
	s_andn2_b64 s[8:9], s[8:9], exec
	s_and_b64 s[12:13], vcc, exec
	s_or_b64 s[8:9], s[8:9], s[12:13]
	s_or_b64 exec, exec, s[0:1]
	v_mov_b32_e32 v3, 0
	s_and_saveexec_b64 s[0:1], s[8:9]
	s_cbranch_execnz .LBB183_602
	s_branch .LBB183_603
.LBB183_622:
	s_mov_b64 s[2:3], -1
                                        ; implicit-def: $vgpr3
.LBB183_623:
	s_mov_b64 s[8:9], 0
.LBB183_624:
	s_and_b64 vcc, exec, s[8:9]
	s_cbranch_vccz .LBB183_628
; %bb.625:
	s_cmp_eq_u32 s10, 11
	s_cbranch_scc0 .LBB183_627
; %bb.626:
	global_load_ubyte v3, v[1:2], off
	s_mov_b64 s[0:1], -1
	s_mov_b64 s[2:3], 0
	s_waitcnt vmcnt(0)
	v_cmp_ne_u16_e32 vcc, 0, v3
	v_cndmask_b32_e64 v3, 0, 1, vcc
	s_branch .LBB183_628
.LBB183_627:
	s_mov_b64 s[2:3], -1
                                        ; implicit-def: $vgpr3
.LBB183_628:
	s_mov_b64 s[8:9], 0
.LBB183_629:
	s_and_b64 vcc, exec, s[8:9]
	s_cbranch_vccz .LBB183_678
; %bb.630:
	s_cmp_lt_i32 s10, 5
	s_cbranch_scc1 .LBB183_635
; %bb.631:
	s_cmp_lt_i32 s10, 8
	s_cbranch_scc1 .LBB183_636
; %bb.632:
	s_cmp_lt_i32 s10, 9
	s_cbranch_scc1 .LBB183_637
; %bb.633:
	s_cmp_gt_i32 s10, 9
	s_cbranch_scc0 .LBB183_638
; %bb.634:
	global_load_dwordx2 v[3:4], v[1:2], off
	s_mov_b64 s[0:1], 0
	s_waitcnt vmcnt(0)
	v_cvt_i32_f64_e32 v3, v[3:4]
	s_branch .LBB183_639
.LBB183_635:
	s_mov_b64 s[0:1], -1
                                        ; implicit-def: $vgpr3
	s_branch .LBB183_657
.LBB183_636:
	s_mov_b64 s[0:1], -1
                                        ; implicit-def: $vgpr3
	s_branch .LBB183_645
.LBB183_637:
	s_mov_b64 s[0:1], -1
                                        ; implicit-def: $vgpr3
	s_branch .LBB183_642
.LBB183_638:
	s_mov_b64 s[0:1], -1
                                        ; implicit-def: $vgpr3
.LBB183_639:
	s_andn2_b64 vcc, exec, s[0:1]
	s_cbranch_vccnz .LBB183_641
; %bb.640:
	global_load_dword v3, v[1:2], off
	s_waitcnt vmcnt(0)
	v_cvt_i32_f32_e32 v3, v3
.LBB183_641:
	s_mov_b64 s[0:1], 0
.LBB183_642:
	s_andn2_b64 vcc, exec, s[0:1]
	s_cbranch_vccnz .LBB183_644
; %bb.643:
	global_load_dword v3, v[1:2], off
	s_waitcnt vmcnt(0)
	v_cvt_f32_f16_e32 v3, v3
	v_cvt_i32_f32_e32 v3, v3
.LBB183_644:
	s_mov_b64 s[0:1], 0
.LBB183_645:
	s_andn2_b64 vcc, exec, s[0:1]
	s_cbranch_vccnz .LBB183_656
; %bb.646:
	s_cmp_lt_i32 s10, 6
	s_cbranch_scc1 .LBB183_649
; %bb.647:
	s_cmp_gt_i32 s10, 6
	s_cbranch_scc0 .LBB183_650
; %bb.648:
	global_load_dwordx2 v[3:4], v[1:2], off
	s_mov_b64 s[0:1], 0
	s_waitcnt vmcnt(0)
	v_cvt_i32_f64_e32 v3, v[3:4]
	s_branch .LBB183_651
.LBB183_649:
	s_mov_b64 s[0:1], -1
                                        ; implicit-def: $vgpr3
	s_branch .LBB183_654
.LBB183_650:
	s_mov_b64 s[0:1], -1
                                        ; implicit-def: $vgpr3
.LBB183_651:
	s_andn2_b64 vcc, exec, s[0:1]
	s_cbranch_vccnz .LBB183_653
; %bb.652:
	global_load_dword v3, v[1:2], off
	s_waitcnt vmcnt(0)
	v_cvt_i32_f32_e32 v3, v3
.LBB183_653:
	s_mov_b64 s[0:1], 0
.LBB183_654:
	s_andn2_b64 vcc, exec, s[0:1]
	s_cbranch_vccnz .LBB183_656
; %bb.655:
	global_load_ushort v3, v[1:2], off
	s_waitcnt vmcnt(0)
	v_cvt_f32_f16_e32 v3, v3
	v_cvt_i32_f32_e32 v3, v3
.LBB183_656:
	s_mov_b64 s[0:1], 0
.LBB183_657:
	s_andn2_b64 vcc, exec, s[0:1]
	s_cbranch_vccnz .LBB183_677
; %bb.658:
	s_cmp_lt_i32 s10, 2
	s_cbranch_scc1 .LBB183_662
; %bb.659:
	s_cmp_lt_i32 s10, 3
	s_cbranch_scc1 .LBB183_663
; %bb.660:
	s_cmp_gt_i32 s10, 3
	s_cbranch_scc0 .LBB183_664
; %bb.661:
	global_load_dword v3, v[1:2], off
	s_mov_b64 s[0:1], 0
	s_branch .LBB183_665
.LBB183_662:
	s_mov_b64 s[0:1], -1
                                        ; implicit-def: $vgpr3
	s_branch .LBB183_671
.LBB183_663:
	s_mov_b64 s[0:1], -1
                                        ; implicit-def: $vgpr3
	s_branch .LBB183_668
.LBB183_664:
	s_mov_b64 s[0:1], -1
                                        ; implicit-def: $vgpr3
.LBB183_665:
	s_andn2_b64 vcc, exec, s[0:1]
	s_cbranch_vccnz .LBB183_667
; %bb.666:
	global_load_dword v3, v[1:2], off
.LBB183_667:
	s_mov_b64 s[0:1], 0
.LBB183_668:
	s_andn2_b64 vcc, exec, s[0:1]
	s_cbranch_vccnz .LBB183_670
; %bb.669:
	global_load_sshort v3, v[1:2], off
.LBB183_670:
	s_mov_b64 s[0:1], 0
.LBB183_671:
	s_andn2_b64 vcc, exec, s[0:1]
	s_cbranch_vccnz .LBB183_677
; %bb.672:
	s_cmp_gt_i32 s10, 0
	s_cbranch_scc0 .LBB183_674
; %bb.673:
	global_load_sbyte v3, v[1:2], off
	s_mov_b64 s[0:1], 0
	s_branch .LBB183_675
.LBB183_674:
	s_mov_b64 s[0:1], -1
                                        ; implicit-def: $vgpr3
.LBB183_675:
	s_andn2_b64 vcc, exec, s[0:1]
	s_cbranch_vccnz .LBB183_677
; %bb.676:
	global_load_ubyte v3, v[1:2], off
.LBB183_677:
	s_mov_b64 s[0:1], -1
.LBB183_678:
	s_andn2_b64 vcc, exec, s[0:1]
	s_cbranch_vccnz .LBB183_686
; %bb.679:
	s_waitcnt vmcnt(0)
	v_ashrrev_i32_e32 v1, s44, v3
	v_mov_b32_e32 v2, s25
	s_and_b32 s14, s45, 0xff
	v_add_co_u32_e32 v3, vcc, s24, v0
	s_cmp_lt_i32 s14, 11
	v_addc_co_u32_e32 v4, vcc, 0, v2, vcc
	s_cbranch_scc1 .LBB183_687
; %bb.680:
	s_and_b32 s15, 0xffff, s14
	s_cmp_gt_i32 s15, 25
	s_cbranch_scc0 .LBB183_688
; %bb.681:
	s_cmp_gt_i32 s15, 28
	s_cbranch_scc0 .LBB183_689
; %bb.682:
	;; [unrolled: 3-line block ×4, first 2 shown]
	s_mov_b64 s[10:11], 0
	s_mov_b64 s[0:1], -1
	s_cmp_eq_u32 s15, 46
	s_mov_b64 s[8:9], 0
	s_cbranch_scc0 .LBB183_692
; %bb.685:
	v_cvt_f32_i32_e32 v0, v1
	s_movk_i32 s0, 0x7fff
	s_mov_b64 s[8:9], -1
	v_bfe_u32 v2, v0, 16, 1
	v_add3_u32 v0, v0, v2, s0
	v_lshrrev_b32_e32 v0, 16, v0
	global_store_dword v[3:4], v0, off
	s_mov_b64 s[0:1], 0
	s_branch .LBB183_692
.LBB183_686:
	s_mov_b64 s[8:9], 0
	s_mov_b64 s[0:1], s[62:63]
	s_branch .LBB183_803
.LBB183_687:
	s_mov_b64 s[10:11], -1
	s_mov_b64 s[8:9], 0
	s_mov_b64 s[0:1], s[62:63]
	s_branch .LBB183_761
.LBB183_688:
	s_mov_b64 s[10:11], -1
	s_mov_b64 s[8:9], 0
	s_mov_b64 s[0:1], s[62:63]
	s_branch .LBB183_719
.LBB183_689:
	s_mov_b64 s[10:11], -1
	s_mov_b64 s[8:9], 0
	s_mov_b64 s[0:1], s[62:63]
	s_branch .LBB183_702
.LBB183_690:
	s_mov_b64 s[10:11], -1
	s_mov_b64 s[8:9], 0
	s_mov_b64 s[0:1], s[62:63]
	s_branch .LBB183_698
.LBB183_691:
	s_mov_b64 s[10:11], -1
	s_mov_b64 s[8:9], 0
	s_mov_b64 s[0:1], s[62:63]
.LBB183_692:
	s_and_b64 vcc, exec, s[10:11]
	s_cbranch_vccz .LBB183_697
; %bb.693:
	s_cmp_eq_u32 s15, 44
	s_mov_b64 s[0:1], -1
	s_cbranch_scc0 .LBB183_697
; %bb.694:
	v_cvt_f32_i32_e32 v0, v1
	s_movk_i32 s0, 0xff
	v_mov_b32_e32 v5, 0xff
	v_bfe_u32 v2, v0, 23, 8
	v_cmp_ne_u32_e32 vcc, s0, v2
	s_and_saveexec_b64 s[8:9], vcc
; %bb.695:
	s_mov_b32 s0, 0x3fffff
	v_lshrrev_b32_e32 v5, 23, v0
	v_and_b32_e32 v6, 0x400000, v0
	v_and_or_b32 v0, v0, s0, v2
	v_cmp_ne_u32_e32 vcc, 0, v6
	v_cmp_ne_u32_e64 s[0:1], 0, v0
	s_and_b64 s[0:1], vcc, s[0:1]
	v_cndmask_b32_e64 v0, 0, 1, s[0:1]
	v_add_u32_e32 v5, v5, v0
; %bb.696:
	s_or_b64 exec, exec, s[8:9]
	s_mov_b64 s[8:9], -1
	s_mov_b64 s[0:1], 0
	global_store_byte v[3:4], v5, off
.LBB183_697:
	s_mov_b64 s[10:11], 0
.LBB183_698:
	s_and_b64 vcc, exec, s[10:11]
	s_cbranch_vccz .LBB183_701
; %bb.699:
	s_cmp_eq_u32 s15, 29
	s_mov_b64 s[0:1], -1
	s_cbranch_scc0 .LBB183_701
; %bb.700:
	v_ashrrev_i32_e32 v2, 31, v1
	global_store_dwordx2 v[3:4], v[1:2], off
	s_mov_b64 s[8:9], -1
	s_mov_b64 s[0:1], 0
.LBB183_701:
	s_mov_b64 s[10:11], 0
.LBB183_702:
	s_and_b64 vcc, exec, s[10:11]
	s_cbranch_vccz .LBB183_718
; %bb.703:
	s_cmp_lt_i32 s15, 27
	s_mov_b64 s[8:9], -1
	s_cbranch_scc1 .LBB183_709
; %bb.704:
	s_cmp_gt_i32 s15, 27
	s_cbranch_scc0 .LBB183_706
; %bb.705:
	s_mov_b64 s[8:9], 0
	global_store_dword v[3:4], v1, off
.LBB183_706:
	s_andn2_b64 vcc, exec, s[8:9]
	s_cbranch_vccnz .LBB183_708
; %bb.707:
	global_store_short v[3:4], v1, off
.LBB183_708:
	s_mov_b64 s[8:9], 0
.LBB183_709:
	s_andn2_b64 vcc, exec, s[8:9]
	s_cbranch_vccnz .LBB183_717
; %bb.710:
	v_cvt_f32_i32_e32 v0, v1
	s_mov_b32 s8, 0x43800000
	v_mov_b32_e32 v5, 0x80
	v_and_b32_e32 v2, 0x7fffffff, v0
	v_cmp_gt_u32_e32 vcc, s8, v2
	s_and_saveexec_b64 s[8:9], vcc
	s_cbranch_execz .LBB183_716
; %bb.711:
	s_mov_b32 s10, 0x3bffffff
	v_cmp_lt_u32_e32 vcc, s10, v2
	s_mov_b64 s[10:11], 0
                                        ; implicit-def: $vgpr2
	s_and_saveexec_b64 s[12:13], vcc
	s_xor_b64 s[12:13], exec, s[12:13]
	s_cbranch_execz .LBB183_833
; %bb.712:
	v_bfe_u32 v2, v0, 20, 1
	s_mov_b32 s16, 0x487ffff
	v_add3_u32 v2, v0, v2, s16
	s_mov_b64 s[10:11], exec
	v_lshrrev_b32_e32 v2, 20, v2
	s_andn2_saveexec_b64 s[12:13], s[12:13]
	s_cbranch_execnz .LBB183_834
.LBB183_713:
	s_or_b64 exec, exec, s[12:13]
	v_mov_b32_e32 v5, 0
	s_and_saveexec_b64 s[12:13], s[10:11]
.LBB183_714:
	v_lshrrev_b32_e32 v0, 24, v0
	s_movk_i32 s10, 0x80
	v_and_or_b32 v5, v0, s10, v2
.LBB183_715:
	s_or_b64 exec, exec, s[12:13]
.LBB183_716:
	s_or_b64 exec, exec, s[8:9]
	global_store_byte v[3:4], v5, off
.LBB183_717:
	s_mov_b64 s[8:9], -1
.LBB183_718:
	s_mov_b64 s[10:11], 0
.LBB183_719:
	s_and_b64 vcc, exec, s[10:11]
	s_cbranch_vccz .LBB183_760
; %bb.720:
	s_cmp_gt_i32 s15, 22
	s_mov_b64 s[10:11], -1
	s_cbranch_scc0 .LBB183_752
; %bb.721:
	s_cmp_lt_i32 s15, 24
	s_mov_b64 s[8:9], -1
	s_cbranch_scc1 .LBB183_741
; %bb.722:
	s_cmp_gt_i32 s15, 24
	s_cbranch_scc0 .LBB183_730
; %bb.723:
	v_cvt_f32_i32_e32 v0, v1
	s_mov_b32 s8, 0x47800000
	v_mov_b32_e32 v5, 0x80
	v_and_b32_e32 v2, 0x7fffffff, v0
	v_cmp_gt_u32_e32 vcc, s8, v2
	s_and_saveexec_b64 s[8:9], vcc
	s_cbranch_execz .LBB183_729
; %bb.724:
	s_mov_b32 s10, 0x37ffffff
	v_cmp_lt_u32_e32 vcc, s10, v2
	s_mov_b64 s[10:11], 0
                                        ; implicit-def: $vgpr2
	s_and_saveexec_b64 s[12:13], vcc
	s_xor_b64 s[12:13], exec, s[12:13]
	s_cbranch_execz .LBB183_836
; %bb.725:
	v_bfe_u32 v2, v0, 21, 1
	s_mov_b32 s16, 0x88fffff
	v_add3_u32 v2, v0, v2, s16
	s_mov_b64 s[10:11], exec
	v_lshrrev_b32_e32 v2, 21, v2
	s_andn2_saveexec_b64 s[12:13], s[12:13]
	s_cbranch_execnz .LBB183_837
.LBB183_726:
	s_or_b64 exec, exec, s[12:13]
	v_mov_b32_e32 v5, 0
	s_and_saveexec_b64 s[12:13], s[10:11]
.LBB183_727:
	v_lshrrev_b32_e32 v0, 24, v0
	s_movk_i32 s10, 0x80
	v_and_or_b32 v5, v0, s10, v2
.LBB183_728:
	s_or_b64 exec, exec, s[12:13]
.LBB183_729:
	s_or_b64 exec, exec, s[8:9]
	s_mov_b64 s[8:9], 0
	global_store_byte v[3:4], v5, off
.LBB183_730:
	s_and_b64 vcc, exec, s[8:9]
	s_cbranch_vccz .LBB183_740
; %bb.731:
	v_cvt_f32_i32_e32 v0, v1
	s_mov_b32 s8, 0x43f00000
                                        ; implicit-def: $vgpr2
	v_and_b32_e32 v5, 0x7fffffff, v0
	v_cmp_gt_u32_e32 vcc, s8, v5
	s_and_saveexec_b64 s[8:9], vcc
	s_xor_b64 s[8:9], exec, s[8:9]
	s_cbranch_execz .LBB183_737
; %bb.732:
	s_mov_b32 s10, 0x3c7fffff
	v_cmp_lt_u32_e32 vcc, s10, v5
                                        ; implicit-def: $vgpr2
	s_and_saveexec_b64 s[10:11], vcc
	s_xor_b64 s[10:11], exec, s[10:11]
; %bb.733:
	v_bfe_u32 v2, v0, 20, 1
	s_mov_b32 s12, 0x407ffff
	v_add3_u32 v2, v0, v2, s12
	v_lshrrev_b32_e32 v5, 20, v2
	v_and_b32_e32 v2, 0xff00000, v2
	s_mov_b32 s12, 0x7f00000
	v_mov_b32_e32 v6, 0x7e
	v_cmp_ne_u32_e32 vcc, s12, v2
	v_cndmask_b32_e32 v2, v6, v5, vcc
; %bb.734:
	s_andn2_saveexec_b64 s[10:11], s[10:11]
; %bb.735:
	s_mov_b32 s12, 0x46800000
	v_add_f32_e64 v2, |v0|, s12
; %bb.736:
	s_or_b64 exec, exec, s[10:11]
                                        ; implicit-def: $vgpr5
.LBB183_737:
	s_andn2_saveexec_b64 s[8:9], s[8:9]
; %bb.738:
	s_mov_b32 s10, 0x7f800000
	v_mov_b32_e32 v2, 0x7e
	v_mov_b32_e32 v6, 0x7f
	v_cmp_lt_u32_e32 vcc, s10, v5
	v_cndmask_b32_e32 v2, v2, v6, vcc
; %bb.739:
	s_or_b64 exec, exec, s[8:9]
	v_lshrrev_b32_e32 v0, 24, v0
	s_movk_i32 s8, 0x80
	v_and_or_b32 v0, v0, s8, v2
	global_store_byte v[3:4], v0, off
.LBB183_740:
	s_mov_b64 s[8:9], 0
.LBB183_741:
	s_andn2_b64 vcc, exec, s[8:9]
	s_cbranch_vccnz .LBB183_751
; %bb.742:
	v_cvt_f32_i32_e32 v0, v1
	s_mov_b32 s8, 0x47800000
                                        ; implicit-def: $vgpr2
	v_and_b32_e32 v5, 0x7fffffff, v0
	v_cmp_gt_u32_e32 vcc, s8, v5
	s_and_saveexec_b64 s[8:9], vcc
	s_xor_b64 s[8:9], exec, s[8:9]
	s_cbranch_execz .LBB183_748
; %bb.743:
	s_mov_b32 s10, 0x387fffff
	v_cmp_lt_u32_e32 vcc, s10, v5
                                        ; implicit-def: $vgpr2
	s_and_saveexec_b64 s[10:11], vcc
	s_xor_b64 s[10:11], exec, s[10:11]
; %bb.744:
	v_bfe_u32 v2, v0, 21, 1
	s_mov_b32 s12, 0x80fffff
	v_add3_u32 v2, v0, v2, s12
	v_lshrrev_b32_e32 v2, 21, v2
; %bb.745:
	s_andn2_saveexec_b64 s[10:11], s[10:11]
; %bb.746:
	s_mov_b32 s12, 0x43000000
	v_add_f32_e64 v2, |v0|, s12
; %bb.747:
	s_or_b64 exec, exec, s[10:11]
                                        ; implicit-def: $vgpr5
.LBB183_748:
	s_andn2_saveexec_b64 s[8:9], s[8:9]
; %bb.749:
	s_mov_b32 s10, 0x7f800000
	v_mov_b32_e32 v2, 0x7c
	v_mov_b32_e32 v6, 0x7f
	v_cmp_lt_u32_e32 vcc, s10, v5
	v_cndmask_b32_e32 v2, v2, v6, vcc
; %bb.750:
	s_or_b64 exec, exec, s[8:9]
	v_lshrrev_b32_e32 v0, 24, v0
	s_movk_i32 s8, 0x80
	v_and_or_b32 v0, v0, s8, v2
	global_store_byte v[3:4], v0, off
.LBB183_751:
	s_mov_b64 s[10:11], 0
	s_mov_b64 s[8:9], -1
.LBB183_752:
	s_andn2_b64 vcc, exec, s[10:11]
	s_cbranch_vccnz .LBB183_760
; %bb.753:
	s_cmp_gt_i32 s15, 14
	s_mov_b64 s[10:11], -1
	s_cbranch_scc0 .LBB183_757
; %bb.754:
	s_cmp_eq_u32 s15, 15
	s_mov_b64 s[0:1], -1
	s_cbranch_scc0 .LBB183_756
; %bb.755:
	v_cvt_f32_i32_e32 v0, v1
	s_movk_i32 s0, 0x7fff
	s_mov_b64 s[8:9], -1
	v_bfe_u32 v2, v0, 16, 1
	v_add3_u32 v0, v0, v2, s0
	global_store_short_d16_hi v[3:4], v0, off
	s_mov_b64 s[0:1], 0
.LBB183_756:
	s_mov_b64 s[10:11], 0
.LBB183_757:
	s_and_b64 vcc, exec, s[10:11]
	s_cbranch_vccz .LBB183_760
; %bb.758:
	s_cmp_eq_u32 s15, 11
	s_mov_b64 s[0:1], -1
	s_cbranch_scc0 .LBB183_760
; %bb.759:
	v_cmp_ne_u32_e32 vcc, 0, v1
	v_cndmask_b32_e64 v0, 0, 1, vcc
	s_mov_b64 s[8:9], -1
	s_mov_b64 s[0:1], 0
	global_store_byte v[3:4], v0, off
.LBB183_760:
	s_mov_b64 s[10:11], 0
.LBB183_761:
	s_and_b64 vcc, exec, s[10:11]
	s_cbranch_vccz .LBB183_800
; %bb.762:
	s_and_b32 s10, 0xffff, s14
	s_cmp_lt_i32 s10, 5
	s_mov_b64 s[8:9], -1
	s_cbranch_scc1 .LBB183_783
; %bb.763:
	s_cmp_lt_i32 s10, 8
	s_cbranch_scc1 .LBB183_773
; %bb.764:
	s_cmp_lt_i32 s10, 9
	s_cbranch_scc1 .LBB183_770
; %bb.765:
	s_cmp_gt_i32 s10, 9
	s_cbranch_scc0 .LBB183_767
; %bb.766:
	v_cvt_f64_i32_e32 v[9:10], v1
	v_mov_b32_e32 v11, 0
	v_mov_b32_e32 v12, v11
	s_mov_b64 s[8:9], 0
	global_store_dwordx4 v[3:4], v[9:12], off
.LBB183_767:
	s_andn2_b64 vcc, exec, s[8:9]
	s_cbranch_vccnz .LBB183_769
; %bb.768:
	v_cvt_f32_i32_e32 v5, v1
	v_mov_b32_e32 v6, 0
	global_store_dwordx2 v[3:4], v[5:6], off
.LBB183_769:
	s_mov_b64 s[8:9], 0
.LBB183_770:
	s_andn2_b64 vcc, exec, s[8:9]
	s_cbranch_vccnz .LBB183_772
; %bb.771:
	v_cvt_f32_i32_e32 v0, v1
	v_cvt_f16_f32_e32 v0, v0
	global_store_dword v[3:4], v0, off
.LBB183_772:
	s_mov_b64 s[8:9], 0
.LBB183_773:
	s_andn2_b64 vcc, exec, s[8:9]
	s_cbranch_vccnz .LBB183_782
; %bb.774:
	s_cmp_lt_i32 s10, 6
	s_mov_b64 s[8:9], -1
	s_cbranch_scc1 .LBB183_780
; %bb.775:
	s_cmp_gt_i32 s10, 6
	s_cbranch_scc0 .LBB183_777
; %bb.776:
	v_cvt_f64_i32_e32 v[5:6], v1
	s_mov_b64 s[8:9], 0
	global_store_dwordx2 v[3:4], v[5:6], off
.LBB183_777:
	s_andn2_b64 vcc, exec, s[8:9]
	s_cbranch_vccnz .LBB183_779
; %bb.778:
	v_cvt_f32_i32_e32 v0, v1
	global_store_dword v[3:4], v0, off
.LBB183_779:
	s_mov_b64 s[8:9], 0
.LBB183_780:
	s_andn2_b64 vcc, exec, s[8:9]
	s_cbranch_vccnz .LBB183_782
; %bb.781:
	v_cvt_f32_i32_e32 v0, v1
	v_cvt_f16_f32_e32 v0, v0
	global_store_short v[3:4], v0, off
.LBB183_782:
	s_mov_b64 s[8:9], 0
.LBB183_783:
	s_andn2_b64 vcc, exec, s[8:9]
	s_cbranch_vccnz .LBB183_799
; %bb.784:
	s_cmp_lt_i32 s10, 2
	s_mov_b64 s[8:9], -1
	s_cbranch_scc1 .LBB183_794
; %bb.785:
	s_cmp_lt_i32 s10, 3
	s_cbranch_scc1 .LBB183_791
; %bb.786:
	s_cmp_gt_i32 s10, 3
	s_cbranch_scc0 .LBB183_788
; %bb.787:
	v_ashrrev_i32_e32 v2, 31, v1
	s_mov_b64 s[8:9], 0
	global_store_dwordx2 v[3:4], v[1:2], off
.LBB183_788:
	s_andn2_b64 vcc, exec, s[8:9]
	s_cbranch_vccnz .LBB183_790
; %bb.789:
	global_store_dword v[3:4], v1, off
.LBB183_790:
	s_mov_b64 s[8:9], 0
.LBB183_791:
	s_andn2_b64 vcc, exec, s[8:9]
	s_cbranch_vccnz .LBB183_793
; %bb.792:
	global_store_short v[3:4], v1, off
.LBB183_793:
	s_mov_b64 s[8:9], 0
.LBB183_794:
	s_andn2_b64 vcc, exec, s[8:9]
	s_cbranch_vccnz .LBB183_799
; %bb.795:
	s_cmp_gt_i32 s10, 0
	s_mov_b64 s[8:9], -1
	s_cbranch_scc0 .LBB183_797
; %bb.796:
	s_mov_b64 s[8:9], 0
	global_store_byte v[3:4], v1, off
.LBB183_797:
	s_andn2_b64 vcc, exec, s[8:9]
	s_cbranch_vccnz .LBB183_799
; %bb.798:
	global_store_byte v[3:4], v1, off
.LBB183_799:
	s_mov_b64 s[8:9], -1
.LBB183_800:
	s_andn2_b64 vcc, exec, s[8:9]
	s_cbranch_vccnz .LBB183_802
; %bb.801:
	v_add_u32_e32 v8, 0x80, v8
	s_mov_b64 s[8:9], -1
	s_branch .LBB183_804
.LBB183_802:
	s_mov_b64 s[8:9], 0
.LBB183_803:
                                        ; implicit-def: $vgpr8
.LBB183_804:
	s_andn2_b64 s[10:11], s[62:63], exec
	s_and_b64 s[0:1], s[0:1], exec
	s_or_b64 s[70:71], s[10:11], s[0:1]
	s_andn2_b64 s[0:1], s[60:61], exec
	s_and_b64 s[2:3], s[2:3], exec
	s_or_b64 s[68:69], s[0:1], s[2:3]
	s_orn2_b64 s[2:3], s[8:9], exec
.LBB183_805:
	s_or_b64 exec, exec, s[66:67]
	s_mov_b64 s[0:1], 0
	s_mov_b64 s[8:9], 0
	;; [unrolled: 1-line block ×3, first 2 shown]
                                        ; implicit-def: $vgpr1_vgpr2
                                        ; implicit-def: $vgpr0
                                        ; implicit-def: $vgpr5
	s_and_saveexec_b64 s[66:67], s[2:3]
	s_cbranch_execz .LBB183_900
; %bb.806:
	v_cmp_gt_i32_e32 vcc, s72, v8
	s_mov_b64 s[2:3], 0
	s_mov_b64 s[12:13], s[68:69]
                                        ; implicit-def: $vgpr1_vgpr2
                                        ; implicit-def: $vgpr0
                                        ; implicit-def: $vgpr5
	s_and_saveexec_b64 s[72:73], vcc
	s_cbranch_execz .LBB183_899
; %bb.807:
	s_andn2_b64 vcc, exec, s[40:41]
	s_cbranch_vccnz .LBB183_812
; %bb.808:
	s_andn2_b64 vcc, exec, s[52:53]
	s_cbranch_vccnz .LBB183_813
; %bb.809:
	s_add_i32 s77, s76, 1
	s_cmp_eq_u32 s74, 2
	s_cbranch_scc1 .LBB183_814
; %bb.810:
	s_and_b32 s76, s77, 28
	v_mov_b32_e32 v2, 0
	s_mov_b32 s78, 0
	s_mov_b64 s[52:53], s[34:35]
	v_mov_b32_e32 v0, 0
	v_mov_b32_e32 v1, v8
.LBB183_811:                            ; =>This Inner Loop Header: Depth=1
	s_load_dwordx8 s[16:23], s[52:53], 0x4
	s_load_dwordx4 s[0:3], s[52:53], 0x24
	s_load_dwordx8 s[8:15], s[50:51], 0x0
	s_add_u32 s52, s52, 48
	s_addc_u32 s53, s53, 0
	s_waitcnt vmcnt(0) lgkmcnt(0)
	v_mul_hi_u32 v3, s17, v1
	s_add_i32 s78, s78, 4
	s_add_u32 s50, s50, 32
	s_addc_u32 s51, s51, 0
	v_add_u32_e32 v3, v1, v3
	v_lshrrev_b32_e32 v3, s18, v3
	v_mul_lo_u32 v4, v3, s16
	v_mul_hi_u32 v5, s20, v3
	s_cmp_eq_u32 s76, s78
	v_sub_u32_e32 v1, v1, v4
	v_add_u32_e32 v4, v3, v5
	v_mul_lo_u32 v5, v1, s8
	v_mul_lo_u32 v6, v1, s9
	v_lshrrev_b32_e32 v1, s21, v4
	v_mul_lo_u32 v4, v1, s19
	v_mul_hi_u32 v7, s23, v1
	v_sub_u32_e32 v3, v3, v4
	v_add_u32_e32 v4, v1, v7
	v_lshrrev_b32_e32 v4, s0, v4
	v_mul_hi_u32 v9, s2, v4
	v_mul_lo_u32 v10, v4, s22
	v_mul_lo_u32 v7, v3, s10
	;; [unrolled: 1-line block ×3, first 2 shown]
	v_sub_u32_e32 v10, v1, v10
	v_add_u32_e32 v1, v4, v9
	v_lshrrev_b32_e32 v1, s3, v1
	v_mul_lo_u32 v9, v1, s1
	v_mul_lo_u32 v11, v10, s12
	;; [unrolled: 1-line block ×3, first 2 shown]
	v_add3_u32 v0, v5, v0, v7
	v_sub_u32_e32 v4, v4, v9
	v_mul_lo_u32 v9, v4, s14
	v_mul_lo_u32 v4, v4, s15
	v_add3_u32 v2, v6, v2, v3
	v_add3_u32 v0, v11, v0, v9
	;; [unrolled: 1-line block ×3, first 2 shown]
	s_cbranch_scc0 .LBB183_811
	s_branch .LBB183_815
.LBB183_812:
	s_mov_b64 s[0:1], -1
                                        ; implicit-def: $vgpr0
                                        ; implicit-def: $vgpr2
	s_branch .LBB183_819
.LBB183_813:
	v_mov_b32_e32 v0, 0
	v_mov_b32_e32 v2, 0
	s_branch .LBB183_818
.LBB183_814:
	s_mov_b32 s76, 0
	v_mov_b32_e32 v0, 0
	v_mov_b32_e32 v2, 0
	;; [unrolled: 1-line block ×3, first 2 shown]
.LBB183_815:
	s_and_b32 s8, s77, 3
	s_cmp_eq_u32 s8, 0
	s_cbranch_scc1 .LBB183_818
; %bb.816:
	s_lshl_b32 s0, s76, 3
	s_add_u32 s0, s34, s0
	s_addc_u32 s1, s35, 0
	s_add_u32 s0, s0, 0xc4
	s_addc_u32 s1, s1, 0
	s_mul_i32 s2, s76, 12
	s_add_u32 s2, s34, s2
	s_addc_u32 s3, s35, 0
.LBB183_817:                            ; =>This Inner Loop Header: Depth=1
	s_load_dwordx2 s[10:11], s[2:3], 0x4
	s_load_dword s9, s[2:3], 0xc
	s_load_dwordx2 s[12:13], s[0:1], 0x0
	s_add_u32 s2, s2, 12
	s_addc_u32 s3, s3, 0
	s_waitcnt vmcnt(0) lgkmcnt(0)
	v_mul_hi_u32 v3, s11, v1
	s_add_u32 s0, s0, 8
	s_addc_u32 s1, s1, 0
	s_add_i32 s8, s8, -1
	v_add_u32_e32 v3, v1, v3
	v_lshrrev_b32_e32 v4, s9, v3
	v_mul_lo_u32 v3, v4, s10
	s_cmp_lg_u32 s8, 0
	v_sub_u32_e32 v3, v1, v3
	v_mad_u64_u32 v[0:1], s[10:11], v3, s12, v[0:1]
	v_mad_u64_u32 v[2:3], s[10:11], v3, s13, v[2:3]
	v_mov_b32_e32 v1, v4
	s_cbranch_scc1 .LBB183_817
.LBB183_818:
	s_mov_b64 s[0:1], 0
.LBB183_819:
	s_andn2_b64 vcc, exec, s[0:1]
	s_cbranch_vccnz .LBB183_822
; %bb.820:
	v_mul_hi_u32 v0, s29, v8
	s_andn2_b64 vcc, exec, s[48:49]
	v_add_u32_e32 v0, v8, v0
	v_lshrrev_b32_e32 v1, s30, v0
	v_mul_lo_u32 v0, v1, s28
	v_sub_u32_e32 v2, v8, v0
	v_mul_lo_u32 v0, v2, s36
	v_mul_lo_u32 v2, v2, s37
	s_cbranch_vccnz .LBB183_822
; %bb.821:
	s_waitcnt vmcnt(0)
	v_mul_hi_u32 v3, s46, v1
	v_add_u32_e32 v3, v1, v3
	v_lshrrev_b32_e32 v3, s47, v3
	v_mul_lo_u32 v3, v3, s31
	v_sub_u32_e32 v3, v1, v3
	v_mad_u64_u32 v[0:1], s[0:1], v3, s38, v[0:1]
	v_mad_u64_u32 v[2:3], s[0:1], v3, s39, v[2:3]
.LBB183_822:
	s_waitcnt vmcnt(0)
	v_mov_b32_e32 v3, s27
	s_and_b32 s12, 0xffff, s75
	v_add_co_u32_e32 v1, vcc, s26, v2
	s_cmp_lt_i32 s12, 11
	v_addc_co_u32_e32 v2, vcc, 0, v3, vcc
	s_cbranch_scc1 .LBB183_829
; %bb.823:
	s_cmp_gt_i32 s12, 25
	s_mov_b64 s[2:3], 0
	s_cbranch_scc0 .LBB183_830
; %bb.824:
	s_cmp_gt_i32 s12, 28
	s_cbranch_scc0 .LBB183_831
; %bb.825:
	s_cmp_gt_i32 s12, 43
	;; [unrolled: 3-line block ×3, first 2 shown]
	s_cbranch_scc0 .LBB183_835
; %bb.827:
	s_cmp_eq_u32 s12, 46
	s_mov_b64 s[10:11], 0
	s_cbranch_scc0 .LBB183_838
; %bb.828:
	global_load_dword v3, v[1:2], off
	s_mov_b64 s[0:1], 0
	s_mov_b64 s[8:9], -1
	s_waitcnt vmcnt(0)
	v_lshlrev_b32_e32 v3, 16, v3
	v_cvt_i32_f32_e32 v5, v3
	s_branch .LBB183_839
.LBB183_829:
	s_mov_b64 s[12:13], -1
	s_mov_b64 s[8:9], 0
	s_mov_b64 s[2:3], 0
	;; [unrolled: 1-line block ×3, first 2 shown]
                                        ; implicit-def: $vgpr5
	s_branch .LBB183_898
.LBB183_830:
	s_mov_b64 s[10:11], -1
	s_mov_b64 s[8:9], 0
	s_mov_b64 s[0:1], s[68:69]
                                        ; implicit-def: $vgpr5
	s_branch .LBB183_866
.LBB183_831:
	s_mov_b64 s[10:11], -1
	s_mov_b64 s[8:9], 0
	s_mov_b64 s[0:1], s[68:69]
                                        ; implicit-def: $vgpr5
	s_branch .LBB183_849
.LBB183_832:
	s_mov_b64 s[10:11], -1
	s_mov_b64 s[8:9], 0
	s_mov_b64 s[0:1], s[68:69]
                                        ; implicit-def: $vgpr5
	s_branch .LBB183_844
.LBB183_833:
	s_andn2_saveexec_b64 s[12:13], s[12:13]
	s_cbranch_execz .LBB183_713
.LBB183_834:
	s_mov_b32 s16, 0x46000000
	v_add_f32_e64 v2, |v0|, s16
	v_and_b32_e32 v2, 0xff, v2
	v_cmp_ne_u32_e32 vcc, 0, v2
	s_andn2_b64 s[10:11], s[10:11], exec
	s_and_b64 s[16:17], vcc, exec
	s_or_b64 s[10:11], s[10:11], s[16:17]
	s_or_b64 exec, exec, s[12:13]
	v_mov_b32_e32 v5, 0
	s_and_saveexec_b64 s[12:13], s[10:11]
	s_cbranch_execnz .LBB183_714
	s_branch .LBB183_715
.LBB183_835:
	s_mov_b64 s[10:11], -1
	s_mov_b64 s[8:9], 0
	s_mov_b64 s[0:1], s[68:69]
                                        ; implicit-def: $vgpr5
	s_branch .LBB183_839
.LBB183_836:
	s_andn2_saveexec_b64 s[12:13], s[12:13]
	s_cbranch_execz .LBB183_726
.LBB183_837:
	s_mov_b32 s16, 0x42800000
	v_add_f32_e64 v2, |v0|, s16
	v_and_b32_e32 v2, 0xff, v2
	v_cmp_ne_u32_e32 vcc, 0, v2
	s_andn2_b64 s[10:11], s[10:11], exec
	s_and_b64 s[16:17], vcc, exec
	s_or_b64 s[10:11], s[10:11], s[16:17]
	s_or_b64 exec, exec, s[12:13]
	v_mov_b32_e32 v5, 0
	s_and_saveexec_b64 s[12:13], s[10:11]
	s_cbranch_execnz .LBB183_727
	s_branch .LBB183_728
.LBB183_838:
	s_mov_b64 s[0:1], -1
                                        ; implicit-def: $vgpr5
	s_mov_b64 s[8:9], 0
.LBB183_839:
	s_and_b64 vcc, exec, s[10:11]
	s_cbranch_vccz .LBB183_843
; %bb.840:
	s_cmp_eq_u32 s12, 44
	s_cbranch_scc0 .LBB183_842
; %bb.841:
	global_load_ubyte v3, v[1:2], off
	s_mov_b64 s[0:1], 0
	s_mov_b64 s[8:9], -1
	s_waitcnt vmcnt(0)
	v_lshlrev_b32_e32 v4, 23, v3
	v_cvt_i32_f32_e32 v4, v4
	v_cmp_ne_u32_e32 vcc, 0, v3
	v_cndmask_b32_e32 v5, 0, v4, vcc
	s_branch .LBB183_843
.LBB183_842:
	s_mov_b64 s[0:1], -1
                                        ; implicit-def: $vgpr5
.LBB183_843:
	s_mov_b64 s[10:11], 0
.LBB183_844:
	s_and_b64 vcc, exec, s[10:11]
	s_cbranch_vccz .LBB183_848
; %bb.845:
	s_cmp_eq_u32 s12, 29
	s_cbranch_scc0 .LBB183_847
; %bb.846:
	global_load_dword v5, v[1:2], off
	s_mov_b64 s[0:1], 0
	s_mov_b64 s[8:9], -1
	s_branch .LBB183_848
.LBB183_847:
	s_mov_b64 s[0:1], -1
                                        ; implicit-def: $vgpr5
.LBB183_848:
	s_mov_b64 s[10:11], 0
.LBB183_849:
	s_and_b64 vcc, exec, s[10:11]
	s_cbranch_vccz .LBB183_865
; %bb.850:
	s_cmp_lt_i32 s12, 27
	s_cbranch_scc1 .LBB183_853
; %bb.851:
	s_cmp_gt_i32 s12, 27
	s_cbranch_scc0 .LBB183_854
; %bb.852:
	global_load_dword v5, v[1:2], off
	s_mov_b64 s[8:9], 0
	s_branch .LBB183_855
.LBB183_853:
	s_mov_b64 s[8:9], -1
                                        ; implicit-def: $vgpr5
	s_branch .LBB183_858
.LBB183_854:
	s_mov_b64 s[8:9], -1
                                        ; implicit-def: $vgpr5
.LBB183_855:
	s_andn2_b64 vcc, exec, s[8:9]
	s_cbranch_vccnz .LBB183_857
; %bb.856:
	global_load_ushort v5, v[1:2], off
.LBB183_857:
	s_mov_b64 s[8:9], 0
.LBB183_858:
	s_andn2_b64 vcc, exec, s[8:9]
	s_cbranch_vccnz .LBB183_864
; %bb.859:
	global_load_ubyte v3, v[1:2], off
	s_movk_i32 s8, 0x7f
	s_mov_b64 s[10:11], 0
	s_waitcnt vmcnt(0)
	v_cmp_lt_i16_e32 vcc, s8, v3
	s_and_saveexec_b64 s[8:9], vcc
	s_xor_b64 s[8:9], exec, s[8:9]
	s_cbranch_execz .LBB183_876
; %bb.860:
	s_movk_i32 s10, 0x80
	v_cmp_ne_u16_e32 vcc, s10, v3
	s_and_b64 s[10:11], vcc, exec
	s_andn2_saveexec_b64 s[8:9], s[8:9]
	s_cbranch_execnz .LBB183_877
.LBB183_861:
	s_or_b64 exec, exec, s[8:9]
	v_mov_b32_e32 v5, 0
	s_and_saveexec_b64 s[8:9], s[10:11]
	s_cbranch_execz .LBB183_863
.LBB183_862:
	v_lshlrev_b32_e32 v4, 24, v3
	v_and_b32_e32 v3, 0xffff, v3
	v_and_b32_e32 v5, 7, v3
	v_ffbh_u32_e32 v7, v5
	v_min_u32_e32 v7, 32, v7
	v_subrev_u32_e32 v8, 28, v7
	v_bfe_u32 v6, v3, 3, 4
	v_lshlrev_b32_e32 v3, v8, v3
	v_sub_u32_e32 v7, 29, v7
	v_and_b32_e32 v3, 7, v3
	v_cmp_eq_u32_e32 vcc, 0, v6
	v_cndmask_b32_e32 v6, v6, v7, vcc
	v_cndmask_b32_e32 v3, v5, v3, vcc
	v_mov_b32_e32 v5, 0x3b800000
	v_lshlrev_b32_e32 v3, 20, v3
	v_and_b32_e32 v4, 0x80000000, v4
	v_lshl_add_u32 v5, v6, 23, v5
	v_or3_b32 v3, v4, v5, v3
	v_cvt_i32_f32_e32 v5, v3
.LBB183_863:
	s_or_b64 exec, exec, s[8:9]
.LBB183_864:
	s_mov_b64 s[8:9], -1
.LBB183_865:
	s_mov_b64 s[10:11], 0
.LBB183_866:
	s_and_b64 vcc, exec, s[10:11]
	s_cbranch_vccz .LBB183_897
; %bb.867:
	s_cmp_gt_i32 s12, 22
	s_cbranch_scc0 .LBB183_875
; %bb.868:
	s_cmp_lt_i32 s12, 24
	s_cbranch_scc1 .LBB183_878
; %bb.869:
	s_cmp_gt_i32 s12, 24
	s_cbranch_scc0 .LBB183_879
; %bb.870:
	global_load_ubyte v3, v[1:2], off
	s_movk_i32 s2, 0x7f
	s_mov_b64 s[8:9], 0
	s_waitcnt vmcnt(0)
	v_cmp_lt_i16_e32 vcc, s2, v3
	s_and_saveexec_b64 s[2:3], vcc
	s_xor_b64 s[2:3], exec, s[2:3]
	s_cbranch_execz .LBB183_891
; %bb.871:
	s_movk_i32 s8, 0x80
	v_cmp_ne_u16_e32 vcc, s8, v3
	s_and_b64 s[8:9], vcc, exec
	s_andn2_saveexec_b64 s[2:3], s[2:3]
	s_cbranch_execnz .LBB183_892
.LBB183_872:
	s_or_b64 exec, exec, s[2:3]
	v_mov_b32_e32 v5, 0
	s_and_saveexec_b64 s[2:3], s[8:9]
	s_cbranch_execz .LBB183_874
.LBB183_873:
	v_lshlrev_b32_e32 v4, 24, v3
	v_and_b32_e32 v3, 0xffff, v3
	v_and_b32_e32 v5, 3, v3
	v_ffbh_u32_e32 v7, v5
	v_min_u32_e32 v7, 32, v7
	v_subrev_u32_e32 v8, 29, v7
	v_bfe_u32 v6, v3, 2, 5
	v_lshlrev_b32_e32 v3, v8, v3
	v_sub_u32_e32 v7, 30, v7
	v_and_b32_e32 v3, 3, v3
	v_cmp_eq_u32_e32 vcc, 0, v6
	v_cndmask_b32_e32 v6, v6, v7, vcc
	v_cndmask_b32_e32 v3, v5, v3, vcc
	v_mov_b32_e32 v5, 0x37800000
	v_lshlrev_b32_e32 v3, 21, v3
	v_and_b32_e32 v4, 0x80000000, v4
	v_lshl_add_u32 v5, v6, 23, v5
	v_or3_b32 v3, v4, v5, v3
	v_cvt_i32_f32_e32 v5, v3
.LBB183_874:
	s_or_b64 exec, exec, s[2:3]
	s_mov_b64 s[2:3], 0
	s_branch .LBB183_880
.LBB183_875:
	s_mov_b64 s[2:3], -1
                                        ; implicit-def: $vgpr5
	s_branch .LBB183_886
.LBB183_876:
	s_andn2_saveexec_b64 s[8:9], s[8:9]
	s_cbranch_execz .LBB183_861
.LBB183_877:
	v_cmp_ne_u16_e32 vcc, 0, v3
	s_andn2_b64 s[10:11], s[10:11], exec
	s_and_b64 s[14:15], vcc, exec
	s_or_b64 s[10:11], s[10:11], s[14:15]
	s_or_b64 exec, exec, s[8:9]
	v_mov_b32_e32 v5, 0
	s_and_saveexec_b64 s[8:9], s[10:11]
	s_cbranch_execnz .LBB183_862
	s_branch .LBB183_863
.LBB183_878:
	s_mov_b64 s[2:3], -1
                                        ; implicit-def: $vgpr5
	s_branch .LBB183_883
.LBB183_879:
	s_mov_b64 s[2:3], -1
                                        ; implicit-def: $vgpr5
.LBB183_880:
	s_and_b64 vcc, exec, s[2:3]
	s_cbranch_vccz .LBB183_882
; %bb.881:
	global_load_ubyte v3, v[1:2], off
	s_mov_b32 s2, 0x7f800000
	s_waitcnt vmcnt(0)
	v_lshlrev_b32_e32 v3, 24, v3
	v_and_b32_e32 v4, 0x7f000000, v3
	v_ffbh_u32_e32 v5, v4
	v_min_u32_e32 v5, 32, v5
	v_sub_u32_e64 v5, v5, 4 clamp
	v_lshlrev_b32_e32 v7, v5, v4
	v_lshlrev_b32_e32 v5, 23, v5
	v_lshrrev_b32_e32 v7, 4, v7
	v_add_u32_e32 v6, 0x1000000, v4
	v_sub_u32_e32 v5, v7, v5
	v_ashrrev_i32_e32 v6, 8, v6
	v_add_u32_e32 v5, 0x3c000000, v5
	v_and_or_b32 v5, v6, s2, v5
	v_cmp_ne_u32_e32 vcc, 0, v4
	v_cndmask_b32_e32 v4, 0, v5, vcc
	s_brev_b32 s2, 1
	v_and_or_b32 v3, v3, s2, v4
	v_cvt_i32_f32_e32 v5, v3
.LBB183_882:
	s_mov_b64 s[2:3], 0
.LBB183_883:
	s_andn2_b64 vcc, exec, s[2:3]
	s_cbranch_vccnz .LBB183_885
; %bb.884:
	global_load_ubyte v3, v[1:2], off
	s_movk_i32 s2, 0x7f00
	s_brev_b32 s3, 16
	s_waitcnt vmcnt(0)
	v_lshlrev_b16_e32 v4, 8, v3
	v_lshlrev_b32_e32 v3, 25, v3
	v_lshrrev_b32_e32 v5, 4, v3
	v_and_or_b32 v6, v4, s2, 0.5
	v_or_b32_e32 v5, 0x70000000, v5
	v_add_f32_e32 v6, -0.5, v6
	v_mul_f32_e32 v5, 0x7800000, v5
	v_cmp_gt_u32_e32 vcc, s3, v3
	v_bfe_i32 v4, v4, 0, 16
	v_cndmask_b32_e32 v3, v5, v6, vcc
	s_brev_b32 s2, 1
	v_and_or_b32 v3, v4, s2, v3
	v_cvt_i32_f32_e32 v5, v3
.LBB183_885:
	s_mov_b64 s[2:3], 0
	s_mov_b64 s[8:9], -1
.LBB183_886:
	s_andn2_b64 vcc, exec, s[2:3]
	s_mov_b64 s[2:3], 0
	s_cbranch_vccnz .LBB183_897
; %bb.887:
	s_cmp_gt_i32 s12, 14
	s_cbranch_scc0 .LBB183_890
; %bb.888:
	s_cmp_eq_u32 s12, 15
	s_cbranch_scc0 .LBB183_893
; %bb.889:
	global_load_ushort v3, v[1:2], off
	s_mov_b64 s[0:1], 0
	s_mov_b64 s[8:9], -1
	s_waitcnt vmcnt(0)
	v_lshlrev_b32_e32 v3, 16, v3
	v_cvt_i32_f32_e32 v5, v3
	s_branch .LBB183_894
.LBB183_890:
	s_mov_b64 s[10:11], -1
                                        ; implicit-def: $vgpr5
	s_branch .LBB183_895
.LBB183_891:
	s_andn2_saveexec_b64 s[2:3], s[2:3]
	s_cbranch_execz .LBB183_872
.LBB183_892:
	v_cmp_ne_u16_e32 vcc, 0, v3
	s_andn2_b64 s[8:9], s[8:9], exec
	s_and_b64 s[10:11], vcc, exec
	s_or_b64 s[8:9], s[8:9], s[10:11]
	s_or_b64 exec, exec, s[2:3]
	v_mov_b32_e32 v5, 0
	s_and_saveexec_b64 s[2:3], s[8:9]
	s_cbranch_execnz .LBB183_873
	s_branch .LBB183_874
.LBB183_893:
	s_mov_b64 s[0:1], -1
                                        ; implicit-def: $vgpr5
.LBB183_894:
	s_mov_b64 s[10:11], 0
.LBB183_895:
	s_and_b64 vcc, exec, s[10:11]
	s_cbranch_vccz .LBB183_897
; %bb.896:
	s_cmp_lg_u32 s12, 11
	s_cselect_b64 s[10:11], -1, 0
	s_andn2_b64 s[0:1], s[0:1], exec
	s_and_b64 s[10:11], s[10:11], exec
	s_mov_b64 s[2:3], -1
	s_or_b64 s[0:1], s[0:1], s[10:11]
.LBB183_897:
	s_mov_b64 s[12:13], 0
.LBB183_898:
	s_and_b64 s[10:11], s[8:9], exec
	s_and_b64 s[8:9], s[12:13], exec
	s_andn2_b64 s[12:13], s[68:69], exec
	s_and_b64 s[0:1], s[0:1], exec
	s_and_b64 s[2:3], s[2:3], exec
	s_or_b64 s[12:13], s[12:13], s[0:1]
.LBB183_899:
	s_or_b64 exec, exec, s[72:73]
	s_and_b64 s[0:1], s[2:3], exec
	s_andn2_b64 s[2:3], s[68:69], exec
	s_and_b64 s[12:13], s[12:13], exec
	s_and_b64 s[10:11], s[10:11], exec
	;; [unrolled: 1-line block ×3, first 2 shown]
	s_or_b64 s[68:69], s[2:3], s[12:13]
.LBB183_900:
	s_or_b64 exec, exec, s[66:67]
	s_andn2_b64 s[2:3], s[62:63], exec
	s_and_b64 s[12:13], s[70:71], exec
	s_or_b64 s[62:63], s[2:3], s[12:13]
	s_and_b64 s[2:3], s[0:1], exec
	s_andn2_b64 s[0:1], s[60:61], exec
	s_and_b64 s[12:13], s[68:69], exec
	s_and_b64 s[10:11], s[10:11], exec
	;; [unrolled: 1-line block ×3, first 2 shown]
	s_or_b64 s[60:61], s[0:1], s[12:13]
.LBB183_901:
	s_or_b64 exec, exec, s[64:65]
	s_andn2_b64 s[0:1], s[54:55], exec
	s_and_b64 s[12:13], s[62:63], exec
	s_or_b64 s[54:55], s[0:1], s[12:13]
	s_and_b64 s[0:1], s[10:11], exec
	s_and_b64 s[10:11], s[8:9], exec
	;; [unrolled: 1-line block ×3, first 2 shown]
	s_andn2_b64 s[2:3], s[56:57], exec
	s_and_b64 s[8:9], s[60:61], exec
	s_or_b64 s[56:57], s[2:3], s[8:9]
	s_or_b64 exec, exec, s[58:59]
	s_mov_b64 s[2:3], 0
	s_and_saveexec_b64 s[8:9], s[56:57]
	s_cbranch_execz .LBB183_270
.LBB183_902:
	s_mov_b64 s[2:3], exec
	s_andn2_b64 s[62:63], s[62:63], exec
	s_trap 2
	s_or_b64 exec, exec, s[8:9]
	s_and_saveexec_b64 s[8:9], s[62:63]
	s_xor_b64 s[8:9], exec, s[8:9]
	s_cbranch_execnz .LBB183_271
.LBB183_903:
	s_or_b64 exec, exec, s[8:9]
	s_and_saveexec_b64 s[8:9], s[10:11]
	s_cbranch_execz .LBB183_949
.LBB183_904:
	s_sext_i32_i16 s10, s75
	s_cmp_lt_i32 s10, 5
	s_cbranch_scc1 .LBB183_909
; %bb.905:
	s_cmp_lt_i32 s10, 8
	s_cbranch_scc1 .LBB183_910
; %bb.906:
	;; [unrolled: 3-line block ×3, first 2 shown]
	s_cmp_gt_i32 s10, 9
	s_cbranch_scc0 .LBB183_912
; %bb.908:
	global_load_dwordx2 v[3:4], v[1:2], off
	s_mov_b64 s[10:11], 0
	s_waitcnt vmcnt(0)
	v_cvt_i32_f64_e32 v5, v[3:4]
	s_branch .LBB183_913
.LBB183_909:
                                        ; implicit-def: $vgpr5
	s_branch .LBB183_930
.LBB183_910:
                                        ; implicit-def: $vgpr5
	s_branch .LBB183_919
.LBB183_911:
	s_mov_b64 s[10:11], -1
                                        ; implicit-def: $vgpr5
	s_branch .LBB183_916
.LBB183_912:
	s_mov_b64 s[10:11], -1
                                        ; implicit-def: $vgpr5
.LBB183_913:
	s_andn2_b64 vcc, exec, s[10:11]
	s_cbranch_vccnz .LBB183_915
; %bb.914:
	global_load_dword v3, v[1:2], off
	s_waitcnt vmcnt(0)
	v_cvt_i32_f32_e32 v5, v3
.LBB183_915:
	s_mov_b64 s[10:11], 0
.LBB183_916:
	s_andn2_b64 vcc, exec, s[10:11]
	s_cbranch_vccnz .LBB183_918
; %bb.917:
	global_load_dword v3, v[1:2], off
	s_waitcnt vmcnt(0)
	v_cvt_f32_f16_e32 v3, v3
	v_cvt_i32_f32_e32 v5, v3
.LBB183_918:
	s_cbranch_execnz .LBB183_929
.LBB183_919:
	s_sext_i32_i16 s10, s75
	s_cmp_lt_i32 s10, 6
	s_cbranch_scc1 .LBB183_922
; %bb.920:
	s_cmp_gt_i32 s10, 6
	s_cbranch_scc0 .LBB183_923
; %bb.921:
	global_load_dwordx2 v[3:4], v[1:2], off
	s_mov_b64 s[10:11], 0
	s_waitcnt vmcnt(0)
	v_cvt_i32_f64_e32 v5, v[3:4]
	s_branch .LBB183_924
.LBB183_922:
	s_mov_b64 s[10:11], -1
                                        ; implicit-def: $vgpr5
	s_branch .LBB183_927
.LBB183_923:
	s_mov_b64 s[10:11], -1
                                        ; implicit-def: $vgpr5
.LBB183_924:
	s_andn2_b64 vcc, exec, s[10:11]
	s_cbranch_vccnz .LBB183_926
; %bb.925:
	global_load_dword v3, v[1:2], off
	s_waitcnt vmcnt(0)
	v_cvt_i32_f32_e32 v5, v3
.LBB183_926:
	s_mov_b64 s[10:11], 0
.LBB183_927:
	s_andn2_b64 vcc, exec, s[10:11]
	s_cbranch_vccnz .LBB183_929
; %bb.928:
	global_load_ushort v3, v[1:2], off
	s_waitcnt vmcnt(0)
	v_cvt_f32_f16_e32 v3, v3
	v_cvt_i32_f32_e32 v5, v3
.LBB183_929:
	s_cbranch_execnz .LBB183_948
.LBB183_930:
	s_sext_i32_i16 s10, s75
	s_cmp_lt_i32 s10, 2
	s_cbranch_scc1 .LBB183_934
; %bb.931:
	s_cmp_lt_i32 s10, 3
	s_cbranch_scc1 .LBB183_935
; %bb.932:
	s_cmp_gt_i32 s10, 3
	s_cbranch_scc0 .LBB183_936
; %bb.933:
	global_load_dword v5, v[1:2], off
	s_mov_b64 s[10:11], 0
	s_branch .LBB183_937
.LBB183_934:
                                        ; implicit-def: $vgpr5
	s_branch .LBB183_943
.LBB183_935:
	s_mov_b64 s[10:11], -1
                                        ; implicit-def: $vgpr5
	s_branch .LBB183_940
.LBB183_936:
	s_mov_b64 s[10:11], -1
                                        ; implicit-def: $vgpr5
.LBB183_937:
	s_andn2_b64 vcc, exec, s[10:11]
	s_cbranch_vccnz .LBB183_939
; %bb.938:
	global_load_dword v5, v[1:2], off
.LBB183_939:
	s_mov_b64 s[10:11], 0
.LBB183_940:
	s_andn2_b64 vcc, exec, s[10:11]
	s_cbranch_vccnz .LBB183_942
; %bb.941:
	global_load_sshort v5, v[1:2], off
.LBB183_942:
	s_cbranch_execnz .LBB183_948
.LBB183_943:
	s_sext_i32_i16 s10, s75
	s_cmp_gt_i32 s10, 0
	s_cbranch_scc0 .LBB183_945
; %bb.944:
	global_load_sbyte v5, v[1:2], off
	s_mov_b64 s[10:11], 0
	s_branch .LBB183_946
.LBB183_945:
	s_mov_b64 s[10:11], -1
                                        ; implicit-def: $vgpr5
.LBB183_946:
	s_andn2_b64 vcc, exec, s[10:11]
	s_cbranch_vccnz .LBB183_948
; %bb.947:
	global_load_ubyte v5, v[1:2], off
.LBB183_948:
	s_or_b64 s[0:1], s[0:1], exec
.LBB183_949:
	s_or_b64 exec, exec, s[8:9]
	s_mov_b64 s[12:13], 0
	s_mov_b64 s[10:11], 0
                                        ; implicit-def: $sgpr18
                                        ; implicit-def: $vgpr3_vgpr4
                                        ; implicit-def: $vgpr1
	s_and_saveexec_b64 s[8:9], s[0:1]
	s_cbranch_execz .LBB183_957
; %bb.950:
	v_mov_b32_e32 v2, s25
	s_and_b32 s18, s45, 0xff
	s_waitcnt vmcnt(0)
	v_add_co_u32_e32 v3, vcc, s24, v0
	v_ashrrev_i32_e32 v1, s44, v5
	s_cmp_lt_i32 s18, 11
	v_addc_co_u32_e32 v4, vcc, 0, v2, vcc
	s_cbranch_scc1 .LBB183_960
; %bb.951:
	s_and_b32 s19, 0xffff, s18
	s_mov_b64 s[12:13], -1
	s_cmp_gt_i32 s19, 25
	s_mov_b64 s[0:1], s[54:55]
	s_cbranch_scc0 .LBB183_988
; %bb.952:
	s_mov_b64 s[10:11], -1
	s_cmp_gt_i32 s19, 28
	s_mov_b64 s[0:1], s[54:55]
	s_cbranch_scc0 .LBB183_972
; %bb.953:
	s_cmp_gt_i32 s19, 43
	s_mov_b64 s[0:1], s[54:55]
	s_cbranch_scc0 .LBB183_968
; %bb.954:
	;; [unrolled: 4-line block ×3, first 2 shown]
	s_cmp_eq_u32 s19, 46
	s_mov_b64 s[0:1], -1
	s_cbranch_scc0 .LBB183_961
; %bb.956:
	v_cvt_f32_i32_e32 v0, v1
	s_movk_i32 s0, 0x7fff
	s_mov_b64 s[10:11], 0
	v_bfe_u32 v2, v0, 16, 1
	v_add3_u32 v0, v0, v2, s0
	v_lshrrev_b32_e32 v0, 16, v0
	global_store_dword v[3:4], v0, off
	s_mov_b64 s[0:1], 0
	s_branch .LBB183_962
.LBB183_957:
	s_or_b64 exec, exec, s[8:9]
	s_and_saveexec_b64 s[0:1], s[54:55]
	s_cbranch_execnz .LBB183_1030
.LBB183_958:
	s_or_b64 exec, exec, s[0:1]
	s_and_saveexec_b64 s[0:1], s[12:13]
	s_xor_b64 s[0:1], exec, s[0:1]
	s_cbranch_execz .LBB183_1031
.LBB183_959:
	v_cmp_ne_u32_e32 vcc, 0, v1
	v_cndmask_b32_e64 v0, 0, 1, vcc
	s_waitcnt vmcnt(0)
	global_store_byte v[3:4], v0, off
	s_or_b64 exec, exec, s[0:1]
	s_and_saveexec_b64 s[0:1], s[10:11]
	s_xor_b64 s[0:1], exec, s[0:1]
	s_cbranch_execz .LBB183_1069
	s_branch .LBB183_1032
.LBB183_960:
	s_mov_b64 s[10:11], -1
	s_mov_b64 s[0:1], s[54:55]
	s_branch .LBB183_1029
.LBB183_961:
	s_mov_b64 s[10:11], 0
.LBB183_962:
	s_and_b64 vcc, exec, s[10:11]
	s_cbranch_vccz .LBB183_967
; %bb.963:
	s_cmp_eq_u32 s19, 44
	s_mov_b64 s[0:1], -1
	s_cbranch_scc0 .LBB183_967
; %bb.964:
	v_cvt_f32_i32_e32 v0, v1
	s_movk_i32 s0, 0xff
	v_mov_b32_e32 v5, 0xff
	v_bfe_u32 v2, v0, 23, 8
	v_cmp_ne_u32_e32 vcc, s0, v2
	s_and_saveexec_b64 s[10:11], vcc
; %bb.965:
	s_mov_b32 s0, 0x3fffff
	v_lshrrev_b32_e32 v5, 23, v0
	v_and_b32_e32 v6, 0x400000, v0
	v_and_or_b32 v0, v0, s0, v2
	v_cmp_ne_u32_e32 vcc, 0, v6
	v_cmp_ne_u32_e64 s[0:1], 0, v0
	s_and_b64 s[0:1], vcc, s[0:1]
	v_cndmask_b32_e64 v0, 0, 1, s[0:1]
	v_add_u32_e32 v5, v5, v0
; %bb.966:
	s_or_b64 exec, exec, s[10:11]
	s_mov_b64 s[0:1], 0
	global_store_byte v[3:4], v5, off
.LBB183_967:
	s_mov_b64 s[10:11], 0
.LBB183_968:
	s_and_b64 vcc, exec, s[10:11]
	s_cbranch_vccz .LBB183_971
; %bb.969:
	s_cmp_eq_u32 s19, 29
	s_mov_b64 s[0:1], -1
	s_cbranch_scc0 .LBB183_971
; %bb.970:
	v_ashrrev_i32_e32 v2, 31, v1
	global_store_dwordx2 v[3:4], v[1:2], off
	s_mov_b64 s[0:1], 0
.LBB183_971:
	s_mov_b64 s[10:11], 0
.LBB183_972:
	s_and_b64 vcc, exec, s[10:11]
	s_cbranch_vccz .LBB183_987
; %bb.973:
	s_cmp_lt_i32 s19, 27
	s_mov_b64 s[10:11], -1
	s_cbranch_scc1 .LBB183_979
; %bb.974:
	s_cmp_gt_i32 s19, 27
	s_cbranch_scc0 .LBB183_976
; %bb.975:
	s_mov_b64 s[10:11], 0
	global_store_dword v[3:4], v1, off
.LBB183_976:
	s_andn2_b64 vcc, exec, s[10:11]
	s_cbranch_vccnz .LBB183_978
; %bb.977:
	global_store_short v[3:4], v1, off
.LBB183_978:
	s_mov_b64 s[10:11], 0
.LBB183_979:
	s_andn2_b64 vcc, exec, s[10:11]
	s_cbranch_vccnz .LBB183_987
; %bb.980:
	v_cvt_f32_i32_e32 v0, v1
	s_mov_b32 s10, 0x43800000
	v_mov_b32_e32 v5, 0x80
	v_and_b32_e32 v2, 0x7fffffff, v0
	v_cmp_gt_u32_e32 vcc, s10, v2
	s_and_saveexec_b64 s[10:11], vcc
	s_cbranch_execz .LBB183_986
; %bb.981:
	s_mov_b32 s12, 0x3bffffff
	v_cmp_lt_u32_e32 vcc, s12, v2
	s_mov_b64 s[12:13], 0
                                        ; implicit-def: $vgpr2
	s_and_saveexec_b64 s[14:15], vcc
	s_xor_b64 s[14:15], exec, s[14:15]
	s_cbranch_execz .LBB183_1140
; %bb.982:
	v_bfe_u32 v2, v0, 20, 1
	s_mov_b32 s16, 0x487ffff
	v_add3_u32 v2, v0, v2, s16
	s_mov_b64 s[12:13], exec
	v_lshrrev_b32_e32 v2, 20, v2
	s_andn2_saveexec_b64 s[14:15], s[14:15]
	s_cbranch_execnz .LBB183_1141
.LBB183_983:
	s_or_b64 exec, exec, s[14:15]
	v_mov_b32_e32 v5, 0
	s_and_saveexec_b64 s[14:15], s[12:13]
.LBB183_984:
	v_lshrrev_b32_e32 v0, 24, v0
	s_movk_i32 s12, 0x80
	v_and_or_b32 v5, v0, s12, v2
.LBB183_985:
	s_or_b64 exec, exec, s[14:15]
.LBB183_986:
	s_or_b64 exec, exec, s[10:11]
	global_store_byte v[3:4], v5, off
.LBB183_987:
	s_mov_b64 s[12:13], 0
.LBB183_988:
	s_mov_b64 s[10:11], 0
	s_and_b64 vcc, exec, s[12:13]
	s_cbranch_vccz .LBB183_1028
; %bb.989:
	s_cmp_gt_i32 s19, 22
	s_mov_b64 s[12:13], -1
	s_cbranch_scc0 .LBB183_1021
; %bb.990:
	s_cmp_lt_i32 s19, 24
	s_cbranch_scc1 .LBB183_1010
; %bb.991:
	s_cmp_gt_i32 s19, 24
	s_cbranch_scc0 .LBB183_999
; %bb.992:
	v_cvt_f32_i32_e32 v0, v1
	s_mov_b32 s12, 0x47800000
	v_mov_b32_e32 v5, 0x80
	v_and_b32_e32 v2, 0x7fffffff, v0
	v_cmp_gt_u32_e32 vcc, s12, v2
	s_and_saveexec_b64 s[12:13], vcc
	s_cbranch_execz .LBB183_998
; %bb.993:
	s_mov_b32 s14, 0x37ffffff
	v_cmp_lt_u32_e32 vcc, s14, v2
	s_mov_b64 s[14:15], 0
                                        ; implicit-def: $vgpr2
	s_and_saveexec_b64 s[16:17], vcc
	s_xor_b64 s[16:17], exec, s[16:17]
	s_cbranch_execz .LBB183_1260
; %bb.994:
	v_bfe_u32 v2, v0, 21, 1
	s_mov_b32 s20, 0x88fffff
	v_add3_u32 v2, v0, v2, s20
	s_mov_b64 s[14:15], exec
	v_lshrrev_b32_e32 v2, 21, v2
	s_andn2_saveexec_b64 s[16:17], s[16:17]
	s_cbranch_execnz .LBB183_1261
.LBB183_995:
	s_or_b64 exec, exec, s[16:17]
	v_mov_b32_e32 v5, 0
	s_and_saveexec_b64 s[16:17], s[14:15]
.LBB183_996:
	v_lshrrev_b32_e32 v0, 24, v0
	s_movk_i32 s14, 0x80
	v_and_or_b32 v5, v0, s14, v2
.LBB183_997:
	s_or_b64 exec, exec, s[16:17]
.LBB183_998:
	s_or_b64 exec, exec, s[12:13]
	s_mov_b64 s[12:13], 0
	global_store_byte v[3:4], v5, off
.LBB183_999:
	s_and_b64 vcc, exec, s[12:13]
	s_cbranch_vccz .LBB183_1009
; %bb.1000:
	v_cvt_f32_i32_e32 v0, v1
	s_mov_b32 s12, 0x43f00000
                                        ; implicit-def: $vgpr2
	v_and_b32_e32 v5, 0x7fffffff, v0
	v_cmp_gt_u32_e32 vcc, s12, v5
	s_and_saveexec_b64 s[12:13], vcc
	s_xor_b64 s[12:13], exec, s[12:13]
	s_cbranch_execz .LBB183_1006
; %bb.1001:
	s_mov_b32 s14, 0x3c7fffff
	v_cmp_lt_u32_e32 vcc, s14, v5
                                        ; implicit-def: $vgpr2
	s_and_saveexec_b64 s[14:15], vcc
	s_xor_b64 s[14:15], exec, s[14:15]
; %bb.1002:
	v_bfe_u32 v2, v0, 20, 1
	s_mov_b32 s16, 0x407ffff
	v_add3_u32 v2, v0, v2, s16
	v_lshrrev_b32_e32 v5, 20, v2
	v_and_b32_e32 v2, 0xff00000, v2
	s_mov_b32 s16, 0x7f00000
	v_mov_b32_e32 v6, 0x7e
	v_cmp_ne_u32_e32 vcc, s16, v2
	v_cndmask_b32_e32 v2, v6, v5, vcc
; %bb.1003:
	s_andn2_saveexec_b64 s[14:15], s[14:15]
; %bb.1004:
	s_mov_b32 s16, 0x46800000
	v_add_f32_e64 v2, |v0|, s16
; %bb.1005:
	s_or_b64 exec, exec, s[14:15]
                                        ; implicit-def: $vgpr5
.LBB183_1006:
	s_andn2_saveexec_b64 s[12:13], s[12:13]
; %bb.1007:
	s_mov_b32 s14, 0x7f800000
	v_mov_b32_e32 v2, 0x7e
	v_mov_b32_e32 v6, 0x7f
	v_cmp_lt_u32_e32 vcc, s14, v5
	v_cndmask_b32_e32 v2, v2, v6, vcc
; %bb.1008:
	s_or_b64 exec, exec, s[12:13]
	v_lshrrev_b32_e32 v0, 24, v0
	s_movk_i32 s12, 0x80
	v_and_or_b32 v0, v0, s12, v2
	global_store_byte v[3:4], v0, off
.LBB183_1009:
	s_mov_b64 s[12:13], 0
.LBB183_1010:
	s_andn2_b64 vcc, exec, s[12:13]
	s_cbranch_vccnz .LBB183_1020
; %bb.1011:
	v_cvt_f32_i32_e32 v0, v1
	s_mov_b32 s12, 0x47800000
                                        ; implicit-def: $vgpr2
	v_and_b32_e32 v5, 0x7fffffff, v0
	v_cmp_gt_u32_e32 vcc, s12, v5
	s_and_saveexec_b64 s[12:13], vcc
	s_xor_b64 s[12:13], exec, s[12:13]
	s_cbranch_execz .LBB183_1017
; %bb.1012:
	s_mov_b32 s14, 0x387fffff
	v_cmp_lt_u32_e32 vcc, s14, v5
                                        ; implicit-def: $vgpr2
	s_and_saveexec_b64 s[14:15], vcc
	s_xor_b64 s[14:15], exec, s[14:15]
; %bb.1013:
	v_bfe_u32 v2, v0, 21, 1
	s_mov_b32 s16, 0x80fffff
	v_add3_u32 v2, v0, v2, s16
	v_lshrrev_b32_e32 v2, 21, v2
; %bb.1014:
	s_andn2_saveexec_b64 s[14:15], s[14:15]
; %bb.1015:
	s_mov_b32 s16, 0x43000000
	v_add_f32_e64 v2, |v0|, s16
; %bb.1016:
	s_or_b64 exec, exec, s[14:15]
                                        ; implicit-def: $vgpr5
.LBB183_1017:
	s_andn2_saveexec_b64 s[12:13], s[12:13]
; %bb.1018:
	s_mov_b32 s14, 0x7f800000
	v_mov_b32_e32 v2, 0x7c
	v_mov_b32_e32 v6, 0x7f
	v_cmp_lt_u32_e32 vcc, s14, v5
	v_cndmask_b32_e32 v2, v2, v6, vcc
; %bb.1019:
	s_or_b64 exec, exec, s[12:13]
	v_lshrrev_b32_e32 v0, 24, v0
	s_movk_i32 s12, 0x80
	v_and_or_b32 v0, v0, s12, v2
	global_store_byte v[3:4], v0, off
.LBB183_1020:
	s_mov_b64 s[12:13], 0
.LBB183_1021:
	s_andn2_b64 vcc, exec, s[12:13]
	s_mov_b64 s[12:13], 0
	s_cbranch_vccnz .LBB183_1029
; %bb.1022:
	s_cmp_gt_i32 s19, 14
	s_mov_b64 s[14:15], -1
	s_cbranch_scc0 .LBB183_1026
; %bb.1023:
	s_cmp_eq_u32 s19, 15
	s_mov_b64 s[0:1], -1
	s_cbranch_scc0 .LBB183_1025
; %bb.1024:
	v_cvt_f32_i32_e32 v0, v1
	s_movk_i32 s0, 0x7fff
	v_bfe_u32 v2, v0, 16, 1
	v_add3_u32 v0, v0, v2, s0
	global_store_short_d16_hi v[3:4], v0, off
	s_mov_b64 s[0:1], 0
.LBB183_1025:
	s_mov_b64 s[14:15], 0
.LBB183_1026:
	s_and_b64 vcc, exec, s[14:15]
	s_cbranch_vccz .LBB183_1029
; %bb.1027:
	s_cmp_lg_u32 s19, 11
	s_cselect_b64 s[14:15], -1, 0
	s_andn2_b64 s[0:1], s[0:1], exec
	s_and_b64 s[14:15], s[14:15], exec
	s_mov_b64 s[12:13], -1
	s_or_b64 s[0:1], s[0:1], s[14:15]
	s_branch .LBB183_1029
.LBB183_1028:
	s_mov_b64 s[12:13], 0
.LBB183_1029:
	s_andn2_b64 s[14:15], s[54:55], exec
	s_and_b64 s[0:1], s[0:1], exec
	s_and_b64 s[10:11], s[10:11], exec
	s_and_b64 s[12:13], s[12:13], exec
	s_or_b64 s[54:55], s[14:15], s[0:1]
	s_or_b64 exec, exec, s[8:9]
	s_and_saveexec_b64 s[0:1], s[54:55]
	s_cbranch_execz .LBB183_958
.LBB183_1030:
	s_or_b64 s[2:3], s[2:3], exec
	s_andn2_b64 s[12:13], s[12:13], exec
	s_trap 2
	s_or_b64 exec, exec, s[0:1]
	s_and_saveexec_b64 s[0:1], s[12:13]
	s_xor_b64 s[0:1], exec, s[0:1]
	s_cbranch_execnz .LBB183_959
.LBB183_1031:
	s_or_b64 exec, exec, s[0:1]
	s_and_saveexec_b64 s[0:1], s[10:11]
	s_xor_b64 s[0:1], exec, s[0:1]
	s_cbranch_execz .LBB183_1069
.LBB183_1032:
	s_sext_i32_i16 s10, s18
	s_cmp_lt_i32 s10, 5
	s_mov_b64 s[8:9], -1
	s_cbranch_scc1 .LBB183_1053
; %bb.1033:
	s_cmp_lt_i32 s10, 8
	s_cbranch_scc1 .LBB183_1043
; %bb.1034:
	s_cmp_lt_i32 s10, 9
	s_cbranch_scc1 .LBB183_1040
; %bb.1035:
	s_cmp_gt_i32 s10, 9
	s_cbranch_scc0 .LBB183_1037
; %bb.1036:
	s_waitcnt vmcnt(0)
	v_cvt_f64_i32_e32 v[5:6], v1
	v_mov_b32_e32 v7, 0
	v_mov_b32_e32 v8, v7
	s_mov_b64 s[8:9], 0
	global_store_dwordx4 v[3:4], v[5:8], off
.LBB183_1037:
	s_andn2_b64 vcc, exec, s[8:9]
	s_cbranch_vccnz .LBB183_1039
; %bb.1038:
	s_waitcnt vmcnt(0)
	v_cvt_f32_i32_e32 v5, v1
	v_mov_b32_e32 v6, 0
	global_store_dwordx2 v[3:4], v[5:6], off
.LBB183_1039:
	s_mov_b64 s[8:9], 0
.LBB183_1040:
	s_andn2_b64 vcc, exec, s[8:9]
	s_cbranch_vccnz .LBB183_1042
; %bb.1041:
	v_cvt_f32_i32_e32 v0, v1
	v_cvt_f16_f32_e32 v0, v0
	s_waitcnt vmcnt(0)
	global_store_dword v[3:4], v0, off
.LBB183_1042:
	s_mov_b64 s[8:9], 0
.LBB183_1043:
	s_andn2_b64 vcc, exec, s[8:9]
	s_cbranch_vccnz .LBB183_1052
; %bb.1044:
	s_sext_i32_i16 s10, s18
	s_cmp_lt_i32 s10, 6
	s_mov_b64 s[8:9], -1
	s_cbranch_scc1 .LBB183_1050
; %bb.1045:
	s_cmp_gt_i32 s10, 6
	s_cbranch_scc0 .LBB183_1047
; %bb.1046:
	s_waitcnt vmcnt(0)
	v_cvt_f64_i32_e32 v[5:6], v1
	s_mov_b64 s[8:9], 0
	global_store_dwordx2 v[3:4], v[5:6], off
.LBB183_1047:
	s_andn2_b64 vcc, exec, s[8:9]
	s_cbranch_vccnz .LBB183_1049
; %bb.1048:
	v_cvt_f32_i32_e32 v0, v1
	s_waitcnt vmcnt(0)
	global_store_dword v[3:4], v0, off
.LBB183_1049:
	s_mov_b64 s[8:9], 0
.LBB183_1050:
	s_andn2_b64 vcc, exec, s[8:9]
	s_cbranch_vccnz .LBB183_1052
; %bb.1051:
	v_cvt_f32_i32_e32 v0, v1
	v_cvt_f16_f32_e32 v0, v0
	s_waitcnt vmcnt(0)
	global_store_short v[3:4], v0, off
.LBB183_1052:
	s_mov_b64 s[8:9], 0
.LBB183_1053:
	s_andn2_b64 vcc, exec, s[8:9]
	s_cbranch_vccnz .LBB183_1069
; %bb.1054:
	s_sext_i32_i16 s10, s18
	s_cmp_lt_i32 s10, 2
	s_mov_b64 s[8:9], -1
	s_cbranch_scc1 .LBB183_1064
; %bb.1055:
	s_cmp_lt_i32 s10, 3
	s_cbranch_scc1 .LBB183_1061
; %bb.1056:
	s_cmp_gt_i32 s10, 3
	s_cbranch_scc0 .LBB183_1058
; %bb.1057:
	v_ashrrev_i32_e32 v2, 31, v1
	s_mov_b64 s[8:9], 0
	s_waitcnt vmcnt(0)
	global_store_dwordx2 v[3:4], v[1:2], off
.LBB183_1058:
	s_andn2_b64 vcc, exec, s[8:9]
	s_cbranch_vccnz .LBB183_1060
; %bb.1059:
	s_waitcnt vmcnt(0)
	global_store_dword v[3:4], v1, off
.LBB183_1060:
	s_mov_b64 s[8:9], 0
.LBB183_1061:
	s_andn2_b64 vcc, exec, s[8:9]
	s_cbranch_vccnz .LBB183_1063
; %bb.1062:
	s_waitcnt vmcnt(0)
	global_store_short v[3:4], v1, off
.LBB183_1063:
	s_mov_b64 s[8:9], 0
.LBB183_1064:
	s_andn2_b64 vcc, exec, s[8:9]
	s_cbranch_vccnz .LBB183_1069
; %bb.1065:
	s_sext_i32_i16 s8, s18
	s_cmp_gt_i32 s8, 0
	s_mov_b64 s[8:9], -1
	s_cbranch_scc0 .LBB183_1067
; %bb.1066:
	s_mov_b64 s[8:9], 0
	s_waitcnt vmcnt(0)
	global_store_byte v[3:4], v1, off
.LBB183_1067:
	s_andn2_b64 vcc, exec, s[8:9]
	s_cbranch_vccnz .LBB183_1069
; %bb.1068:
	s_waitcnt vmcnt(0)
	global_store_byte v[3:4], v1, off
.LBB183_1069:
	s_or_b64 exec, exec, s[0:1]
	s_and_b64 s[28:29], s[2:3], exec
                                        ; implicit-def: $vgpr15
                                        ; implicit-def: $vgpr8
.LBB183_1070:
	s_or_saveexec_b64 s[30:31], s[42:43]
	s_mov_b64 s[0:1], 0
                                        ; implicit-def: $vgpr0_vgpr1
                                        ; implicit-def: $sgpr14
                                        ; implicit-def: $vgpr2
	s_xor_b64 exec, exec, s[30:31]
	s_cbranch_execz .LBB183_2057
; %bb.1071:
	v_cndmask_b32_e64 v0, 0, 1, s[40:41]
	v_cmp_ne_u32_e64 s[0:1], 1, v0
	s_andn2_b64 vcc, exec, s[40:41]
	s_cbranch_vccnz .LBB183_1077
; %bb.1072:
	s_cmp_lg_u32 s33, 0
	s_mov_b32 s36, 0
	s_cbranch_scc0 .LBB183_1078
; %bb.1073:
	s_min_u32 s37, s74, 15
	s_add_i32 s37, s37, 1
	s_cmp_eq_u32 s74, 2
	s_cbranch_scc1 .LBB183_1079
; %bb.1074:
	s_and_b32 s36, s37, 28
	s_add_u32 s2, s34, 0xc4
	s_addc_u32 s3, s35, 0
	v_mov_b32_e32 v13, 0
	s_mov_b32 s38, 0
	s_mov_b64 s[6:7], s[34:35]
	v_mov_b32_e32 v6, 0
	v_mov_b32_e32 v0, v8
.LBB183_1075:                           ; =>This Inner Loop Header: Depth=1
	s_load_dwordx8 s[16:23], s[6:7], 0x4
	s_load_dwordx4 s[24:27], s[6:7], 0x24
	s_load_dwordx8 s[8:15], s[2:3], 0x0
	s_add_u32 s6, s6, 48
	s_addc_u32 s7, s7, 0
	s_waitcnt lgkmcnt(0)
	v_mul_hi_u32 v1, s17, v0
	s_add_i32 s38, s38, 4
	s_add_u32 s2, s2, 32
	s_addc_u32 s3, s3, 0
	v_add_u32_e32 v1, v0, v1
	v_lshrrev_b32_e32 v1, s18, v1
	v_mul_lo_u32 v2, v1, s16
	s_waitcnt vmcnt(0)
	v_mul_hi_u32 v3, s20, v1
	s_cmp_lg_u32 s36, s38
	v_sub_u32_e32 v0, v0, v2
	v_add_u32_e32 v2, v1, v3
	v_mul_lo_u32 v3, v0, s8
	v_mul_lo_u32 v4, v0, s9
	v_lshrrev_b32_e32 v0, s21, v2
	v_mul_lo_u32 v2, v0, s19
	v_mul_hi_u32 v5, s23, v0
	v_sub_u32_e32 v1, v1, v2
	v_add_u32_e32 v2, v0, v5
	v_lshrrev_b32_e32 v2, s24, v2
	v_mul_hi_u32 v7, s26, v2
	v_mul_lo_u32 v9, v2, s22
	v_mul_lo_u32 v5, v1, s10
	;; [unrolled: 1-line block ×3, first 2 shown]
	v_sub_u32_e32 v9, v0, v9
	v_add_u32_e32 v0, v2, v7
	v_lshrrev_b32_e32 v0, s27, v0
	v_mul_lo_u32 v7, v0, s25
	v_mul_lo_u32 v10, v9, s12
	;; [unrolled: 1-line block ×3, first 2 shown]
	v_add3_u32 v3, v3, v6, v5
	v_sub_u32_e32 v2, v2, v7
	v_mul_lo_u32 v7, v2, s14
	v_mul_lo_u32 v2, v2, s15
	v_add3_u32 v1, v4, v13, v1
	v_add3_u32 v6, v10, v3, v7
	;; [unrolled: 1-line block ×3, first 2 shown]
	s_cbranch_scc1 .LBB183_1075
; %bb.1076:
	s_and_b32 s8, s37, 3
	s_cmp_eq_u32 s8, 0
	s_cbranch_scc0 .LBB183_1080
	s_branch .LBB183_1082
.LBB183_1077:
                                        ; implicit-def: $vgpr6
                                        ; implicit-def: $vgpr13
	s_branch .LBB183_1083
.LBB183_1078:
	v_mov_b32_e32 v6, 0
	v_mov_b32_e32 v13, 0
	s_branch .LBB183_1082
.LBB183_1079:
	v_mov_b32_e32 v6, 0
	v_mov_b32_e32 v13, 0
	;; [unrolled: 1-line block ×3, first 2 shown]
	s_and_b32 s8, s37, 3
	s_cmp_eq_u32 s8, 0
	s_cbranch_scc1 .LBB183_1082
.LBB183_1080:
	s_lshl_b32 s2, s36, 3
	s_add_u32 s2, s34, s2
	s_addc_u32 s3, s35, 0
	s_add_u32 s2, s2, 0xc4
	s_addc_u32 s3, s3, 0
	s_mul_i32 s6, s36, 12
	s_add_u32 s6, s34, s6
	s_addc_u32 s7, s35, 0
.LBB183_1081:                           ; =>This Inner Loop Header: Depth=1
	s_load_dwordx2 s[10:11], s[6:7], 0x4
	s_load_dword s9, s[6:7], 0xc
	s_load_dwordx2 s[12:13], s[2:3], 0x0
	s_add_u32 s6, s6, 12
	s_addc_u32 s7, s7, 0
	s_waitcnt lgkmcnt(0)
	v_mul_hi_u32 v1, s11, v0
	s_add_u32 s2, s2, 8
	s_addc_u32 s3, s3, 0
	s_add_i32 s8, s8, -1
	v_add_u32_e32 v1, v0, v1
	v_lshrrev_b32_e32 v1, s9, v1
	v_mul_lo_u32 v2, v1, s10
	s_cmp_lg_u32 s8, 0
	v_sub_u32_e32 v0, v0, v2
	v_mad_u64_u32 v[6:7], s[10:11], v0, s12, v[6:7]
	v_mad_u64_u32 v[13:14], s[10:11], v0, s13, v[13:14]
	v_mov_b32_e32 v0, v1
	s_cbranch_scc1 .LBB183_1081
.LBB183_1082:
	s_cbranch_execnz .LBB183_1085
.LBB183_1083:
	s_load_dwordx4 s[8:11], s[34:35], 0x4
	s_load_dwordx2 s[2:3], s[34:35], 0xc4
	s_cmp_lt_u32 s33, 2
	s_waitcnt lgkmcnt(0)
	v_mul_hi_u32 v0, s9, v8
	v_add_u32_e32 v0, v8, v0
	v_lshrrev_b32_e32 v0, s10, v0
	v_mul_lo_u32 v1, v0, s8
	v_sub_u32_e32 v1, v8, v1
	v_mul_lo_u32 v6, v1, s2
	v_mul_lo_u32 v13, v1, s3
	s_cbranch_scc1 .LBB183_1085
; %bb.1084:
	s_load_dwordx4 s[8:11], s[34:35], 0x10
	s_load_dwordx2 s[2:3], s[34:35], 0xcc
	s_waitcnt lgkmcnt(0)
	v_mul_hi_u32 v1, s9, v0
	v_add_u32_e32 v1, v0, v1
	v_lshrrev_b32_e32 v1, s10, v1
	v_mul_lo_u32 v1, v1, s8
	v_sub_u32_e32 v0, v0, v1
	v_mad_u64_u32 v[6:7], s[6:7], v0, s2, v[6:7]
	v_mad_u64_u32 v[13:14], s[2:3], v0, s3, v[13:14]
.LBB183_1085:
	s_and_b64 vcc, exec, s[0:1]
	v_add_u32_e32 v0, 0x80, v8
	s_cbranch_vccnz .LBB183_1091
; %bb.1086:
	s_cmp_lg_u32 s33, 0
	s_mov_b32 s36, 0
	s_cbranch_scc0 .LBB183_1092
; %bb.1087:
	s_min_u32 s37, s74, 15
	s_add_i32 s37, s37, 1
	s_cmp_eq_u32 s74, 2
	s_cbranch_scc1 .LBB183_1093
; %bb.1088:
	s_and_b32 s36, s37, 28
	s_add_u32 s2, s34, 0xc4
	s_addc_u32 s3, s35, 0
	v_mov_b32_e32 v11, 0
	s_mov_b32 s38, 0
	s_mov_b64 s[6:7], s[34:35]
	v_mov_b32_e32 v4, 0
	v_mov_b32_e32 v1, v0
.LBB183_1089:                           ; =>This Inner Loop Header: Depth=1
	s_load_dwordx8 s[16:23], s[6:7], 0x4
	s_load_dwordx4 s[24:27], s[6:7], 0x24
	s_load_dwordx8 s[8:15], s[2:3], 0x0
	s_add_u32 s6, s6, 48
	s_addc_u32 s7, s7, 0
	s_waitcnt lgkmcnt(0)
	v_mul_hi_u32 v2, s17, v1
	s_add_i32 s38, s38, 4
	s_add_u32 s2, s2, 32
	s_addc_u32 s3, s3, 0
	v_add_u32_e32 v2, v1, v2
	v_lshrrev_b32_e32 v2, s18, v2
	s_waitcnt vmcnt(0)
	v_mul_lo_u32 v3, v2, s16
	v_mul_hi_u32 v5, s20, v2
	s_cmp_lg_u32 s36, s38
	v_sub_u32_e32 v1, v1, v3
	v_add_u32_e32 v3, v2, v5
	v_mul_lo_u32 v5, v1, s8
	v_mul_lo_u32 v7, v1, s9
	v_lshrrev_b32_e32 v1, s21, v3
	v_mul_lo_u32 v3, v1, s19
	v_mul_hi_u32 v9, s23, v1
	v_sub_u32_e32 v2, v2, v3
	v_add_u32_e32 v3, v1, v9
	v_lshrrev_b32_e32 v3, s24, v3
	v_mul_hi_u32 v10, s26, v3
	v_mul_lo_u32 v12, v3, s22
	v_mul_lo_u32 v9, v2, s10
	;; [unrolled: 1-line block ×3, first 2 shown]
	v_sub_u32_e32 v12, v1, v12
	v_add_u32_e32 v1, v3, v10
	v_lshrrev_b32_e32 v1, s27, v1
	v_mul_lo_u32 v10, v1, s25
	v_mul_lo_u32 v14, v12, s12
	;; [unrolled: 1-line block ×3, first 2 shown]
	v_add3_u32 v4, v5, v4, v9
	v_sub_u32_e32 v3, v3, v10
	v_mul_lo_u32 v10, v3, s14
	v_mul_lo_u32 v3, v3, s15
	v_add3_u32 v2, v7, v11, v2
	v_add3_u32 v4, v14, v4, v10
	;; [unrolled: 1-line block ×3, first 2 shown]
	s_cbranch_scc1 .LBB183_1089
; %bb.1090:
	s_and_b32 s8, s37, 3
	s_cmp_eq_u32 s8, 0
	s_cbranch_scc0 .LBB183_1094
	s_branch .LBB183_1096
.LBB183_1091:
                                        ; implicit-def: $vgpr4
                                        ; implicit-def: $vgpr11
	s_branch .LBB183_1097
.LBB183_1092:
	v_mov_b32_e32 v4, 0
	v_mov_b32_e32 v11, 0
	s_branch .LBB183_1096
.LBB183_1093:
	v_mov_b32_e32 v4, 0
	v_mov_b32_e32 v11, 0
	;; [unrolled: 1-line block ×3, first 2 shown]
	s_and_b32 s8, s37, 3
	s_cmp_eq_u32 s8, 0
	s_cbranch_scc1 .LBB183_1096
.LBB183_1094:
	s_lshl_b32 s2, s36, 3
	s_add_u32 s2, s34, s2
	s_addc_u32 s3, s35, 0
	s_add_u32 s2, s2, 0xc4
	s_addc_u32 s3, s3, 0
	s_mul_i32 s6, s36, 12
	s_add_u32 s6, s34, s6
	s_addc_u32 s7, s35, 0
.LBB183_1095:                           ; =>This Inner Loop Header: Depth=1
	s_load_dwordx2 s[10:11], s[6:7], 0x4
	s_load_dword s9, s[6:7], 0xc
	s_load_dwordx2 s[12:13], s[2:3], 0x0
	s_add_u32 s6, s6, 12
	s_addc_u32 s7, s7, 0
	s_waitcnt lgkmcnt(0)
	v_mul_hi_u32 v2, s11, v1
	s_add_u32 s2, s2, 8
	s_addc_u32 s3, s3, 0
	s_add_i32 s8, s8, -1
	v_add_u32_e32 v2, v1, v2
	v_lshrrev_b32_e32 v2, s9, v2
	s_waitcnt vmcnt(0)
	v_mul_lo_u32 v3, v2, s10
	s_cmp_lg_u32 s8, 0
	v_sub_u32_e32 v1, v1, v3
	v_mad_u64_u32 v[4:5], s[10:11], v1, s12, v[4:5]
	v_mad_u64_u32 v[11:12], s[10:11], v1, s13, v[11:12]
	v_mov_b32_e32 v1, v2
	s_cbranch_scc1 .LBB183_1095
.LBB183_1096:
	s_cbranch_execnz .LBB183_1099
.LBB183_1097:
	s_load_dwordx4 s[8:11], s[34:35], 0x4
	s_load_dwordx2 s[2:3], s[34:35], 0xc4
	s_cmp_lt_u32 s33, 2
	s_waitcnt lgkmcnt(0)
	v_mul_hi_u32 v1, s9, v0
	v_add_u32_e32 v1, v0, v1
	v_lshrrev_b32_e32 v1, s10, v1
	v_mul_lo_u32 v2, v1, s8
	v_sub_u32_e32 v0, v0, v2
	v_mul_lo_u32 v4, v0, s2
	v_mul_lo_u32 v11, v0, s3
	s_cbranch_scc1 .LBB183_1099
; %bb.1098:
	s_load_dwordx4 s[8:11], s[34:35], 0x10
	s_load_dwordx2 s[2:3], s[34:35], 0xcc
	s_waitcnt lgkmcnt(0)
	v_mul_hi_u32 v0, s9, v1
	v_add_u32_e32 v0, v1, v0
	v_lshrrev_b32_e32 v0, s10, v0
	v_mul_lo_u32 v0, v0, s8
	v_sub_u32_e32 v0, v1, v0
	s_waitcnt vmcnt(0)
	v_mad_u64_u32 v[4:5], s[6:7], v0, s2, v[4:5]
	v_mad_u64_u32 v[11:12], s[2:3], v0, s3, v[11:12]
.LBB183_1099:
	s_and_b64 vcc, exec, s[0:1]
	v_add_u32_e32 v0, 0x100, v8
	s_cbranch_vccnz .LBB183_1105
; %bb.1100:
	s_cmp_lg_u32 s33, 0
	s_mov_b32 s36, 0
	s_cbranch_scc0 .LBB183_1106
; %bb.1101:
	s_min_u32 s37, s74, 15
	s_add_i32 s37, s37, 1
	s_cmp_eq_u32 s74, 2
	s_cbranch_scc1 .LBB183_1107
; %bb.1102:
	s_and_b32 s36, s37, 28
	s_add_u32 s2, s34, 0xc4
	s_addc_u32 s3, s35, 0
	v_mov_b32_e32 v9, 0
	s_mov_b32 s38, 0
	s_mov_b64 s[6:7], s[34:35]
	v_mov_b32_e32 v2, 0
	v_mov_b32_e32 v1, v0
.LBB183_1103:                           ; =>This Inner Loop Header: Depth=1
	s_load_dwordx8 s[16:23], s[6:7], 0x4
	s_load_dwordx4 s[24:27], s[6:7], 0x24
	s_load_dwordx8 s[8:15], s[2:3], 0x0
	s_add_u32 s6, s6, 48
	s_addc_u32 s7, s7, 0
	s_waitcnt vmcnt(0) lgkmcnt(0)
	v_mul_hi_u32 v3, s17, v1
	s_add_i32 s38, s38, 4
	s_add_u32 s2, s2, 32
	s_addc_u32 s3, s3, 0
	v_add_u32_e32 v3, v1, v3
	v_lshrrev_b32_e32 v3, s18, v3
	v_mul_lo_u32 v5, v3, s16
	v_mul_hi_u32 v7, s20, v3
	s_cmp_lg_u32 s36, s38
	v_sub_u32_e32 v1, v1, v5
	v_add_u32_e32 v5, v3, v7
	v_mul_lo_u32 v7, v1, s8
	v_mul_lo_u32 v8, v1, s9
	v_lshrrev_b32_e32 v1, s21, v5
	v_mul_lo_u32 v5, v1, s19
	v_mul_hi_u32 v10, s23, v1
	v_sub_u32_e32 v3, v3, v5
	v_add_u32_e32 v5, v1, v10
	v_lshrrev_b32_e32 v5, s24, v5
	v_mul_hi_u32 v12, s26, v5
	v_mul_lo_u32 v14, v5, s22
	v_mul_lo_u32 v10, v3, s10
	;; [unrolled: 1-line block ×3, first 2 shown]
	v_sub_u32_e32 v14, v1, v14
	v_add_u32_e32 v1, v5, v12
	v_lshrrev_b32_e32 v1, s27, v1
	v_mul_lo_u32 v12, v1, s25
	v_mul_lo_u32 v16, v14, s12
	;; [unrolled: 1-line block ×3, first 2 shown]
	v_add3_u32 v2, v7, v2, v10
	v_sub_u32_e32 v5, v5, v12
	v_mul_lo_u32 v12, v5, s14
	v_mul_lo_u32 v5, v5, s15
	v_add3_u32 v3, v8, v9, v3
	v_add3_u32 v2, v16, v2, v12
	;; [unrolled: 1-line block ×3, first 2 shown]
	s_cbranch_scc1 .LBB183_1103
; %bb.1104:
	s_and_b32 s8, s37, 3
	s_cmp_eq_u32 s8, 0
	s_cbranch_scc0 .LBB183_1108
	s_branch .LBB183_1110
.LBB183_1105:
                                        ; implicit-def: $vgpr2
                                        ; implicit-def: $vgpr9
	s_branch .LBB183_1111
.LBB183_1106:
	v_mov_b32_e32 v2, 0
	v_mov_b32_e32 v9, 0
	s_branch .LBB183_1110
.LBB183_1107:
	v_mov_b32_e32 v2, 0
	v_mov_b32_e32 v9, 0
	;; [unrolled: 1-line block ×3, first 2 shown]
	s_and_b32 s8, s37, 3
	s_cmp_eq_u32 s8, 0
	s_cbranch_scc1 .LBB183_1110
.LBB183_1108:
	s_lshl_b32 s2, s36, 3
	s_add_u32 s2, s34, s2
	s_addc_u32 s3, s35, 0
	s_add_u32 s2, s2, 0xc4
	s_addc_u32 s3, s3, 0
	s_mul_i32 s6, s36, 12
	s_add_u32 s6, s34, s6
	s_addc_u32 s7, s35, 0
.LBB183_1109:                           ; =>This Inner Loop Header: Depth=1
	s_load_dwordx2 s[10:11], s[6:7], 0x4
	s_load_dword s9, s[6:7], 0xc
	s_load_dwordx2 s[12:13], s[2:3], 0x0
	s_add_u32 s6, s6, 12
	s_addc_u32 s7, s7, 0
	s_waitcnt vmcnt(0) lgkmcnt(0)
	v_mul_hi_u32 v3, s11, v1
	s_add_u32 s2, s2, 8
	s_addc_u32 s3, s3, 0
	s_add_i32 s8, s8, -1
	v_add_u32_e32 v3, v1, v3
	v_lshrrev_b32_e32 v5, s9, v3
	v_mul_lo_u32 v3, v5, s10
	s_cmp_lg_u32 s8, 0
	v_sub_u32_e32 v1, v1, v3
	v_mad_u64_u32 v[2:3], s[10:11], v1, s12, v[2:3]
	v_mad_u64_u32 v[9:10], s[10:11], v1, s13, v[9:10]
	v_mov_b32_e32 v1, v5
	s_cbranch_scc1 .LBB183_1109
.LBB183_1110:
	s_cbranch_execnz .LBB183_1113
.LBB183_1111:
	s_load_dwordx4 s[8:11], s[34:35], 0x4
	s_load_dwordx2 s[2:3], s[34:35], 0xc4
	s_cmp_lt_u32 s33, 2
	s_waitcnt lgkmcnt(0)
	v_mul_hi_u32 v1, s9, v0
	v_add_u32_e32 v1, v0, v1
	v_lshrrev_b32_e32 v1, s10, v1
	v_mul_lo_u32 v2, v1, s8
	v_sub_u32_e32 v0, v0, v2
	v_mul_lo_u32 v2, v0, s2
	v_mul_lo_u32 v9, v0, s3
	s_cbranch_scc1 .LBB183_1113
; %bb.1112:
	s_load_dwordx4 s[8:11], s[34:35], 0x10
	s_load_dwordx2 s[2:3], s[34:35], 0xcc
	s_waitcnt lgkmcnt(0)
	v_mul_hi_u32 v0, s9, v1
	v_add_u32_e32 v0, v1, v0
	v_lshrrev_b32_e32 v0, s10, v0
	v_mul_lo_u32 v0, v0, s8
	v_sub_u32_e32 v0, v1, v0
	s_waitcnt vmcnt(0)
	v_mad_u64_u32 v[2:3], s[6:7], v0, s2, v[2:3]
	v_mad_u64_u32 v[9:10], s[2:3], v0, s3, v[9:10]
.LBB183_1113:
	s_and_b64 vcc, exec, s[0:1]
	s_cbranch_vccnz .LBB183_1119
; %bb.1114:
	s_cmp_lg_u32 s33, 0
	s_mov_b32 s26, 0
	s_cbranch_scc0 .LBB183_1120
; %bb.1115:
	s_min_u32 s27, s74, 15
	s_add_i32 s27, s27, 1
	s_cmp_eq_u32 s74, 2
	s_cbranch_scc1 .LBB183_1121
; %bb.1116:
	s_and_b32 s26, s27, 28
	s_add_u32 s6, s34, 0xc4
	s_addc_u32 s7, s35, 0
	v_mov_b32_e32 v7, 0
	s_mov_b32 s36, 0
	s_mov_b64 s[24:25], s[34:35]
	v_mov_b32_e32 v0, 0
	v_mov_b32_e32 v1, v15
.LBB183_1117:                           ; =>This Inner Loop Header: Depth=1
	s_load_dwordx8 s[16:23], s[24:25], 0x4
	s_load_dwordx4 s[0:3], s[24:25], 0x24
	s_load_dwordx8 s[8:15], s[6:7], 0x0
	s_add_u32 s24, s24, 48
	s_addc_u32 s25, s25, 0
	s_waitcnt vmcnt(0) lgkmcnt(0)
	v_mul_hi_u32 v3, s17, v1
	s_add_i32 s36, s36, 4
	s_add_u32 s6, s6, 32
	s_addc_u32 s7, s7, 0
	v_add_u32_e32 v3, v1, v3
	v_lshrrev_b32_e32 v3, s18, v3
	v_mul_lo_u32 v5, v3, s16
	v_mul_hi_u32 v8, s20, v3
	s_cmp_lg_u32 s26, s36
	v_sub_u32_e32 v1, v1, v5
	v_add_u32_e32 v5, v3, v8
	v_mul_lo_u32 v8, v1, s8
	v_mul_lo_u32 v10, v1, s9
	v_lshrrev_b32_e32 v1, s21, v5
	v_mul_lo_u32 v5, v1, s19
	v_mul_hi_u32 v12, s23, v1
	v_sub_u32_e32 v3, v3, v5
	v_add_u32_e32 v5, v1, v12
	v_lshrrev_b32_e32 v5, s0, v5
	v_mul_hi_u32 v14, s2, v5
	v_mul_lo_u32 v16, v5, s22
	v_mul_lo_u32 v12, v3, s10
	;; [unrolled: 1-line block ×3, first 2 shown]
	v_sub_u32_e32 v16, v1, v16
	v_add_u32_e32 v1, v5, v14
	v_lshrrev_b32_e32 v1, s3, v1
	v_mul_lo_u32 v14, v1, s1
	v_mul_lo_u32 v17, v16, s12
	v_mul_lo_u32 v16, v16, s13
	v_add3_u32 v0, v8, v0, v12
	v_sub_u32_e32 v5, v5, v14
	v_mul_lo_u32 v14, v5, s14
	v_mul_lo_u32 v5, v5, s15
	v_add3_u32 v3, v10, v7, v3
	v_add3_u32 v0, v17, v0, v14
	;; [unrolled: 1-line block ×3, first 2 shown]
	s_cbranch_scc1 .LBB183_1117
; %bb.1118:
	s_and_b32 s6, s27, 3
	s_cmp_eq_u32 s6, 0
	s_cbranch_scc0 .LBB183_1122
	s_branch .LBB183_1124
.LBB183_1119:
                                        ; implicit-def: $vgpr0
                                        ; implicit-def: $vgpr7
	s_branch .LBB183_1125
.LBB183_1120:
	v_mov_b32_e32 v0, 0
	v_mov_b32_e32 v7, 0
	s_branch .LBB183_1124
.LBB183_1121:
	v_mov_b32_e32 v0, 0
	v_mov_b32_e32 v7, 0
	v_mov_b32_e32 v1, v15
	s_and_b32 s6, s27, 3
	s_cmp_eq_u32 s6, 0
	s_cbranch_scc1 .LBB183_1124
.LBB183_1122:
	s_lshl_b32 s0, s26, 3
	s_add_u32 s0, s34, s0
	s_addc_u32 s1, s35, 0
	s_add_u32 s0, s0, 0xc4
	s_addc_u32 s1, s1, 0
	s_mul_i32 s2, s26, 12
	s_add_u32 s2, s34, s2
	s_addc_u32 s3, s35, 0
.LBB183_1123:                           ; =>This Inner Loop Header: Depth=1
	s_load_dwordx2 s[8:9], s[2:3], 0x4
	s_load_dword s7, s[2:3], 0xc
	s_load_dwordx2 s[10:11], s[0:1], 0x0
	s_add_u32 s2, s2, 12
	s_addc_u32 s3, s3, 0
	s_waitcnt vmcnt(0) lgkmcnt(0)
	v_mul_hi_u32 v3, s9, v1
	s_add_u32 s0, s0, 8
	s_addc_u32 s1, s1, 0
	s_add_i32 s6, s6, -1
	v_add_u32_e32 v3, v1, v3
	v_lshrrev_b32_e32 v3, s7, v3
	v_mul_lo_u32 v5, v3, s8
	s_cmp_lg_u32 s6, 0
	v_sub_u32_e32 v5, v1, v5
	v_mad_u64_u32 v[0:1], s[8:9], v5, s10, v[0:1]
	v_mad_u64_u32 v[7:8], s[8:9], v5, s11, v[7:8]
	v_mov_b32_e32 v1, v3
	s_cbranch_scc1 .LBB183_1123
.LBB183_1124:
	s_cbranch_execnz .LBB183_1127
.LBB183_1125:
	s_load_dwordx4 s[0:3], s[34:35], 0x4
	s_load_dwordx2 s[6:7], s[34:35], 0xc4
	s_cmp_lt_u32 s33, 2
	s_waitcnt lgkmcnt(0)
	v_mul_hi_u32 v0, s1, v15
	v_add_u32_e32 v0, v15, v0
	v_lshrrev_b32_e32 v1, s2, v0
	v_mul_lo_u32 v0, v1, s0
	s_waitcnt vmcnt(0)
	v_sub_u32_e32 v3, v15, v0
	v_mul_lo_u32 v0, v3, s6
	v_mul_lo_u32 v7, v3, s7
	s_cbranch_scc1 .LBB183_1127
; %bb.1126:
	s_load_dwordx4 s[0:3], s[34:35], 0x10
	s_load_dwordx2 s[6:7], s[34:35], 0xcc
	s_waitcnt lgkmcnt(0)
	v_mul_hi_u32 v3, s1, v1
	v_add_u32_e32 v3, v1, v3
	v_lshrrev_b32_e32 v3, s2, v3
	v_mul_lo_u32 v3, v3, s0
	v_sub_u32_e32 v3, v1, v3
	v_mad_u64_u32 v[0:1], s[0:1], v3, s6, v[0:1]
	v_mad_u64_u32 v[7:8], s[0:1], v3, s7, v[7:8]
.LBB183_1127:
	s_load_dwordx4 s[8:11], s[34:35], 0x148
	s_load_dword s12, s[4:5], 0x168
	s_waitcnt lgkmcnt(0)
	v_mov_b32_e32 v1, s11
	s_bfe_u32 s13, s12, 0x80008
	v_add_co_u32_e32 v12, vcc, s10, v13
	s_cmp_lt_i32 s13, 11
	v_addc_co_u32_e32 v13, vcc, 0, v1, vcc
	s_cbranch_scc1 .LBB183_1134
; %bb.1128:
	s_and_b32 s14, 0xffff, s13
	s_cmp_gt_i32 s14, 25
	s_mov_b64 s[4:5], 0
	s_cbranch_scc0 .LBB183_1136
; %bb.1129:
	s_cmp_gt_i32 s14, 28
	s_cbranch_scc0 .LBB183_1137
; %bb.1130:
	s_cmp_gt_i32 s14, 43
	;; [unrolled: 3-line block ×3, first 2 shown]
	s_cbranch_scc0 .LBB183_1139
; %bb.1132:
	s_cmp_eq_u32 s14, 46
	s_mov_b64 s[2:3], 0
	s_cbranch_scc0 .LBB183_1142
; %bb.1133:
	global_load_dword v1, v[12:13], off
	s_mov_b64 s[0:1], 0
	s_mov_b64 s[6:7], -1
	s_waitcnt vmcnt(0)
	v_lshlrev_b32_e32 v1, 16, v1
	v_cvt_i32_f32_e32 v5, v1
	s_branch .LBB183_1143
.LBB183_1134:
	s_mov_b64 s[6:7], 0
                                        ; implicit-def: $vgpr5
	s_mov_b64 s[2:3], s[28:29]
	s_cbranch_execnz .LBB183_1201
.LBB183_1135:
	s_andn2_b64 vcc, exec, s[6:7]
	s_cbranch_vccz .LBB183_1246
	s_branch .LBB183_2055
.LBB183_1136:
	s_mov_b64 s[6:7], 0
	s_mov_b64 s[0:1], 0
                                        ; implicit-def: $vgpr5
	s_cbranch_execnz .LBB183_1168
	s_branch .LBB183_1197
.LBB183_1137:
	s_mov_b64 s[6:7], 0
	s_mov_b64 s[0:1], 0
                                        ; implicit-def: $vgpr5
	s_cbranch_execz .LBB183_1167
	s_branch .LBB183_1152
.LBB183_1138:
	s_mov_b64 s[6:7], 0
	s_mov_b64 s[0:1], 0
                                        ; implicit-def: $vgpr5
	s_cbranch_execnz .LBB183_1148
	s_branch .LBB183_1151
.LBB183_1139:
	s_mov_b64 s[2:3], -1
	s_mov_b64 s[6:7], 0
	s_mov_b64 s[0:1], 0
                                        ; implicit-def: $vgpr5
	s_branch .LBB183_1143
.LBB183_1140:
	s_andn2_saveexec_b64 s[14:15], s[14:15]
	s_cbranch_execz .LBB183_983
.LBB183_1141:
	s_mov_b32 s16, 0x46000000
	v_add_f32_e64 v2, |v0|, s16
	v_and_b32_e32 v2, 0xff, v2
	v_cmp_ne_u32_e32 vcc, 0, v2
	s_andn2_b64 s[12:13], s[12:13], exec
	s_and_b64 s[16:17], vcc, exec
	s_or_b64 s[12:13], s[12:13], s[16:17]
	s_or_b64 exec, exec, s[14:15]
	v_mov_b32_e32 v5, 0
	s_and_saveexec_b64 s[14:15], s[12:13]
	s_cbranch_execnz .LBB183_984
	s_branch .LBB183_985
.LBB183_1142:
	s_mov_b64 s[0:1], -1
                                        ; implicit-def: $vgpr5
	s_mov_b64 s[6:7], 0
.LBB183_1143:
	s_and_b64 vcc, exec, s[2:3]
	s_cbranch_vccz .LBB183_1146
; %bb.1144:
	s_cmp_eq_u32 s14, 44
	s_cbranch_scc0 .LBB183_1147
; %bb.1145:
	global_load_ubyte v1, v[12:13], off
	s_mov_b64 s[0:1], 0
	s_mov_b64 s[6:7], -1
	s_waitcnt vmcnt(0)
	v_lshlrev_b32_e32 v3, 23, v1
	v_cvt_i32_f32_e32 v3, v3
	v_cmp_ne_u32_e32 vcc, 0, v1
	v_cndmask_b32_e32 v5, 0, v3, vcc
.LBB183_1146:
	s_branch .LBB183_1151
.LBB183_1147:
	s_mov_b64 s[0:1], -1
                                        ; implicit-def: $vgpr5
	s_branch .LBB183_1151
.LBB183_1148:
	s_cmp_eq_u32 s14, 29
	s_cbranch_scc0 .LBB183_1150
; %bb.1149:
	global_load_dword v5, v[12:13], off
	s_mov_b64 s[0:1], 0
	s_mov_b64 s[6:7], -1
	s_branch .LBB183_1151
.LBB183_1150:
	s_mov_b64 s[0:1], -1
                                        ; implicit-def: $vgpr5
.LBB183_1151:
	s_branch .LBB183_1167
.LBB183_1152:
	s_cmp_lt_i32 s14, 27
	s_cbranch_scc1 .LBB183_1155
; %bb.1153:
	s_cmp_gt_i32 s14, 27
	s_cbranch_scc0 .LBB183_1156
; %bb.1154:
	global_load_dword v5, v[12:13], off
	s_mov_b64 s[2:3], 0
	s_branch .LBB183_1157
.LBB183_1155:
	s_mov_b64 s[2:3], -1
                                        ; implicit-def: $vgpr5
	s_branch .LBB183_1160
.LBB183_1156:
	s_mov_b64 s[2:3], -1
                                        ; implicit-def: $vgpr5
.LBB183_1157:
	s_andn2_b64 vcc, exec, s[2:3]
	s_cbranch_vccnz .LBB183_1159
; %bb.1158:
	global_load_ushort v5, v[12:13], off
.LBB183_1159:
	s_mov_b64 s[2:3], 0
.LBB183_1160:
	s_andn2_b64 vcc, exec, s[2:3]
	s_cbranch_vccnz .LBB183_1166
; %bb.1161:
	global_load_ubyte v1, v[12:13], off
	s_movk_i32 s2, 0x7f
	s_mov_b64 s[6:7], 0
	s_waitcnt vmcnt(0)
	v_cmp_lt_i16_e32 vcc, s2, v1
	s_and_saveexec_b64 s[2:3], vcc
	s_xor_b64 s[2:3], exec, s[2:3]
	s_cbranch_execz .LBB183_1177
; %bb.1162:
	s_movk_i32 s6, 0x80
	v_cmp_ne_u16_e32 vcc, s6, v1
	s_and_b64 s[6:7], vcc, exec
	s_andn2_saveexec_b64 s[2:3], s[2:3]
	s_cbranch_execnz .LBB183_1178
.LBB183_1163:
	s_or_b64 exec, exec, s[2:3]
	v_mov_b32_e32 v5, 0
	s_and_saveexec_b64 s[2:3], s[6:7]
	s_cbranch_execz .LBB183_1165
.LBB183_1164:
	v_lshlrev_b32_e32 v3, 24, v1
	v_and_b32_e32 v1, 0xffff, v1
	v_and_b32_e32 v5, 7, v1
	v_ffbh_u32_e32 v10, v5
	v_min_u32_e32 v10, 32, v10
	v_subrev_u32_e32 v14, 28, v10
	v_bfe_u32 v8, v1, 3, 4
	v_lshlrev_b32_e32 v1, v14, v1
	v_sub_u32_e32 v10, 29, v10
	v_and_b32_e32 v1, 7, v1
	v_cmp_eq_u32_e32 vcc, 0, v8
	v_cndmask_b32_e32 v8, v8, v10, vcc
	v_cndmask_b32_e32 v1, v5, v1, vcc
	v_mov_b32_e32 v5, 0x3b800000
	v_lshlrev_b32_e32 v1, 20, v1
	v_and_b32_e32 v3, 0x80000000, v3
	v_lshl_add_u32 v5, v8, 23, v5
	v_or3_b32 v1, v3, v5, v1
	v_cvt_i32_f32_e32 v5, v1
.LBB183_1165:
	s_or_b64 exec, exec, s[2:3]
.LBB183_1166:
	s_mov_b64 s[6:7], -1
.LBB183_1167:
	s_branch .LBB183_1197
.LBB183_1168:
	s_cmp_gt_i32 s14, 22
	s_cbranch_scc0 .LBB183_1176
; %bb.1169:
	s_cmp_lt_i32 s14, 24
	s_cbranch_scc1 .LBB183_1179
; %bb.1170:
	s_cmp_gt_i32 s14, 24
	s_cbranch_scc0 .LBB183_1180
; %bb.1171:
	global_load_ubyte v1, v[12:13], off
	s_movk_i32 s2, 0x7f
	s_waitcnt vmcnt(0)
	v_cmp_lt_i16_e32 vcc, s2, v1
	s_and_saveexec_b64 s[2:3], vcc
	s_xor_b64 s[2:3], exec, s[2:3]
	s_cbranch_execz .LBB183_1191
; %bb.1172:
	s_movk_i32 s4, 0x80
	v_cmp_ne_u16_e32 vcc, s4, v1
	s_and_b64 s[4:5], vcc, exec
	s_andn2_saveexec_b64 s[2:3], s[2:3]
	s_cbranch_execnz .LBB183_1192
.LBB183_1173:
	s_or_b64 exec, exec, s[2:3]
	v_mov_b32_e32 v5, 0
	s_and_saveexec_b64 s[2:3], s[4:5]
	s_cbranch_execz .LBB183_1175
.LBB183_1174:
	v_lshlrev_b32_e32 v3, 24, v1
	v_and_b32_e32 v1, 0xffff, v1
	v_and_b32_e32 v5, 3, v1
	v_ffbh_u32_e32 v10, v5
	v_min_u32_e32 v10, 32, v10
	v_subrev_u32_e32 v14, 29, v10
	v_bfe_u32 v8, v1, 2, 5
	v_lshlrev_b32_e32 v1, v14, v1
	v_sub_u32_e32 v10, 30, v10
	v_and_b32_e32 v1, 3, v1
	v_cmp_eq_u32_e32 vcc, 0, v8
	v_cndmask_b32_e32 v8, v8, v10, vcc
	v_cndmask_b32_e32 v1, v5, v1, vcc
	v_mov_b32_e32 v5, 0x37800000
	v_lshlrev_b32_e32 v1, 21, v1
	v_and_b32_e32 v3, 0x80000000, v3
	v_lshl_add_u32 v5, v8, 23, v5
	v_or3_b32 v1, v3, v5, v1
	v_cvt_i32_f32_e32 v5, v1
.LBB183_1175:
	s_or_b64 exec, exec, s[2:3]
	s_mov_b64 s[2:3], 0
	s_branch .LBB183_1181
.LBB183_1176:
                                        ; implicit-def: $vgpr5
	s_mov_b64 s[4:5], 0
	s_branch .LBB183_1187
.LBB183_1177:
	s_andn2_saveexec_b64 s[2:3], s[2:3]
	s_cbranch_execz .LBB183_1163
.LBB183_1178:
	v_cmp_ne_u16_e32 vcc, 0, v1
	s_andn2_b64 s[6:7], s[6:7], exec
	s_and_b64 s[16:17], vcc, exec
	s_or_b64 s[6:7], s[6:7], s[16:17]
	s_or_b64 exec, exec, s[2:3]
	v_mov_b32_e32 v5, 0
	s_and_saveexec_b64 s[2:3], s[6:7]
	s_cbranch_execnz .LBB183_1164
	s_branch .LBB183_1165
.LBB183_1179:
	s_mov_b64 s[2:3], -1
                                        ; implicit-def: $vgpr5
	s_branch .LBB183_1184
.LBB183_1180:
	s_mov_b64 s[2:3], -1
                                        ; implicit-def: $vgpr5
.LBB183_1181:
	s_and_b64 vcc, exec, s[2:3]
	s_cbranch_vccz .LBB183_1183
; %bb.1182:
	global_load_ubyte v1, v[12:13], off
	s_mov_b32 s2, 0x7f800000
	s_waitcnt vmcnt(0)
	v_lshlrev_b32_e32 v1, 24, v1
	v_and_b32_e32 v3, 0x7f000000, v1
	v_ffbh_u32_e32 v5, v3
	v_min_u32_e32 v5, 32, v5
	v_sub_u32_e64 v5, v5, 4 clamp
	v_lshlrev_b32_e32 v10, v5, v3
	v_lshlrev_b32_e32 v5, 23, v5
	v_lshrrev_b32_e32 v10, 4, v10
	v_add_u32_e32 v8, 0x1000000, v3
	v_sub_u32_e32 v5, v10, v5
	v_ashrrev_i32_e32 v8, 8, v8
	v_add_u32_e32 v5, 0x3c000000, v5
	v_and_or_b32 v5, v8, s2, v5
	v_cmp_ne_u32_e32 vcc, 0, v3
	v_cndmask_b32_e32 v3, 0, v5, vcc
	s_brev_b32 s2, 1
	v_and_or_b32 v1, v1, s2, v3
	v_cvt_i32_f32_e32 v5, v1
.LBB183_1183:
	s_mov_b64 s[2:3], 0
.LBB183_1184:
	s_andn2_b64 vcc, exec, s[2:3]
	s_cbranch_vccnz .LBB183_1186
; %bb.1185:
	global_load_ubyte v1, v[12:13], off
	s_movk_i32 s2, 0x7f00
	s_brev_b32 s3, 16
	s_waitcnt vmcnt(0)
	v_lshlrev_b16_e32 v3, 8, v1
	v_lshlrev_b32_e32 v1, 25, v1
	v_lshrrev_b32_e32 v5, 4, v1
	v_and_or_b32 v8, v3, s2, 0.5
	v_or_b32_e32 v5, 0x70000000, v5
	v_add_f32_e32 v8, -0.5, v8
	v_mul_f32_e32 v5, 0x7800000, v5
	v_cmp_gt_u32_e32 vcc, s3, v1
	v_bfe_i32 v3, v3, 0, 16
	v_cndmask_b32_e32 v1, v5, v8, vcc
	s_brev_b32 s2, 1
	v_and_or_b32 v1, v3, s2, v1
	v_cvt_i32_f32_e32 v5, v1
.LBB183_1186:
	s_mov_b64 s[6:7], -1
	s_mov_b64 s[4:5], 0
	s_cbranch_execnz .LBB183_1197
.LBB183_1187:
	s_cmp_gt_i32 s14, 14
	s_cbranch_scc0 .LBB183_1190
; %bb.1188:
	s_cmp_eq_u32 s14, 15
	s_cbranch_scc0 .LBB183_1193
; %bb.1189:
	global_load_ushort v1, v[12:13], off
	s_mov_b64 s[0:1], 0
	s_mov_b64 s[6:7], -1
	s_waitcnt vmcnt(0)
	v_lshlrev_b32_e32 v1, 16, v1
	v_cvt_i32_f32_e32 v5, v1
	s_branch .LBB183_1194
.LBB183_1190:
	s_mov_b64 s[2:3], -1
                                        ; implicit-def: $vgpr5
	s_branch .LBB183_1195
.LBB183_1191:
	s_andn2_saveexec_b64 s[2:3], s[2:3]
	s_cbranch_execz .LBB183_1173
.LBB183_1192:
	v_cmp_ne_u16_e32 vcc, 0, v1
	s_andn2_b64 s[4:5], s[4:5], exec
	s_and_b64 s[6:7], vcc, exec
	s_or_b64 s[4:5], s[4:5], s[6:7]
	s_or_b64 exec, exec, s[2:3]
	v_mov_b32_e32 v5, 0
	s_and_saveexec_b64 s[2:3], s[4:5]
	s_cbranch_execnz .LBB183_1174
	s_branch .LBB183_1175
.LBB183_1193:
	s_mov_b64 s[0:1], -1
                                        ; implicit-def: $vgpr5
.LBB183_1194:
	s_mov_b64 s[2:3], 0
.LBB183_1195:
	s_and_b64 vcc, exec, s[2:3]
	s_cbranch_vccz .LBB183_1197
; %bb.1196:
	s_cmp_lg_u32 s14, 11
	s_mov_b64 s[4:5], -1
	s_cselect_b64 s[0:1], -1, 0
.LBB183_1197:
	s_and_b64 vcc, exec, s[0:1]
	s_mov_b64 s[2:3], s[28:29]
	s_cbranch_vccnz .LBB183_1258
; %bb.1198:
	s_andn2_b64 vcc, exec, s[4:5]
	s_cbranch_vccnz .LBB183_1200
.LBB183_1199:
	global_load_ubyte v1, v[12:13], off
	s_mov_b64 s[6:7], -1
	s_waitcnt vmcnt(0)
	v_cmp_ne_u16_e32 vcc, 0, v1
	v_cndmask_b32_e64 v5, 0, 1, vcc
.LBB183_1200:
	s_branch .LBB183_1135
.LBB183_1201:
	s_and_b32 s4, 0xffff, s13
	s_cmp_lt_i32 s4, 5
	s_cbranch_scc1 .LBB183_1206
; %bb.1202:
	s_cmp_lt_i32 s4, 8
	s_cbranch_scc1 .LBB183_1207
; %bb.1203:
	;; [unrolled: 3-line block ×3, first 2 shown]
	s_cmp_gt_i32 s4, 9
	s_cbranch_scc0 .LBB183_1209
; %bb.1205:
	global_load_dwordx2 v[14:15], v[12:13], off
	s_mov_b64 s[0:1], 0
	s_waitcnt vmcnt(0)
	v_cvt_i32_f64_e32 v5, v[14:15]
	s_branch .LBB183_1210
.LBB183_1206:
                                        ; implicit-def: $vgpr5
	s_branch .LBB183_1227
.LBB183_1207:
                                        ; implicit-def: $vgpr5
	s_branch .LBB183_1216
.LBB183_1208:
	s_mov_b64 s[0:1], -1
                                        ; implicit-def: $vgpr5
	s_branch .LBB183_1213
.LBB183_1209:
	s_mov_b64 s[0:1], -1
                                        ; implicit-def: $vgpr5
.LBB183_1210:
	s_andn2_b64 vcc, exec, s[0:1]
	s_cbranch_vccnz .LBB183_1212
; %bb.1211:
	global_load_dword v1, v[12:13], off
	s_waitcnt vmcnt(0)
	v_cvt_i32_f32_e32 v5, v1
.LBB183_1212:
	s_mov_b64 s[0:1], 0
.LBB183_1213:
	s_andn2_b64 vcc, exec, s[0:1]
	s_cbranch_vccnz .LBB183_1215
; %bb.1214:
	global_load_dword v1, v[12:13], off
	s_waitcnt vmcnt(0)
	v_cvt_f32_f16_e32 v1, v1
	v_cvt_i32_f32_e32 v5, v1
.LBB183_1215:
	s_cbranch_execnz .LBB183_1226
.LBB183_1216:
	s_cmp_lt_i32 s4, 6
	s_cbranch_scc1 .LBB183_1219
; %bb.1217:
	s_cmp_gt_i32 s4, 6
	s_cbranch_scc0 .LBB183_1220
; %bb.1218:
	global_load_dwordx2 v[14:15], v[12:13], off
	s_mov_b64 s[0:1], 0
	s_waitcnt vmcnt(0)
	v_cvt_i32_f64_e32 v5, v[14:15]
	s_branch .LBB183_1221
.LBB183_1219:
	s_mov_b64 s[0:1], -1
                                        ; implicit-def: $vgpr5
	s_branch .LBB183_1224
.LBB183_1220:
	s_mov_b64 s[0:1], -1
                                        ; implicit-def: $vgpr5
.LBB183_1221:
	s_andn2_b64 vcc, exec, s[0:1]
	s_cbranch_vccnz .LBB183_1223
; %bb.1222:
	global_load_dword v1, v[12:13], off
	s_waitcnt vmcnt(0)
	v_cvt_i32_f32_e32 v5, v1
.LBB183_1223:
	s_mov_b64 s[0:1], 0
.LBB183_1224:
	s_andn2_b64 vcc, exec, s[0:1]
	s_cbranch_vccnz .LBB183_1226
; %bb.1225:
	global_load_ushort v1, v[12:13], off
	s_waitcnt vmcnt(0)
	v_cvt_f32_f16_e32 v1, v1
	v_cvt_i32_f32_e32 v5, v1
.LBB183_1226:
	s_cbranch_execnz .LBB183_1245
.LBB183_1227:
	s_cmp_lt_i32 s4, 2
	s_cbranch_scc1 .LBB183_1231
; %bb.1228:
	s_cmp_lt_i32 s4, 3
	s_cbranch_scc1 .LBB183_1232
; %bb.1229:
	s_cmp_gt_i32 s4, 3
	s_cbranch_scc0 .LBB183_1233
; %bb.1230:
	global_load_dword v5, v[12:13], off
	s_mov_b64 s[0:1], 0
	s_branch .LBB183_1234
.LBB183_1231:
                                        ; implicit-def: $vgpr5
	s_branch .LBB183_1240
.LBB183_1232:
	s_mov_b64 s[0:1], -1
                                        ; implicit-def: $vgpr5
	s_branch .LBB183_1237
.LBB183_1233:
	s_mov_b64 s[0:1], -1
                                        ; implicit-def: $vgpr5
.LBB183_1234:
	s_andn2_b64 vcc, exec, s[0:1]
	s_cbranch_vccnz .LBB183_1236
; %bb.1235:
	global_load_dword v5, v[12:13], off
.LBB183_1236:
	s_mov_b64 s[0:1], 0
.LBB183_1237:
	s_andn2_b64 vcc, exec, s[0:1]
	s_cbranch_vccnz .LBB183_1239
; %bb.1238:
	global_load_sshort v5, v[12:13], off
.LBB183_1239:
	s_cbranch_execnz .LBB183_1245
.LBB183_1240:
	s_cmp_gt_i32 s4, 0
	s_cbranch_scc0 .LBB183_1242
; %bb.1241:
	global_load_sbyte v5, v[12:13], off
	s_mov_b64 s[0:1], 0
	s_branch .LBB183_1243
.LBB183_1242:
	s_mov_b64 s[0:1], -1
                                        ; implicit-def: $vgpr5
.LBB183_1243:
	s_andn2_b64 vcc, exec, s[0:1]
	s_cbranch_vccnz .LBB183_1245
; %bb.1244:
	global_load_ubyte v5, v[12:13], off
.LBB183_1245:
.LBB183_1246:
	s_lshr_b32 s0, s12, 8
	v_mov_b32_e32 v1, s11
	s_and_b32 s14, s0, 0xff
	v_add_co_u32_e32 v10, vcc, s10, v11
	s_cmp_lt_i32 s14, 11
	v_addc_co_u32_e32 v11, vcc, 0, v1, vcc
	s_cbranch_scc1 .LBB183_1253
; %bb.1247:
	s_and_b32 s15, 0xffff, s14
	s_cmp_gt_i32 s15, 25
	s_mov_b64 s[4:5], 0
	s_cbranch_scc0 .LBB183_1255
; %bb.1248:
	s_cmp_gt_i32 s15, 28
	s_cbranch_scc0 .LBB183_1256
; %bb.1249:
	s_cmp_gt_i32 s15, 43
	;; [unrolled: 3-line block ×3, first 2 shown]
	s_cbranch_scc0 .LBB183_1259
; %bb.1251:
	s_cmp_eq_u32 s15, 46
	s_mov_b64 s[12:13], 0
	s_cbranch_scc0 .LBB183_1262
; %bb.1252:
	global_load_dword v1, v[10:11], off
	s_mov_b64 s[0:1], 0
	s_mov_b64 s[6:7], -1
	s_waitcnt vmcnt(0)
	v_lshlrev_b32_e32 v1, 16, v1
	v_cvt_i32_f32_e32 v3, v1
	s_branch .LBB183_1263
.LBB183_1253:
	s_mov_b64 s[6:7], 0
                                        ; implicit-def: $vgpr3
	s_cbranch_execnz .LBB183_1324
.LBB183_1254:
	s_andn2_b64 vcc, exec, s[6:7]
	s_cbranch_vccnz .LBB183_2055
	s_branch .LBB183_1371
.LBB183_1255:
	s_mov_b64 s[6:7], 0
	s_mov_b64 s[0:1], 0
                                        ; implicit-def: $vgpr3
	s_cbranch_execnz .LBB183_1290
	s_branch .LBB183_1320
.LBB183_1256:
	s_mov_b64 s[12:13], -1
	s_mov_b64 s[6:7], 0
	s_mov_b64 s[0:1], 0
                                        ; implicit-def: $vgpr3
	s_branch .LBB183_1273
.LBB183_1257:
	s_mov_b64 s[12:13], -1
	s_mov_b64 s[6:7], 0
	s_mov_b64 s[0:1], 0
                                        ; implicit-def: $vgpr3
	s_branch .LBB183_1268
.LBB183_1258:
	s_or_b64 s[2:3], s[28:29], exec
	s_trap 2
	s_cbranch_execz .LBB183_1199
	s_branch .LBB183_1200
.LBB183_1259:
	s_mov_b64 s[12:13], -1
	s_mov_b64 s[6:7], 0
	s_mov_b64 s[0:1], 0
                                        ; implicit-def: $vgpr3
	s_branch .LBB183_1263
.LBB183_1260:
	s_andn2_saveexec_b64 s[16:17], s[16:17]
	s_cbranch_execz .LBB183_995
.LBB183_1261:
	s_mov_b32 s20, 0x42800000
	v_add_f32_e64 v2, |v0|, s20
	v_and_b32_e32 v2, 0xff, v2
	v_cmp_ne_u32_e32 vcc, 0, v2
	s_andn2_b64 s[14:15], s[14:15], exec
	s_and_b64 s[20:21], vcc, exec
	s_or_b64 s[14:15], s[14:15], s[20:21]
	s_or_b64 exec, exec, s[16:17]
	v_mov_b32_e32 v5, 0
	s_and_saveexec_b64 s[16:17], s[14:15]
	s_cbranch_execnz .LBB183_996
	s_branch .LBB183_997
.LBB183_1262:
	s_mov_b64 s[0:1], -1
                                        ; implicit-def: $vgpr3
	s_mov_b64 s[6:7], 0
.LBB183_1263:
	s_and_b64 vcc, exec, s[12:13]
	s_cbranch_vccz .LBB183_1267
; %bb.1264:
	s_cmp_eq_u32 s15, 44
	s_cbranch_scc0 .LBB183_1266
; %bb.1265:
	global_load_ubyte v1, v[10:11], off
	s_mov_b64 s[0:1], 0
	s_mov_b64 s[6:7], -1
	s_waitcnt vmcnt(0)
	v_lshlrev_b32_e32 v3, 23, v1
	v_cvt_i32_f32_e32 v3, v3
	v_cmp_ne_u32_e32 vcc, 0, v1
	v_cndmask_b32_e32 v3, 0, v3, vcc
	s_branch .LBB183_1267
.LBB183_1266:
	s_mov_b64 s[0:1], -1
                                        ; implicit-def: $vgpr3
.LBB183_1267:
	s_mov_b64 s[12:13], 0
.LBB183_1268:
	s_and_b64 vcc, exec, s[12:13]
	s_cbranch_vccz .LBB183_1272
; %bb.1269:
	s_cmp_eq_u32 s15, 29
	s_cbranch_scc0 .LBB183_1271
; %bb.1270:
	global_load_dword v3, v[10:11], off
	s_mov_b64 s[0:1], 0
	s_mov_b64 s[6:7], -1
	s_branch .LBB183_1272
.LBB183_1271:
	s_mov_b64 s[0:1], -1
                                        ; implicit-def: $vgpr3
.LBB183_1272:
	s_mov_b64 s[12:13], 0
.LBB183_1273:
	s_and_b64 vcc, exec, s[12:13]
	s_cbranch_vccz .LBB183_1289
; %bb.1274:
	s_cmp_lt_i32 s15, 27
	s_cbranch_scc1 .LBB183_1277
; %bb.1275:
	s_cmp_gt_i32 s15, 27
	s_cbranch_scc0 .LBB183_1278
; %bb.1276:
	global_load_dword v3, v[10:11], off
	s_mov_b64 s[6:7], 0
	s_branch .LBB183_1279
.LBB183_1277:
	s_mov_b64 s[6:7], -1
                                        ; implicit-def: $vgpr3
	s_branch .LBB183_1282
.LBB183_1278:
	s_mov_b64 s[6:7], -1
                                        ; implicit-def: $vgpr3
.LBB183_1279:
	s_andn2_b64 vcc, exec, s[6:7]
	s_cbranch_vccnz .LBB183_1281
; %bb.1280:
	global_load_ushort v3, v[10:11], off
.LBB183_1281:
	s_mov_b64 s[6:7], 0
.LBB183_1282:
	s_andn2_b64 vcc, exec, s[6:7]
	s_cbranch_vccnz .LBB183_1288
; %bb.1283:
	global_load_ubyte v1, v[10:11], off
	s_movk_i32 s6, 0x7f
	s_mov_b64 s[12:13], 0
	s_waitcnt vmcnt(0)
	v_cmp_lt_i16_e32 vcc, s6, v1
	s_and_saveexec_b64 s[6:7], vcc
	s_xor_b64 s[6:7], exec, s[6:7]
	s_cbranch_execz .LBB183_1299
; %bb.1284:
	s_movk_i32 s12, 0x80
	v_cmp_ne_u16_e32 vcc, s12, v1
	s_and_b64 s[12:13], vcc, exec
	s_andn2_saveexec_b64 s[6:7], s[6:7]
	s_cbranch_execnz .LBB183_1300
.LBB183_1285:
	s_or_b64 exec, exec, s[6:7]
	v_mov_b32_e32 v3, 0
	s_and_saveexec_b64 s[6:7], s[12:13]
	s_cbranch_execz .LBB183_1287
.LBB183_1286:
	v_lshlrev_b32_e32 v3, 24, v1
	v_and_b32_e32 v1, 0xffff, v1
	v_and_b32_e32 v8, 7, v1
	v_ffbh_u32_e32 v13, v8
	v_min_u32_e32 v13, 32, v13
	v_subrev_u32_e32 v14, 28, v13
	v_bfe_u32 v12, v1, 3, 4
	v_lshlrev_b32_e32 v1, v14, v1
	v_sub_u32_e32 v13, 29, v13
	v_and_b32_e32 v1, 7, v1
	v_cmp_eq_u32_e32 vcc, 0, v12
	v_cndmask_b32_e32 v12, v12, v13, vcc
	v_cndmask_b32_e32 v1, v8, v1, vcc
	v_mov_b32_e32 v8, 0x3b800000
	v_lshlrev_b32_e32 v1, 20, v1
	v_and_b32_e32 v3, 0x80000000, v3
	v_lshl_add_u32 v8, v12, 23, v8
	v_or3_b32 v1, v3, v8, v1
	v_cvt_i32_f32_e32 v3, v1
.LBB183_1287:
	s_or_b64 exec, exec, s[6:7]
.LBB183_1288:
	s_mov_b64 s[6:7], -1
.LBB183_1289:
	s_branch .LBB183_1320
.LBB183_1290:
	s_cmp_gt_i32 s15, 22
	s_cbranch_scc0 .LBB183_1298
; %bb.1291:
	s_cmp_lt_i32 s15, 24
	s_cbranch_scc1 .LBB183_1301
; %bb.1292:
	s_cmp_gt_i32 s15, 24
	s_cbranch_scc0 .LBB183_1302
; %bb.1293:
	global_load_ubyte v1, v[10:11], off
	s_movk_i32 s4, 0x7f
	s_mov_b64 s[6:7], 0
	s_waitcnt vmcnt(0)
	v_cmp_lt_i16_e32 vcc, s4, v1
	s_and_saveexec_b64 s[4:5], vcc
	s_xor_b64 s[4:5], exec, s[4:5]
	s_cbranch_execz .LBB183_1314
; %bb.1294:
	s_movk_i32 s6, 0x80
	v_cmp_ne_u16_e32 vcc, s6, v1
	s_and_b64 s[6:7], vcc, exec
	s_andn2_saveexec_b64 s[4:5], s[4:5]
	s_cbranch_execnz .LBB183_1315
.LBB183_1295:
	s_or_b64 exec, exec, s[4:5]
	v_mov_b32_e32 v3, 0
	s_and_saveexec_b64 s[4:5], s[6:7]
	s_cbranch_execz .LBB183_1297
.LBB183_1296:
	v_lshlrev_b32_e32 v3, 24, v1
	v_and_b32_e32 v1, 0xffff, v1
	v_and_b32_e32 v8, 3, v1
	v_ffbh_u32_e32 v13, v8
	v_min_u32_e32 v13, 32, v13
	v_subrev_u32_e32 v14, 29, v13
	v_bfe_u32 v12, v1, 2, 5
	v_lshlrev_b32_e32 v1, v14, v1
	v_sub_u32_e32 v13, 30, v13
	v_and_b32_e32 v1, 3, v1
	v_cmp_eq_u32_e32 vcc, 0, v12
	v_cndmask_b32_e32 v12, v12, v13, vcc
	v_cndmask_b32_e32 v1, v8, v1, vcc
	v_mov_b32_e32 v8, 0x37800000
	v_lshlrev_b32_e32 v1, 21, v1
	v_and_b32_e32 v3, 0x80000000, v3
	v_lshl_add_u32 v8, v12, 23, v8
	v_or3_b32 v1, v3, v8, v1
	v_cvt_i32_f32_e32 v3, v1
.LBB183_1297:
	s_or_b64 exec, exec, s[4:5]
	s_mov_b64 s[4:5], 0
	s_branch .LBB183_1303
.LBB183_1298:
	s_mov_b64 s[4:5], -1
                                        ; implicit-def: $vgpr3
	s_branch .LBB183_1309
.LBB183_1299:
	s_andn2_saveexec_b64 s[6:7], s[6:7]
	s_cbranch_execz .LBB183_1285
.LBB183_1300:
	v_cmp_ne_u16_e32 vcc, 0, v1
	s_andn2_b64 s[12:13], s[12:13], exec
	s_and_b64 s[16:17], vcc, exec
	s_or_b64 s[12:13], s[12:13], s[16:17]
	s_or_b64 exec, exec, s[6:7]
	v_mov_b32_e32 v3, 0
	s_and_saveexec_b64 s[6:7], s[12:13]
	s_cbranch_execnz .LBB183_1286
	s_branch .LBB183_1287
.LBB183_1301:
	s_mov_b64 s[4:5], -1
                                        ; implicit-def: $vgpr3
	s_branch .LBB183_1306
.LBB183_1302:
	s_mov_b64 s[4:5], -1
                                        ; implicit-def: $vgpr3
.LBB183_1303:
	s_and_b64 vcc, exec, s[4:5]
	s_cbranch_vccz .LBB183_1305
; %bb.1304:
	global_load_ubyte v1, v[10:11], off
	s_mov_b32 s4, 0x7f800000
	s_waitcnt vmcnt(0)
	v_lshlrev_b32_e32 v1, 24, v1
	v_and_b32_e32 v3, 0x7f000000, v1
	v_ffbh_u32_e32 v8, v3
	v_min_u32_e32 v8, 32, v8
	v_sub_u32_e64 v8, v8, 4 clamp
	v_lshlrev_b32_e32 v13, v8, v3
	v_lshlrev_b32_e32 v8, 23, v8
	v_lshrrev_b32_e32 v13, 4, v13
	v_add_u32_e32 v12, 0x1000000, v3
	v_sub_u32_e32 v8, v13, v8
	v_ashrrev_i32_e32 v12, 8, v12
	v_add_u32_e32 v8, 0x3c000000, v8
	v_and_or_b32 v8, v12, s4, v8
	v_cmp_ne_u32_e32 vcc, 0, v3
	v_cndmask_b32_e32 v3, 0, v8, vcc
	s_brev_b32 s4, 1
	v_and_or_b32 v1, v1, s4, v3
	v_cvt_i32_f32_e32 v3, v1
.LBB183_1305:
	s_mov_b64 s[4:5], 0
.LBB183_1306:
	s_andn2_b64 vcc, exec, s[4:5]
	s_cbranch_vccnz .LBB183_1308
; %bb.1307:
	global_load_ubyte v1, v[10:11], off
	s_movk_i32 s4, 0x7f00
	s_brev_b32 s5, 16
	s_waitcnt vmcnt(0)
	v_lshlrev_b16_e32 v3, 8, v1
	v_lshlrev_b32_e32 v1, 25, v1
	v_lshrrev_b32_e32 v8, 4, v1
	v_and_or_b32 v12, v3, s4, 0.5
	v_or_b32_e32 v8, 0x70000000, v8
	v_add_f32_e32 v12, -0.5, v12
	v_mul_f32_e32 v8, 0x7800000, v8
	v_cmp_gt_u32_e32 vcc, s5, v1
	v_bfe_i32 v3, v3, 0, 16
	v_cndmask_b32_e32 v1, v8, v12, vcc
	s_brev_b32 s4, 1
	v_and_or_b32 v1, v3, s4, v1
	v_cvt_i32_f32_e32 v3, v1
.LBB183_1308:
	s_mov_b64 s[4:5], 0
	s_mov_b64 s[6:7], -1
.LBB183_1309:
	s_andn2_b64 vcc, exec, s[4:5]
	s_mov_b64 s[4:5], 0
	s_cbranch_vccnz .LBB183_1320
; %bb.1310:
	s_cmp_gt_i32 s15, 14
	s_cbranch_scc0 .LBB183_1313
; %bb.1311:
	s_cmp_eq_u32 s15, 15
	s_cbranch_scc0 .LBB183_1316
; %bb.1312:
	global_load_ushort v1, v[10:11], off
	s_mov_b64 s[0:1], 0
	s_mov_b64 s[6:7], -1
	s_waitcnt vmcnt(0)
	v_lshlrev_b32_e32 v1, 16, v1
	v_cvt_i32_f32_e32 v3, v1
	s_branch .LBB183_1317
.LBB183_1313:
	s_mov_b64 s[12:13], -1
                                        ; implicit-def: $vgpr3
	s_branch .LBB183_1318
.LBB183_1314:
	s_andn2_saveexec_b64 s[4:5], s[4:5]
	s_cbranch_execz .LBB183_1295
.LBB183_1315:
	v_cmp_ne_u16_e32 vcc, 0, v1
	s_andn2_b64 s[6:7], s[6:7], exec
	s_and_b64 s[12:13], vcc, exec
	s_or_b64 s[6:7], s[6:7], s[12:13]
	s_or_b64 exec, exec, s[4:5]
	v_mov_b32_e32 v3, 0
	s_and_saveexec_b64 s[4:5], s[6:7]
	s_cbranch_execnz .LBB183_1296
	s_branch .LBB183_1297
.LBB183_1316:
	s_mov_b64 s[0:1], -1
                                        ; implicit-def: $vgpr3
.LBB183_1317:
	s_mov_b64 s[12:13], 0
.LBB183_1318:
	s_and_b64 vcc, exec, s[12:13]
	s_cbranch_vccz .LBB183_1320
; %bb.1319:
	s_cmp_lg_u32 s15, 11
	s_mov_b64 s[4:5], -1
	s_cselect_b64 s[0:1], -1, 0
.LBB183_1320:
	s_and_b64 vcc, exec, s[0:1]
	s_cbranch_vccnz .LBB183_1383
; %bb.1321:
	s_andn2_b64 vcc, exec, s[4:5]
	s_cbranch_vccnz .LBB183_1323
.LBB183_1322:
	global_load_ubyte v1, v[10:11], off
	s_mov_b64 s[6:7], -1
	s_waitcnt vmcnt(0)
	v_cmp_ne_u16_e32 vcc, 0, v1
	v_cndmask_b32_e64 v3, 0, 1, vcc
.LBB183_1323:
	s_branch .LBB183_1254
.LBB183_1324:
	s_and_b32 s4, 0xffff, s14
	s_cmp_lt_i32 s4, 5
	s_cbranch_scc1 .LBB183_1329
; %bb.1325:
	s_cmp_lt_i32 s4, 8
	s_cbranch_scc1 .LBB183_1330
; %bb.1326:
	s_cmp_lt_i32 s4, 9
	s_cbranch_scc1 .LBB183_1331
; %bb.1327:
	s_cmp_gt_i32 s4, 9
	s_cbranch_scc0 .LBB183_1332
; %bb.1328:
	global_load_dwordx2 v[12:13], v[10:11], off
	s_mov_b64 s[0:1], 0
	s_waitcnt vmcnt(0)
	v_cvt_i32_f64_e32 v3, v[12:13]
	s_branch .LBB183_1333
.LBB183_1329:
                                        ; implicit-def: $vgpr3
	s_branch .LBB183_1351
.LBB183_1330:
	s_mov_b64 s[0:1], -1
                                        ; implicit-def: $vgpr3
	s_branch .LBB183_1339
.LBB183_1331:
	s_mov_b64 s[0:1], -1
                                        ; implicit-def: $vgpr3
	s_branch .LBB183_1336
.LBB183_1332:
	s_mov_b64 s[0:1], -1
                                        ; implicit-def: $vgpr3
.LBB183_1333:
	s_andn2_b64 vcc, exec, s[0:1]
	s_cbranch_vccnz .LBB183_1335
; %bb.1334:
	global_load_dword v1, v[10:11], off
	s_waitcnt vmcnt(0)
	v_cvt_i32_f32_e32 v3, v1
.LBB183_1335:
	s_mov_b64 s[0:1], 0
.LBB183_1336:
	s_andn2_b64 vcc, exec, s[0:1]
	s_cbranch_vccnz .LBB183_1338
; %bb.1337:
	global_load_dword v1, v[10:11], off
	s_waitcnt vmcnt(0)
	v_cvt_f32_f16_e32 v1, v1
	v_cvt_i32_f32_e32 v3, v1
.LBB183_1338:
	s_mov_b64 s[0:1], 0
.LBB183_1339:
	s_andn2_b64 vcc, exec, s[0:1]
	s_cbranch_vccnz .LBB183_1350
; %bb.1340:
	s_cmp_lt_i32 s4, 6
	s_cbranch_scc1 .LBB183_1343
; %bb.1341:
	s_cmp_gt_i32 s4, 6
	s_cbranch_scc0 .LBB183_1344
; %bb.1342:
	global_load_dwordx2 v[12:13], v[10:11], off
	s_mov_b64 s[0:1], 0
	s_waitcnt vmcnt(0)
	v_cvt_i32_f64_e32 v3, v[12:13]
	s_branch .LBB183_1345
.LBB183_1343:
	s_mov_b64 s[0:1], -1
                                        ; implicit-def: $vgpr3
	s_branch .LBB183_1348
.LBB183_1344:
	s_mov_b64 s[0:1], -1
                                        ; implicit-def: $vgpr3
.LBB183_1345:
	s_andn2_b64 vcc, exec, s[0:1]
	s_cbranch_vccnz .LBB183_1347
; %bb.1346:
	global_load_dword v1, v[10:11], off
	s_waitcnt vmcnt(0)
	v_cvt_i32_f32_e32 v3, v1
.LBB183_1347:
	s_mov_b64 s[0:1], 0
.LBB183_1348:
	s_andn2_b64 vcc, exec, s[0:1]
	s_cbranch_vccnz .LBB183_1350
; %bb.1349:
	global_load_ushort v1, v[10:11], off
	s_waitcnt vmcnt(0)
	v_cvt_f32_f16_e32 v1, v1
	v_cvt_i32_f32_e32 v3, v1
.LBB183_1350:
	s_cbranch_execnz .LBB183_1370
.LBB183_1351:
	s_cmp_lt_i32 s4, 2
	s_cbranch_scc1 .LBB183_1355
; %bb.1352:
	s_cmp_lt_i32 s4, 3
	s_cbranch_scc1 .LBB183_1356
; %bb.1353:
	s_cmp_gt_i32 s4, 3
	s_cbranch_scc0 .LBB183_1357
; %bb.1354:
	global_load_dword v3, v[10:11], off
	s_mov_b64 s[0:1], 0
	s_branch .LBB183_1358
.LBB183_1355:
	s_mov_b64 s[0:1], -1
                                        ; implicit-def: $vgpr3
	s_branch .LBB183_1364
.LBB183_1356:
	s_mov_b64 s[0:1], -1
                                        ; implicit-def: $vgpr3
	s_branch .LBB183_1361
.LBB183_1357:
	s_mov_b64 s[0:1], -1
                                        ; implicit-def: $vgpr3
.LBB183_1358:
	s_andn2_b64 vcc, exec, s[0:1]
	s_cbranch_vccnz .LBB183_1360
; %bb.1359:
	global_load_dword v3, v[10:11], off
.LBB183_1360:
	s_mov_b64 s[0:1], 0
.LBB183_1361:
	s_andn2_b64 vcc, exec, s[0:1]
	s_cbranch_vccnz .LBB183_1363
; %bb.1362:
	global_load_sshort v3, v[10:11], off
.LBB183_1363:
	s_mov_b64 s[0:1], 0
.LBB183_1364:
	s_andn2_b64 vcc, exec, s[0:1]
	s_cbranch_vccnz .LBB183_1370
; %bb.1365:
	s_cmp_gt_i32 s4, 0
	s_cbranch_scc0 .LBB183_1367
; %bb.1366:
	global_load_sbyte v3, v[10:11], off
	s_mov_b64 s[0:1], 0
	s_branch .LBB183_1368
.LBB183_1367:
	s_mov_b64 s[0:1], -1
                                        ; implicit-def: $vgpr3
.LBB183_1368:
	s_andn2_b64 vcc, exec, s[0:1]
	s_cbranch_vccnz .LBB183_1370
; %bb.1369:
	global_load_ubyte v3, v[10:11], off
.LBB183_1370:
.LBB183_1371:
	v_mov_b32_e32 v1, s11
	v_add_co_u32_e32 v8, vcc, s10, v9
	s_cmp_lt_i32 s14, 11
	v_addc_co_u32_e32 v9, vcc, 0, v1, vcc
	s_cbranch_scc1 .LBB183_1378
; %bb.1372:
	s_and_b32 s15, 0xffff, s14
	s_cmp_gt_i32 s15, 25
	s_mov_b64 s[4:5], 0
	s_cbranch_scc0 .LBB183_1380
; %bb.1373:
	s_cmp_gt_i32 s15, 28
	s_cbranch_scc0 .LBB183_1381
; %bb.1374:
	s_cmp_gt_i32 s15, 43
	;; [unrolled: 3-line block ×3, first 2 shown]
	s_cbranch_scc0 .LBB183_1384
; %bb.1376:
	s_cmp_eq_u32 s15, 46
	s_mov_b64 s[12:13], 0
	s_cbranch_scc0 .LBB183_1385
; %bb.1377:
	global_load_dword v1, v[8:9], off
	s_mov_b64 s[0:1], 0
	s_mov_b64 s[6:7], -1
	s_waitcnt vmcnt(0)
	v_lshlrev_b32_e32 v1, 16, v1
	v_cvt_i32_f32_e32 v1, v1
	s_branch .LBB183_1386
.LBB183_1378:
	s_mov_b64 s[6:7], 0
                                        ; implicit-def: $vgpr1
	s_cbranch_execnz .LBB183_1448
.LBB183_1379:
	s_andn2_b64 vcc, exec, s[6:7]
	s_cbranch_vccnz .LBB183_2055
	s_branch .LBB183_1496
.LBB183_1380:
	s_mov_b64 s[12:13], -1
	s_mov_b64 s[6:7], 0
	s_mov_b64 s[0:1], 0
                                        ; implicit-def: $vgpr1
	s_branch .LBB183_1413
.LBB183_1381:
	s_mov_b64 s[12:13], -1
	s_mov_b64 s[6:7], 0
	s_mov_b64 s[0:1], 0
                                        ; implicit-def: $vgpr1
	s_branch .LBB183_1396
.LBB183_1382:
	s_mov_b64 s[12:13], -1
	s_mov_b64 s[6:7], 0
	s_mov_b64 s[0:1], 0
                                        ; implicit-def: $vgpr1
	s_branch .LBB183_1391
.LBB183_1383:
	s_trap 2
	s_or_b64 s[2:3], s[2:3], exec
	s_cbranch_execz .LBB183_1322
	s_branch .LBB183_1323
.LBB183_1384:
	s_mov_b64 s[12:13], -1
	s_mov_b64 s[6:7], 0
	s_mov_b64 s[0:1], 0
                                        ; implicit-def: $vgpr1
	s_branch .LBB183_1386
.LBB183_1385:
	s_mov_b64 s[0:1], -1
                                        ; implicit-def: $vgpr1
	s_mov_b64 s[6:7], 0
.LBB183_1386:
	s_and_b64 vcc, exec, s[12:13]
	s_cbranch_vccz .LBB183_1390
; %bb.1387:
	s_cmp_eq_u32 s15, 44
	s_cbranch_scc0 .LBB183_1389
; %bb.1388:
	global_load_ubyte v1, v[8:9], off
	s_mov_b64 s[0:1], 0
	s_mov_b64 s[6:7], -1
	s_waitcnt vmcnt(0)
	v_lshlrev_b32_e32 v10, 23, v1
	v_cvt_i32_f32_e32 v10, v10
	v_cmp_ne_u32_e32 vcc, 0, v1
	v_cndmask_b32_e32 v1, 0, v10, vcc
	s_branch .LBB183_1390
.LBB183_1389:
	s_mov_b64 s[0:1], -1
                                        ; implicit-def: $vgpr1
.LBB183_1390:
	s_mov_b64 s[12:13], 0
.LBB183_1391:
	s_and_b64 vcc, exec, s[12:13]
	s_cbranch_vccz .LBB183_1395
; %bb.1392:
	s_cmp_eq_u32 s15, 29
	s_cbranch_scc0 .LBB183_1394
; %bb.1393:
	global_load_dword v1, v[8:9], off
	s_mov_b64 s[0:1], 0
	s_mov_b64 s[6:7], -1
	s_branch .LBB183_1395
.LBB183_1394:
	s_mov_b64 s[0:1], -1
                                        ; implicit-def: $vgpr1
.LBB183_1395:
	s_mov_b64 s[12:13], 0
.LBB183_1396:
	s_and_b64 vcc, exec, s[12:13]
	s_cbranch_vccz .LBB183_1412
; %bb.1397:
	s_cmp_lt_i32 s15, 27
	s_cbranch_scc1 .LBB183_1400
; %bb.1398:
	s_cmp_gt_i32 s15, 27
	s_cbranch_scc0 .LBB183_1401
; %bb.1399:
	global_load_dword v1, v[8:9], off
	s_mov_b64 s[6:7], 0
	s_branch .LBB183_1402
.LBB183_1400:
	s_mov_b64 s[6:7], -1
                                        ; implicit-def: $vgpr1
	s_branch .LBB183_1405
.LBB183_1401:
	s_mov_b64 s[6:7], -1
                                        ; implicit-def: $vgpr1
.LBB183_1402:
	s_andn2_b64 vcc, exec, s[6:7]
	s_cbranch_vccnz .LBB183_1404
; %bb.1403:
	global_load_ushort v1, v[8:9], off
.LBB183_1404:
	s_mov_b64 s[6:7], 0
.LBB183_1405:
	s_andn2_b64 vcc, exec, s[6:7]
	s_cbranch_vccnz .LBB183_1411
; %bb.1406:
	global_load_ubyte v10, v[8:9], off
	s_movk_i32 s6, 0x7f
	s_mov_b64 s[12:13], 0
	s_waitcnt vmcnt(0)
	v_cmp_lt_i16_e32 vcc, s6, v10
	s_and_saveexec_b64 s[6:7], vcc
	s_xor_b64 s[6:7], exec, s[6:7]
	s_cbranch_execz .LBB183_1423
; %bb.1407:
	s_movk_i32 s12, 0x80
	v_cmp_ne_u16_e32 vcc, s12, v10
	s_and_b64 s[12:13], vcc, exec
	s_andn2_saveexec_b64 s[6:7], s[6:7]
	s_cbranch_execnz .LBB183_1424
.LBB183_1408:
	s_or_b64 exec, exec, s[6:7]
	v_mov_b32_e32 v1, 0
	s_and_saveexec_b64 s[6:7], s[12:13]
	s_cbranch_execz .LBB183_1410
.LBB183_1409:
	v_lshlrev_b32_e32 v1, 24, v10
	v_and_b32_e32 v10, 0xffff, v10
	v_and_b32_e32 v11, 7, v10
	v_ffbh_u32_e32 v13, v11
	v_min_u32_e32 v13, 32, v13
	v_subrev_u32_e32 v14, 28, v13
	v_bfe_u32 v12, v10, 3, 4
	v_lshlrev_b32_e32 v10, v14, v10
	v_sub_u32_e32 v13, 29, v13
	v_and_b32_e32 v10, 7, v10
	v_cmp_eq_u32_e32 vcc, 0, v12
	v_cndmask_b32_e32 v12, v12, v13, vcc
	v_cndmask_b32_e32 v10, v11, v10, vcc
	v_mov_b32_e32 v11, 0x3b800000
	v_lshlrev_b32_e32 v10, 20, v10
	v_and_b32_e32 v1, 0x80000000, v1
	v_lshl_add_u32 v11, v12, 23, v11
	v_or3_b32 v1, v1, v11, v10
	v_cvt_i32_f32_e32 v1, v1
.LBB183_1410:
	s_or_b64 exec, exec, s[6:7]
.LBB183_1411:
	s_mov_b64 s[6:7], -1
.LBB183_1412:
	s_mov_b64 s[12:13], 0
.LBB183_1413:
	s_and_b64 vcc, exec, s[12:13]
	s_cbranch_vccz .LBB183_1444
; %bb.1414:
	s_cmp_gt_i32 s15, 22
	s_cbranch_scc0 .LBB183_1422
; %bb.1415:
	s_cmp_lt_i32 s15, 24
	s_cbranch_scc1 .LBB183_1425
; %bb.1416:
	s_cmp_gt_i32 s15, 24
	s_cbranch_scc0 .LBB183_1426
; %bb.1417:
	global_load_ubyte v10, v[8:9], off
	s_movk_i32 s4, 0x7f
	s_mov_b64 s[6:7], 0
	s_waitcnt vmcnt(0)
	v_cmp_lt_i16_e32 vcc, s4, v10
	s_and_saveexec_b64 s[4:5], vcc
	s_xor_b64 s[4:5], exec, s[4:5]
	s_cbranch_execz .LBB183_1438
; %bb.1418:
	s_movk_i32 s6, 0x80
	v_cmp_ne_u16_e32 vcc, s6, v10
	s_and_b64 s[6:7], vcc, exec
	s_andn2_saveexec_b64 s[4:5], s[4:5]
	s_cbranch_execnz .LBB183_1439
.LBB183_1419:
	s_or_b64 exec, exec, s[4:5]
	v_mov_b32_e32 v1, 0
	s_and_saveexec_b64 s[4:5], s[6:7]
	s_cbranch_execz .LBB183_1421
.LBB183_1420:
	v_lshlrev_b32_e32 v1, 24, v10
	v_and_b32_e32 v10, 0xffff, v10
	v_and_b32_e32 v11, 3, v10
	v_ffbh_u32_e32 v13, v11
	v_min_u32_e32 v13, 32, v13
	v_subrev_u32_e32 v14, 29, v13
	v_bfe_u32 v12, v10, 2, 5
	v_lshlrev_b32_e32 v10, v14, v10
	v_sub_u32_e32 v13, 30, v13
	v_and_b32_e32 v10, 3, v10
	v_cmp_eq_u32_e32 vcc, 0, v12
	v_cndmask_b32_e32 v12, v12, v13, vcc
	v_cndmask_b32_e32 v10, v11, v10, vcc
	v_mov_b32_e32 v11, 0x37800000
	v_lshlrev_b32_e32 v10, 21, v10
	v_and_b32_e32 v1, 0x80000000, v1
	v_lshl_add_u32 v11, v12, 23, v11
	v_or3_b32 v1, v1, v11, v10
	v_cvt_i32_f32_e32 v1, v1
.LBB183_1421:
	s_or_b64 exec, exec, s[4:5]
	s_mov_b64 s[4:5], 0
	s_branch .LBB183_1427
.LBB183_1422:
	s_mov_b64 s[4:5], -1
                                        ; implicit-def: $vgpr1
	s_branch .LBB183_1433
.LBB183_1423:
	s_andn2_saveexec_b64 s[6:7], s[6:7]
	s_cbranch_execz .LBB183_1408
.LBB183_1424:
	v_cmp_ne_u16_e32 vcc, 0, v10
	s_andn2_b64 s[12:13], s[12:13], exec
	s_and_b64 s[16:17], vcc, exec
	s_or_b64 s[12:13], s[12:13], s[16:17]
	s_or_b64 exec, exec, s[6:7]
	v_mov_b32_e32 v1, 0
	s_and_saveexec_b64 s[6:7], s[12:13]
	s_cbranch_execnz .LBB183_1409
	s_branch .LBB183_1410
.LBB183_1425:
	s_mov_b64 s[4:5], -1
                                        ; implicit-def: $vgpr1
	s_branch .LBB183_1430
.LBB183_1426:
	s_mov_b64 s[4:5], -1
                                        ; implicit-def: $vgpr1
.LBB183_1427:
	s_and_b64 vcc, exec, s[4:5]
	s_cbranch_vccz .LBB183_1429
; %bb.1428:
	global_load_ubyte v1, v[8:9], off
	s_mov_b32 s4, 0x7f800000
	s_waitcnt vmcnt(0)
	v_lshlrev_b32_e32 v1, 24, v1
	v_and_b32_e32 v10, 0x7f000000, v1
	v_ffbh_u32_e32 v11, v10
	v_min_u32_e32 v11, 32, v11
	v_sub_u32_e64 v11, v11, 4 clamp
	v_lshlrev_b32_e32 v13, v11, v10
	v_lshlrev_b32_e32 v11, 23, v11
	v_lshrrev_b32_e32 v13, 4, v13
	v_add_u32_e32 v12, 0x1000000, v10
	v_sub_u32_e32 v11, v13, v11
	v_ashrrev_i32_e32 v12, 8, v12
	v_add_u32_e32 v11, 0x3c000000, v11
	v_and_or_b32 v11, v12, s4, v11
	v_cmp_ne_u32_e32 vcc, 0, v10
	v_cndmask_b32_e32 v10, 0, v11, vcc
	s_brev_b32 s4, 1
	v_and_or_b32 v1, v1, s4, v10
	v_cvt_i32_f32_e32 v1, v1
.LBB183_1429:
	s_mov_b64 s[4:5], 0
.LBB183_1430:
	s_andn2_b64 vcc, exec, s[4:5]
	s_cbranch_vccnz .LBB183_1432
; %bb.1431:
	global_load_ubyte v1, v[8:9], off
	s_movk_i32 s4, 0x7f00
	s_brev_b32 s5, 16
	s_waitcnt vmcnt(0)
	v_lshlrev_b16_e32 v10, 8, v1
	v_lshlrev_b32_e32 v1, 25, v1
	v_lshrrev_b32_e32 v11, 4, v1
	v_and_or_b32 v12, v10, s4, 0.5
	v_or_b32_e32 v11, 0x70000000, v11
	v_add_f32_e32 v12, -0.5, v12
	v_mul_f32_e32 v11, 0x7800000, v11
	v_cmp_gt_u32_e32 vcc, s5, v1
	v_bfe_i32 v10, v10, 0, 16
	v_cndmask_b32_e32 v1, v11, v12, vcc
	s_brev_b32 s4, 1
	v_and_or_b32 v1, v10, s4, v1
	v_cvt_i32_f32_e32 v1, v1
.LBB183_1432:
	s_mov_b64 s[4:5], 0
	s_mov_b64 s[6:7], -1
.LBB183_1433:
	s_andn2_b64 vcc, exec, s[4:5]
	s_mov_b64 s[4:5], 0
	s_cbranch_vccnz .LBB183_1444
; %bb.1434:
	s_cmp_gt_i32 s15, 14
	s_cbranch_scc0 .LBB183_1437
; %bb.1435:
	s_cmp_eq_u32 s15, 15
	s_cbranch_scc0 .LBB183_1440
; %bb.1436:
	global_load_ushort v1, v[8:9], off
	s_mov_b64 s[0:1], 0
	s_mov_b64 s[6:7], -1
	s_waitcnt vmcnt(0)
	v_lshlrev_b32_e32 v1, 16, v1
	v_cvt_i32_f32_e32 v1, v1
	s_branch .LBB183_1441
.LBB183_1437:
	s_mov_b64 s[12:13], -1
                                        ; implicit-def: $vgpr1
	s_branch .LBB183_1442
.LBB183_1438:
	s_andn2_saveexec_b64 s[4:5], s[4:5]
	s_cbranch_execz .LBB183_1419
.LBB183_1439:
	v_cmp_ne_u16_e32 vcc, 0, v10
	s_andn2_b64 s[6:7], s[6:7], exec
	s_and_b64 s[12:13], vcc, exec
	s_or_b64 s[6:7], s[6:7], s[12:13]
	s_or_b64 exec, exec, s[4:5]
	v_mov_b32_e32 v1, 0
	s_and_saveexec_b64 s[4:5], s[6:7]
	s_cbranch_execnz .LBB183_1420
	s_branch .LBB183_1421
.LBB183_1440:
	s_mov_b64 s[0:1], -1
                                        ; implicit-def: $vgpr1
.LBB183_1441:
	s_mov_b64 s[12:13], 0
.LBB183_1442:
	s_and_b64 vcc, exec, s[12:13]
	s_cbranch_vccz .LBB183_1444
; %bb.1443:
	s_cmp_lg_u32 s15, 11
	s_mov_b64 s[4:5], -1
	s_cselect_b64 s[0:1], -1, 0
.LBB183_1444:
	s_and_b64 vcc, exec, s[0:1]
	s_cbranch_vccnz .LBB183_1507
; %bb.1445:
	s_andn2_b64 vcc, exec, s[4:5]
	s_cbranch_vccnz .LBB183_1447
.LBB183_1446:
	global_load_ubyte v1, v[8:9], off
	s_mov_b64 s[6:7], -1
	s_waitcnt vmcnt(0)
	v_cmp_ne_u16_e32 vcc, 0, v1
	v_cndmask_b32_e64 v1, 0, 1, vcc
.LBB183_1447:
	s_branch .LBB183_1379
.LBB183_1448:
	s_and_b32 s4, 0xffff, s14
	s_cmp_lt_i32 s4, 5
	s_cbranch_scc1 .LBB183_1453
; %bb.1449:
	s_cmp_lt_i32 s4, 8
	s_cbranch_scc1 .LBB183_1454
; %bb.1450:
	s_cmp_lt_i32 s4, 9
	s_cbranch_scc1 .LBB183_1455
; %bb.1451:
	s_cmp_gt_i32 s4, 9
	s_cbranch_scc0 .LBB183_1456
; %bb.1452:
	global_load_dwordx2 v[10:11], v[8:9], off
	s_mov_b64 s[0:1], 0
	s_waitcnt vmcnt(0)
	v_cvt_i32_f64_e32 v1, v[10:11]
	s_branch .LBB183_1457
.LBB183_1453:
	s_mov_b64 s[0:1], -1
                                        ; implicit-def: $vgpr1
	s_branch .LBB183_1475
.LBB183_1454:
	s_mov_b64 s[0:1], -1
                                        ; implicit-def: $vgpr1
	s_branch .LBB183_1463
.LBB183_1455:
	s_mov_b64 s[0:1], -1
                                        ; implicit-def: $vgpr1
	s_branch .LBB183_1460
.LBB183_1456:
	s_mov_b64 s[0:1], -1
                                        ; implicit-def: $vgpr1
.LBB183_1457:
	s_andn2_b64 vcc, exec, s[0:1]
	s_cbranch_vccnz .LBB183_1459
; %bb.1458:
	global_load_dword v1, v[8:9], off
	s_waitcnt vmcnt(0)
	v_cvt_i32_f32_e32 v1, v1
.LBB183_1459:
	s_mov_b64 s[0:1], 0
.LBB183_1460:
	s_andn2_b64 vcc, exec, s[0:1]
	s_cbranch_vccnz .LBB183_1462
; %bb.1461:
	global_load_dword v1, v[8:9], off
	s_waitcnt vmcnt(0)
	v_cvt_f32_f16_e32 v1, v1
	v_cvt_i32_f32_e32 v1, v1
.LBB183_1462:
	s_mov_b64 s[0:1], 0
.LBB183_1463:
	s_andn2_b64 vcc, exec, s[0:1]
	s_cbranch_vccnz .LBB183_1474
; %bb.1464:
	s_cmp_lt_i32 s4, 6
	s_cbranch_scc1 .LBB183_1467
; %bb.1465:
	s_cmp_gt_i32 s4, 6
	s_cbranch_scc0 .LBB183_1468
; %bb.1466:
	global_load_dwordx2 v[10:11], v[8:9], off
	s_mov_b64 s[0:1], 0
	s_waitcnt vmcnt(0)
	v_cvt_i32_f64_e32 v1, v[10:11]
	s_branch .LBB183_1469
.LBB183_1467:
	s_mov_b64 s[0:1], -1
                                        ; implicit-def: $vgpr1
	s_branch .LBB183_1472
.LBB183_1468:
	s_mov_b64 s[0:1], -1
                                        ; implicit-def: $vgpr1
.LBB183_1469:
	s_andn2_b64 vcc, exec, s[0:1]
	s_cbranch_vccnz .LBB183_1471
; %bb.1470:
	global_load_dword v1, v[8:9], off
	s_waitcnt vmcnt(0)
	v_cvt_i32_f32_e32 v1, v1
.LBB183_1471:
	s_mov_b64 s[0:1], 0
.LBB183_1472:
	s_andn2_b64 vcc, exec, s[0:1]
	s_cbranch_vccnz .LBB183_1474
; %bb.1473:
	global_load_ushort v1, v[8:9], off
	s_waitcnt vmcnt(0)
	v_cvt_f32_f16_e32 v1, v1
	v_cvt_i32_f32_e32 v1, v1
.LBB183_1474:
	s_mov_b64 s[0:1], 0
.LBB183_1475:
	s_andn2_b64 vcc, exec, s[0:1]
	s_cbranch_vccnz .LBB183_1495
; %bb.1476:
	s_cmp_lt_i32 s4, 2
	s_cbranch_scc1 .LBB183_1480
; %bb.1477:
	s_cmp_lt_i32 s4, 3
	s_cbranch_scc1 .LBB183_1481
; %bb.1478:
	s_cmp_gt_i32 s4, 3
	s_cbranch_scc0 .LBB183_1482
; %bb.1479:
	global_load_dword v1, v[8:9], off
	s_mov_b64 s[0:1], 0
	s_branch .LBB183_1483
.LBB183_1480:
	s_mov_b64 s[0:1], -1
                                        ; implicit-def: $vgpr1
	s_branch .LBB183_1489
.LBB183_1481:
	s_mov_b64 s[0:1], -1
                                        ; implicit-def: $vgpr1
	s_branch .LBB183_1486
.LBB183_1482:
	s_mov_b64 s[0:1], -1
                                        ; implicit-def: $vgpr1
.LBB183_1483:
	s_andn2_b64 vcc, exec, s[0:1]
	s_cbranch_vccnz .LBB183_1485
; %bb.1484:
	global_load_dword v1, v[8:9], off
.LBB183_1485:
	s_mov_b64 s[0:1], 0
.LBB183_1486:
	s_andn2_b64 vcc, exec, s[0:1]
	s_cbranch_vccnz .LBB183_1488
; %bb.1487:
	global_load_sshort v1, v[8:9], off
.LBB183_1488:
	s_mov_b64 s[0:1], 0
.LBB183_1489:
	s_andn2_b64 vcc, exec, s[0:1]
	s_cbranch_vccnz .LBB183_1495
; %bb.1490:
	s_cmp_gt_i32 s4, 0
	s_cbranch_scc0 .LBB183_1492
; %bb.1491:
	global_load_sbyte v1, v[8:9], off
	s_mov_b64 s[0:1], 0
	s_branch .LBB183_1493
.LBB183_1492:
	s_mov_b64 s[0:1], -1
                                        ; implicit-def: $vgpr1
.LBB183_1493:
	s_andn2_b64 vcc, exec, s[0:1]
	s_cbranch_vccnz .LBB183_1495
; %bb.1494:
	global_load_ubyte v1, v[8:9], off
.LBB183_1495:
.LBB183_1496:
	v_mov_b32_e32 v8, s11
	v_add_co_u32_e32 v7, vcc, s10, v7
	s_cmp_lt_i32 s14, 11
	v_addc_co_u32_e32 v8, vcc, 0, v8, vcc
	s_cbranch_scc1 .LBB183_1503
; %bb.1497:
	s_and_b32 s12, 0xffff, s14
	s_cmp_gt_i32 s12, 25
	s_mov_b64 s[4:5], 0
	s_cbranch_scc0 .LBB183_1504
; %bb.1498:
	s_cmp_gt_i32 s12, 28
	s_cbranch_scc0 .LBB183_1505
; %bb.1499:
	s_cmp_gt_i32 s12, 43
	;; [unrolled: 3-line block ×3, first 2 shown]
	s_cbranch_scc0 .LBB183_1508
; %bb.1501:
	s_cmp_eq_u32 s12, 46
	s_mov_b64 s[10:11], 0
	s_cbranch_scc0 .LBB183_1509
; %bb.1502:
	global_load_dword v9, v[7:8], off
	s_mov_b64 s[0:1], 0
	s_mov_b64 s[6:7], -1
	s_waitcnt vmcnt(0)
	v_lshlrev_b32_e32 v9, 16, v9
	v_cvt_i32_f32_e32 v9, v9
	s_branch .LBB183_1510
.LBB183_1503:
	s_mov_b64 s[0:1], -1
	s_mov_b64 s[6:7], 0
                                        ; implicit-def: $vgpr9
	s_branch .LBB183_1572
.LBB183_1504:
	s_mov_b64 s[10:11], -1
	s_mov_b64 s[6:7], 0
	s_mov_b64 s[0:1], 0
                                        ; implicit-def: $vgpr9
	s_branch .LBB183_1537
.LBB183_1505:
	s_mov_b64 s[10:11], -1
	s_mov_b64 s[6:7], 0
	s_mov_b64 s[0:1], 0
                                        ; implicit-def: $vgpr9
	s_branch .LBB183_1520
.LBB183_1506:
	s_mov_b64 s[10:11], -1
	s_mov_b64 s[6:7], 0
	s_mov_b64 s[0:1], 0
                                        ; implicit-def: $vgpr9
	s_branch .LBB183_1515
.LBB183_1507:
	s_trap 2
	s_or_b64 s[2:3], s[2:3], exec
	s_cbranch_execz .LBB183_1446
	s_branch .LBB183_1447
.LBB183_1508:
	s_mov_b64 s[10:11], -1
	s_mov_b64 s[6:7], 0
	s_mov_b64 s[0:1], 0
                                        ; implicit-def: $vgpr9
	s_branch .LBB183_1510
.LBB183_1509:
	s_mov_b64 s[0:1], -1
                                        ; implicit-def: $vgpr9
	s_mov_b64 s[6:7], 0
.LBB183_1510:
	s_and_b64 vcc, exec, s[10:11]
	s_cbranch_vccz .LBB183_1514
; %bb.1511:
	s_cmp_eq_u32 s12, 44
	s_cbranch_scc0 .LBB183_1513
; %bb.1512:
	global_load_ubyte v9, v[7:8], off
	s_mov_b64 s[0:1], 0
	s_mov_b64 s[6:7], -1
	s_waitcnt vmcnt(0)
	v_lshlrev_b32_e32 v10, 23, v9
	v_cvt_i32_f32_e32 v10, v10
	v_cmp_ne_u32_e32 vcc, 0, v9
	v_cndmask_b32_e32 v9, 0, v10, vcc
	s_branch .LBB183_1514
.LBB183_1513:
	s_mov_b64 s[0:1], -1
                                        ; implicit-def: $vgpr9
.LBB183_1514:
	s_mov_b64 s[10:11], 0
.LBB183_1515:
	s_and_b64 vcc, exec, s[10:11]
	s_cbranch_vccz .LBB183_1519
; %bb.1516:
	s_cmp_eq_u32 s12, 29
	s_cbranch_scc0 .LBB183_1518
; %bb.1517:
	global_load_dword v9, v[7:8], off
	s_mov_b64 s[0:1], 0
	s_mov_b64 s[6:7], -1
	s_branch .LBB183_1519
.LBB183_1518:
	s_mov_b64 s[0:1], -1
                                        ; implicit-def: $vgpr9
.LBB183_1519:
	s_mov_b64 s[10:11], 0
.LBB183_1520:
	s_and_b64 vcc, exec, s[10:11]
	s_cbranch_vccz .LBB183_1536
; %bb.1521:
	s_cmp_lt_i32 s12, 27
	s_cbranch_scc1 .LBB183_1524
; %bb.1522:
	s_cmp_gt_i32 s12, 27
	s_cbranch_scc0 .LBB183_1525
; %bb.1523:
	global_load_dword v9, v[7:8], off
	s_mov_b64 s[6:7], 0
	s_branch .LBB183_1526
.LBB183_1524:
	s_mov_b64 s[6:7], -1
                                        ; implicit-def: $vgpr9
	s_branch .LBB183_1529
.LBB183_1525:
	s_mov_b64 s[6:7], -1
                                        ; implicit-def: $vgpr9
.LBB183_1526:
	s_andn2_b64 vcc, exec, s[6:7]
	s_cbranch_vccnz .LBB183_1528
; %bb.1527:
	global_load_ushort v9, v[7:8], off
.LBB183_1528:
	s_mov_b64 s[6:7], 0
.LBB183_1529:
	s_andn2_b64 vcc, exec, s[6:7]
	s_cbranch_vccnz .LBB183_1535
; %bb.1530:
	global_load_ubyte v10, v[7:8], off
	s_movk_i32 s6, 0x7f
	s_mov_b64 s[10:11], 0
	s_waitcnt vmcnt(0)
	v_cmp_lt_i16_e32 vcc, s6, v10
	s_and_saveexec_b64 s[6:7], vcc
	s_xor_b64 s[6:7], exec, s[6:7]
	s_cbranch_execz .LBB183_1547
; %bb.1531:
	s_movk_i32 s10, 0x80
	v_cmp_ne_u16_e32 vcc, s10, v10
	s_and_b64 s[10:11], vcc, exec
	s_andn2_saveexec_b64 s[6:7], s[6:7]
	s_cbranch_execnz .LBB183_1548
.LBB183_1532:
	s_or_b64 exec, exec, s[6:7]
	v_mov_b32_e32 v9, 0
	s_and_saveexec_b64 s[6:7], s[10:11]
	s_cbranch_execz .LBB183_1534
.LBB183_1533:
	v_lshlrev_b32_e32 v9, 24, v10
	v_and_b32_e32 v10, 0xffff, v10
	v_and_b32_e32 v11, 7, v10
	v_ffbh_u32_e32 v13, v11
	v_min_u32_e32 v13, 32, v13
	v_subrev_u32_e32 v14, 28, v13
	v_bfe_u32 v12, v10, 3, 4
	v_lshlrev_b32_e32 v10, v14, v10
	v_sub_u32_e32 v13, 29, v13
	v_and_b32_e32 v10, 7, v10
	v_cmp_eq_u32_e32 vcc, 0, v12
	v_cndmask_b32_e32 v12, v12, v13, vcc
	v_cndmask_b32_e32 v10, v11, v10, vcc
	v_mov_b32_e32 v11, 0x3b800000
	v_lshlrev_b32_e32 v10, 20, v10
	v_and_b32_e32 v9, 0x80000000, v9
	v_lshl_add_u32 v11, v12, 23, v11
	v_or3_b32 v9, v9, v11, v10
	v_cvt_i32_f32_e32 v9, v9
.LBB183_1534:
	s_or_b64 exec, exec, s[6:7]
.LBB183_1535:
	s_mov_b64 s[6:7], -1
.LBB183_1536:
	s_mov_b64 s[10:11], 0
.LBB183_1537:
	s_and_b64 vcc, exec, s[10:11]
	s_cbranch_vccz .LBB183_1568
; %bb.1538:
	s_cmp_gt_i32 s12, 22
	s_cbranch_scc0 .LBB183_1546
; %bb.1539:
	s_cmp_lt_i32 s12, 24
	s_cbranch_scc1 .LBB183_1549
; %bb.1540:
	s_cmp_gt_i32 s12, 24
	s_cbranch_scc0 .LBB183_1550
; %bb.1541:
	global_load_ubyte v10, v[7:8], off
	s_movk_i32 s4, 0x7f
	s_mov_b64 s[6:7], 0
	s_waitcnt vmcnt(0)
	v_cmp_lt_i16_e32 vcc, s4, v10
	s_and_saveexec_b64 s[4:5], vcc
	s_xor_b64 s[4:5], exec, s[4:5]
	s_cbranch_execz .LBB183_1562
; %bb.1542:
	s_movk_i32 s6, 0x80
	v_cmp_ne_u16_e32 vcc, s6, v10
	s_and_b64 s[6:7], vcc, exec
	s_andn2_saveexec_b64 s[4:5], s[4:5]
	s_cbranch_execnz .LBB183_1563
.LBB183_1543:
	s_or_b64 exec, exec, s[4:5]
	v_mov_b32_e32 v9, 0
	s_and_saveexec_b64 s[4:5], s[6:7]
	s_cbranch_execz .LBB183_1545
.LBB183_1544:
	v_lshlrev_b32_e32 v9, 24, v10
	v_and_b32_e32 v10, 0xffff, v10
	v_and_b32_e32 v11, 3, v10
	v_ffbh_u32_e32 v13, v11
	v_min_u32_e32 v13, 32, v13
	v_subrev_u32_e32 v14, 29, v13
	v_bfe_u32 v12, v10, 2, 5
	v_lshlrev_b32_e32 v10, v14, v10
	v_sub_u32_e32 v13, 30, v13
	v_and_b32_e32 v10, 3, v10
	v_cmp_eq_u32_e32 vcc, 0, v12
	v_cndmask_b32_e32 v12, v12, v13, vcc
	v_cndmask_b32_e32 v10, v11, v10, vcc
	v_mov_b32_e32 v11, 0x37800000
	v_lshlrev_b32_e32 v10, 21, v10
	v_and_b32_e32 v9, 0x80000000, v9
	v_lshl_add_u32 v11, v12, 23, v11
	v_or3_b32 v9, v9, v11, v10
	v_cvt_i32_f32_e32 v9, v9
.LBB183_1545:
	s_or_b64 exec, exec, s[4:5]
	s_mov_b64 s[4:5], 0
	s_branch .LBB183_1551
.LBB183_1546:
	s_mov_b64 s[4:5], -1
                                        ; implicit-def: $vgpr9
	s_branch .LBB183_1557
.LBB183_1547:
	s_andn2_saveexec_b64 s[6:7], s[6:7]
	s_cbranch_execz .LBB183_1532
.LBB183_1548:
	v_cmp_ne_u16_e32 vcc, 0, v10
	s_andn2_b64 s[10:11], s[10:11], exec
	s_and_b64 s[16:17], vcc, exec
	s_or_b64 s[10:11], s[10:11], s[16:17]
	s_or_b64 exec, exec, s[6:7]
	v_mov_b32_e32 v9, 0
	s_and_saveexec_b64 s[6:7], s[10:11]
	s_cbranch_execnz .LBB183_1533
	s_branch .LBB183_1534
.LBB183_1549:
	s_mov_b64 s[4:5], -1
                                        ; implicit-def: $vgpr9
	s_branch .LBB183_1554
.LBB183_1550:
	s_mov_b64 s[4:5], -1
                                        ; implicit-def: $vgpr9
.LBB183_1551:
	s_and_b64 vcc, exec, s[4:5]
	s_cbranch_vccz .LBB183_1553
; %bb.1552:
	global_load_ubyte v9, v[7:8], off
	s_mov_b32 s4, 0x7f800000
	s_waitcnt vmcnt(0)
	v_lshlrev_b32_e32 v9, 24, v9
	v_and_b32_e32 v10, 0x7f000000, v9
	v_ffbh_u32_e32 v11, v10
	v_min_u32_e32 v11, 32, v11
	v_sub_u32_e64 v11, v11, 4 clamp
	v_lshlrev_b32_e32 v13, v11, v10
	v_lshlrev_b32_e32 v11, 23, v11
	v_lshrrev_b32_e32 v13, 4, v13
	v_add_u32_e32 v12, 0x1000000, v10
	v_sub_u32_e32 v11, v13, v11
	v_ashrrev_i32_e32 v12, 8, v12
	v_add_u32_e32 v11, 0x3c000000, v11
	v_and_or_b32 v11, v12, s4, v11
	v_cmp_ne_u32_e32 vcc, 0, v10
	v_cndmask_b32_e32 v10, 0, v11, vcc
	s_brev_b32 s4, 1
	v_and_or_b32 v9, v9, s4, v10
	v_cvt_i32_f32_e32 v9, v9
.LBB183_1553:
	s_mov_b64 s[4:5], 0
.LBB183_1554:
	s_andn2_b64 vcc, exec, s[4:5]
	s_cbranch_vccnz .LBB183_1556
; %bb.1555:
	global_load_ubyte v9, v[7:8], off
	s_movk_i32 s4, 0x7f00
	s_brev_b32 s5, 16
	s_waitcnt vmcnt(0)
	v_lshlrev_b16_e32 v10, 8, v9
	v_lshlrev_b32_e32 v9, 25, v9
	v_lshrrev_b32_e32 v11, 4, v9
	v_and_or_b32 v12, v10, s4, 0.5
	v_or_b32_e32 v11, 0x70000000, v11
	v_add_f32_e32 v12, -0.5, v12
	v_mul_f32_e32 v11, 0x7800000, v11
	v_cmp_gt_u32_e32 vcc, s5, v9
	v_bfe_i32 v10, v10, 0, 16
	v_cndmask_b32_e32 v9, v11, v12, vcc
	s_brev_b32 s4, 1
	v_and_or_b32 v9, v10, s4, v9
	v_cvt_i32_f32_e32 v9, v9
.LBB183_1556:
	s_mov_b64 s[4:5], 0
	s_mov_b64 s[6:7], -1
.LBB183_1557:
	s_andn2_b64 vcc, exec, s[4:5]
	s_mov_b64 s[4:5], 0
	s_cbranch_vccnz .LBB183_1568
; %bb.1558:
	s_cmp_gt_i32 s12, 14
	s_cbranch_scc0 .LBB183_1561
; %bb.1559:
	s_cmp_eq_u32 s12, 15
	s_cbranch_scc0 .LBB183_1564
; %bb.1560:
	global_load_ushort v9, v[7:8], off
	s_mov_b64 s[0:1], 0
	s_mov_b64 s[6:7], -1
	s_waitcnt vmcnt(0)
	v_lshlrev_b32_e32 v9, 16, v9
	v_cvt_i32_f32_e32 v9, v9
	s_branch .LBB183_1565
.LBB183_1561:
	s_mov_b64 s[10:11], -1
                                        ; implicit-def: $vgpr9
	s_branch .LBB183_1566
.LBB183_1562:
	s_andn2_saveexec_b64 s[4:5], s[4:5]
	s_cbranch_execz .LBB183_1543
.LBB183_1563:
	v_cmp_ne_u16_e32 vcc, 0, v10
	s_andn2_b64 s[6:7], s[6:7], exec
	s_and_b64 s[10:11], vcc, exec
	s_or_b64 s[6:7], s[6:7], s[10:11]
	s_or_b64 exec, exec, s[4:5]
	v_mov_b32_e32 v9, 0
	s_and_saveexec_b64 s[4:5], s[6:7]
	s_cbranch_execnz .LBB183_1544
	s_branch .LBB183_1545
.LBB183_1564:
	s_mov_b64 s[0:1], -1
                                        ; implicit-def: $vgpr9
.LBB183_1565:
	s_mov_b64 s[10:11], 0
.LBB183_1566:
	s_and_b64 vcc, exec, s[10:11]
	s_cbranch_vccz .LBB183_1568
; %bb.1567:
	s_cmp_lg_u32 s12, 11
	s_mov_b64 s[4:5], -1
	s_cselect_b64 s[0:1], -1, 0
.LBB183_1568:
	s_and_b64 vcc, exec, s[0:1]
	s_cbranch_vccnz .LBB183_2101
; %bb.1569:
	s_andn2_b64 vcc, exec, s[4:5]
	s_cbranch_vccnz .LBB183_1571
.LBB183_1570:
	global_load_ubyte v9, v[7:8], off
	s_mov_b64 s[6:7], -1
	s_waitcnt vmcnt(0)
	v_cmp_ne_u16_e32 vcc, 0, v9
	v_cndmask_b32_e64 v9, 0, 1, vcc
.LBB183_1571:
	s_mov_b64 s[0:1], 0
.LBB183_1572:
	s_and_b64 vcc, exec, s[0:1]
	s_cbranch_vccz .LBB183_1621
; %bb.1573:
	s_and_b32 s4, 0xffff, s14
	s_cmp_lt_i32 s4, 5
	s_cbranch_scc1 .LBB183_1578
; %bb.1574:
	s_cmp_lt_i32 s4, 8
	s_cbranch_scc1 .LBB183_1579
; %bb.1575:
	s_cmp_lt_i32 s4, 9
	s_cbranch_scc1 .LBB183_1580
; %bb.1576:
	s_cmp_gt_i32 s4, 9
	s_cbranch_scc0 .LBB183_1581
; %bb.1577:
	global_load_dwordx2 v[9:10], v[7:8], off
	s_mov_b64 s[0:1], 0
	s_waitcnt vmcnt(0)
	v_cvt_i32_f64_e32 v9, v[9:10]
	s_branch .LBB183_1582
.LBB183_1578:
	s_mov_b64 s[0:1], -1
                                        ; implicit-def: $vgpr9
	s_branch .LBB183_1600
.LBB183_1579:
	s_mov_b64 s[0:1], -1
                                        ; implicit-def: $vgpr9
	s_branch .LBB183_1588
.LBB183_1580:
	s_mov_b64 s[0:1], -1
                                        ; implicit-def: $vgpr9
	s_branch .LBB183_1585
.LBB183_1581:
	s_mov_b64 s[0:1], -1
                                        ; implicit-def: $vgpr9
.LBB183_1582:
	s_andn2_b64 vcc, exec, s[0:1]
	s_cbranch_vccnz .LBB183_1584
; %bb.1583:
	global_load_dword v9, v[7:8], off
	s_waitcnt vmcnt(0)
	v_cvt_i32_f32_e32 v9, v9
.LBB183_1584:
	s_mov_b64 s[0:1], 0
.LBB183_1585:
	s_andn2_b64 vcc, exec, s[0:1]
	s_cbranch_vccnz .LBB183_1587
; %bb.1586:
	global_load_dword v9, v[7:8], off
	s_waitcnt vmcnt(0)
	v_cvt_f32_f16_e32 v9, v9
	v_cvt_i32_f32_e32 v9, v9
.LBB183_1587:
	s_mov_b64 s[0:1], 0
.LBB183_1588:
	s_andn2_b64 vcc, exec, s[0:1]
	s_cbranch_vccnz .LBB183_1599
; %bb.1589:
	s_cmp_lt_i32 s4, 6
	s_cbranch_scc1 .LBB183_1592
; %bb.1590:
	s_cmp_gt_i32 s4, 6
	s_cbranch_scc0 .LBB183_1593
; %bb.1591:
	global_load_dwordx2 v[9:10], v[7:8], off
	s_mov_b64 s[0:1], 0
	s_waitcnt vmcnt(0)
	v_cvt_i32_f64_e32 v9, v[9:10]
	s_branch .LBB183_1594
.LBB183_1592:
	s_mov_b64 s[0:1], -1
                                        ; implicit-def: $vgpr9
	s_branch .LBB183_1597
.LBB183_1593:
	s_mov_b64 s[0:1], -1
                                        ; implicit-def: $vgpr9
.LBB183_1594:
	s_andn2_b64 vcc, exec, s[0:1]
	s_cbranch_vccnz .LBB183_1596
; %bb.1595:
	global_load_dword v9, v[7:8], off
	s_waitcnt vmcnt(0)
	v_cvt_i32_f32_e32 v9, v9
.LBB183_1596:
	s_mov_b64 s[0:1], 0
.LBB183_1597:
	s_andn2_b64 vcc, exec, s[0:1]
	s_cbranch_vccnz .LBB183_1599
; %bb.1598:
	global_load_ushort v9, v[7:8], off
	s_waitcnt vmcnt(0)
	v_cvt_f32_f16_e32 v9, v9
	v_cvt_i32_f32_e32 v9, v9
.LBB183_1599:
	s_mov_b64 s[0:1], 0
.LBB183_1600:
	s_andn2_b64 vcc, exec, s[0:1]
	s_cbranch_vccnz .LBB183_1620
; %bb.1601:
	s_cmp_lt_i32 s4, 2
	s_cbranch_scc1 .LBB183_1605
; %bb.1602:
	s_cmp_lt_i32 s4, 3
	s_cbranch_scc1 .LBB183_1606
; %bb.1603:
	s_cmp_gt_i32 s4, 3
	s_cbranch_scc0 .LBB183_1607
; %bb.1604:
	global_load_dword v9, v[7:8], off
	s_mov_b64 s[0:1], 0
	s_branch .LBB183_1608
.LBB183_1605:
	s_mov_b64 s[0:1], -1
                                        ; implicit-def: $vgpr9
	s_branch .LBB183_1614
.LBB183_1606:
	s_mov_b64 s[0:1], -1
                                        ; implicit-def: $vgpr9
	s_branch .LBB183_1611
.LBB183_1607:
	s_mov_b64 s[0:1], -1
                                        ; implicit-def: $vgpr9
.LBB183_1608:
	s_andn2_b64 vcc, exec, s[0:1]
	s_cbranch_vccnz .LBB183_1610
; %bb.1609:
	global_load_dword v9, v[7:8], off
.LBB183_1610:
	s_mov_b64 s[0:1], 0
.LBB183_1611:
	s_andn2_b64 vcc, exec, s[0:1]
	s_cbranch_vccnz .LBB183_1613
; %bb.1612:
	global_load_sshort v9, v[7:8], off
.LBB183_1613:
	s_mov_b64 s[0:1], 0
.LBB183_1614:
	s_andn2_b64 vcc, exec, s[0:1]
	s_cbranch_vccnz .LBB183_1620
; %bb.1615:
	s_cmp_gt_i32 s4, 0
	s_cbranch_scc0 .LBB183_1617
; %bb.1616:
	global_load_sbyte v9, v[7:8], off
	s_mov_b64 s[0:1], 0
	s_branch .LBB183_1618
.LBB183_1617:
	s_mov_b64 s[0:1], -1
                                        ; implicit-def: $vgpr9
.LBB183_1618:
	s_andn2_b64 vcc, exec, s[0:1]
	s_cbranch_vccnz .LBB183_1620
; %bb.1619:
	global_load_ubyte v9, v[7:8], off
.LBB183_1620:
	s_mov_b64 s[6:7], -1
.LBB183_1621:
	s_andn2_b64 vcc, exec, s[6:7]
	s_cbranch_vccnz .LBB183_2055
; %bb.1622:
	s_load_dwordx2 s[0:1], s[34:35], 0x15c
	v_mov_b32_e32 v8, s9
	v_add_co_u32_e32 v7, vcc, s8, v6
	v_addc_co_u32_e32 v8, vcc, 0, v8, vcc
	s_waitcnt lgkmcnt(0)
	s_min_u32 s15, s0, 31
	s_and_b32 s14, s1, 0xff
	s_waitcnt vmcnt(0)
	v_ashrrev_i32_e32 v5, s15, v5
	s_cmp_lt_i32 s14, 11
	s_cbranch_scc1 .LBB183_1700
; %bb.1623:
	s_and_b32 s16, 0xffff, s14
	s_mov_b64 s[10:11], -1
	s_mov_b64 s[4:5], 0
	s_cmp_gt_i32 s16, 25
	s_mov_b64 s[6:7], 0
	s_mov_b64 s[0:1], 0
	s_cbranch_scc0 .LBB183_1656
; %bb.1624:
	s_cmp_gt_i32 s16, 28
	s_cbranch_scc0 .LBB183_1639
; %bb.1625:
	s_cmp_gt_i32 s16, 43
	;; [unrolled: 3-line block ×3, first 2 shown]
	s_cbranch_scc0 .LBB183_1629
; %bb.1627:
	s_mov_b64 s[0:1], -1
	s_mov_b64 s[10:11], 0
	s_cmp_eq_u32 s16, 46
	s_cbranch_scc0 .LBB183_1629
; %bb.1628:
	v_cvt_f32_i32_e32 v6, v5
	s_movk_i32 s6, 0x7fff
	s_mov_b64 s[0:1], 0
	v_bfe_u32 v10, v6, 16, 1
	v_add3_u32 v6, v6, v10, s6
	v_lshrrev_b32_e32 v6, 16, v6
	global_store_dword v[7:8], v6, off
	s_mov_b64 s[6:7], -1
.LBB183_1629:
	s_and_b64 vcc, exec, s[10:11]
	s_cbranch_vccz .LBB183_1634
; %bb.1630:
	s_cmp_eq_u32 s16, 44
	s_mov_b64 s[0:1], -1
	s_cbranch_scc0 .LBB183_1634
; %bb.1631:
	v_cvt_f32_i32_e32 v6, v5
	s_movk_i32 s0, 0xff
	v_mov_b32_e32 v11, 0xff
	v_bfe_u32 v10, v6, 23, 8
	v_cmp_ne_u32_e32 vcc, s0, v10
	s_and_saveexec_b64 s[6:7], vcc
; %bb.1632:
	s_mov_b32 s0, 0x3fffff
	v_lshrrev_b32_e32 v11, 23, v6
	v_and_b32_e32 v12, 0x400000, v6
	v_and_or_b32 v6, v6, s0, v10
	v_cmp_ne_u32_e32 vcc, 0, v12
	v_cmp_ne_u32_e64 s[0:1], 0, v6
	s_and_b64 s[0:1], vcc, s[0:1]
	v_cndmask_b32_e64 v6, 0, 1, s[0:1]
	v_add_u32_e32 v11, v11, v6
; %bb.1633:
	s_or_b64 exec, exec, s[6:7]
	s_mov_b64 s[0:1], 0
	s_mov_b64 s[6:7], -1
	global_store_byte v[7:8], v11, off
.LBB183_1634:
	s_mov_b64 s[10:11], 0
.LBB183_1635:
	s_and_b64 vcc, exec, s[10:11]
	s_cbranch_vccz .LBB183_1638
; %bb.1636:
	s_cmp_eq_u32 s16, 29
	s_mov_b64 s[0:1], -1
	s_cbranch_scc0 .LBB183_1638
; %bb.1637:
	v_ashrrev_i32_e32 v6, 31, v5
	global_store_dwordx2 v[7:8], v[5:6], off
	s_mov_b64 s[0:1], 0
	s_mov_b64 s[6:7], -1
.LBB183_1638:
	s_mov_b64 s[10:11], 0
.LBB183_1639:
	s_and_b64 vcc, exec, s[10:11]
	s_cbranch_vccz .LBB183_1655
; %bb.1640:
	s_cmp_lt_i32 s16, 27
	s_mov_b64 s[6:7], -1
	s_cbranch_scc1 .LBB183_1646
; %bb.1641:
	s_cmp_gt_i32 s16, 27
	s_cbranch_scc0 .LBB183_1643
; %bb.1642:
	s_mov_b64 s[6:7], 0
	global_store_dword v[7:8], v5, off
.LBB183_1643:
	s_andn2_b64 vcc, exec, s[6:7]
	s_cbranch_vccnz .LBB183_1645
; %bb.1644:
	global_store_short v[7:8], v5, off
.LBB183_1645:
	s_mov_b64 s[6:7], 0
.LBB183_1646:
	s_andn2_b64 vcc, exec, s[6:7]
	s_cbranch_vccnz .LBB183_1654
; %bb.1647:
	v_cvt_f32_i32_e32 v6, v5
	s_mov_b32 s6, 0x43800000
	v_mov_b32_e32 v11, 0x80
	v_and_b32_e32 v10, 0x7fffffff, v6
	v_cmp_gt_u32_e32 vcc, s6, v10
	s_and_saveexec_b64 s[6:7], vcc
	s_cbranch_execz .LBB183_1653
; %bb.1648:
	s_mov_b32 s10, 0x3bffffff
	v_cmp_lt_u32_e32 vcc, s10, v10
	s_mov_b64 s[10:11], 0
                                        ; implicit-def: $vgpr10
	s_and_saveexec_b64 s[12:13], vcc
	s_xor_b64 s[12:13], exec, s[12:13]
	s_cbranch_execz .LBB183_2102
; %bb.1649:
	v_bfe_u32 v10, v6, 20, 1
	s_mov_b32 s17, 0x487ffff
	v_add3_u32 v10, v6, v10, s17
	s_mov_b64 s[10:11], exec
	v_lshrrev_b32_e32 v10, 20, v10
	s_andn2_saveexec_b64 s[12:13], s[12:13]
	s_cbranch_execnz .LBB183_2103
.LBB183_1650:
	s_or_b64 exec, exec, s[12:13]
	v_mov_b32_e32 v11, 0
	s_and_saveexec_b64 s[12:13], s[10:11]
.LBB183_1651:
	v_lshrrev_b32_e32 v6, 24, v6
	s_movk_i32 s10, 0x80
	v_and_or_b32 v11, v6, s10, v10
.LBB183_1652:
	s_or_b64 exec, exec, s[12:13]
.LBB183_1653:
	s_or_b64 exec, exec, s[6:7]
	global_store_byte v[7:8], v11, off
.LBB183_1654:
	s_mov_b64 s[6:7], -1
.LBB183_1655:
	s_mov_b64 s[10:11], 0
.LBB183_1656:
	s_and_b64 vcc, exec, s[10:11]
	s_cbranch_vccz .LBB183_1696
; %bb.1657:
	s_cmp_gt_i32 s16, 22
	s_mov_b64 s[4:5], -1
	s_cbranch_scc0 .LBB183_1689
; %bb.1658:
	s_cmp_lt_i32 s16, 24
	s_cbranch_scc1 .LBB183_1678
; %bb.1659:
	s_cmp_gt_i32 s16, 24
	s_cbranch_scc0 .LBB183_1667
; %bb.1660:
	v_cvt_f32_i32_e32 v6, v5
	s_mov_b32 s4, 0x47800000
	v_mov_b32_e32 v11, 0x80
	v_and_b32_e32 v10, 0x7fffffff, v6
	v_cmp_gt_u32_e32 vcc, s4, v10
	s_and_saveexec_b64 s[4:5], vcc
	s_cbranch_execz .LBB183_1666
; %bb.1661:
	s_mov_b32 s6, 0x37ffffff
	v_cmp_lt_u32_e32 vcc, s6, v10
	s_mov_b64 s[6:7], 0
                                        ; implicit-def: $vgpr10
	s_and_saveexec_b64 s[10:11], vcc
	s_xor_b64 s[10:11], exec, s[10:11]
	s_cbranch_execz .LBB183_2105
; %bb.1662:
	v_bfe_u32 v10, v6, 21, 1
	s_mov_b32 s12, 0x88fffff
	v_add3_u32 v10, v6, v10, s12
	s_mov_b64 s[6:7], exec
	v_lshrrev_b32_e32 v10, 21, v10
	s_andn2_saveexec_b64 s[10:11], s[10:11]
	s_cbranch_execnz .LBB183_2106
.LBB183_1663:
	s_or_b64 exec, exec, s[10:11]
	v_mov_b32_e32 v11, 0
	s_and_saveexec_b64 s[10:11], s[6:7]
.LBB183_1664:
	v_lshrrev_b32_e32 v6, 24, v6
	s_movk_i32 s6, 0x80
	v_and_or_b32 v11, v6, s6, v10
.LBB183_1665:
	s_or_b64 exec, exec, s[10:11]
.LBB183_1666:
	s_or_b64 exec, exec, s[4:5]
	s_mov_b64 s[4:5], 0
	global_store_byte v[7:8], v11, off
.LBB183_1667:
	s_and_b64 vcc, exec, s[4:5]
	s_cbranch_vccz .LBB183_1677
; %bb.1668:
	v_cvt_f32_i32_e32 v6, v5
	s_mov_b32 s4, 0x43f00000
                                        ; implicit-def: $vgpr10
	v_and_b32_e32 v11, 0x7fffffff, v6
	v_cmp_gt_u32_e32 vcc, s4, v11
	s_and_saveexec_b64 s[4:5], vcc
	s_xor_b64 s[4:5], exec, s[4:5]
	s_cbranch_execz .LBB183_1674
; %bb.1669:
	s_mov_b32 s6, 0x3c7fffff
	v_cmp_lt_u32_e32 vcc, s6, v11
                                        ; implicit-def: $vgpr10
	s_and_saveexec_b64 s[6:7], vcc
	s_xor_b64 s[6:7], exec, s[6:7]
; %bb.1670:
	v_bfe_u32 v10, v6, 20, 1
	s_mov_b32 s10, 0x407ffff
	v_add3_u32 v10, v6, v10, s10
	v_lshrrev_b32_e32 v11, 20, v10
	v_and_b32_e32 v10, 0xff00000, v10
	s_mov_b32 s10, 0x7f00000
	v_mov_b32_e32 v12, 0x7e
	v_cmp_ne_u32_e32 vcc, s10, v10
	v_cndmask_b32_e32 v10, v12, v11, vcc
; %bb.1671:
	s_andn2_saveexec_b64 s[6:7], s[6:7]
; %bb.1672:
	s_mov_b32 s10, 0x46800000
	v_add_f32_e64 v10, |v6|, s10
; %bb.1673:
	s_or_b64 exec, exec, s[6:7]
                                        ; implicit-def: $vgpr11
.LBB183_1674:
	s_andn2_saveexec_b64 s[4:5], s[4:5]
; %bb.1675:
	s_mov_b32 s6, 0x7f800000
	v_mov_b32_e32 v10, 0x7e
	v_mov_b32_e32 v12, 0x7f
	v_cmp_lt_u32_e32 vcc, s6, v11
	v_cndmask_b32_e32 v10, v10, v12, vcc
; %bb.1676:
	s_or_b64 exec, exec, s[4:5]
	v_lshrrev_b32_e32 v6, 24, v6
	s_movk_i32 s4, 0x80
	v_and_or_b32 v6, v6, s4, v10
	global_store_byte v[7:8], v6, off
.LBB183_1677:
	s_mov_b64 s[4:5], 0
.LBB183_1678:
	s_andn2_b64 vcc, exec, s[4:5]
	s_cbranch_vccnz .LBB183_1688
; %bb.1679:
	v_cvt_f32_i32_e32 v6, v5
	s_mov_b32 s4, 0x47800000
                                        ; implicit-def: $vgpr10
	v_and_b32_e32 v11, 0x7fffffff, v6
	v_cmp_gt_u32_e32 vcc, s4, v11
	s_and_saveexec_b64 s[4:5], vcc
	s_xor_b64 s[4:5], exec, s[4:5]
	s_cbranch_execz .LBB183_1685
; %bb.1680:
	s_mov_b32 s6, 0x387fffff
	v_cmp_lt_u32_e32 vcc, s6, v11
                                        ; implicit-def: $vgpr10
	s_and_saveexec_b64 s[6:7], vcc
	s_xor_b64 s[6:7], exec, s[6:7]
; %bb.1681:
	v_bfe_u32 v10, v6, 21, 1
	s_mov_b32 s10, 0x80fffff
	v_add3_u32 v10, v6, v10, s10
	v_lshrrev_b32_e32 v10, 21, v10
; %bb.1682:
	s_andn2_saveexec_b64 s[6:7], s[6:7]
; %bb.1683:
	s_mov_b32 s10, 0x43000000
	v_add_f32_e64 v10, |v6|, s10
; %bb.1684:
	s_or_b64 exec, exec, s[6:7]
                                        ; implicit-def: $vgpr11
.LBB183_1685:
	s_andn2_saveexec_b64 s[4:5], s[4:5]
; %bb.1686:
	s_mov_b32 s6, 0x7f800000
	v_mov_b32_e32 v10, 0x7c
	v_mov_b32_e32 v12, 0x7f
	v_cmp_lt_u32_e32 vcc, s6, v11
	v_cndmask_b32_e32 v10, v10, v12, vcc
; %bb.1687:
	s_or_b64 exec, exec, s[4:5]
	v_lshrrev_b32_e32 v6, 24, v6
	s_movk_i32 s4, 0x80
	v_and_or_b32 v6, v6, s4, v10
	global_store_byte v[7:8], v6, off
.LBB183_1688:
	s_mov_b64 s[4:5], 0
	s_mov_b64 s[6:7], -1
.LBB183_1689:
	s_andn2_b64 vcc, exec, s[4:5]
	s_mov_b64 s[4:5], 0
	s_cbranch_vccnz .LBB183_1696
; %bb.1690:
	s_cmp_gt_i32 s16, 14
	s_mov_b64 s[10:11], -1
	s_cbranch_scc0 .LBB183_1694
; %bb.1691:
	s_cmp_eq_u32 s16, 15
	s_mov_b64 s[0:1], -1
	s_cbranch_scc0 .LBB183_1693
; %bb.1692:
	v_cvt_f32_i32_e32 v6, v5
	s_movk_i32 s4, 0x7fff
	s_mov_b64 s[0:1], 0
	s_mov_b64 s[6:7], -1
	v_bfe_u32 v10, v6, 16, 1
	v_add3_u32 v6, v6, v10, s4
	global_store_short_d16_hi v[7:8], v6, off
.LBB183_1693:
	s_mov_b64 s[10:11], 0
.LBB183_1694:
	s_mov_b64 s[4:5], 0
	s_and_b64 vcc, exec, s[10:11]
	s_cbranch_vccz .LBB183_1696
; %bb.1695:
	s_cmp_lg_u32 s16, 11
	s_mov_b64 s[4:5], -1
	s_cselect_b64 s[0:1], -1, 0
.LBB183_1696:
	s_and_b64 vcc, exec, s[0:1]
	s_cbranch_vccnz .LBB183_2104
; %bb.1697:
	s_andn2_b64 vcc, exec, s[4:5]
	s_cbranch_vccnz .LBB183_1699
.LBB183_1698:
	v_cmp_ne_u32_e32 vcc, 0, v5
	v_cndmask_b32_e64 v6, 0, 1, vcc
	s_mov_b64 s[6:7], -1
	global_store_byte v[7:8], v6, off
.LBB183_1699:
	s_mov_b64 s[0:1], 0
	s_branch .LBB183_1701
.LBB183_1700:
	s_mov_b64 s[0:1], -1
	s_mov_b64 s[6:7], 0
.LBB183_1701:
	s_and_b64 vcc, exec, s[0:1]
	s_cbranch_vccz .LBB183_1740
; %bb.1702:
	s_and_b32 s4, 0xffff, s14
	s_cmp_lt_i32 s4, 5
	s_mov_b64 s[0:1], -1
	s_cbranch_scc1 .LBB183_1723
; %bb.1703:
	s_cmp_lt_i32 s4, 8
	s_cbranch_scc1 .LBB183_1713
; %bb.1704:
	s_cmp_lt_i32 s4, 9
	s_cbranch_scc1 .LBB183_1710
; %bb.1705:
	s_cmp_gt_i32 s4, 9
	s_cbranch_scc0 .LBB183_1707
; %bb.1706:
	v_cvt_f64_i32_e32 v[10:11], v5
	v_mov_b32_e32 v12, 0
	v_mov_b32_e32 v13, v12
	s_mov_b64 s[0:1], 0
	global_store_dwordx4 v[7:8], v[10:13], off
.LBB183_1707:
	s_andn2_b64 vcc, exec, s[0:1]
	s_cbranch_vccnz .LBB183_1709
; %bb.1708:
	v_cvt_f32_i32_e32 v10, v5
	v_mov_b32_e32 v11, 0
	global_store_dwordx2 v[7:8], v[10:11], off
.LBB183_1709:
	s_mov_b64 s[0:1], 0
.LBB183_1710:
	s_andn2_b64 vcc, exec, s[0:1]
	s_cbranch_vccnz .LBB183_1712
; %bb.1711:
	v_cvt_f32_i32_e32 v6, v5
	v_cvt_f16_f32_e32 v6, v6
	global_store_dword v[7:8], v6, off
.LBB183_1712:
	s_mov_b64 s[0:1], 0
.LBB183_1713:
	s_andn2_b64 vcc, exec, s[0:1]
	s_cbranch_vccnz .LBB183_1722
; %bb.1714:
	s_cmp_lt_i32 s4, 6
	s_mov_b64 s[0:1], -1
	s_cbranch_scc1 .LBB183_1720
; %bb.1715:
	s_cmp_gt_i32 s4, 6
	s_cbranch_scc0 .LBB183_1717
; %bb.1716:
	v_cvt_f64_i32_e32 v[10:11], v5
	s_mov_b64 s[0:1], 0
	global_store_dwordx2 v[7:8], v[10:11], off
.LBB183_1717:
	s_andn2_b64 vcc, exec, s[0:1]
	s_cbranch_vccnz .LBB183_1719
; %bb.1718:
	v_cvt_f32_i32_e32 v6, v5
	global_store_dword v[7:8], v6, off
.LBB183_1719:
	s_mov_b64 s[0:1], 0
.LBB183_1720:
	s_andn2_b64 vcc, exec, s[0:1]
	s_cbranch_vccnz .LBB183_1722
; %bb.1721:
	v_cvt_f32_i32_e32 v6, v5
	v_cvt_f16_f32_e32 v6, v6
	global_store_short v[7:8], v6, off
.LBB183_1722:
	s_mov_b64 s[0:1], 0
.LBB183_1723:
	s_andn2_b64 vcc, exec, s[0:1]
	s_cbranch_vccnz .LBB183_1739
; %bb.1724:
	s_cmp_lt_i32 s4, 2
	s_mov_b64 s[0:1], -1
	s_cbranch_scc1 .LBB183_1734
; %bb.1725:
	s_cmp_lt_i32 s4, 3
	s_cbranch_scc1 .LBB183_1731
; %bb.1726:
	s_cmp_gt_i32 s4, 3
	s_cbranch_scc0 .LBB183_1728
; %bb.1727:
	v_ashrrev_i32_e32 v6, 31, v5
	global_store_dwordx2 v[7:8], v[5:6], off
	s_mov_b64 s[0:1], 0
.LBB183_1728:
	s_andn2_b64 vcc, exec, s[0:1]
	s_cbranch_vccnz .LBB183_1730
; %bb.1729:
	global_store_dword v[7:8], v5, off
.LBB183_1730:
	s_mov_b64 s[0:1], 0
.LBB183_1731:
	s_andn2_b64 vcc, exec, s[0:1]
	s_cbranch_vccnz .LBB183_1733
; %bb.1732:
	global_store_short v[7:8], v5, off
.LBB183_1733:
	s_mov_b64 s[0:1], 0
.LBB183_1734:
	s_andn2_b64 vcc, exec, s[0:1]
	s_cbranch_vccnz .LBB183_1739
; %bb.1735:
	s_cmp_gt_i32 s4, 0
	s_mov_b64 s[0:1], -1
	s_cbranch_scc0 .LBB183_1737
; %bb.1736:
	global_store_byte v[7:8], v5, off
	s_mov_b64 s[0:1], 0
.LBB183_1737:
	s_andn2_b64 vcc, exec, s[0:1]
	s_cbranch_vccnz .LBB183_1739
; %bb.1738:
	global_store_byte v[7:8], v5, off
.LBB183_1739:
	s_mov_b64 s[6:7], -1
.LBB183_1740:
	s_andn2_b64 vcc, exec, s[6:7]
	s_cbranch_vccnz .LBB183_2055
; %bb.1741:
	v_mov_b32_e32 v6, s9
	s_and_b32 s16, 0xffff, s14
	v_add_co_u32_e32 v5, vcc, s8, v4
	v_ashrrev_i32_e32 v3, s15, v3
	s_cmp_lt_i32 s16, 11
	v_addc_co_u32_e32 v6, vcc, 0, v6, vcc
	s_cbranch_scc1 .LBB183_1819
; %bb.1742:
	s_mov_b64 s[10:11], -1
	s_mov_b64 s[4:5], 0
	s_cmp_gt_i32 s16, 25
	s_mov_b64 s[6:7], 0
	s_mov_b64 s[0:1], 0
	s_cbranch_scc0 .LBB183_1775
; %bb.1743:
	s_cmp_gt_i32 s16, 28
	s_cbranch_scc0 .LBB183_1758
; %bb.1744:
	s_cmp_gt_i32 s16, 43
	;; [unrolled: 3-line block ×3, first 2 shown]
	s_cbranch_scc0 .LBB183_1748
; %bb.1746:
	s_mov_b64 s[0:1], -1
	s_mov_b64 s[10:11], 0
	s_cmp_eq_u32 s16, 46
	s_cbranch_scc0 .LBB183_1748
; %bb.1747:
	v_cvt_f32_i32_e32 v4, v3
	s_movk_i32 s6, 0x7fff
	s_mov_b64 s[0:1], 0
	v_bfe_u32 v7, v4, 16, 1
	v_add3_u32 v4, v4, v7, s6
	v_lshrrev_b32_e32 v4, 16, v4
	global_store_dword v[5:6], v4, off
	s_mov_b64 s[6:7], -1
.LBB183_1748:
	s_and_b64 vcc, exec, s[10:11]
	s_cbranch_vccz .LBB183_1753
; %bb.1749:
	s_cmp_eq_u32 s16, 44
	s_mov_b64 s[0:1], -1
	s_cbranch_scc0 .LBB183_1753
; %bb.1750:
	v_cvt_f32_i32_e32 v4, v3
	s_movk_i32 s0, 0xff
	v_mov_b32_e32 v8, 0xff
	v_bfe_u32 v7, v4, 23, 8
	v_cmp_ne_u32_e32 vcc, s0, v7
	s_and_saveexec_b64 s[6:7], vcc
; %bb.1751:
	s_mov_b32 s0, 0x3fffff
	v_lshrrev_b32_e32 v8, 23, v4
	v_and_b32_e32 v10, 0x400000, v4
	v_and_or_b32 v4, v4, s0, v7
	v_cmp_ne_u32_e32 vcc, 0, v10
	v_cmp_ne_u32_e64 s[0:1], 0, v4
	s_and_b64 s[0:1], vcc, s[0:1]
	v_cndmask_b32_e64 v4, 0, 1, s[0:1]
	v_add_u32_e32 v8, v8, v4
; %bb.1752:
	s_or_b64 exec, exec, s[6:7]
	s_mov_b64 s[0:1], 0
	s_mov_b64 s[6:7], -1
	global_store_byte v[5:6], v8, off
.LBB183_1753:
	s_mov_b64 s[10:11], 0
.LBB183_1754:
	s_and_b64 vcc, exec, s[10:11]
	s_cbranch_vccz .LBB183_1757
; %bb.1755:
	s_cmp_eq_u32 s16, 29
	s_mov_b64 s[0:1], -1
	s_cbranch_scc0 .LBB183_1757
; %bb.1756:
	v_ashrrev_i32_e32 v4, 31, v3
	global_store_dwordx2 v[5:6], v[3:4], off
	s_mov_b64 s[0:1], 0
	s_mov_b64 s[6:7], -1
.LBB183_1757:
	s_mov_b64 s[10:11], 0
.LBB183_1758:
	s_and_b64 vcc, exec, s[10:11]
	s_cbranch_vccz .LBB183_1774
; %bb.1759:
	s_cmp_lt_i32 s16, 27
	s_mov_b64 s[6:7], -1
	s_cbranch_scc1 .LBB183_1765
; %bb.1760:
	s_cmp_gt_i32 s16, 27
	s_cbranch_scc0 .LBB183_1762
; %bb.1761:
	s_mov_b64 s[6:7], 0
	global_store_dword v[5:6], v3, off
.LBB183_1762:
	s_andn2_b64 vcc, exec, s[6:7]
	s_cbranch_vccnz .LBB183_1764
; %bb.1763:
	global_store_short v[5:6], v3, off
.LBB183_1764:
	s_mov_b64 s[6:7], 0
.LBB183_1765:
	s_andn2_b64 vcc, exec, s[6:7]
	s_cbranch_vccnz .LBB183_1773
; %bb.1766:
	v_cvt_f32_i32_e32 v4, v3
	s_mov_b32 s6, 0x43800000
	v_mov_b32_e32 v8, 0x80
	v_and_b32_e32 v7, 0x7fffffff, v4
	v_cmp_gt_u32_e32 vcc, s6, v7
	s_and_saveexec_b64 s[6:7], vcc
	s_cbranch_execz .LBB183_1772
; %bb.1767:
	s_mov_b32 s10, 0x3bffffff
	v_cmp_lt_u32_e32 vcc, s10, v7
	s_mov_b64 s[10:11], 0
                                        ; implicit-def: $vgpr7
	s_and_saveexec_b64 s[12:13], vcc
	s_xor_b64 s[12:13], exec, s[12:13]
	s_cbranch_execz .LBB183_2107
; %bb.1768:
	v_bfe_u32 v7, v4, 20, 1
	s_mov_b32 s17, 0x487ffff
	v_add3_u32 v7, v4, v7, s17
	s_mov_b64 s[10:11], exec
	v_lshrrev_b32_e32 v7, 20, v7
	s_andn2_saveexec_b64 s[12:13], s[12:13]
	s_cbranch_execnz .LBB183_2108
.LBB183_1769:
	s_or_b64 exec, exec, s[12:13]
	v_mov_b32_e32 v8, 0
	s_and_saveexec_b64 s[12:13], s[10:11]
.LBB183_1770:
	v_lshrrev_b32_e32 v4, 24, v4
	s_movk_i32 s10, 0x80
	v_and_or_b32 v8, v4, s10, v7
.LBB183_1771:
	s_or_b64 exec, exec, s[12:13]
.LBB183_1772:
	s_or_b64 exec, exec, s[6:7]
	global_store_byte v[5:6], v8, off
.LBB183_1773:
	s_mov_b64 s[6:7], -1
.LBB183_1774:
	s_mov_b64 s[10:11], 0
.LBB183_1775:
	s_and_b64 vcc, exec, s[10:11]
	s_cbranch_vccz .LBB183_1815
; %bb.1776:
	s_cmp_gt_i32 s16, 22
	s_mov_b64 s[4:5], -1
	s_cbranch_scc0 .LBB183_1808
; %bb.1777:
	s_cmp_lt_i32 s16, 24
	s_cbranch_scc1 .LBB183_1797
; %bb.1778:
	s_cmp_gt_i32 s16, 24
	s_cbranch_scc0 .LBB183_1786
; %bb.1779:
	v_cvt_f32_i32_e32 v4, v3
	s_mov_b32 s4, 0x47800000
	v_mov_b32_e32 v8, 0x80
	v_and_b32_e32 v7, 0x7fffffff, v4
	v_cmp_gt_u32_e32 vcc, s4, v7
	s_and_saveexec_b64 s[4:5], vcc
	s_cbranch_execz .LBB183_1785
; %bb.1780:
	s_mov_b32 s6, 0x37ffffff
	v_cmp_lt_u32_e32 vcc, s6, v7
	s_mov_b64 s[6:7], 0
                                        ; implicit-def: $vgpr7
	s_and_saveexec_b64 s[10:11], vcc
	s_xor_b64 s[10:11], exec, s[10:11]
	s_cbranch_execz .LBB183_2110
; %bb.1781:
	v_bfe_u32 v7, v4, 21, 1
	s_mov_b32 s12, 0x88fffff
	v_add3_u32 v7, v4, v7, s12
	s_mov_b64 s[6:7], exec
	v_lshrrev_b32_e32 v7, 21, v7
	s_andn2_saveexec_b64 s[10:11], s[10:11]
	s_cbranch_execnz .LBB183_2111
.LBB183_1782:
	s_or_b64 exec, exec, s[10:11]
	v_mov_b32_e32 v8, 0
	s_and_saveexec_b64 s[10:11], s[6:7]
.LBB183_1783:
	v_lshrrev_b32_e32 v4, 24, v4
	s_movk_i32 s6, 0x80
	v_and_or_b32 v8, v4, s6, v7
.LBB183_1784:
	s_or_b64 exec, exec, s[10:11]
.LBB183_1785:
	s_or_b64 exec, exec, s[4:5]
	s_mov_b64 s[4:5], 0
	global_store_byte v[5:6], v8, off
.LBB183_1786:
	s_and_b64 vcc, exec, s[4:5]
	s_cbranch_vccz .LBB183_1796
; %bb.1787:
	v_cvt_f32_i32_e32 v4, v3
	s_mov_b32 s4, 0x43f00000
                                        ; implicit-def: $vgpr7
	v_and_b32_e32 v8, 0x7fffffff, v4
	v_cmp_gt_u32_e32 vcc, s4, v8
	s_and_saveexec_b64 s[4:5], vcc
	s_xor_b64 s[4:5], exec, s[4:5]
	s_cbranch_execz .LBB183_1793
; %bb.1788:
	s_mov_b32 s6, 0x3c7fffff
	v_cmp_lt_u32_e32 vcc, s6, v8
                                        ; implicit-def: $vgpr7
	s_and_saveexec_b64 s[6:7], vcc
	s_xor_b64 s[6:7], exec, s[6:7]
; %bb.1789:
	v_bfe_u32 v7, v4, 20, 1
	s_mov_b32 s10, 0x407ffff
	v_add3_u32 v7, v4, v7, s10
	v_lshrrev_b32_e32 v8, 20, v7
	v_and_b32_e32 v7, 0xff00000, v7
	s_mov_b32 s10, 0x7f00000
	v_mov_b32_e32 v10, 0x7e
	v_cmp_ne_u32_e32 vcc, s10, v7
	v_cndmask_b32_e32 v7, v10, v8, vcc
; %bb.1790:
	s_andn2_saveexec_b64 s[6:7], s[6:7]
; %bb.1791:
	s_mov_b32 s10, 0x46800000
	v_add_f32_e64 v7, |v4|, s10
; %bb.1792:
	s_or_b64 exec, exec, s[6:7]
                                        ; implicit-def: $vgpr8
.LBB183_1793:
	s_andn2_saveexec_b64 s[4:5], s[4:5]
; %bb.1794:
	s_mov_b32 s6, 0x7f800000
	v_mov_b32_e32 v7, 0x7e
	v_mov_b32_e32 v10, 0x7f
	v_cmp_lt_u32_e32 vcc, s6, v8
	v_cndmask_b32_e32 v7, v7, v10, vcc
; %bb.1795:
	s_or_b64 exec, exec, s[4:5]
	v_lshrrev_b32_e32 v4, 24, v4
	s_movk_i32 s4, 0x80
	v_and_or_b32 v4, v4, s4, v7
	global_store_byte v[5:6], v4, off
.LBB183_1796:
	s_mov_b64 s[4:5], 0
.LBB183_1797:
	s_andn2_b64 vcc, exec, s[4:5]
	s_cbranch_vccnz .LBB183_1807
; %bb.1798:
	v_cvt_f32_i32_e32 v4, v3
	s_mov_b32 s4, 0x47800000
                                        ; implicit-def: $vgpr7
	v_and_b32_e32 v8, 0x7fffffff, v4
	v_cmp_gt_u32_e32 vcc, s4, v8
	s_and_saveexec_b64 s[4:5], vcc
	s_xor_b64 s[4:5], exec, s[4:5]
	s_cbranch_execz .LBB183_1804
; %bb.1799:
	s_mov_b32 s6, 0x387fffff
	v_cmp_lt_u32_e32 vcc, s6, v8
                                        ; implicit-def: $vgpr7
	s_and_saveexec_b64 s[6:7], vcc
	s_xor_b64 s[6:7], exec, s[6:7]
; %bb.1800:
	v_bfe_u32 v7, v4, 21, 1
	s_mov_b32 s10, 0x80fffff
	v_add3_u32 v7, v4, v7, s10
	v_lshrrev_b32_e32 v7, 21, v7
; %bb.1801:
	s_andn2_saveexec_b64 s[6:7], s[6:7]
; %bb.1802:
	s_mov_b32 s10, 0x43000000
	v_add_f32_e64 v7, |v4|, s10
; %bb.1803:
	s_or_b64 exec, exec, s[6:7]
                                        ; implicit-def: $vgpr8
.LBB183_1804:
	s_andn2_saveexec_b64 s[4:5], s[4:5]
; %bb.1805:
	s_mov_b32 s6, 0x7f800000
	v_mov_b32_e32 v7, 0x7c
	v_mov_b32_e32 v10, 0x7f
	v_cmp_lt_u32_e32 vcc, s6, v8
	v_cndmask_b32_e32 v7, v7, v10, vcc
; %bb.1806:
	s_or_b64 exec, exec, s[4:5]
	v_lshrrev_b32_e32 v4, 24, v4
	s_movk_i32 s4, 0x80
	v_and_or_b32 v4, v4, s4, v7
	global_store_byte v[5:6], v4, off
.LBB183_1807:
	s_mov_b64 s[4:5], 0
	s_mov_b64 s[6:7], -1
.LBB183_1808:
	s_andn2_b64 vcc, exec, s[4:5]
	s_mov_b64 s[4:5], 0
	s_cbranch_vccnz .LBB183_1815
; %bb.1809:
	s_cmp_gt_i32 s16, 14
	s_mov_b64 s[10:11], -1
	s_cbranch_scc0 .LBB183_1813
; %bb.1810:
	s_cmp_eq_u32 s16, 15
	s_mov_b64 s[0:1], -1
	s_cbranch_scc0 .LBB183_1812
; %bb.1811:
	v_cvt_f32_i32_e32 v4, v3
	s_movk_i32 s4, 0x7fff
	s_mov_b64 s[0:1], 0
	s_mov_b64 s[6:7], -1
	v_bfe_u32 v7, v4, 16, 1
	v_add3_u32 v4, v4, v7, s4
	global_store_short_d16_hi v[5:6], v4, off
.LBB183_1812:
	s_mov_b64 s[10:11], 0
.LBB183_1813:
	s_mov_b64 s[4:5], 0
	s_and_b64 vcc, exec, s[10:11]
	s_cbranch_vccz .LBB183_1815
; %bb.1814:
	s_cmp_lg_u32 s16, 11
	s_mov_b64 s[4:5], -1
	s_cselect_b64 s[0:1], -1, 0
.LBB183_1815:
	s_and_b64 vcc, exec, s[0:1]
	s_cbranch_vccnz .LBB183_2109
; %bb.1816:
	s_andn2_b64 vcc, exec, s[4:5]
	s_cbranch_vccnz .LBB183_1818
.LBB183_1817:
	v_cmp_ne_u32_e32 vcc, 0, v3
	v_cndmask_b32_e64 v4, 0, 1, vcc
	s_mov_b64 s[6:7], -1
	global_store_byte v[5:6], v4, off
.LBB183_1818:
	s_mov_b64 s[0:1], 0
	s_branch .LBB183_1820
.LBB183_1819:
	s_mov_b64 s[0:1], -1
	s_mov_b64 s[6:7], 0
.LBB183_1820:
	s_and_b64 vcc, exec, s[0:1]
	s_cbranch_vccz .LBB183_1859
; %bb.1821:
	s_cmp_lt_i32 s16, 5
	s_mov_b64 s[0:1], -1
	s_cbranch_scc1 .LBB183_1842
; %bb.1822:
	s_cmp_lt_i32 s16, 8
	s_cbranch_scc1 .LBB183_1832
; %bb.1823:
	s_cmp_lt_i32 s16, 9
	s_cbranch_scc1 .LBB183_1829
; %bb.1824:
	s_cmp_gt_i32 s16, 9
	s_cbranch_scc0 .LBB183_1826
; %bb.1825:
	v_cvt_f64_i32_e32 v[10:11], v3
	v_mov_b32_e32 v12, 0
	v_mov_b32_e32 v13, v12
	s_mov_b64 s[0:1], 0
	global_store_dwordx4 v[5:6], v[10:13], off
.LBB183_1826:
	s_andn2_b64 vcc, exec, s[0:1]
	s_cbranch_vccnz .LBB183_1828
; %bb.1827:
	v_cvt_f32_i32_e32 v7, v3
	v_mov_b32_e32 v8, 0
	global_store_dwordx2 v[5:6], v[7:8], off
.LBB183_1828:
	s_mov_b64 s[0:1], 0
.LBB183_1829:
	s_andn2_b64 vcc, exec, s[0:1]
	s_cbranch_vccnz .LBB183_1831
; %bb.1830:
	v_cvt_f32_i32_e32 v4, v3
	v_cvt_f16_f32_e32 v4, v4
	global_store_dword v[5:6], v4, off
.LBB183_1831:
	s_mov_b64 s[0:1], 0
.LBB183_1832:
	s_andn2_b64 vcc, exec, s[0:1]
	s_cbranch_vccnz .LBB183_1841
; %bb.1833:
	s_cmp_lt_i32 s16, 6
	s_mov_b64 s[0:1], -1
	s_cbranch_scc1 .LBB183_1839
; %bb.1834:
	s_cmp_gt_i32 s16, 6
	s_cbranch_scc0 .LBB183_1836
; %bb.1835:
	v_cvt_f64_i32_e32 v[7:8], v3
	s_mov_b64 s[0:1], 0
	global_store_dwordx2 v[5:6], v[7:8], off
.LBB183_1836:
	s_andn2_b64 vcc, exec, s[0:1]
	s_cbranch_vccnz .LBB183_1838
; %bb.1837:
	v_cvt_f32_i32_e32 v4, v3
	global_store_dword v[5:6], v4, off
.LBB183_1838:
	s_mov_b64 s[0:1], 0
.LBB183_1839:
	s_andn2_b64 vcc, exec, s[0:1]
	s_cbranch_vccnz .LBB183_1841
; %bb.1840:
	v_cvt_f32_i32_e32 v4, v3
	v_cvt_f16_f32_e32 v4, v4
	global_store_short v[5:6], v4, off
.LBB183_1841:
	s_mov_b64 s[0:1], 0
.LBB183_1842:
	s_andn2_b64 vcc, exec, s[0:1]
	s_cbranch_vccnz .LBB183_1858
; %bb.1843:
	s_cmp_lt_i32 s16, 2
	s_mov_b64 s[0:1], -1
	s_cbranch_scc1 .LBB183_1853
; %bb.1844:
	s_cmp_lt_i32 s16, 3
	s_cbranch_scc1 .LBB183_1850
; %bb.1845:
	s_cmp_gt_i32 s16, 3
	s_cbranch_scc0 .LBB183_1847
; %bb.1846:
	v_ashrrev_i32_e32 v4, 31, v3
	global_store_dwordx2 v[5:6], v[3:4], off
	s_mov_b64 s[0:1], 0
.LBB183_1847:
	s_andn2_b64 vcc, exec, s[0:1]
	s_cbranch_vccnz .LBB183_1849
; %bb.1848:
	global_store_dword v[5:6], v3, off
.LBB183_1849:
	s_mov_b64 s[0:1], 0
.LBB183_1850:
	s_andn2_b64 vcc, exec, s[0:1]
	s_cbranch_vccnz .LBB183_1852
; %bb.1851:
	global_store_short v[5:6], v3, off
.LBB183_1852:
	s_mov_b64 s[0:1], 0
.LBB183_1853:
	s_andn2_b64 vcc, exec, s[0:1]
	s_cbranch_vccnz .LBB183_1858
; %bb.1854:
	s_cmp_gt_i32 s16, 0
	s_mov_b64 s[0:1], -1
	s_cbranch_scc0 .LBB183_1856
; %bb.1855:
	global_store_byte v[5:6], v3, off
	s_mov_b64 s[0:1], 0
.LBB183_1856:
	s_andn2_b64 vcc, exec, s[0:1]
	s_cbranch_vccnz .LBB183_1858
; %bb.1857:
	global_store_byte v[5:6], v3, off
.LBB183_1858:
	s_mov_b64 s[6:7], -1
.LBB183_1859:
	s_andn2_b64 vcc, exec, s[6:7]
	s_cbranch_vccnz .LBB183_2055
; %bb.1860:
	v_mov_b32_e32 v4, s9
	v_add_co_u32_e32 v3, vcc, s8, v2
	v_ashrrev_i32_e32 v1, s15, v1
	s_cmp_lt_i32 s16, 11
	v_addc_co_u32_e32 v4, vcc, 0, v4, vcc
	s_cbranch_scc1 .LBB183_1938
; %bb.1861:
	s_mov_b64 s[10:11], -1
	s_mov_b64 s[4:5], 0
	s_cmp_gt_i32 s16, 25
	s_mov_b64 s[6:7], 0
	s_mov_b64 s[0:1], 0
	s_cbranch_scc0 .LBB183_1894
; %bb.1862:
	s_cmp_gt_i32 s16, 28
	s_cbranch_scc0 .LBB183_1877
; %bb.1863:
	s_cmp_gt_i32 s16, 43
	;; [unrolled: 3-line block ×3, first 2 shown]
	s_cbranch_scc0 .LBB183_1867
; %bb.1865:
	s_mov_b64 s[0:1], -1
	s_mov_b64 s[10:11], 0
	s_cmp_eq_u32 s16, 46
	s_cbranch_scc0 .LBB183_1867
; %bb.1866:
	v_cvt_f32_i32_e32 v2, v1
	s_movk_i32 s6, 0x7fff
	s_mov_b64 s[0:1], 0
	v_bfe_u32 v5, v2, 16, 1
	v_add3_u32 v2, v2, v5, s6
	v_lshrrev_b32_e32 v2, 16, v2
	global_store_dword v[3:4], v2, off
	s_mov_b64 s[6:7], -1
.LBB183_1867:
	s_and_b64 vcc, exec, s[10:11]
	s_cbranch_vccz .LBB183_1872
; %bb.1868:
	s_cmp_eq_u32 s16, 44
	s_mov_b64 s[0:1], -1
	s_cbranch_scc0 .LBB183_1872
; %bb.1869:
	v_cvt_f32_i32_e32 v2, v1
	s_movk_i32 s0, 0xff
	v_mov_b32_e32 v6, 0xff
	v_bfe_u32 v5, v2, 23, 8
	v_cmp_ne_u32_e32 vcc, s0, v5
	s_and_saveexec_b64 s[6:7], vcc
; %bb.1870:
	s_mov_b32 s0, 0x3fffff
	v_lshrrev_b32_e32 v6, 23, v2
	v_and_b32_e32 v7, 0x400000, v2
	v_and_or_b32 v2, v2, s0, v5
	v_cmp_ne_u32_e32 vcc, 0, v7
	v_cmp_ne_u32_e64 s[0:1], 0, v2
	s_and_b64 s[0:1], vcc, s[0:1]
	v_cndmask_b32_e64 v2, 0, 1, s[0:1]
	v_add_u32_e32 v6, v6, v2
; %bb.1871:
	s_or_b64 exec, exec, s[6:7]
	s_mov_b64 s[0:1], 0
	s_mov_b64 s[6:7], -1
	global_store_byte v[3:4], v6, off
.LBB183_1872:
	s_mov_b64 s[10:11], 0
.LBB183_1873:
	s_and_b64 vcc, exec, s[10:11]
	s_cbranch_vccz .LBB183_1876
; %bb.1874:
	s_cmp_eq_u32 s16, 29
	s_mov_b64 s[0:1], -1
	s_cbranch_scc0 .LBB183_1876
; %bb.1875:
	v_ashrrev_i32_e32 v2, 31, v1
	global_store_dwordx2 v[3:4], v[1:2], off
	s_mov_b64 s[0:1], 0
	s_mov_b64 s[6:7], -1
.LBB183_1876:
	s_mov_b64 s[10:11], 0
.LBB183_1877:
	s_and_b64 vcc, exec, s[10:11]
	s_cbranch_vccz .LBB183_1893
; %bb.1878:
	s_cmp_lt_i32 s16, 27
	s_mov_b64 s[6:7], -1
	s_cbranch_scc1 .LBB183_1884
; %bb.1879:
	s_cmp_gt_i32 s16, 27
	s_cbranch_scc0 .LBB183_1881
; %bb.1880:
	s_mov_b64 s[6:7], 0
	global_store_dword v[3:4], v1, off
.LBB183_1881:
	s_andn2_b64 vcc, exec, s[6:7]
	s_cbranch_vccnz .LBB183_1883
; %bb.1882:
	global_store_short v[3:4], v1, off
.LBB183_1883:
	s_mov_b64 s[6:7], 0
.LBB183_1884:
	s_andn2_b64 vcc, exec, s[6:7]
	s_cbranch_vccnz .LBB183_1892
; %bb.1885:
	v_cvt_f32_i32_e32 v2, v1
	s_mov_b32 s6, 0x43800000
	v_mov_b32_e32 v6, 0x80
	v_and_b32_e32 v5, 0x7fffffff, v2
	v_cmp_gt_u32_e32 vcc, s6, v5
	s_and_saveexec_b64 s[6:7], vcc
	s_cbranch_execz .LBB183_1891
; %bb.1886:
	s_mov_b32 s10, 0x3bffffff
	v_cmp_lt_u32_e32 vcc, s10, v5
	s_mov_b64 s[10:11], 0
                                        ; implicit-def: $vgpr5
	s_and_saveexec_b64 s[12:13], vcc
	s_xor_b64 s[12:13], exec, s[12:13]
	s_cbranch_execz .LBB183_2112
; %bb.1887:
	v_bfe_u32 v5, v2, 20, 1
	s_mov_b32 s17, 0x487ffff
	v_add3_u32 v5, v2, v5, s17
	s_mov_b64 s[10:11], exec
	v_lshrrev_b32_e32 v5, 20, v5
	s_andn2_saveexec_b64 s[12:13], s[12:13]
	s_cbranch_execnz .LBB183_2113
.LBB183_1888:
	s_or_b64 exec, exec, s[12:13]
	v_mov_b32_e32 v6, 0
	s_and_saveexec_b64 s[12:13], s[10:11]
.LBB183_1889:
	v_lshrrev_b32_e32 v2, 24, v2
	s_movk_i32 s10, 0x80
	v_and_or_b32 v6, v2, s10, v5
.LBB183_1890:
	s_or_b64 exec, exec, s[12:13]
.LBB183_1891:
	s_or_b64 exec, exec, s[6:7]
	global_store_byte v[3:4], v6, off
.LBB183_1892:
	s_mov_b64 s[6:7], -1
.LBB183_1893:
	s_mov_b64 s[10:11], 0
.LBB183_1894:
	s_and_b64 vcc, exec, s[10:11]
	s_cbranch_vccz .LBB183_1934
; %bb.1895:
	s_cmp_gt_i32 s16, 22
	s_mov_b64 s[4:5], -1
	s_cbranch_scc0 .LBB183_1927
; %bb.1896:
	s_cmp_lt_i32 s16, 24
	s_cbranch_scc1 .LBB183_1916
; %bb.1897:
	s_cmp_gt_i32 s16, 24
	s_cbranch_scc0 .LBB183_1905
; %bb.1898:
	v_cvt_f32_i32_e32 v2, v1
	s_mov_b32 s4, 0x47800000
	v_mov_b32_e32 v6, 0x80
	v_and_b32_e32 v5, 0x7fffffff, v2
	v_cmp_gt_u32_e32 vcc, s4, v5
	s_and_saveexec_b64 s[4:5], vcc
	s_cbranch_execz .LBB183_1904
; %bb.1899:
	s_mov_b32 s6, 0x37ffffff
	v_cmp_lt_u32_e32 vcc, s6, v5
	s_mov_b64 s[6:7], 0
                                        ; implicit-def: $vgpr5
	s_and_saveexec_b64 s[10:11], vcc
	s_xor_b64 s[10:11], exec, s[10:11]
	s_cbranch_execz .LBB183_2115
; %bb.1900:
	v_bfe_u32 v5, v2, 21, 1
	s_mov_b32 s12, 0x88fffff
	v_add3_u32 v5, v2, v5, s12
	s_mov_b64 s[6:7], exec
	v_lshrrev_b32_e32 v5, 21, v5
	s_andn2_saveexec_b64 s[10:11], s[10:11]
	s_cbranch_execnz .LBB183_2116
.LBB183_1901:
	s_or_b64 exec, exec, s[10:11]
	v_mov_b32_e32 v6, 0
	s_and_saveexec_b64 s[10:11], s[6:7]
.LBB183_1902:
	v_lshrrev_b32_e32 v2, 24, v2
	s_movk_i32 s6, 0x80
	v_and_or_b32 v6, v2, s6, v5
.LBB183_1903:
	s_or_b64 exec, exec, s[10:11]
.LBB183_1904:
	s_or_b64 exec, exec, s[4:5]
	s_mov_b64 s[4:5], 0
	global_store_byte v[3:4], v6, off
.LBB183_1905:
	s_and_b64 vcc, exec, s[4:5]
	s_cbranch_vccz .LBB183_1915
; %bb.1906:
	v_cvt_f32_i32_e32 v2, v1
	s_mov_b32 s4, 0x43f00000
                                        ; implicit-def: $vgpr5
	v_and_b32_e32 v6, 0x7fffffff, v2
	v_cmp_gt_u32_e32 vcc, s4, v6
	s_and_saveexec_b64 s[4:5], vcc
	s_xor_b64 s[4:5], exec, s[4:5]
	s_cbranch_execz .LBB183_1912
; %bb.1907:
	s_mov_b32 s6, 0x3c7fffff
	v_cmp_lt_u32_e32 vcc, s6, v6
                                        ; implicit-def: $vgpr5
	s_and_saveexec_b64 s[6:7], vcc
	s_xor_b64 s[6:7], exec, s[6:7]
; %bb.1908:
	v_bfe_u32 v5, v2, 20, 1
	s_mov_b32 s10, 0x407ffff
	v_add3_u32 v5, v2, v5, s10
	v_lshrrev_b32_e32 v6, 20, v5
	v_and_b32_e32 v5, 0xff00000, v5
	s_mov_b32 s10, 0x7f00000
	v_mov_b32_e32 v7, 0x7e
	v_cmp_ne_u32_e32 vcc, s10, v5
	v_cndmask_b32_e32 v5, v7, v6, vcc
; %bb.1909:
	s_andn2_saveexec_b64 s[6:7], s[6:7]
; %bb.1910:
	s_mov_b32 s10, 0x46800000
	v_add_f32_e64 v5, |v2|, s10
; %bb.1911:
	s_or_b64 exec, exec, s[6:7]
                                        ; implicit-def: $vgpr6
.LBB183_1912:
	s_andn2_saveexec_b64 s[4:5], s[4:5]
; %bb.1913:
	s_mov_b32 s6, 0x7f800000
	v_mov_b32_e32 v5, 0x7e
	v_mov_b32_e32 v7, 0x7f
	v_cmp_lt_u32_e32 vcc, s6, v6
	v_cndmask_b32_e32 v5, v5, v7, vcc
; %bb.1914:
	s_or_b64 exec, exec, s[4:5]
	v_lshrrev_b32_e32 v2, 24, v2
	s_movk_i32 s4, 0x80
	v_and_or_b32 v2, v2, s4, v5
	global_store_byte v[3:4], v2, off
.LBB183_1915:
	s_mov_b64 s[4:5], 0
.LBB183_1916:
	s_andn2_b64 vcc, exec, s[4:5]
	s_cbranch_vccnz .LBB183_1926
; %bb.1917:
	v_cvt_f32_i32_e32 v2, v1
	s_mov_b32 s4, 0x47800000
                                        ; implicit-def: $vgpr5
	v_and_b32_e32 v6, 0x7fffffff, v2
	v_cmp_gt_u32_e32 vcc, s4, v6
	s_and_saveexec_b64 s[4:5], vcc
	s_xor_b64 s[4:5], exec, s[4:5]
	s_cbranch_execz .LBB183_1923
; %bb.1918:
	s_mov_b32 s6, 0x387fffff
	v_cmp_lt_u32_e32 vcc, s6, v6
                                        ; implicit-def: $vgpr5
	s_and_saveexec_b64 s[6:7], vcc
	s_xor_b64 s[6:7], exec, s[6:7]
; %bb.1919:
	v_bfe_u32 v5, v2, 21, 1
	s_mov_b32 s10, 0x80fffff
	v_add3_u32 v5, v2, v5, s10
	v_lshrrev_b32_e32 v5, 21, v5
; %bb.1920:
	s_andn2_saveexec_b64 s[6:7], s[6:7]
; %bb.1921:
	s_mov_b32 s10, 0x43000000
	v_add_f32_e64 v5, |v2|, s10
; %bb.1922:
	s_or_b64 exec, exec, s[6:7]
                                        ; implicit-def: $vgpr6
.LBB183_1923:
	s_andn2_saveexec_b64 s[4:5], s[4:5]
; %bb.1924:
	s_mov_b32 s6, 0x7f800000
	v_mov_b32_e32 v5, 0x7c
	v_mov_b32_e32 v7, 0x7f
	v_cmp_lt_u32_e32 vcc, s6, v6
	v_cndmask_b32_e32 v5, v5, v7, vcc
; %bb.1925:
	s_or_b64 exec, exec, s[4:5]
	v_lshrrev_b32_e32 v2, 24, v2
	s_movk_i32 s4, 0x80
	v_and_or_b32 v2, v2, s4, v5
	global_store_byte v[3:4], v2, off
.LBB183_1926:
	s_mov_b64 s[4:5], 0
	s_mov_b64 s[6:7], -1
.LBB183_1927:
	s_andn2_b64 vcc, exec, s[4:5]
	s_mov_b64 s[4:5], 0
	s_cbranch_vccnz .LBB183_1934
; %bb.1928:
	s_cmp_gt_i32 s16, 14
	s_mov_b64 s[10:11], -1
	s_cbranch_scc0 .LBB183_1932
; %bb.1929:
	s_cmp_eq_u32 s16, 15
	s_mov_b64 s[0:1], -1
	s_cbranch_scc0 .LBB183_1931
; %bb.1930:
	v_cvt_f32_i32_e32 v2, v1
	s_movk_i32 s4, 0x7fff
	s_mov_b64 s[0:1], 0
	s_mov_b64 s[6:7], -1
	v_bfe_u32 v5, v2, 16, 1
	v_add3_u32 v2, v2, v5, s4
	global_store_short_d16_hi v[3:4], v2, off
.LBB183_1931:
	s_mov_b64 s[10:11], 0
.LBB183_1932:
	s_mov_b64 s[4:5], 0
	s_and_b64 vcc, exec, s[10:11]
	s_cbranch_vccz .LBB183_1934
; %bb.1933:
	s_cmp_lg_u32 s16, 11
	s_mov_b64 s[4:5], -1
	s_cselect_b64 s[0:1], -1, 0
.LBB183_1934:
	s_and_b64 vcc, exec, s[0:1]
	s_cbranch_vccnz .LBB183_2114
; %bb.1935:
	s_andn2_b64 vcc, exec, s[4:5]
	s_cbranch_vccnz .LBB183_1937
.LBB183_1936:
	v_cmp_ne_u32_e32 vcc, 0, v1
	v_cndmask_b32_e64 v2, 0, 1, vcc
	s_mov_b64 s[6:7], -1
	global_store_byte v[3:4], v2, off
.LBB183_1937:
	s_mov_b64 s[0:1], 0
	s_branch .LBB183_1939
.LBB183_1938:
	s_mov_b64 s[0:1], -1
	s_mov_b64 s[6:7], 0
.LBB183_1939:
	s_and_b64 vcc, exec, s[0:1]
	s_cbranch_vccz .LBB183_1978
; %bb.1940:
	s_cmp_lt_i32 s16, 5
	s_mov_b64 s[0:1], -1
	s_cbranch_scc1 .LBB183_1961
; %bb.1941:
	s_cmp_lt_i32 s16, 8
	s_cbranch_scc1 .LBB183_1951
; %bb.1942:
	s_cmp_lt_i32 s16, 9
	s_cbranch_scc1 .LBB183_1948
; %bb.1943:
	s_cmp_gt_i32 s16, 9
	s_cbranch_scc0 .LBB183_1945
; %bb.1944:
	v_cvt_f64_i32_e32 v[5:6], v1
	v_mov_b32_e32 v7, 0
	v_mov_b32_e32 v8, v7
	s_mov_b64 s[0:1], 0
	global_store_dwordx4 v[3:4], v[5:8], off
.LBB183_1945:
	s_andn2_b64 vcc, exec, s[0:1]
	s_cbranch_vccnz .LBB183_1947
; %bb.1946:
	v_cvt_f32_i32_e32 v5, v1
	v_mov_b32_e32 v6, 0
	global_store_dwordx2 v[3:4], v[5:6], off
.LBB183_1947:
	s_mov_b64 s[0:1], 0
.LBB183_1948:
	s_andn2_b64 vcc, exec, s[0:1]
	s_cbranch_vccnz .LBB183_1950
; %bb.1949:
	v_cvt_f32_i32_e32 v2, v1
	v_cvt_f16_f32_e32 v2, v2
	global_store_dword v[3:4], v2, off
.LBB183_1950:
	s_mov_b64 s[0:1], 0
.LBB183_1951:
	s_andn2_b64 vcc, exec, s[0:1]
	s_cbranch_vccnz .LBB183_1960
; %bb.1952:
	s_cmp_lt_i32 s16, 6
	s_mov_b64 s[0:1], -1
	s_cbranch_scc1 .LBB183_1958
; %bb.1953:
	s_cmp_gt_i32 s16, 6
	s_cbranch_scc0 .LBB183_1955
; %bb.1954:
	v_cvt_f64_i32_e32 v[5:6], v1
	s_mov_b64 s[0:1], 0
	global_store_dwordx2 v[3:4], v[5:6], off
.LBB183_1955:
	s_andn2_b64 vcc, exec, s[0:1]
	s_cbranch_vccnz .LBB183_1957
; %bb.1956:
	v_cvt_f32_i32_e32 v2, v1
	global_store_dword v[3:4], v2, off
.LBB183_1957:
	s_mov_b64 s[0:1], 0
.LBB183_1958:
	s_andn2_b64 vcc, exec, s[0:1]
	s_cbranch_vccnz .LBB183_1960
; %bb.1959:
	v_cvt_f32_i32_e32 v2, v1
	v_cvt_f16_f32_e32 v2, v2
	global_store_short v[3:4], v2, off
.LBB183_1960:
	s_mov_b64 s[0:1], 0
.LBB183_1961:
	s_andn2_b64 vcc, exec, s[0:1]
	s_cbranch_vccnz .LBB183_1977
; %bb.1962:
	s_cmp_lt_i32 s16, 2
	s_mov_b64 s[0:1], -1
	s_cbranch_scc1 .LBB183_1972
; %bb.1963:
	s_cmp_lt_i32 s16, 3
	s_cbranch_scc1 .LBB183_1969
; %bb.1964:
	s_cmp_gt_i32 s16, 3
	s_cbranch_scc0 .LBB183_1966
; %bb.1965:
	v_ashrrev_i32_e32 v2, 31, v1
	global_store_dwordx2 v[3:4], v[1:2], off
	s_mov_b64 s[0:1], 0
.LBB183_1966:
	s_andn2_b64 vcc, exec, s[0:1]
	s_cbranch_vccnz .LBB183_1968
; %bb.1967:
	global_store_dword v[3:4], v1, off
.LBB183_1968:
	s_mov_b64 s[0:1], 0
.LBB183_1969:
	s_andn2_b64 vcc, exec, s[0:1]
	s_cbranch_vccnz .LBB183_1971
; %bb.1970:
	global_store_short v[3:4], v1, off
.LBB183_1971:
	s_mov_b64 s[0:1], 0
.LBB183_1972:
	s_andn2_b64 vcc, exec, s[0:1]
	s_cbranch_vccnz .LBB183_1977
; %bb.1973:
	s_cmp_gt_i32 s16, 0
	s_mov_b64 s[0:1], -1
	s_cbranch_scc0 .LBB183_1975
; %bb.1974:
	global_store_byte v[3:4], v1, off
	s_mov_b64 s[0:1], 0
.LBB183_1975:
	s_andn2_b64 vcc, exec, s[0:1]
	s_cbranch_vccnz .LBB183_1977
; %bb.1976:
	global_store_byte v[3:4], v1, off
.LBB183_1977:
	s_mov_b64 s[6:7], -1
.LBB183_1978:
	s_andn2_b64 vcc, exec, s[6:7]
	s_cbranch_vccnz .LBB183_2055
; %bb.1979:
	v_mov_b32_e32 v1, s9
	v_add_co_u32_e32 v0, vcc, s8, v0
	v_ashrrev_i32_e32 v2, s15, v9
	s_cmp_lt_i32 s16, 11
	v_addc_co_u32_e32 v1, vcc, 0, v1, vcc
	s_cbranch_scc1 .LBB183_2100
; %bb.1980:
	s_mov_b64 s[6:7], -1
	s_mov_b64 s[4:5], 0
	s_cmp_gt_i32 s16, 25
	s_mov_b64 s[0:1], 0
	s_cbranch_scc0 .LBB183_2013
; %bb.1981:
	s_cmp_gt_i32 s16, 28
	s_cbranch_scc0 .LBB183_1997
; %bb.1982:
	s_cmp_gt_i32 s16, 43
	;; [unrolled: 3-line block ×3, first 2 shown]
	s_cbranch_scc0 .LBB183_1987
; %bb.1984:
	s_cmp_eq_u32 s16, 46
	s_mov_b64 s[0:1], -1
	s_cbranch_scc0 .LBB183_1986
; %bb.1985:
	v_cvt_f32_i32_e32 v3, v2
	s_movk_i32 s0, 0x7fff
	v_bfe_u32 v4, v3, 16, 1
	v_add3_u32 v3, v3, v4, s0
	v_lshrrev_b32_e32 v3, 16, v3
	global_store_dword v[0:1], v3, off
	s_mov_b64 s[0:1], 0
.LBB183_1986:
	s_mov_b64 s[6:7], 0
.LBB183_1987:
	s_and_b64 vcc, exec, s[6:7]
	s_cbranch_vccz .LBB183_1992
; %bb.1988:
	s_cmp_eq_u32 s16, 44
	s_mov_b64 s[0:1], -1
	s_cbranch_scc0 .LBB183_1992
; %bb.1989:
	v_cvt_f32_i32_e32 v3, v2
	s_movk_i32 s0, 0xff
	v_mov_b32_e32 v5, 0xff
	v_bfe_u32 v4, v3, 23, 8
	v_cmp_ne_u32_e32 vcc, s0, v4
	s_and_saveexec_b64 s[6:7], vcc
; %bb.1990:
	s_mov_b32 s0, 0x3fffff
	v_lshrrev_b32_e32 v5, 23, v3
	v_and_b32_e32 v6, 0x400000, v3
	v_and_or_b32 v3, v3, s0, v4
	v_cmp_ne_u32_e32 vcc, 0, v6
	v_cmp_ne_u32_e64 s[0:1], 0, v3
	s_and_b64 s[0:1], vcc, s[0:1]
	v_cndmask_b32_e64 v3, 0, 1, s[0:1]
	v_add_u32_e32 v5, v5, v3
; %bb.1991:
	s_or_b64 exec, exec, s[6:7]
	s_mov_b64 s[0:1], 0
	global_store_byte v[0:1], v5, off
.LBB183_1992:
	s_mov_b64 s[6:7], 0
.LBB183_1993:
	s_and_b64 vcc, exec, s[6:7]
	s_cbranch_vccz .LBB183_1996
; %bb.1994:
	s_cmp_eq_u32 s16, 29
	s_mov_b64 s[0:1], -1
	s_cbranch_scc0 .LBB183_1996
; %bb.1995:
	v_ashrrev_i32_e32 v3, 31, v2
	global_store_dwordx2 v[0:1], v[2:3], off
	s_mov_b64 s[0:1], 0
.LBB183_1996:
	s_mov_b64 s[6:7], 0
.LBB183_1997:
	s_and_b64 vcc, exec, s[6:7]
	s_cbranch_vccz .LBB183_2012
; %bb.1998:
	s_cmp_lt_i32 s16, 27
	s_mov_b64 s[6:7], -1
	s_cbranch_scc1 .LBB183_2004
; %bb.1999:
	s_cmp_gt_i32 s16, 27
	s_cbranch_scc0 .LBB183_2001
; %bb.2000:
	global_store_dword v[0:1], v2, off
	s_mov_b64 s[6:7], 0
.LBB183_2001:
	s_andn2_b64 vcc, exec, s[6:7]
	s_cbranch_vccnz .LBB183_2003
; %bb.2002:
	global_store_short v[0:1], v2, off
.LBB183_2003:
	s_mov_b64 s[6:7], 0
.LBB183_2004:
	s_andn2_b64 vcc, exec, s[6:7]
	s_cbranch_vccnz .LBB183_2012
; %bb.2005:
	v_cvt_f32_i32_e32 v3, v2
	s_mov_b32 s6, 0x43800000
	v_mov_b32_e32 v5, 0x80
	v_and_b32_e32 v4, 0x7fffffff, v3
	v_cmp_gt_u32_e32 vcc, s6, v4
	s_and_saveexec_b64 s[6:7], vcc
	s_cbranch_execz .LBB183_2011
; %bb.2006:
	s_mov_b32 s8, 0x3bffffff
	v_cmp_lt_u32_e32 vcc, s8, v4
	s_mov_b64 s[8:9], 0
                                        ; implicit-def: $vgpr4
	s_and_saveexec_b64 s[10:11], vcc
	s_xor_b64 s[10:11], exec, s[10:11]
	s_cbranch_execz .LBB183_2117
; %bb.2007:
	v_bfe_u32 v4, v3, 20, 1
	s_mov_b32 s12, 0x487ffff
	v_add3_u32 v4, v3, v4, s12
	s_mov_b64 s[8:9], exec
	v_lshrrev_b32_e32 v4, 20, v4
	s_andn2_saveexec_b64 s[10:11], s[10:11]
	s_cbranch_execnz .LBB183_2118
.LBB183_2008:
	s_or_b64 exec, exec, s[10:11]
	v_mov_b32_e32 v5, 0
	s_and_saveexec_b64 s[10:11], s[8:9]
.LBB183_2009:
	v_lshrrev_b32_e32 v3, 24, v3
	s_movk_i32 s8, 0x80
	v_and_or_b32 v5, v3, s8, v4
.LBB183_2010:
	s_or_b64 exec, exec, s[10:11]
.LBB183_2011:
	s_or_b64 exec, exec, s[6:7]
	global_store_byte v[0:1], v5, off
.LBB183_2012:
	s_mov_b64 s[6:7], 0
.LBB183_2013:
	s_and_b64 vcc, exec, s[6:7]
	s_cbranch_vccz .LBB183_2053
; %bb.2014:
	s_cmp_gt_i32 s16, 22
	s_mov_b64 s[4:5], -1
	s_cbranch_scc0 .LBB183_2046
; %bb.2015:
	s_cmp_lt_i32 s16, 24
	s_cbranch_scc1 .LBB183_2035
; %bb.2016:
	s_cmp_gt_i32 s16, 24
	s_cbranch_scc0 .LBB183_2024
; %bb.2017:
	v_cvt_f32_i32_e32 v3, v2
	s_mov_b32 s4, 0x47800000
	v_mov_b32_e32 v5, 0x80
	v_and_b32_e32 v4, 0x7fffffff, v3
	v_cmp_gt_u32_e32 vcc, s4, v4
	s_and_saveexec_b64 s[4:5], vcc
	s_cbranch_execz .LBB183_2023
; %bb.2018:
	s_mov_b32 s6, 0x37ffffff
	v_cmp_lt_u32_e32 vcc, s6, v4
	s_mov_b64 s[6:7], 0
                                        ; implicit-def: $vgpr4
	s_and_saveexec_b64 s[8:9], vcc
	s_xor_b64 s[8:9], exec, s[8:9]
	s_cbranch_execz .LBB183_2120
; %bb.2019:
	v_bfe_u32 v4, v3, 21, 1
	s_mov_b32 s10, 0x88fffff
	v_add3_u32 v4, v3, v4, s10
	s_mov_b64 s[6:7], exec
	v_lshrrev_b32_e32 v4, 21, v4
	s_andn2_saveexec_b64 s[8:9], s[8:9]
	s_cbranch_execnz .LBB183_2121
.LBB183_2020:
	s_or_b64 exec, exec, s[8:9]
	v_mov_b32_e32 v5, 0
	s_and_saveexec_b64 s[8:9], s[6:7]
.LBB183_2021:
	v_lshrrev_b32_e32 v3, 24, v3
	s_movk_i32 s6, 0x80
	v_and_or_b32 v5, v3, s6, v4
.LBB183_2022:
	s_or_b64 exec, exec, s[8:9]
.LBB183_2023:
	s_or_b64 exec, exec, s[4:5]
	s_mov_b64 s[4:5], 0
	global_store_byte v[0:1], v5, off
.LBB183_2024:
	s_and_b64 vcc, exec, s[4:5]
	s_cbranch_vccz .LBB183_2034
; %bb.2025:
	v_cvt_f32_i32_e32 v3, v2
	s_mov_b32 s4, 0x43f00000
                                        ; implicit-def: $vgpr4
	v_and_b32_e32 v5, 0x7fffffff, v3
	v_cmp_gt_u32_e32 vcc, s4, v5
	s_and_saveexec_b64 s[4:5], vcc
	s_xor_b64 s[4:5], exec, s[4:5]
	s_cbranch_execz .LBB183_2031
; %bb.2026:
	s_mov_b32 s6, 0x3c7fffff
	v_cmp_lt_u32_e32 vcc, s6, v5
                                        ; implicit-def: $vgpr4
	s_and_saveexec_b64 s[6:7], vcc
	s_xor_b64 s[6:7], exec, s[6:7]
; %bb.2027:
	v_bfe_u32 v4, v3, 20, 1
	s_mov_b32 s8, 0x407ffff
	v_add3_u32 v4, v3, v4, s8
	v_lshrrev_b32_e32 v5, 20, v4
	v_and_b32_e32 v4, 0xff00000, v4
	s_mov_b32 s8, 0x7f00000
	v_mov_b32_e32 v6, 0x7e
	v_cmp_ne_u32_e32 vcc, s8, v4
	v_cndmask_b32_e32 v4, v6, v5, vcc
; %bb.2028:
	s_andn2_saveexec_b64 s[6:7], s[6:7]
; %bb.2029:
	s_mov_b32 s8, 0x46800000
	v_add_f32_e64 v4, |v3|, s8
; %bb.2030:
	s_or_b64 exec, exec, s[6:7]
                                        ; implicit-def: $vgpr5
.LBB183_2031:
	s_andn2_saveexec_b64 s[4:5], s[4:5]
; %bb.2032:
	s_mov_b32 s6, 0x7f800000
	v_mov_b32_e32 v4, 0x7e
	v_mov_b32_e32 v6, 0x7f
	v_cmp_lt_u32_e32 vcc, s6, v5
	v_cndmask_b32_e32 v4, v4, v6, vcc
; %bb.2033:
	s_or_b64 exec, exec, s[4:5]
	v_lshrrev_b32_e32 v3, 24, v3
	s_movk_i32 s4, 0x80
	v_and_or_b32 v3, v3, s4, v4
	global_store_byte v[0:1], v3, off
.LBB183_2034:
	s_mov_b64 s[4:5], 0
.LBB183_2035:
	s_andn2_b64 vcc, exec, s[4:5]
	s_cbranch_vccnz .LBB183_2045
; %bb.2036:
	v_cvt_f32_i32_e32 v3, v2
	s_mov_b32 s4, 0x47800000
                                        ; implicit-def: $vgpr4
	v_and_b32_e32 v5, 0x7fffffff, v3
	v_cmp_gt_u32_e32 vcc, s4, v5
	s_and_saveexec_b64 s[4:5], vcc
	s_xor_b64 s[4:5], exec, s[4:5]
	s_cbranch_execz .LBB183_2042
; %bb.2037:
	s_mov_b32 s6, 0x387fffff
	v_cmp_lt_u32_e32 vcc, s6, v5
                                        ; implicit-def: $vgpr4
	s_and_saveexec_b64 s[6:7], vcc
	s_xor_b64 s[6:7], exec, s[6:7]
; %bb.2038:
	v_bfe_u32 v4, v3, 21, 1
	s_mov_b32 s8, 0x80fffff
	v_add3_u32 v4, v3, v4, s8
	v_lshrrev_b32_e32 v4, 21, v4
; %bb.2039:
	s_andn2_saveexec_b64 s[6:7], s[6:7]
; %bb.2040:
	s_mov_b32 s8, 0x43000000
	v_add_f32_e64 v4, |v3|, s8
; %bb.2041:
	s_or_b64 exec, exec, s[6:7]
                                        ; implicit-def: $vgpr5
.LBB183_2042:
	s_andn2_saveexec_b64 s[4:5], s[4:5]
; %bb.2043:
	s_mov_b32 s6, 0x7f800000
	v_mov_b32_e32 v4, 0x7c
	v_mov_b32_e32 v6, 0x7f
	v_cmp_lt_u32_e32 vcc, s6, v5
	v_cndmask_b32_e32 v4, v4, v6, vcc
; %bb.2044:
	s_or_b64 exec, exec, s[4:5]
	v_lshrrev_b32_e32 v3, 24, v3
	s_movk_i32 s4, 0x80
	v_and_or_b32 v3, v3, s4, v4
	global_store_byte v[0:1], v3, off
.LBB183_2045:
	s_mov_b64 s[4:5], 0
.LBB183_2046:
	s_andn2_b64 vcc, exec, s[4:5]
	s_mov_b64 s[4:5], 0
	s_cbranch_vccnz .LBB183_2053
; %bb.2047:
	s_cmp_gt_i32 s16, 14
	s_mov_b64 s[6:7], -1
	s_cbranch_scc0 .LBB183_2051
; %bb.2048:
	s_cmp_eq_u32 s16, 15
	s_mov_b64 s[0:1], -1
	s_cbranch_scc0 .LBB183_2050
; %bb.2049:
	v_cvt_f32_i32_e32 v3, v2
	s_movk_i32 s0, 0x7fff
	v_bfe_u32 v4, v3, 16, 1
	v_add3_u32 v3, v3, v4, s0
	global_store_short_d16_hi v[0:1], v3, off
	s_mov_b64 s[0:1], 0
.LBB183_2050:
	s_mov_b64 s[6:7], 0
.LBB183_2051:
	s_and_b64 vcc, exec, s[6:7]
	s_cbranch_vccz .LBB183_2053
; %bb.2052:
	s_cmp_lg_u32 s16, 11
	s_mov_b64 s[4:5], -1
	s_cselect_b64 s[0:1], -1, 0
.LBB183_2053:
	s_and_b64 vcc, exec, s[0:1]
	s_cbranch_vccnz .LBB183_2119
.LBB183_2054:
	s_mov_b64 s[0:1], 0
	s_branch .LBB183_2056
.LBB183_2055:
	s_mov_b64 s[0:1], 0
	s_mov_b64 s[4:5], 0
                                        ; implicit-def: $vgpr0_vgpr1
                                        ; implicit-def: $sgpr14
                                        ; implicit-def: $vgpr2
.LBB183_2056:
	s_and_b64 s[6:7], s[4:5], exec
	s_andn2_b64 s[4:5], s[28:29], exec
	s_and_b64 s[2:3], s[2:3], exec
	s_and_b64 s[0:1], s[0:1], exec
	s_or_b64 s[28:29], s[4:5], s[2:3]
.LBB183_2057:
	s_or_b64 exec, exec, s[30:31]
	s_and_saveexec_b64 s[2:3], s[28:29]
	s_cbranch_execz .LBB183_2060
; %bb.2058:
	; divergent unreachable
	s_or_b64 exec, exec, s[2:3]
	s_and_saveexec_b64 s[2:3], s[6:7]
	s_xor_b64 s[2:3], exec, s[2:3]
	s_cbranch_execnz .LBB183_2061
.LBB183_2059:
	s_or_b64 exec, exec, s[2:3]
	s_and_saveexec_b64 s[2:3], s[0:1]
	s_cbranch_execnz .LBB183_2062
	s_branch .LBB183_2099
.LBB183_2060:
	s_or_b64 exec, exec, s[2:3]
	s_and_saveexec_b64 s[2:3], s[6:7]
	s_xor_b64 s[2:3], exec, s[2:3]
	s_cbranch_execz .LBB183_2059
.LBB183_2061:
	v_cmp_ne_u32_e32 vcc, 0, v2
	s_waitcnt vmcnt(0)
	v_cndmask_b32_e64 v3, 0, 1, vcc
	global_store_byte v[0:1], v3, off
	s_or_b64 exec, exec, s[2:3]
	s_and_saveexec_b64 s[2:3], s[0:1]
	s_cbranch_execz .LBB183_2099
.LBB183_2062:
	s_sext_i32_i16 s2, s14
	s_cmp_lt_i32 s2, 5
	s_mov_b64 s[0:1], -1
	s_cbranch_scc1 .LBB183_2083
; %bb.2063:
	s_cmp_lt_i32 s2, 8
	s_cbranch_scc1 .LBB183_2073
; %bb.2064:
	s_cmp_lt_i32 s2, 9
	s_cbranch_scc1 .LBB183_2070
; %bb.2065:
	s_cmp_gt_i32 s2, 9
	s_cbranch_scc0 .LBB183_2067
; %bb.2066:
	s_waitcnt vmcnt(0)
	v_cvt_f64_i32_e32 v[3:4], v2
	v_mov_b32_e32 v5, 0
	v_mov_b32_e32 v6, v5
	s_mov_b64 s[0:1], 0
	global_store_dwordx4 v[0:1], v[3:6], off
.LBB183_2067:
	s_andn2_b64 vcc, exec, s[0:1]
	s_cbranch_vccnz .LBB183_2069
; %bb.2068:
	s_waitcnt vmcnt(0)
	v_cvt_f32_i32_e32 v3, v2
	v_mov_b32_e32 v4, 0
	global_store_dwordx2 v[0:1], v[3:4], off
.LBB183_2069:
	s_mov_b64 s[0:1], 0
.LBB183_2070:
	s_andn2_b64 vcc, exec, s[0:1]
	s_cbranch_vccnz .LBB183_2072
; %bb.2071:
	s_waitcnt vmcnt(0)
	v_cvt_f32_i32_e32 v3, v2
	v_cvt_f16_f32_e32 v3, v3
	global_store_dword v[0:1], v3, off
.LBB183_2072:
	s_mov_b64 s[0:1], 0
.LBB183_2073:
	s_andn2_b64 vcc, exec, s[0:1]
	s_cbranch_vccnz .LBB183_2082
; %bb.2074:
	s_sext_i32_i16 s2, s14
	s_cmp_lt_i32 s2, 6
	s_mov_b64 s[0:1], -1
	s_cbranch_scc1 .LBB183_2080
; %bb.2075:
	s_cmp_gt_i32 s2, 6
	s_cbranch_scc0 .LBB183_2077
; %bb.2076:
	s_waitcnt vmcnt(0)
	v_cvt_f64_i32_e32 v[3:4], v2
	s_mov_b64 s[0:1], 0
	global_store_dwordx2 v[0:1], v[3:4], off
.LBB183_2077:
	s_andn2_b64 vcc, exec, s[0:1]
	s_cbranch_vccnz .LBB183_2079
; %bb.2078:
	s_waitcnt vmcnt(0)
	v_cvt_f32_i32_e32 v3, v2
	global_store_dword v[0:1], v3, off
.LBB183_2079:
	s_mov_b64 s[0:1], 0
.LBB183_2080:
	s_andn2_b64 vcc, exec, s[0:1]
	s_cbranch_vccnz .LBB183_2082
; %bb.2081:
	s_waitcnt vmcnt(0)
	v_cvt_f32_i32_e32 v3, v2
	v_cvt_f16_f32_e32 v3, v3
	global_store_short v[0:1], v3, off
.LBB183_2082:
	s_mov_b64 s[0:1], 0
.LBB183_2083:
	s_andn2_b64 vcc, exec, s[0:1]
	s_cbranch_vccnz .LBB183_2099
; %bb.2084:
	s_sext_i32_i16 s2, s14
	s_cmp_lt_i32 s2, 2
	s_mov_b64 s[0:1], -1
	s_cbranch_scc1 .LBB183_2094
; %bb.2085:
	s_cmp_lt_i32 s2, 3
	s_cbranch_scc1 .LBB183_2091
; %bb.2086:
	s_cmp_gt_i32 s2, 3
	s_cbranch_scc0 .LBB183_2088
; %bb.2087:
	s_waitcnt vmcnt(0)
	v_ashrrev_i32_e32 v3, 31, v2
	global_store_dwordx2 v[0:1], v[2:3], off
	s_mov_b64 s[0:1], 0
.LBB183_2088:
	s_andn2_b64 vcc, exec, s[0:1]
	s_cbranch_vccnz .LBB183_2090
; %bb.2089:
	s_waitcnt vmcnt(0)
	global_store_dword v[0:1], v2, off
.LBB183_2090:
	s_mov_b64 s[0:1], 0
.LBB183_2091:
	s_andn2_b64 vcc, exec, s[0:1]
	s_cbranch_vccnz .LBB183_2093
; %bb.2092:
	s_waitcnt vmcnt(0)
	global_store_short v[0:1], v2, off
.LBB183_2093:
	s_mov_b64 s[0:1], 0
.LBB183_2094:
	s_andn2_b64 vcc, exec, s[0:1]
	s_cbranch_vccnz .LBB183_2099
; %bb.2095:
	s_sext_i32_i16 s0, s14
	s_cmp_gt_i32 s0, 0
	s_mov_b64 s[0:1], -1
	s_cbranch_scc0 .LBB183_2097
; %bb.2096:
	s_waitcnt vmcnt(0)
	global_store_byte v[0:1], v2, off
	s_mov_b64 s[0:1], 0
.LBB183_2097:
	s_andn2_b64 vcc, exec, s[0:1]
	s_cbranch_vccnz .LBB183_2099
; %bb.2098:
	s_waitcnt vmcnt(0)
	global_store_byte v[0:1], v2, off
	s_endpgm
.LBB183_2099:
	s_endpgm
.LBB183_2100:
	s_mov_b64 s[4:5], 0
	s_mov_b64 s[0:1], -1
	s_branch .LBB183_2056
.LBB183_2101:
	s_trap 2
	s_or_b64 s[2:3], s[2:3], exec
	s_cbranch_execz .LBB183_1570
	s_branch .LBB183_1571
.LBB183_2102:
	s_andn2_saveexec_b64 s[12:13], s[12:13]
	s_cbranch_execz .LBB183_1650
.LBB183_2103:
	s_mov_b32 s17, 0x46000000
	v_add_f32_e64 v10, |v6|, s17
	v_and_b32_e32 v10, 0xff, v10
	v_cmp_ne_u32_e32 vcc, 0, v10
	s_andn2_b64 s[10:11], s[10:11], exec
	s_and_b64 s[18:19], vcc, exec
	s_or_b64 s[10:11], s[10:11], s[18:19]
	s_or_b64 exec, exec, s[12:13]
	v_mov_b32_e32 v11, 0
	s_and_saveexec_b64 s[12:13], s[10:11]
	s_cbranch_execnz .LBB183_1651
	s_branch .LBB183_1652
.LBB183_2104:
	s_trap 2
	s_or_b64 s[2:3], s[2:3], exec
	s_cbranch_execz .LBB183_1698
	s_branch .LBB183_1699
.LBB183_2105:
	s_andn2_saveexec_b64 s[10:11], s[10:11]
	s_cbranch_execz .LBB183_1663
.LBB183_2106:
	s_mov_b32 s12, 0x42800000
	v_add_f32_e64 v10, |v6|, s12
	v_and_b32_e32 v10, 0xff, v10
	v_cmp_ne_u32_e32 vcc, 0, v10
	s_andn2_b64 s[6:7], s[6:7], exec
	s_and_b64 s[12:13], vcc, exec
	s_or_b64 s[6:7], s[6:7], s[12:13]
	s_or_b64 exec, exec, s[10:11]
	v_mov_b32_e32 v11, 0
	s_and_saveexec_b64 s[10:11], s[6:7]
	s_cbranch_execnz .LBB183_1664
	s_branch .LBB183_1665
.LBB183_2107:
	s_andn2_saveexec_b64 s[12:13], s[12:13]
	s_cbranch_execz .LBB183_1769
.LBB183_2108:
	s_mov_b32 s17, 0x46000000
	v_add_f32_e64 v7, |v4|, s17
	v_and_b32_e32 v7, 0xff, v7
	v_cmp_ne_u32_e32 vcc, 0, v7
	s_andn2_b64 s[10:11], s[10:11], exec
	s_and_b64 s[18:19], vcc, exec
	s_or_b64 s[10:11], s[10:11], s[18:19]
	s_or_b64 exec, exec, s[12:13]
	v_mov_b32_e32 v8, 0
	s_and_saveexec_b64 s[12:13], s[10:11]
	s_cbranch_execnz .LBB183_1770
	s_branch .LBB183_1771
.LBB183_2109:
	s_trap 2
	s_or_b64 s[2:3], s[2:3], exec
	s_cbranch_execz .LBB183_1817
	s_branch .LBB183_1818
.LBB183_2110:
	s_andn2_saveexec_b64 s[10:11], s[10:11]
	s_cbranch_execz .LBB183_1782
.LBB183_2111:
	s_mov_b32 s12, 0x42800000
	v_add_f32_e64 v7, |v4|, s12
	v_and_b32_e32 v7, 0xff, v7
	v_cmp_ne_u32_e32 vcc, 0, v7
	s_andn2_b64 s[6:7], s[6:7], exec
	s_and_b64 s[12:13], vcc, exec
	s_or_b64 s[6:7], s[6:7], s[12:13]
	s_or_b64 exec, exec, s[10:11]
	v_mov_b32_e32 v8, 0
	s_and_saveexec_b64 s[10:11], s[6:7]
	s_cbranch_execnz .LBB183_1783
	s_branch .LBB183_1784
.LBB183_2112:
	s_andn2_saveexec_b64 s[12:13], s[12:13]
	s_cbranch_execz .LBB183_1888
.LBB183_2113:
	s_mov_b32 s17, 0x46000000
	v_add_f32_e64 v5, |v2|, s17
	v_and_b32_e32 v5, 0xff, v5
	v_cmp_ne_u32_e32 vcc, 0, v5
	s_andn2_b64 s[10:11], s[10:11], exec
	s_and_b64 s[18:19], vcc, exec
	s_or_b64 s[10:11], s[10:11], s[18:19]
	s_or_b64 exec, exec, s[12:13]
	v_mov_b32_e32 v6, 0
	s_and_saveexec_b64 s[12:13], s[10:11]
	s_cbranch_execnz .LBB183_1889
	s_branch .LBB183_1890
.LBB183_2114:
	s_trap 2
	s_or_b64 s[2:3], s[2:3], exec
	s_cbranch_execz .LBB183_1936
	s_branch .LBB183_1937
.LBB183_2115:
	s_andn2_saveexec_b64 s[10:11], s[10:11]
	s_cbranch_execz .LBB183_1901
.LBB183_2116:
	s_mov_b32 s12, 0x42800000
	v_add_f32_e64 v5, |v2|, s12
	v_and_b32_e32 v5, 0xff, v5
	v_cmp_ne_u32_e32 vcc, 0, v5
	s_andn2_b64 s[6:7], s[6:7], exec
	s_and_b64 s[12:13], vcc, exec
	s_or_b64 s[6:7], s[6:7], s[12:13]
	s_or_b64 exec, exec, s[10:11]
	v_mov_b32_e32 v6, 0
	s_and_saveexec_b64 s[10:11], s[6:7]
	s_cbranch_execnz .LBB183_1902
	s_branch .LBB183_1903
.LBB183_2117:
	s_andn2_saveexec_b64 s[10:11], s[10:11]
	s_cbranch_execz .LBB183_2008
.LBB183_2118:
	s_mov_b32 s12, 0x46000000
	v_add_f32_e64 v4, |v3|, s12
	v_and_b32_e32 v4, 0xff, v4
	v_cmp_ne_u32_e32 vcc, 0, v4
	s_andn2_b64 s[8:9], s[8:9], exec
	s_and_b64 s[12:13], vcc, exec
	s_or_b64 s[8:9], s[8:9], s[12:13]
	s_or_b64 exec, exec, s[10:11]
	v_mov_b32_e32 v5, 0
	s_and_saveexec_b64 s[10:11], s[8:9]
	s_cbranch_execnz .LBB183_2009
	s_branch .LBB183_2010
.LBB183_2119:
	s_mov_b64 s[4:5], 0
	s_or_b64 s[2:3], s[2:3], exec
	s_trap 2
	s_branch .LBB183_2054
.LBB183_2120:
	s_andn2_saveexec_b64 s[8:9], s[8:9]
	s_cbranch_execz .LBB183_2020
.LBB183_2121:
	s_mov_b32 s10, 0x42800000
	v_add_f32_e64 v4, |v3|, s10
	v_and_b32_e32 v4, 0xff, v4
	v_cmp_ne_u32_e32 vcc, 0, v4
	s_andn2_b64 s[6:7], s[6:7], exec
	s_and_b64 s[10:11], vcc, exec
	s_or_b64 s[6:7], s[6:7], s[10:11]
	s_or_b64 exec, exec, s[8:9]
	v_mov_b32_e32 v5, 0
	s_and_saveexec_b64 s[8:9], s[6:7]
	s_cbranch_execnz .LBB183_2021
	s_branch .LBB183_2022
	.section	.rodata,"a",@progbits
	.p2align	6, 0x0
	.amdhsa_kernel _ZN2at6native32elementwise_kernel_manual_unrollILi128ELi4EZNS0_15gpu_kernel_implINS0_13BUnaryFunctorIiiiZZZNS0_18rshift_kernel_cudaERNS_18TensorIteratorBaseEENKUlvE_clEvENKUlvE1_clEvEUliiE_EEEEvS5_RKT_EUlibE0_EEviT1_
		.amdhsa_group_segment_fixed_size 0
		.amdhsa_private_segment_fixed_size 0
		.amdhsa_kernarg_size 368
		.amdhsa_user_sgpr_count 6
		.amdhsa_user_sgpr_private_segment_buffer 1
		.amdhsa_user_sgpr_dispatch_ptr 0
		.amdhsa_user_sgpr_queue_ptr 0
		.amdhsa_user_sgpr_kernarg_segment_ptr 1
		.amdhsa_user_sgpr_dispatch_id 0
		.amdhsa_user_sgpr_flat_scratch_init 0
		.amdhsa_user_sgpr_private_segment_size 0
		.amdhsa_uses_dynamic_stack 0
		.amdhsa_system_sgpr_private_segment_wavefront_offset 0
		.amdhsa_system_sgpr_workgroup_id_x 1
		.amdhsa_system_sgpr_workgroup_id_y 0
		.amdhsa_system_sgpr_workgroup_id_z 0
		.amdhsa_system_sgpr_workgroup_info 0
		.amdhsa_system_vgpr_workitem_id 0
		.amdhsa_next_free_vgpr 18
		.amdhsa_next_free_sgpr 79
		.amdhsa_reserve_vcc 1
		.amdhsa_reserve_flat_scratch 0
		.amdhsa_float_round_mode_32 0
		.amdhsa_float_round_mode_16_64 0
		.amdhsa_float_denorm_mode_32 3
		.amdhsa_float_denorm_mode_16_64 3
		.amdhsa_dx10_clamp 1
		.amdhsa_ieee_mode 1
		.amdhsa_fp16_overflow 0
		.amdhsa_exception_fp_ieee_invalid_op 0
		.amdhsa_exception_fp_denorm_src 0
		.amdhsa_exception_fp_ieee_div_zero 0
		.amdhsa_exception_fp_ieee_overflow 0
		.amdhsa_exception_fp_ieee_underflow 0
		.amdhsa_exception_fp_ieee_inexact 0
		.amdhsa_exception_int_div_zero 0
	.end_amdhsa_kernel
	.section	.text._ZN2at6native32elementwise_kernel_manual_unrollILi128ELi4EZNS0_15gpu_kernel_implINS0_13BUnaryFunctorIiiiZZZNS0_18rshift_kernel_cudaERNS_18TensorIteratorBaseEENKUlvE_clEvENKUlvE1_clEvEUliiE_EEEEvS5_RKT_EUlibE0_EEviT1_,"axG",@progbits,_ZN2at6native32elementwise_kernel_manual_unrollILi128ELi4EZNS0_15gpu_kernel_implINS0_13BUnaryFunctorIiiiZZZNS0_18rshift_kernel_cudaERNS_18TensorIteratorBaseEENKUlvE_clEvENKUlvE1_clEvEUliiE_EEEEvS5_RKT_EUlibE0_EEviT1_,comdat
.Lfunc_end183:
	.size	_ZN2at6native32elementwise_kernel_manual_unrollILi128ELi4EZNS0_15gpu_kernel_implINS0_13BUnaryFunctorIiiiZZZNS0_18rshift_kernel_cudaERNS_18TensorIteratorBaseEENKUlvE_clEvENKUlvE1_clEvEUliiE_EEEEvS5_RKT_EUlibE0_EEviT1_, .Lfunc_end183-_ZN2at6native32elementwise_kernel_manual_unrollILi128ELi4EZNS0_15gpu_kernel_implINS0_13BUnaryFunctorIiiiZZZNS0_18rshift_kernel_cudaERNS_18TensorIteratorBaseEENKUlvE_clEvENKUlvE1_clEvEUliiE_EEEEvS5_RKT_EUlibE0_EEviT1_
                                        ; -- End function
	.set _ZN2at6native32elementwise_kernel_manual_unrollILi128ELi4EZNS0_15gpu_kernel_implINS0_13BUnaryFunctorIiiiZZZNS0_18rshift_kernel_cudaERNS_18TensorIteratorBaseEENKUlvE_clEvENKUlvE1_clEvEUliiE_EEEEvS5_RKT_EUlibE0_EEviT1_.num_vgpr, 18
	.set _ZN2at6native32elementwise_kernel_manual_unrollILi128ELi4EZNS0_15gpu_kernel_implINS0_13BUnaryFunctorIiiiZZZNS0_18rshift_kernel_cudaERNS_18TensorIteratorBaseEENKUlvE_clEvENKUlvE1_clEvEUliiE_EEEEvS5_RKT_EUlibE0_EEviT1_.num_agpr, 0
	.set _ZN2at6native32elementwise_kernel_manual_unrollILi128ELi4EZNS0_15gpu_kernel_implINS0_13BUnaryFunctorIiiiZZZNS0_18rshift_kernel_cudaERNS_18TensorIteratorBaseEENKUlvE_clEvENKUlvE1_clEvEUliiE_EEEEvS5_RKT_EUlibE0_EEviT1_.numbered_sgpr, 79
	.set _ZN2at6native32elementwise_kernel_manual_unrollILi128ELi4EZNS0_15gpu_kernel_implINS0_13BUnaryFunctorIiiiZZZNS0_18rshift_kernel_cudaERNS_18TensorIteratorBaseEENKUlvE_clEvENKUlvE1_clEvEUliiE_EEEEvS5_RKT_EUlibE0_EEviT1_.num_named_barrier, 0
	.set _ZN2at6native32elementwise_kernel_manual_unrollILi128ELi4EZNS0_15gpu_kernel_implINS0_13BUnaryFunctorIiiiZZZNS0_18rshift_kernel_cudaERNS_18TensorIteratorBaseEENKUlvE_clEvENKUlvE1_clEvEUliiE_EEEEvS5_RKT_EUlibE0_EEviT1_.private_seg_size, 0
	.set _ZN2at6native32elementwise_kernel_manual_unrollILi128ELi4EZNS0_15gpu_kernel_implINS0_13BUnaryFunctorIiiiZZZNS0_18rshift_kernel_cudaERNS_18TensorIteratorBaseEENKUlvE_clEvENKUlvE1_clEvEUliiE_EEEEvS5_RKT_EUlibE0_EEviT1_.uses_vcc, 1
	.set _ZN2at6native32elementwise_kernel_manual_unrollILi128ELi4EZNS0_15gpu_kernel_implINS0_13BUnaryFunctorIiiiZZZNS0_18rshift_kernel_cudaERNS_18TensorIteratorBaseEENKUlvE_clEvENKUlvE1_clEvEUliiE_EEEEvS5_RKT_EUlibE0_EEviT1_.uses_flat_scratch, 0
	.set _ZN2at6native32elementwise_kernel_manual_unrollILi128ELi4EZNS0_15gpu_kernel_implINS0_13BUnaryFunctorIiiiZZZNS0_18rshift_kernel_cudaERNS_18TensorIteratorBaseEENKUlvE_clEvENKUlvE1_clEvEUliiE_EEEEvS5_RKT_EUlibE0_EEviT1_.has_dyn_sized_stack, 0
	.set _ZN2at6native32elementwise_kernel_manual_unrollILi128ELi4EZNS0_15gpu_kernel_implINS0_13BUnaryFunctorIiiiZZZNS0_18rshift_kernel_cudaERNS_18TensorIteratorBaseEENKUlvE_clEvENKUlvE1_clEvEUliiE_EEEEvS5_RKT_EUlibE0_EEviT1_.has_recursion, 0
	.set _ZN2at6native32elementwise_kernel_manual_unrollILi128ELi4EZNS0_15gpu_kernel_implINS0_13BUnaryFunctorIiiiZZZNS0_18rshift_kernel_cudaERNS_18TensorIteratorBaseEENKUlvE_clEvENKUlvE1_clEvEUliiE_EEEEvS5_RKT_EUlibE0_EEviT1_.has_indirect_call, 0
	.section	.AMDGPU.csdata,"",@progbits
; Kernel info:
; codeLenInByte = 34588
; TotalNumSgprs: 83
; NumVgprs: 18
; ScratchSize: 0
; MemoryBound: 1
; FloatMode: 240
; IeeeMode: 1
; LDSByteSize: 0 bytes/workgroup (compile time only)
; SGPRBlocks: 10
; VGPRBlocks: 4
; NumSGPRsForWavesPerEU: 83
; NumVGPRsForWavesPerEU: 18
; Occupancy: 9
; WaveLimiterHint : 1
; COMPUTE_PGM_RSRC2:SCRATCH_EN: 0
; COMPUTE_PGM_RSRC2:USER_SGPR: 6
; COMPUTE_PGM_RSRC2:TRAP_HANDLER: 0
; COMPUTE_PGM_RSRC2:TGID_X_EN: 1
; COMPUTE_PGM_RSRC2:TGID_Y_EN: 0
; COMPUTE_PGM_RSRC2:TGID_Z_EN: 0
; COMPUTE_PGM_RSRC2:TIDIG_COMP_CNT: 0
	.section	.text._ZN2at6native29vectorized_elementwise_kernelILi16ENS0_13BinaryFunctorIiiiZZZNS0_18rshift_kernel_cudaERNS_18TensorIteratorBaseEENKUlvE_clEvENKUlvE1_clEvEUliiE_EESt5arrayIPcLm3EEEEviT0_T1_,"axG",@progbits,_ZN2at6native29vectorized_elementwise_kernelILi16ENS0_13BinaryFunctorIiiiZZZNS0_18rshift_kernel_cudaERNS_18TensorIteratorBaseEENKUlvE_clEvENKUlvE1_clEvEUliiE_EESt5arrayIPcLm3EEEEviT0_T1_,comdat
	.globl	_ZN2at6native29vectorized_elementwise_kernelILi16ENS0_13BinaryFunctorIiiiZZZNS0_18rshift_kernel_cudaERNS_18TensorIteratorBaseEENKUlvE_clEvENKUlvE1_clEvEUliiE_EESt5arrayIPcLm3EEEEviT0_T1_ ; -- Begin function _ZN2at6native29vectorized_elementwise_kernelILi16ENS0_13BinaryFunctorIiiiZZZNS0_18rshift_kernel_cudaERNS_18TensorIteratorBaseEENKUlvE_clEvENKUlvE1_clEvEUliiE_EESt5arrayIPcLm3EEEEviT0_T1_
	.p2align	8
	.type	_ZN2at6native29vectorized_elementwise_kernelILi16ENS0_13BinaryFunctorIiiiZZZNS0_18rshift_kernel_cudaERNS_18TensorIteratorBaseEENKUlvE_clEvENKUlvE1_clEvEUliiE_EESt5arrayIPcLm3EEEEviT0_T1_,@function
_ZN2at6native29vectorized_elementwise_kernelILi16ENS0_13BinaryFunctorIiiiZZZNS0_18rshift_kernel_cudaERNS_18TensorIteratorBaseEENKUlvE_clEvENKUlvE1_clEvEUliiE_EESt5arrayIPcLm3EEEEviT0_T1_: ; @_ZN2at6native29vectorized_elementwise_kernelILi16ENS0_13BinaryFunctorIiiiZZZNS0_18rshift_kernel_cudaERNS_18TensorIteratorBaseEENKUlvE_clEvENKUlvE1_clEvEUliiE_EESt5arrayIPcLm3EEEEviT0_T1_
; %bb.0:
	s_load_dword s0, s[4:5], 0x0
	s_load_dwordx4 s[8:11], s[4:5], 0x8
	s_load_dwordx2 s[12:13], s[4:5], 0x18
	s_lshl_b32 s2, s6, 10
	s_waitcnt lgkmcnt(0)
	s_sub_i32 s14, s0, s2
	s_cmpk_gt_i32 s14, 0x3ff
	s_mov_b64 s[0:1], -1
	s_cbranch_scc0 .LBB184_2
; %bb.1:
	s_ashr_i32 s3, s2, 31
	s_lshl_b64 s[0:1], s[2:3], 2
	s_add_u32 s4, s10, s0
	s_addc_u32 s5, s11, s1
	s_add_u32 s6, s12, s0
	v_lshlrev_b32_e32 v9, 4, v0
	s_addc_u32 s7, s13, s1
	global_load_dwordx4 v[1:4], v9, s[6:7]
	global_load_dwordx4 v[5:8], v9, s[4:5]
	s_add_u32 s0, s8, s0
	s_addc_u32 s1, s9, s1
	s_waitcnt vmcnt(1)
	v_min_u32_e32 v1, 31, v1
	v_min_u32_e32 v2, 31, v2
	;; [unrolled: 1-line block ×4, first 2 shown]
	s_waitcnt vmcnt(0)
	v_ashrrev_i32_e32 v1, v1, v5
	v_ashrrev_i32_e32 v2, v2, v6
	;; [unrolled: 1-line block ×4, first 2 shown]
	global_store_dwordx4 v9, v[1:4], s[0:1]
	s_mov_b64 s[0:1], 0
.LBB184_2:
	s_andn2_b64 vcc, exec, s[0:1]
	s_cbranch_vccnz .LBB184_18
; %bb.3:
	v_cmp_gt_i32_e32 vcc, s14, v0
	v_cmp_le_i32_e64 s[0:1], s14, v0
                                        ; implicit-def: $vgpr8
	s_and_saveexec_b64 s[4:5], s[0:1]
	s_xor_b64 s[0:1], exec, s[4:5]
; %bb.4:
	v_or_b32_e32 v8, 0x100, v0
; %bb.5:
	s_or_saveexec_b64 s[4:5], s[0:1]
	v_mov_b32_e32 v13, 0
	v_or_b32_e32 v1, s2, v0
	v_mov_b32_e32 v14, 0
	v_mov_b32_e32 v12, 0
	;; [unrolled: 1-line block ×7, first 2 shown]
	s_xor_b64 exec, exec, s[4:5]
	s_cbranch_execz .LBB184_13
; %bb.6:
	v_mov_b32_e32 v2, 0
	v_lshlrev_b64 v[3:4], 2, v[1:2]
	v_mov_b32_e32 v6, s11
	v_add_co_u32_e64 v5, s[0:1], s10, v3
	v_addc_co_u32_e64 v6, s[0:1], v6, v4, s[0:1]
	global_load_dword v9, v[5:6], off
	v_mov_b32_e32 v5, s13
	v_add_co_u32_e64 v3, s[0:1], s12, v3
	v_addc_co_u32_e64 v4, s[0:1], v5, v4, s[0:1]
	global_load_dword v10, v[3:4], off
	v_or_b32_e32 v8, 0x100, v0
	v_cmp_gt_u32_e64 s[0:1], s14, v8
	v_mov_b32_e32 v11, v2
	v_mov_b32_e32 v3, v2
	v_mov_b32_e32 v12, v2
	v_mov_b32_e32 v14, v2
	v_mov_b32_e32 v13, v2
	s_and_saveexec_b64 s[6:7], s[0:1]
	s_cbranch_execz .LBB184_12
; %bb.7:
	v_add_u32_e32 v2, s2, v0
	v_mov_b32_e32 v3, 0
	v_lshlrev_b64 v[6:7], 2, v[2:3]
	v_mov_b32_e32 v2, s11
	v_add_co_u32_e64 v4, s[0:1], s10, v6
	v_addc_co_u32_e64 v5, s[0:1], v2, v7, s[0:1]
	v_mov_b32_e32 v2, s13
	v_add_co_u32_e64 v6, s[0:1], s12, v6
	v_addc_co_u32_e64 v7, s[0:1], v2, v7, s[0:1]
	global_load_dword v11, v[4:5], off offset:1024
	global_load_dword v2, v[6:7], off offset:1024
	v_or_b32_e32 v12, 0x200, v0
	v_cmp_gt_u32_e64 s[0:1], s14, v12
	v_mov_b32_e32 v12, v3
	v_mov_b32_e32 v14, v3
	;; [unrolled: 1-line block ×3, first 2 shown]
	s_and_saveexec_b64 s[10:11], s[0:1]
	s_cbranch_execz .LBB184_11
; %bb.8:
	global_load_dword v12, v[4:5], off offset:2048
	global_load_dword v3, v[6:7], off offset:2048
	v_or_b32_e32 v13, 0x300, v0
	v_cmp_gt_u32_e64 s[0:1], s14, v13
	v_mov_b32_e32 v14, 0
	v_mov_b32_e32 v13, 0
	s_and_saveexec_b64 s[12:13], s[0:1]
	s_cbranch_execz .LBB184_10
; %bb.9:
	global_load_dword v14, v[6:7], off offset:3072
	global_load_dword v13, v[4:5], off offset:3072
	s_waitcnt vmcnt(1)
	v_min_u32_e32 v14, 31, v14
.LBB184_10:
	s_or_b64 exec, exec, s[12:13]
.LBB184_11:
	s_or_b64 exec, exec, s[10:11]
.LBB184_12:
	s_or_b64 exec, exec, s[6:7]
.LBB184_13:
	s_or_b64 exec, exec, s[4:5]
	s_waitcnt vmcnt(0)
	v_min_u32_e32 v2, 31, v2
	v_ashrrev_i32_e32 v2, v2, v11
	v_cmp_gt_i32_e64 s[0:1], s14, v8
	v_min_u32_e32 v4, 31, v10
	v_cndmask_b32_e64 v5, 0, v2, s[0:1]
	v_or_b32_e32 v2, 0x200, v0
	v_min_u32_e32 v3, 31, v3
	v_ashrrev_i32_e32 v4, v4, v9
	v_ashrrev_i32_e32 v3, v3, v12
	v_cmp_gt_i32_e64 s[0:1], s14, v2
	v_or_b32_e32 v2, 0x300, v0
	v_cndmask_b32_e32 v6, 0, v4, vcc
	v_cndmask_b32_e64 v4, 0, v3, s[0:1]
	v_ashrrev_i32_e32 v3, v14, v13
	v_cmp_gt_i32_e64 s[0:1], s14, v2
	v_cndmask_b32_e64 v3, 0, v3, s[0:1]
	s_and_saveexec_b64 s[0:1], vcc
	s_cbranch_execnz .LBB184_19
; %bb.14:
	s_or_b64 exec, exec, s[0:1]
	v_cmp_gt_i32_e32 vcc, s14, v0
	s_and_saveexec_b64 s[0:1], vcc
	s_cbranch_execnz .LBB184_20
.LBB184_15:
	s_or_b64 exec, exec, s[0:1]
	v_cmp_gt_i32_e32 vcc, s14, v0
	s_and_saveexec_b64 s[0:1], vcc
	s_cbranch_execnz .LBB184_21
.LBB184_16:
	s_or_b64 exec, exec, s[0:1]
	v_cmp_gt_i32_e32 vcc, s14, v0
	s_and_saveexec_b64 s[0:1], vcc
	s_cbranch_execz .LBB184_18
.LBB184_17:
	v_add_u32_e32 v0, s2, v0
	v_mov_b32_e32 v1, 0
	v_lshlrev_b64 v[0:1], 2, v[0:1]
	v_mov_b32_e32 v2, s9
	v_add_co_u32_e32 v0, vcc, s8, v0
	v_addc_co_u32_e32 v1, vcc, v2, v1, vcc
	global_store_dword v[0:1], v3, off
.LBB184_18:
	s_endpgm
.LBB184_19:
	v_mov_b32_e32 v2, 0
	v_lshlrev_b64 v[0:1], 2, v[1:2]
	v_mov_b32_e32 v2, s9
	v_add_co_u32_e32 v0, vcc, s8, v0
	v_addc_co_u32_e32 v1, vcc, v2, v1, vcc
	global_store_dword v[0:1], v6, off
	v_mov_b32_e32 v0, v8
	s_or_b64 exec, exec, s[0:1]
	v_cmp_gt_i32_e32 vcc, s14, v0
	s_and_saveexec_b64 s[0:1], vcc
	s_cbranch_execz .LBB184_15
.LBB184_20:
	v_add_u32_e32 v1, s2, v0
	v_mov_b32_e32 v2, 0
	v_lshlrev_b64 v[1:2], 2, v[1:2]
	v_mov_b32_e32 v6, s9
	v_add_co_u32_e32 v1, vcc, s8, v1
	v_addc_co_u32_e32 v2, vcc, v6, v2, vcc
	v_add_u32_e32 v0, 0x100, v0
	global_store_dword v[1:2], v5, off
	s_or_b64 exec, exec, s[0:1]
	v_cmp_gt_i32_e32 vcc, s14, v0
	s_and_saveexec_b64 s[0:1], vcc
	s_cbranch_execz .LBB184_16
.LBB184_21:
	v_add_u32_e32 v1, s2, v0
	v_mov_b32_e32 v2, 0
	v_lshlrev_b64 v[1:2], 2, v[1:2]
	v_mov_b32_e32 v5, s9
	v_add_co_u32_e32 v1, vcc, s8, v1
	v_addc_co_u32_e32 v2, vcc, v5, v2, vcc
	v_add_u32_e32 v0, 0x100, v0
	global_store_dword v[1:2], v4, off
	s_or_b64 exec, exec, s[0:1]
	v_cmp_gt_i32_e32 vcc, s14, v0
	s_and_saveexec_b64 s[0:1], vcc
	s_cbranch_execnz .LBB184_17
	s_branch .LBB184_18
	.section	.rodata,"a",@progbits
	.p2align	6, 0x0
	.amdhsa_kernel _ZN2at6native29vectorized_elementwise_kernelILi16ENS0_13BinaryFunctorIiiiZZZNS0_18rshift_kernel_cudaERNS_18TensorIteratorBaseEENKUlvE_clEvENKUlvE1_clEvEUliiE_EESt5arrayIPcLm3EEEEviT0_T1_
		.amdhsa_group_segment_fixed_size 0
		.amdhsa_private_segment_fixed_size 0
		.amdhsa_kernarg_size 32
		.amdhsa_user_sgpr_count 6
		.amdhsa_user_sgpr_private_segment_buffer 1
		.amdhsa_user_sgpr_dispatch_ptr 0
		.amdhsa_user_sgpr_queue_ptr 0
		.amdhsa_user_sgpr_kernarg_segment_ptr 1
		.amdhsa_user_sgpr_dispatch_id 0
		.amdhsa_user_sgpr_flat_scratch_init 0
		.amdhsa_user_sgpr_private_segment_size 0
		.amdhsa_uses_dynamic_stack 0
		.amdhsa_system_sgpr_private_segment_wavefront_offset 0
		.amdhsa_system_sgpr_workgroup_id_x 1
		.amdhsa_system_sgpr_workgroup_id_y 0
		.amdhsa_system_sgpr_workgroup_id_z 0
		.amdhsa_system_sgpr_workgroup_info 0
		.amdhsa_system_vgpr_workitem_id 0
		.amdhsa_next_free_vgpr 15
		.amdhsa_next_free_sgpr 15
		.amdhsa_reserve_vcc 1
		.amdhsa_reserve_flat_scratch 0
		.amdhsa_float_round_mode_32 0
		.amdhsa_float_round_mode_16_64 0
		.amdhsa_float_denorm_mode_32 3
		.amdhsa_float_denorm_mode_16_64 3
		.amdhsa_dx10_clamp 1
		.amdhsa_ieee_mode 1
		.amdhsa_fp16_overflow 0
		.amdhsa_exception_fp_ieee_invalid_op 0
		.amdhsa_exception_fp_denorm_src 0
		.amdhsa_exception_fp_ieee_div_zero 0
		.amdhsa_exception_fp_ieee_overflow 0
		.amdhsa_exception_fp_ieee_underflow 0
		.amdhsa_exception_fp_ieee_inexact 0
		.amdhsa_exception_int_div_zero 0
	.end_amdhsa_kernel
	.section	.text._ZN2at6native29vectorized_elementwise_kernelILi16ENS0_13BinaryFunctorIiiiZZZNS0_18rshift_kernel_cudaERNS_18TensorIteratorBaseEENKUlvE_clEvENKUlvE1_clEvEUliiE_EESt5arrayIPcLm3EEEEviT0_T1_,"axG",@progbits,_ZN2at6native29vectorized_elementwise_kernelILi16ENS0_13BinaryFunctorIiiiZZZNS0_18rshift_kernel_cudaERNS_18TensorIteratorBaseEENKUlvE_clEvENKUlvE1_clEvEUliiE_EESt5arrayIPcLm3EEEEviT0_T1_,comdat
.Lfunc_end184:
	.size	_ZN2at6native29vectorized_elementwise_kernelILi16ENS0_13BinaryFunctorIiiiZZZNS0_18rshift_kernel_cudaERNS_18TensorIteratorBaseEENKUlvE_clEvENKUlvE1_clEvEUliiE_EESt5arrayIPcLm3EEEEviT0_T1_, .Lfunc_end184-_ZN2at6native29vectorized_elementwise_kernelILi16ENS0_13BinaryFunctorIiiiZZZNS0_18rshift_kernel_cudaERNS_18TensorIteratorBaseEENKUlvE_clEvENKUlvE1_clEvEUliiE_EESt5arrayIPcLm3EEEEviT0_T1_
                                        ; -- End function
	.set _ZN2at6native29vectorized_elementwise_kernelILi16ENS0_13BinaryFunctorIiiiZZZNS0_18rshift_kernel_cudaERNS_18TensorIteratorBaseEENKUlvE_clEvENKUlvE1_clEvEUliiE_EESt5arrayIPcLm3EEEEviT0_T1_.num_vgpr, 15
	.set _ZN2at6native29vectorized_elementwise_kernelILi16ENS0_13BinaryFunctorIiiiZZZNS0_18rshift_kernel_cudaERNS_18TensorIteratorBaseEENKUlvE_clEvENKUlvE1_clEvEUliiE_EESt5arrayIPcLm3EEEEviT0_T1_.num_agpr, 0
	.set _ZN2at6native29vectorized_elementwise_kernelILi16ENS0_13BinaryFunctorIiiiZZZNS0_18rshift_kernel_cudaERNS_18TensorIteratorBaseEENKUlvE_clEvENKUlvE1_clEvEUliiE_EESt5arrayIPcLm3EEEEviT0_T1_.numbered_sgpr, 15
	.set _ZN2at6native29vectorized_elementwise_kernelILi16ENS0_13BinaryFunctorIiiiZZZNS0_18rshift_kernel_cudaERNS_18TensorIteratorBaseEENKUlvE_clEvENKUlvE1_clEvEUliiE_EESt5arrayIPcLm3EEEEviT0_T1_.num_named_barrier, 0
	.set _ZN2at6native29vectorized_elementwise_kernelILi16ENS0_13BinaryFunctorIiiiZZZNS0_18rshift_kernel_cudaERNS_18TensorIteratorBaseEENKUlvE_clEvENKUlvE1_clEvEUliiE_EESt5arrayIPcLm3EEEEviT0_T1_.private_seg_size, 0
	.set _ZN2at6native29vectorized_elementwise_kernelILi16ENS0_13BinaryFunctorIiiiZZZNS0_18rshift_kernel_cudaERNS_18TensorIteratorBaseEENKUlvE_clEvENKUlvE1_clEvEUliiE_EESt5arrayIPcLm3EEEEviT0_T1_.uses_vcc, 1
	.set _ZN2at6native29vectorized_elementwise_kernelILi16ENS0_13BinaryFunctorIiiiZZZNS0_18rshift_kernel_cudaERNS_18TensorIteratorBaseEENKUlvE_clEvENKUlvE1_clEvEUliiE_EESt5arrayIPcLm3EEEEviT0_T1_.uses_flat_scratch, 0
	.set _ZN2at6native29vectorized_elementwise_kernelILi16ENS0_13BinaryFunctorIiiiZZZNS0_18rshift_kernel_cudaERNS_18TensorIteratorBaseEENKUlvE_clEvENKUlvE1_clEvEUliiE_EESt5arrayIPcLm3EEEEviT0_T1_.has_dyn_sized_stack, 0
	.set _ZN2at6native29vectorized_elementwise_kernelILi16ENS0_13BinaryFunctorIiiiZZZNS0_18rshift_kernel_cudaERNS_18TensorIteratorBaseEENKUlvE_clEvENKUlvE1_clEvEUliiE_EESt5arrayIPcLm3EEEEviT0_T1_.has_recursion, 0
	.set _ZN2at6native29vectorized_elementwise_kernelILi16ENS0_13BinaryFunctorIiiiZZZNS0_18rshift_kernel_cudaERNS_18TensorIteratorBaseEENKUlvE_clEvENKUlvE1_clEvEUliiE_EESt5arrayIPcLm3EEEEviT0_T1_.has_indirect_call, 0
	.section	.AMDGPU.csdata,"",@progbits
; Kernel info:
; codeLenInByte = 916
; TotalNumSgprs: 19
; NumVgprs: 15
; ScratchSize: 0
; MemoryBound: 0
; FloatMode: 240
; IeeeMode: 1
; LDSByteSize: 0 bytes/workgroup (compile time only)
; SGPRBlocks: 2
; VGPRBlocks: 3
; NumSGPRsForWavesPerEU: 19
; NumVGPRsForWavesPerEU: 15
; Occupancy: 10
; WaveLimiterHint : 0
; COMPUTE_PGM_RSRC2:SCRATCH_EN: 0
; COMPUTE_PGM_RSRC2:USER_SGPR: 6
; COMPUTE_PGM_RSRC2:TRAP_HANDLER: 0
; COMPUTE_PGM_RSRC2:TGID_X_EN: 1
; COMPUTE_PGM_RSRC2:TGID_Y_EN: 0
; COMPUTE_PGM_RSRC2:TGID_Z_EN: 0
; COMPUTE_PGM_RSRC2:TIDIG_COMP_CNT: 0
	.section	.text._ZN2at6native29vectorized_elementwise_kernelILi8ENS0_13BinaryFunctorIiiiZZZNS0_18rshift_kernel_cudaERNS_18TensorIteratorBaseEENKUlvE_clEvENKUlvE1_clEvEUliiE_EESt5arrayIPcLm3EEEEviT0_T1_,"axG",@progbits,_ZN2at6native29vectorized_elementwise_kernelILi8ENS0_13BinaryFunctorIiiiZZZNS0_18rshift_kernel_cudaERNS_18TensorIteratorBaseEENKUlvE_clEvENKUlvE1_clEvEUliiE_EESt5arrayIPcLm3EEEEviT0_T1_,comdat
	.globl	_ZN2at6native29vectorized_elementwise_kernelILi8ENS0_13BinaryFunctorIiiiZZZNS0_18rshift_kernel_cudaERNS_18TensorIteratorBaseEENKUlvE_clEvENKUlvE1_clEvEUliiE_EESt5arrayIPcLm3EEEEviT0_T1_ ; -- Begin function _ZN2at6native29vectorized_elementwise_kernelILi8ENS0_13BinaryFunctorIiiiZZZNS0_18rshift_kernel_cudaERNS_18TensorIteratorBaseEENKUlvE_clEvENKUlvE1_clEvEUliiE_EESt5arrayIPcLm3EEEEviT0_T1_
	.p2align	8
	.type	_ZN2at6native29vectorized_elementwise_kernelILi8ENS0_13BinaryFunctorIiiiZZZNS0_18rshift_kernel_cudaERNS_18TensorIteratorBaseEENKUlvE_clEvENKUlvE1_clEvEUliiE_EESt5arrayIPcLm3EEEEviT0_T1_,@function
_ZN2at6native29vectorized_elementwise_kernelILi8ENS0_13BinaryFunctorIiiiZZZNS0_18rshift_kernel_cudaERNS_18TensorIteratorBaseEENKUlvE_clEvENKUlvE1_clEvEUliiE_EESt5arrayIPcLm3EEEEviT0_T1_: ; @_ZN2at6native29vectorized_elementwise_kernelILi8ENS0_13BinaryFunctorIiiiZZZNS0_18rshift_kernel_cudaERNS_18TensorIteratorBaseEENKUlvE_clEvENKUlvE1_clEvEUliiE_EESt5arrayIPcLm3EEEEviT0_T1_
; %bb.0:
	s_load_dword s0, s[4:5], 0x0
	s_load_dwordx4 s[8:11], s[4:5], 0x8
	s_load_dwordx2 s[12:13], s[4:5], 0x18
	s_lshl_b32 s2, s6, 10
	s_waitcnt lgkmcnt(0)
	s_sub_i32 s14, s0, s2
	s_cmpk_gt_i32 s14, 0x3ff
	s_mov_b64 s[0:1], -1
	s_cbranch_scc0 .LBB185_2
; %bb.1:
	s_ashr_i32 s3, s2, 31
	s_lshl_b64 s[0:1], s[2:3], 2
	s_add_u32 s4, s10, s0
	s_addc_u32 s5, s11, s1
	s_add_u32 s6, s12, s0
	v_lshlrev_b32_e32 v9, 4, v0
	s_addc_u32 s7, s13, s1
	global_load_dwordx4 v[1:4], v9, s[6:7]
	global_load_dwordx4 v[5:8], v9, s[4:5]
	s_add_u32 s0, s8, s0
	s_addc_u32 s1, s9, s1
	s_waitcnt vmcnt(1)
	v_min_u32_e32 v1, 31, v1
	v_min_u32_e32 v2, 31, v2
	;; [unrolled: 1-line block ×4, first 2 shown]
	s_waitcnt vmcnt(0)
	v_ashrrev_i32_e32 v1, v1, v5
	v_ashrrev_i32_e32 v2, v2, v6
	;; [unrolled: 1-line block ×4, first 2 shown]
	global_store_dwordx4 v9, v[1:4], s[0:1]
	s_mov_b64 s[0:1], 0
.LBB185_2:
	s_andn2_b64 vcc, exec, s[0:1]
	s_cbranch_vccnz .LBB185_18
; %bb.3:
	v_cmp_gt_i32_e32 vcc, s14, v0
	v_cmp_le_i32_e64 s[0:1], s14, v0
                                        ; implicit-def: $vgpr8
	s_and_saveexec_b64 s[4:5], s[0:1]
	s_xor_b64 s[0:1], exec, s[4:5]
; %bb.4:
	v_or_b32_e32 v8, 0x100, v0
; %bb.5:
	s_or_saveexec_b64 s[4:5], s[0:1]
	v_mov_b32_e32 v13, 0
	v_or_b32_e32 v1, s2, v0
	v_mov_b32_e32 v14, 0
	v_mov_b32_e32 v12, 0
	v_mov_b32_e32 v3, 0
	v_mov_b32_e32 v11, 0
	v_mov_b32_e32 v2, 0
	v_mov_b32_e32 v9, 0
	v_mov_b32_e32 v10, 0
	s_xor_b64 exec, exec, s[4:5]
	s_cbranch_execz .LBB185_13
; %bb.6:
	v_mov_b32_e32 v2, 0
	v_lshlrev_b64 v[3:4], 2, v[1:2]
	v_mov_b32_e32 v6, s11
	v_add_co_u32_e64 v5, s[0:1], s10, v3
	v_addc_co_u32_e64 v6, s[0:1], v6, v4, s[0:1]
	global_load_dword v9, v[5:6], off
	v_mov_b32_e32 v5, s13
	v_add_co_u32_e64 v3, s[0:1], s12, v3
	v_addc_co_u32_e64 v4, s[0:1], v5, v4, s[0:1]
	global_load_dword v10, v[3:4], off
	v_or_b32_e32 v8, 0x100, v0
	v_cmp_gt_u32_e64 s[0:1], s14, v8
	v_mov_b32_e32 v11, v2
	v_mov_b32_e32 v3, v2
	;; [unrolled: 1-line block ×5, first 2 shown]
	s_and_saveexec_b64 s[6:7], s[0:1]
	s_cbranch_execz .LBB185_12
; %bb.7:
	v_add_u32_e32 v2, s2, v0
	v_mov_b32_e32 v3, 0
	v_lshlrev_b64 v[6:7], 2, v[2:3]
	v_mov_b32_e32 v2, s11
	v_add_co_u32_e64 v4, s[0:1], s10, v6
	v_addc_co_u32_e64 v5, s[0:1], v2, v7, s[0:1]
	v_mov_b32_e32 v2, s13
	v_add_co_u32_e64 v6, s[0:1], s12, v6
	v_addc_co_u32_e64 v7, s[0:1], v2, v7, s[0:1]
	global_load_dword v11, v[4:5], off offset:1024
	global_load_dword v2, v[6:7], off offset:1024
	v_or_b32_e32 v12, 0x200, v0
	v_cmp_gt_u32_e64 s[0:1], s14, v12
	v_mov_b32_e32 v12, v3
	v_mov_b32_e32 v14, v3
	;; [unrolled: 1-line block ×3, first 2 shown]
	s_and_saveexec_b64 s[10:11], s[0:1]
	s_cbranch_execz .LBB185_11
; %bb.8:
	global_load_dword v12, v[4:5], off offset:2048
	global_load_dword v3, v[6:7], off offset:2048
	v_or_b32_e32 v13, 0x300, v0
	v_cmp_gt_u32_e64 s[0:1], s14, v13
	v_mov_b32_e32 v14, 0
	v_mov_b32_e32 v13, 0
	s_and_saveexec_b64 s[12:13], s[0:1]
	s_cbranch_execz .LBB185_10
; %bb.9:
	global_load_dword v14, v[6:7], off offset:3072
	global_load_dword v13, v[4:5], off offset:3072
	s_waitcnt vmcnt(1)
	v_min_u32_e32 v14, 31, v14
.LBB185_10:
	s_or_b64 exec, exec, s[12:13]
.LBB185_11:
	s_or_b64 exec, exec, s[10:11]
.LBB185_12:
	s_or_b64 exec, exec, s[6:7]
.LBB185_13:
	s_or_b64 exec, exec, s[4:5]
	s_waitcnt vmcnt(0)
	v_min_u32_e32 v2, 31, v2
	v_ashrrev_i32_e32 v2, v2, v11
	v_cmp_gt_i32_e64 s[0:1], s14, v8
	v_min_u32_e32 v4, 31, v10
	v_cndmask_b32_e64 v5, 0, v2, s[0:1]
	v_or_b32_e32 v2, 0x200, v0
	v_min_u32_e32 v3, 31, v3
	v_ashrrev_i32_e32 v4, v4, v9
	v_ashrrev_i32_e32 v3, v3, v12
	v_cmp_gt_i32_e64 s[0:1], s14, v2
	v_or_b32_e32 v2, 0x300, v0
	v_cndmask_b32_e32 v6, 0, v4, vcc
	v_cndmask_b32_e64 v4, 0, v3, s[0:1]
	v_ashrrev_i32_e32 v3, v14, v13
	v_cmp_gt_i32_e64 s[0:1], s14, v2
	v_cndmask_b32_e64 v3, 0, v3, s[0:1]
	s_and_saveexec_b64 s[0:1], vcc
	s_cbranch_execnz .LBB185_19
; %bb.14:
	s_or_b64 exec, exec, s[0:1]
	v_cmp_gt_i32_e32 vcc, s14, v0
	s_and_saveexec_b64 s[0:1], vcc
	s_cbranch_execnz .LBB185_20
.LBB185_15:
	s_or_b64 exec, exec, s[0:1]
	v_cmp_gt_i32_e32 vcc, s14, v0
	s_and_saveexec_b64 s[0:1], vcc
	s_cbranch_execnz .LBB185_21
.LBB185_16:
	s_or_b64 exec, exec, s[0:1]
	v_cmp_gt_i32_e32 vcc, s14, v0
	s_and_saveexec_b64 s[0:1], vcc
	s_cbranch_execz .LBB185_18
.LBB185_17:
	v_add_u32_e32 v0, s2, v0
	v_mov_b32_e32 v1, 0
	v_lshlrev_b64 v[0:1], 2, v[0:1]
	v_mov_b32_e32 v2, s9
	v_add_co_u32_e32 v0, vcc, s8, v0
	v_addc_co_u32_e32 v1, vcc, v2, v1, vcc
	global_store_dword v[0:1], v3, off
.LBB185_18:
	s_endpgm
.LBB185_19:
	v_mov_b32_e32 v2, 0
	v_lshlrev_b64 v[0:1], 2, v[1:2]
	v_mov_b32_e32 v2, s9
	v_add_co_u32_e32 v0, vcc, s8, v0
	v_addc_co_u32_e32 v1, vcc, v2, v1, vcc
	global_store_dword v[0:1], v6, off
	v_mov_b32_e32 v0, v8
	s_or_b64 exec, exec, s[0:1]
	v_cmp_gt_i32_e32 vcc, s14, v0
	s_and_saveexec_b64 s[0:1], vcc
	s_cbranch_execz .LBB185_15
.LBB185_20:
	v_add_u32_e32 v1, s2, v0
	v_mov_b32_e32 v2, 0
	v_lshlrev_b64 v[1:2], 2, v[1:2]
	v_mov_b32_e32 v6, s9
	v_add_co_u32_e32 v1, vcc, s8, v1
	v_addc_co_u32_e32 v2, vcc, v6, v2, vcc
	v_add_u32_e32 v0, 0x100, v0
	global_store_dword v[1:2], v5, off
	s_or_b64 exec, exec, s[0:1]
	v_cmp_gt_i32_e32 vcc, s14, v0
	s_and_saveexec_b64 s[0:1], vcc
	s_cbranch_execz .LBB185_16
.LBB185_21:
	v_add_u32_e32 v1, s2, v0
	v_mov_b32_e32 v2, 0
	v_lshlrev_b64 v[1:2], 2, v[1:2]
	v_mov_b32_e32 v5, s9
	v_add_co_u32_e32 v1, vcc, s8, v1
	v_addc_co_u32_e32 v2, vcc, v5, v2, vcc
	v_add_u32_e32 v0, 0x100, v0
	global_store_dword v[1:2], v4, off
	s_or_b64 exec, exec, s[0:1]
	v_cmp_gt_i32_e32 vcc, s14, v0
	s_and_saveexec_b64 s[0:1], vcc
	s_cbranch_execnz .LBB185_17
	s_branch .LBB185_18
	.section	.rodata,"a",@progbits
	.p2align	6, 0x0
	.amdhsa_kernel _ZN2at6native29vectorized_elementwise_kernelILi8ENS0_13BinaryFunctorIiiiZZZNS0_18rshift_kernel_cudaERNS_18TensorIteratorBaseEENKUlvE_clEvENKUlvE1_clEvEUliiE_EESt5arrayIPcLm3EEEEviT0_T1_
		.amdhsa_group_segment_fixed_size 0
		.amdhsa_private_segment_fixed_size 0
		.amdhsa_kernarg_size 32
		.amdhsa_user_sgpr_count 6
		.amdhsa_user_sgpr_private_segment_buffer 1
		.amdhsa_user_sgpr_dispatch_ptr 0
		.amdhsa_user_sgpr_queue_ptr 0
		.amdhsa_user_sgpr_kernarg_segment_ptr 1
		.amdhsa_user_sgpr_dispatch_id 0
		.amdhsa_user_sgpr_flat_scratch_init 0
		.amdhsa_user_sgpr_private_segment_size 0
		.amdhsa_uses_dynamic_stack 0
		.amdhsa_system_sgpr_private_segment_wavefront_offset 0
		.amdhsa_system_sgpr_workgroup_id_x 1
		.amdhsa_system_sgpr_workgroup_id_y 0
		.amdhsa_system_sgpr_workgroup_id_z 0
		.amdhsa_system_sgpr_workgroup_info 0
		.amdhsa_system_vgpr_workitem_id 0
		.amdhsa_next_free_vgpr 15
		.amdhsa_next_free_sgpr 15
		.amdhsa_reserve_vcc 1
		.amdhsa_reserve_flat_scratch 0
		.amdhsa_float_round_mode_32 0
		.amdhsa_float_round_mode_16_64 0
		.amdhsa_float_denorm_mode_32 3
		.amdhsa_float_denorm_mode_16_64 3
		.amdhsa_dx10_clamp 1
		.amdhsa_ieee_mode 1
		.amdhsa_fp16_overflow 0
		.amdhsa_exception_fp_ieee_invalid_op 0
		.amdhsa_exception_fp_denorm_src 0
		.amdhsa_exception_fp_ieee_div_zero 0
		.amdhsa_exception_fp_ieee_overflow 0
		.amdhsa_exception_fp_ieee_underflow 0
		.amdhsa_exception_fp_ieee_inexact 0
		.amdhsa_exception_int_div_zero 0
	.end_amdhsa_kernel
	.section	.text._ZN2at6native29vectorized_elementwise_kernelILi8ENS0_13BinaryFunctorIiiiZZZNS0_18rshift_kernel_cudaERNS_18TensorIteratorBaseEENKUlvE_clEvENKUlvE1_clEvEUliiE_EESt5arrayIPcLm3EEEEviT0_T1_,"axG",@progbits,_ZN2at6native29vectorized_elementwise_kernelILi8ENS0_13BinaryFunctorIiiiZZZNS0_18rshift_kernel_cudaERNS_18TensorIteratorBaseEENKUlvE_clEvENKUlvE1_clEvEUliiE_EESt5arrayIPcLm3EEEEviT0_T1_,comdat
.Lfunc_end185:
	.size	_ZN2at6native29vectorized_elementwise_kernelILi8ENS0_13BinaryFunctorIiiiZZZNS0_18rshift_kernel_cudaERNS_18TensorIteratorBaseEENKUlvE_clEvENKUlvE1_clEvEUliiE_EESt5arrayIPcLm3EEEEviT0_T1_, .Lfunc_end185-_ZN2at6native29vectorized_elementwise_kernelILi8ENS0_13BinaryFunctorIiiiZZZNS0_18rshift_kernel_cudaERNS_18TensorIteratorBaseEENKUlvE_clEvENKUlvE1_clEvEUliiE_EESt5arrayIPcLm3EEEEviT0_T1_
                                        ; -- End function
	.set _ZN2at6native29vectorized_elementwise_kernelILi8ENS0_13BinaryFunctorIiiiZZZNS0_18rshift_kernel_cudaERNS_18TensorIteratorBaseEENKUlvE_clEvENKUlvE1_clEvEUliiE_EESt5arrayIPcLm3EEEEviT0_T1_.num_vgpr, 15
	.set _ZN2at6native29vectorized_elementwise_kernelILi8ENS0_13BinaryFunctorIiiiZZZNS0_18rshift_kernel_cudaERNS_18TensorIteratorBaseEENKUlvE_clEvENKUlvE1_clEvEUliiE_EESt5arrayIPcLm3EEEEviT0_T1_.num_agpr, 0
	.set _ZN2at6native29vectorized_elementwise_kernelILi8ENS0_13BinaryFunctorIiiiZZZNS0_18rshift_kernel_cudaERNS_18TensorIteratorBaseEENKUlvE_clEvENKUlvE1_clEvEUliiE_EESt5arrayIPcLm3EEEEviT0_T1_.numbered_sgpr, 15
	.set _ZN2at6native29vectorized_elementwise_kernelILi8ENS0_13BinaryFunctorIiiiZZZNS0_18rshift_kernel_cudaERNS_18TensorIteratorBaseEENKUlvE_clEvENKUlvE1_clEvEUliiE_EESt5arrayIPcLm3EEEEviT0_T1_.num_named_barrier, 0
	.set _ZN2at6native29vectorized_elementwise_kernelILi8ENS0_13BinaryFunctorIiiiZZZNS0_18rshift_kernel_cudaERNS_18TensorIteratorBaseEENKUlvE_clEvENKUlvE1_clEvEUliiE_EESt5arrayIPcLm3EEEEviT0_T1_.private_seg_size, 0
	.set _ZN2at6native29vectorized_elementwise_kernelILi8ENS0_13BinaryFunctorIiiiZZZNS0_18rshift_kernel_cudaERNS_18TensorIteratorBaseEENKUlvE_clEvENKUlvE1_clEvEUliiE_EESt5arrayIPcLm3EEEEviT0_T1_.uses_vcc, 1
	.set _ZN2at6native29vectorized_elementwise_kernelILi8ENS0_13BinaryFunctorIiiiZZZNS0_18rshift_kernel_cudaERNS_18TensorIteratorBaseEENKUlvE_clEvENKUlvE1_clEvEUliiE_EESt5arrayIPcLm3EEEEviT0_T1_.uses_flat_scratch, 0
	.set _ZN2at6native29vectorized_elementwise_kernelILi8ENS0_13BinaryFunctorIiiiZZZNS0_18rshift_kernel_cudaERNS_18TensorIteratorBaseEENKUlvE_clEvENKUlvE1_clEvEUliiE_EESt5arrayIPcLm3EEEEviT0_T1_.has_dyn_sized_stack, 0
	.set _ZN2at6native29vectorized_elementwise_kernelILi8ENS0_13BinaryFunctorIiiiZZZNS0_18rshift_kernel_cudaERNS_18TensorIteratorBaseEENKUlvE_clEvENKUlvE1_clEvEUliiE_EESt5arrayIPcLm3EEEEviT0_T1_.has_recursion, 0
	.set _ZN2at6native29vectorized_elementwise_kernelILi8ENS0_13BinaryFunctorIiiiZZZNS0_18rshift_kernel_cudaERNS_18TensorIteratorBaseEENKUlvE_clEvENKUlvE1_clEvEUliiE_EESt5arrayIPcLm3EEEEviT0_T1_.has_indirect_call, 0
	.section	.AMDGPU.csdata,"",@progbits
; Kernel info:
; codeLenInByte = 916
; TotalNumSgprs: 19
; NumVgprs: 15
; ScratchSize: 0
; MemoryBound: 0
; FloatMode: 240
; IeeeMode: 1
; LDSByteSize: 0 bytes/workgroup (compile time only)
; SGPRBlocks: 2
; VGPRBlocks: 3
; NumSGPRsForWavesPerEU: 19
; NumVGPRsForWavesPerEU: 15
; Occupancy: 10
; WaveLimiterHint : 0
; COMPUTE_PGM_RSRC2:SCRATCH_EN: 0
; COMPUTE_PGM_RSRC2:USER_SGPR: 6
; COMPUTE_PGM_RSRC2:TRAP_HANDLER: 0
; COMPUTE_PGM_RSRC2:TGID_X_EN: 1
; COMPUTE_PGM_RSRC2:TGID_Y_EN: 0
; COMPUTE_PGM_RSRC2:TGID_Z_EN: 0
; COMPUTE_PGM_RSRC2:TIDIG_COMP_CNT: 0
	.section	.text._ZN2at6native29vectorized_elementwise_kernelILi4ENS0_13BinaryFunctorIiiiZZZNS0_18rshift_kernel_cudaERNS_18TensorIteratorBaseEENKUlvE_clEvENKUlvE1_clEvEUliiE_EESt5arrayIPcLm3EEEEviT0_T1_,"axG",@progbits,_ZN2at6native29vectorized_elementwise_kernelILi4ENS0_13BinaryFunctorIiiiZZZNS0_18rshift_kernel_cudaERNS_18TensorIteratorBaseEENKUlvE_clEvENKUlvE1_clEvEUliiE_EESt5arrayIPcLm3EEEEviT0_T1_,comdat
	.globl	_ZN2at6native29vectorized_elementwise_kernelILi4ENS0_13BinaryFunctorIiiiZZZNS0_18rshift_kernel_cudaERNS_18TensorIteratorBaseEENKUlvE_clEvENKUlvE1_clEvEUliiE_EESt5arrayIPcLm3EEEEviT0_T1_ ; -- Begin function _ZN2at6native29vectorized_elementwise_kernelILi4ENS0_13BinaryFunctorIiiiZZZNS0_18rshift_kernel_cudaERNS_18TensorIteratorBaseEENKUlvE_clEvENKUlvE1_clEvEUliiE_EESt5arrayIPcLm3EEEEviT0_T1_
	.p2align	8
	.type	_ZN2at6native29vectorized_elementwise_kernelILi4ENS0_13BinaryFunctorIiiiZZZNS0_18rshift_kernel_cudaERNS_18TensorIteratorBaseEENKUlvE_clEvENKUlvE1_clEvEUliiE_EESt5arrayIPcLm3EEEEviT0_T1_,@function
_ZN2at6native29vectorized_elementwise_kernelILi4ENS0_13BinaryFunctorIiiiZZZNS0_18rshift_kernel_cudaERNS_18TensorIteratorBaseEENKUlvE_clEvENKUlvE1_clEvEUliiE_EESt5arrayIPcLm3EEEEviT0_T1_: ; @_ZN2at6native29vectorized_elementwise_kernelILi4ENS0_13BinaryFunctorIiiiZZZNS0_18rshift_kernel_cudaERNS_18TensorIteratorBaseEENKUlvE_clEvENKUlvE1_clEvEUliiE_EESt5arrayIPcLm3EEEEviT0_T1_
; %bb.0:
	s_load_dword s0, s[4:5], 0x0
	s_load_dwordx4 s[8:11], s[4:5], 0x8
	s_load_dwordx2 s[12:13], s[4:5], 0x18
	s_lshl_b32 s2, s6, 10
	s_waitcnt lgkmcnt(0)
	s_sub_i32 s14, s0, s2
	s_cmpk_gt_i32 s14, 0x3ff
	s_mov_b64 s[0:1], -1
	s_cbranch_scc0 .LBB186_2
; %bb.1:
	s_ashr_i32 s3, s2, 31
	s_lshl_b64 s[0:1], s[2:3], 2
	s_add_u32 s4, s10, s0
	s_addc_u32 s5, s11, s1
	s_add_u32 s6, s12, s0
	v_lshlrev_b32_e32 v9, 4, v0
	s_addc_u32 s7, s13, s1
	global_load_dwordx4 v[1:4], v9, s[6:7]
	global_load_dwordx4 v[5:8], v9, s[4:5]
	s_add_u32 s0, s8, s0
	s_addc_u32 s1, s9, s1
	s_waitcnt vmcnt(1)
	v_min_u32_e32 v1, 31, v1
	v_min_u32_e32 v2, 31, v2
	;; [unrolled: 1-line block ×4, first 2 shown]
	s_waitcnt vmcnt(0)
	v_ashrrev_i32_e32 v1, v1, v5
	v_ashrrev_i32_e32 v2, v2, v6
	;; [unrolled: 1-line block ×4, first 2 shown]
	global_store_dwordx4 v9, v[1:4], s[0:1]
	s_mov_b64 s[0:1], 0
.LBB186_2:
	s_andn2_b64 vcc, exec, s[0:1]
	s_cbranch_vccnz .LBB186_18
; %bb.3:
	v_cmp_gt_i32_e32 vcc, s14, v0
	v_cmp_le_i32_e64 s[0:1], s14, v0
                                        ; implicit-def: $vgpr8
	s_and_saveexec_b64 s[4:5], s[0:1]
	s_xor_b64 s[0:1], exec, s[4:5]
; %bb.4:
	v_or_b32_e32 v8, 0x100, v0
; %bb.5:
	s_or_saveexec_b64 s[4:5], s[0:1]
	v_mov_b32_e32 v13, 0
	v_or_b32_e32 v1, s2, v0
	v_mov_b32_e32 v14, 0
	v_mov_b32_e32 v12, 0
	;; [unrolled: 1-line block ×7, first 2 shown]
	s_xor_b64 exec, exec, s[4:5]
	s_cbranch_execz .LBB186_13
; %bb.6:
	v_mov_b32_e32 v2, 0
	v_lshlrev_b64 v[3:4], 2, v[1:2]
	v_mov_b32_e32 v6, s11
	v_add_co_u32_e64 v5, s[0:1], s10, v3
	v_addc_co_u32_e64 v6, s[0:1], v6, v4, s[0:1]
	global_load_dword v9, v[5:6], off
	v_mov_b32_e32 v5, s13
	v_add_co_u32_e64 v3, s[0:1], s12, v3
	v_addc_co_u32_e64 v4, s[0:1], v5, v4, s[0:1]
	global_load_dword v10, v[3:4], off
	v_or_b32_e32 v8, 0x100, v0
	v_cmp_gt_u32_e64 s[0:1], s14, v8
	v_mov_b32_e32 v11, v2
	v_mov_b32_e32 v3, v2
	;; [unrolled: 1-line block ×5, first 2 shown]
	s_and_saveexec_b64 s[6:7], s[0:1]
	s_cbranch_execz .LBB186_12
; %bb.7:
	v_add_u32_e32 v2, s2, v0
	v_mov_b32_e32 v3, 0
	v_lshlrev_b64 v[6:7], 2, v[2:3]
	v_mov_b32_e32 v2, s11
	v_add_co_u32_e64 v4, s[0:1], s10, v6
	v_addc_co_u32_e64 v5, s[0:1], v2, v7, s[0:1]
	v_mov_b32_e32 v2, s13
	v_add_co_u32_e64 v6, s[0:1], s12, v6
	v_addc_co_u32_e64 v7, s[0:1], v2, v7, s[0:1]
	global_load_dword v11, v[4:5], off offset:1024
	global_load_dword v2, v[6:7], off offset:1024
	v_or_b32_e32 v12, 0x200, v0
	v_cmp_gt_u32_e64 s[0:1], s14, v12
	v_mov_b32_e32 v12, v3
	v_mov_b32_e32 v14, v3
	;; [unrolled: 1-line block ×3, first 2 shown]
	s_and_saveexec_b64 s[10:11], s[0:1]
	s_cbranch_execz .LBB186_11
; %bb.8:
	global_load_dword v12, v[4:5], off offset:2048
	global_load_dword v3, v[6:7], off offset:2048
	v_or_b32_e32 v13, 0x300, v0
	v_cmp_gt_u32_e64 s[0:1], s14, v13
	v_mov_b32_e32 v14, 0
	v_mov_b32_e32 v13, 0
	s_and_saveexec_b64 s[12:13], s[0:1]
	s_cbranch_execz .LBB186_10
; %bb.9:
	global_load_dword v14, v[6:7], off offset:3072
	global_load_dword v13, v[4:5], off offset:3072
	s_waitcnt vmcnt(1)
	v_min_u32_e32 v14, 31, v14
.LBB186_10:
	s_or_b64 exec, exec, s[12:13]
.LBB186_11:
	s_or_b64 exec, exec, s[10:11]
.LBB186_12:
	s_or_b64 exec, exec, s[6:7]
.LBB186_13:
	s_or_b64 exec, exec, s[4:5]
	s_waitcnt vmcnt(0)
	v_min_u32_e32 v2, 31, v2
	v_ashrrev_i32_e32 v2, v2, v11
	v_cmp_gt_i32_e64 s[0:1], s14, v8
	v_min_u32_e32 v4, 31, v10
	v_cndmask_b32_e64 v5, 0, v2, s[0:1]
	v_or_b32_e32 v2, 0x200, v0
	v_min_u32_e32 v3, 31, v3
	v_ashrrev_i32_e32 v4, v4, v9
	v_ashrrev_i32_e32 v3, v3, v12
	v_cmp_gt_i32_e64 s[0:1], s14, v2
	v_or_b32_e32 v2, 0x300, v0
	v_cndmask_b32_e32 v6, 0, v4, vcc
	v_cndmask_b32_e64 v4, 0, v3, s[0:1]
	v_ashrrev_i32_e32 v3, v14, v13
	v_cmp_gt_i32_e64 s[0:1], s14, v2
	v_cndmask_b32_e64 v3, 0, v3, s[0:1]
	s_and_saveexec_b64 s[0:1], vcc
	s_cbranch_execnz .LBB186_19
; %bb.14:
	s_or_b64 exec, exec, s[0:1]
	v_cmp_gt_i32_e32 vcc, s14, v0
	s_and_saveexec_b64 s[0:1], vcc
	s_cbranch_execnz .LBB186_20
.LBB186_15:
	s_or_b64 exec, exec, s[0:1]
	v_cmp_gt_i32_e32 vcc, s14, v0
	s_and_saveexec_b64 s[0:1], vcc
	s_cbranch_execnz .LBB186_21
.LBB186_16:
	s_or_b64 exec, exec, s[0:1]
	v_cmp_gt_i32_e32 vcc, s14, v0
	s_and_saveexec_b64 s[0:1], vcc
	s_cbranch_execz .LBB186_18
.LBB186_17:
	v_add_u32_e32 v0, s2, v0
	v_mov_b32_e32 v1, 0
	v_lshlrev_b64 v[0:1], 2, v[0:1]
	v_mov_b32_e32 v2, s9
	v_add_co_u32_e32 v0, vcc, s8, v0
	v_addc_co_u32_e32 v1, vcc, v2, v1, vcc
	global_store_dword v[0:1], v3, off
.LBB186_18:
	s_endpgm
.LBB186_19:
	v_mov_b32_e32 v2, 0
	v_lshlrev_b64 v[0:1], 2, v[1:2]
	v_mov_b32_e32 v2, s9
	v_add_co_u32_e32 v0, vcc, s8, v0
	v_addc_co_u32_e32 v1, vcc, v2, v1, vcc
	global_store_dword v[0:1], v6, off
	v_mov_b32_e32 v0, v8
	s_or_b64 exec, exec, s[0:1]
	v_cmp_gt_i32_e32 vcc, s14, v0
	s_and_saveexec_b64 s[0:1], vcc
	s_cbranch_execz .LBB186_15
.LBB186_20:
	v_add_u32_e32 v1, s2, v0
	v_mov_b32_e32 v2, 0
	v_lshlrev_b64 v[1:2], 2, v[1:2]
	v_mov_b32_e32 v6, s9
	v_add_co_u32_e32 v1, vcc, s8, v1
	v_addc_co_u32_e32 v2, vcc, v6, v2, vcc
	v_add_u32_e32 v0, 0x100, v0
	global_store_dword v[1:2], v5, off
	s_or_b64 exec, exec, s[0:1]
	v_cmp_gt_i32_e32 vcc, s14, v0
	s_and_saveexec_b64 s[0:1], vcc
	s_cbranch_execz .LBB186_16
.LBB186_21:
	v_add_u32_e32 v1, s2, v0
	v_mov_b32_e32 v2, 0
	v_lshlrev_b64 v[1:2], 2, v[1:2]
	v_mov_b32_e32 v5, s9
	v_add_co_u32_e32 v1, vcc, s8, v1
	v_addc_co_u32_e32 v2, vcc, v5, v2, vcc
	v_add_u32_e32 v0, 0x100, v0
	global_store_dword v[1:2], v4, off
	s_or_b64 exec, exec, s[0:1]
	v_cmp_gt_i32_e32 vcc, s14, v0
	s_and_saveexec_b64 s[0:1], vcc
	s_cbranch_execnz .LBB186_17
	s_branch .LBB186_18
	.section	.rodata,"a",@progbits
	.p2align	6, 0x0
	.amdhsa_kernel _ZN2at6native29vectorized_elementwise_kernelILi4ENS0_13BinaryFunctorIiiiZZZNS0_18rshift_kernel_cudaERNS_18TensorIteratorBaseEENKUlvE_clEvENKUlvE1_clEvEUliiE_EESt5arrayIPcLm3EEEEviT0_T1_
		.amdhsa_group_segment_fixed_size 0
		.amdhsa_private_segment_fixed_size 0
		.amdhsa_kernarg_size 32
		.amdhsa_user_sgpr_count 6
		.amdhsa_user_sgpr_private_segment_buffer 1
		.amdhsa_user_sgpr_dispatch_ptr 0
		.amdhsa_user_sgpr_queue_ptr 0
		.amdhsa_user_sgpr_kernarg_segment_ptr 1
		.amdhsa_user_sgpr_dispatch_id 0
		.amdhsa_user_sgpr_flat_scratch_init 0
		.amdhsa_user_sgpr_private_segment_size 0
		.amdhsa_uses_dynamic_stack 0
		.amdhsa_system_sgpr_private_segment_wavefront_offset 0
		.amdhsa_system_sgpr_workgroup_id_x 1
		.amdhsa_system_sgpr_workgroup_id_y 0
		.amdhsa_system_sgpr_workgroup_id_z 0
		.amdhsa_system_sgpr_workgroup_info 0
		.amdhsa_system_vgpr_workitem_id 0
		.amdhsa_next_free_vgpr 15
		.amdhsa_next_free_sgpr 15
		.amdhsa_reserve_vcc 1
		.amdhsa_reserve_flat_scratch 0
		.amdhsa_float_round_mode_32 0
		.amdhsa_float_round_mode_16_64 0
		.amdhsa_float_denorm_mode_32 3
		.amdhsa_float_denorm_mode_16_64 3
		.amdhsa_dx10_clamp 1
		.amdhsa_ieee_mode 1
		.amdhsa_fp16_overflow 0
		.amdhsa_exception_fp_ieee_invalid_op 0
		.amdhsa_exception_fp_denorm_src 0
		.amdhsa_exception_fp_ieee_div_zero 0
		.amdhsa_exception_fp_ieee_overflow 0
		.amdhsa_exception_fp_ieee_underflow 0
		.amdhsa_exception_fp_ieee_inexact 0
		.amdhsa_exception_int_div_zero 0
	.end_amdhsa_kernel
	.section	.text._ZN2at6native29vectorized_elementwise_kernelILi4ENS0_13BinaryFunctorIiiiZZZNS0_18rshift_kernel_cudaERNS_18TensorIteratorBaseEENKUlvE_clEvENKUlvE1_clEvEUliiE_EESt5arrayIPcLm3EEEEviT0_T1_,"axG",@progbits,_ZN2at6native29vectorized_elementwise_kernelILi4ENS0_13BinaryFunctorIiiiZZZNS0_18rshift_kernel_cudaERNS_18TensorIteratorBaseEENKUlvE_clEvENKUlvE1_clEvEUliiE_EESt5arrayIPcLm3EEEEviT0_T1_,comdat
.Lfunc_end186:
	.size	_ZN2at6native29vectorized_elementwise_kernelILi4ENS0_13BinaryFunctorIiiiZZZNS0_18rshift_kernel_cudaERNS_18TensorIteratorBaseEENKUlvE_clEvENKUlvE1_clEvEUliiE_EESt5arrayIPcLm3EEEEviT0_T1_, .Lfunc_end186-_ZN2at6native29vectorized_elementwise_kernelILi4ENS0_13BinaryFunctorIiiiZZZNS0_18rshift_kernel_cudaERNS_18TensorIteratorBaseEENKUlvE_clEvENKUlvE1_clEvEUliiE_EESt5arrayIPcLm3EEEEviT0_T1_
                                        ; -- End function
	.set _ZN2at6native29vectorized_elementwise_kernelILi4ENS0_13BinaryFunctorIiiiZZZNS0_18rshift_kernel_cudaERNS_18TensorIteratorBaseEENKUlvE_clEvENKUlvE1_clEvEUliiE_EESt5arrayIPcLm3EEEEviT0_T1_.num_vgpr, 15
	.set _ZN2at6native29vectorized_elementwise_kernelILi4ENS0_13BinaryFunctorIiiiZZZNS0_18rshift_kernel_cudaERNS_18TensorIteratorBaseEENKUlvE_clEvENKUlvE1_clEvEUliiE_EESt5arrayIPcLm3EEEEviT0_T1_.num_agpr, 0
	.set _ZN2at6native29vectorized_elementwise_kernelILi4ENS0_13BinaryFunctorIiiiZZZNS0_18rshift_kernel_cudaERNS_18TensorIteratorBaseEENKUlvE_clEvENKUlvE1_clEvEUliiE_EESt5arrayIPcLm3EEEEviT0_T1_.numbered_sgpr, 15
	.set _ZN2at6native29vectorized_elementwise_kernelILi4ENS0_13BinaryFunctorIiiiZZZNS0_18rshift_kernel_cudaERNS_18TensorIteratorBaseEENKUlvE_clEvENKUlvE1_clEvEUliiE_EESt5arrayIPcLm3EEEEviT0_T1_.num_named_barrier, 0
	.set _ZN2at6native29vectorized_elementwise_kernelILi4ENS0_13BinaryFunctorIiiiZZZNS0_18rshift_kernel_cudaERNS_18TensorIteratorBaseEENKUlvE_clEvENKUlvE1_clEvEUliiE_EESt5arrayIPcLm3EEEEviT0_T1_.private_seg_size, 0
	.set _ZN2at6native29vectorized_elementwise_kernelILi4ENS0_13BinaryFunctorIiiiZZZNS0_18rshift_kernel_cudaERNS_18TensorIteratorBaseEENKUlvE_clEvENKUlvE1_clEvEUliiE_EESt5arrayIPcLm3EEEEviT0_T1_.uses_vcc, 1
	.set _ZN2at6native29vectorized_elementwise_kernelILi4ENS0_13BinaryFunctorIiiiZZZNS0_18rshift_kernel_cudaERNS_18TensorIteratorBaseEENKUlvE_clEvENKUlvE1_clEvEUliiE_EESt5arrayIPcLm3EEEEviT0_T1_.uses_flat_scratch, 0
	.set _ZN2at6native29vectorized_elementwise_kernelILi4ENS0_13BinaryFunctorIiiiZZZNS0_18rshift_kernel_cudaERNS_18TensorIteratorBaseEENKUlvE_clEvENKUlvE1_clEvEUliiE_EESt5arrayIPcLm3EEEEviT0_T1_.has_dyn_sized_stack, 0
	.set _ZN2at6native29vectorized_elementwise_kernelILi4ENS0_13BinaryFunctorIiiiZZZNS0_18rshift_kernel_cudaERNS_18TensorIteratorBaseEENKUlvE_clEvENKUlvE1_clEvEUliiE_EESt5arrayIPcLm3EEEEviT0_T1_.has_recursion, 0
	.set _ZN2at6native29vectorized_elementwise_kernelILi4ENS0_13BinaryFunctorIiiiZZZNS0_18rshift_kernel_cudaERNS_18TensorIteratorBaseEENKUlvE_clEvENKUlvE1_clEvEUliiE_EESt5arrayIPcLm3EEEEviT0_T1_.has_indirect_call, 0
	.section	.AMDGPU.csdata,"",@progbits
; Kernel info:
; codeLenInByte = 916
; TotalNumSgprs: 19
; NumVgprs: 15
; ScratchSize: 0
; MemoryBound: 0
; FloatMode: 240
; IeeeMode: 1
; LDSByteSize: 0 bytes/workgroup (compile time only)
; SGPRBlocks: 2
; VGPRBlocks: 3
; NumSGPRsForWavesPerEU: 19
; NumVGPRsForWavesPerEU: 15
; Occupancy: 10
; WaveLimiterHint : 0
; COMPUTE_PGM_RSRC2:SCRATCH_EN: 0
; COMPUTE_PGM_RSRC2:USER_SGPR: 6
; COMPUTE_PGM_RSRC2:TRAP_HANDLER: 0
; COMPUTE_PGM_RSRC2:TGID_X_EN: 1
; COMPUTE_PGM_RSRC2:TGID_Y_EN: 0
; COMPUTE_PGM_RSRC2:TGID_Z_EN: 0
; COMPUTE_PGM_RSRC2:TIDIG_COMP_CNT: 0
	.section	.text._ZN2at6native29vectorized_elementwise_kernelILi2ENS0_13BinaryFunctorIiiiZZZNS0_18rshift_kernel_cudaERNS_18TensorIteratorBaseEENKUlvE_clEvENKUlvE1_clEvEUliiE_EESt5arrayIPcLm3EEEEviT0_T1_,"axG",@progbits,_ZN2at6native29vectorized_elementwise_kernelILi2ENS0_13BinaryFunctorIiiiZZZNS0_18rshift_kernel_cudaERNS_18TensorIteratorBaseEENKUlvE_clEvENKUlvE1_clEvEUliiE_EESt5arrayIPcLm3EEEEviT0_T1_,comdat
	.globl	_ZN2at6native29vectorized_elementwise_kernelILi2ENS0_13BinaryFunctorIiiiZZZNS0_18rshift_kernel_cudaERNS_18TensorIteratorBaseEENKUlvE_clEvENKUlvE1_clEvEUliiE_EESt5arrayIPcLm3EEEEviT0_T1_ ; -- Begin function _ZN2at6native29vectorized_elementwise_kernelILi2ENS0_13BinaryFunctorIiiiZZZNS0_18rshift_kernel_cudaERNS_18TensorIteratorBaseEENKUlvE_clEvENKUlvE1_clEvEUliiE_EESt5arrayIPcLm3EEEEviT0_T1_
	.p2align	8
	.type	_ZN2at6native29vectorized_elementwise_kernelILi2ENS0_13BinaryFunctorIiiiZZZNS0_18rshift_kernel_cudaERNS_18TensorIteratorBaseEENKUlvE_clEvENKUlvE1_clEvEUliiE_EESt5arrayIPcLm3EEEEviT0_T1_,@function
_ZN2at6native29vectorized_elementwise_kernelILi2ENS0_13BinaryFunctorIiiiZZZNS0_18rshift_kernel_cudaERNS_18TensorIteratorBaseEENKUlvE_clEvENKUlvE1_clEvEUliiE_EESt5arrayIPcLm3EEEEviT0_T1_: ; @_ZN2at6native29vectorized_elementwise_kernelILi2ENS0_13BinaryFunctorIiiiZZZNS0_18rshift_kernel_cudaERNS_18TensorIteratorBaseEENKUlvE_clEvENKUlvE1_clEvEUliiE_EESt5arrayIPcLm3EEEEviT0_T1_
; %bb.0:
	s_load_dword s0, s[4:5], 0x0
	s_load_dwordx4 s[8:11], s[4:5], 0x8
	s_load_dwordx2 s[12:13], s[4:5], 0x18
	s_lshl_b32 s2, s6, 10
	s_waitcnt lgkmcnt(0)
	s_sub_i32 s14, s0, s2
	s_cmpk_gt_i32 s14, 0x3ff
	s_mov_b64 s[0:1], -1
	s_cbranch_scc0 .LBB187_2
; %bb.1:
	s_ashr_i32 s3, s2, 31
	s_lshl_b64 s[0:1], s[2:3], 2
	s_add_u32 s4, s10, s0
	s_addc_u32 s5, s11, s1
	s_add_u32 s6, s12, s0
	v_lshlrev_b32_e32 v9, 3, v0
	s_addc_u32 s7, s13, s1
	global_load_dwordx2 v[1:2], v9, s[6:7]
	global_load_dwordx2 v[3:4], v9, s[6:7] offset:2048
	global_load_dwordx2 v[5:6], v9, s[4:5]
	global_load_dwordx2 v[7:8], v9, s[4:5] offset:2048
	s_add_u32 s0, s8, s0
	s_addc_u32 s1, s9, s1
	s_waitcnt vmcnt(3)
	v_min_u32_e32 v1, 31, v1
	v_min_u32_e32 v2, 31, v2
	s_waitcnt vmcnt(2)
	v_min_u32_e32 v3, 31, v3
	v_min_u32_e32 v4, 31, v4
	s_waitcnt vmcnt(1)
	v_ashrrev_i32_e32 v1, v1, v5
	v_ashrrev_i32_e32 v2, v2, v6
	s_waitcnt vmcnt(0)
	v_ashrrev_i32_e32 v3, v3, v7
	v_ashrrev_i32_e32 v4, v4, v8
	global_store_dwordx2 v9, v[1:2], s[0:1]
	global_store_dwordx2 v9, v[3:4], s[0:1] offset:2048
	s_mov_b64 s[0:1], 0
.LBB187_2:
	s_andn2_b64 vcc, exec, s[0:1]
	s_cbranch_vccnz .LBB187_18
; %bb.3:
	v_cmp_gt_i32_e32 vcc, s14, v0
	v_cmp_le_i32_e64 s[0:1], s14, v0
                                        ; implicit-def: $vgpr8
	s_and_saveexec_b64 s[4:5], s[0:1]
	s_xor_b64 s[0:1], exec, s[4:5]
; %bb.4:
	v_or_b32_e32 v8, 0x100, v0
; %bb.5:
	s_or_saveexec_b64 s[4:5], s[0:1]
	v_mov_b32_e32 v13, 0
	v_or_b32_e32 v1, s2, v0
	v_mov_b32_e32 v14, 0
	v_mov_b32_e32 v12, 0
	;; [unrolled: 1-line block ×7, first 2 shown]
	s_xor_b64 exec, exec, s[4:5]
	s_cbranch_execz .LBB187_13
; %bb.6:
	v_mov_b32_e32 v2, 0
	v_lshlrev_b64 v[3:4], 2, v[1:2]
	v_mov_b32_e32 v6, s11
	v_add_co_u32_e64 v5, s[0:1], s10, v3
	v_addc_co_u32_e64 v6, s[0:1], v6, v4, s[0:1]
	global_load_dword v9, v[5:6], off
	v_mov_b32_e32 v5, s13
	v_add_co_u32_e64 v3, s[0:1], s12, v3
	v_addc_co_u32_e64 v4, s[0:1], v5, v4, s[0:1]
	global_load_dword v10, v[3:4], off
	v_or_b32_e32 v8, 0x100, v0
	v_cmp_gt_u32_e64 s[0:1], s14, v8
	v_mov_b32_e32 v11, v2
	v_mov_b32_e32 v3, v2
	;; [unrolled: 1-line block ×5, first 2 shown]
	s_and_saveexec_b64 s[6:7], s[0:1]
	s_cbranch_execz .LBB187_12
; %bb.7:
	v_add_u32_e32 v2, s2, v0
	v_mov_b32_e32 v3, 0
	v_lshlrev_b64 v[6:7], 2, v[2:3]
	v_mov_b32_e32 v2, s11
	v_add_co_u32_e64 v4, s[0:1], s10, v6
	v_addc_co_u32_e64 v5, s[0:1], v2, v7, s[0:1]
	v_mov_b32_e32 v2, s13
	v_add_co_u32_e64 v6, s[0:1], s12, v6
	v_addc_co_u32_e64 v7, s[0:1], v2, v7, s[0:1]
	global_load_dword v11, v[4:5], off offset:1024
	global_load_dword v2, v[6:7], off offset:1024
	v_or_b32_e32 v12, 0x200, v0
	v_cmp_gt_u32_e64 s[0:1], s14, v12
	v_mov_b32_e32 v12, v3
	v_mov_b32_e32 v14, v3
	;; [unrolled: 1-line block ×3, first 2 shown]
	s_and_saveexec_b64 s[10:11], s[0:1]
	s_cbranch_execz .LBB187_11
; %bb.8:
	global_load_dword v12, v[4:5], off offset:2048
	global_load_dword v3, v[6:7], off offset:2048
	v_or_b32_e32 v13, 0x300, v0
	v_cmp_gt_u32_e64 s[0:1], s14, v13
	v_mov_b32_e32 v14, 0
	v_mov_b32_e32 v13, 0
	s_and_saveexec_b64 s[12:13], s[0:1]
	s_cbranch_execz .LBB187_10
; %bb.9:
	global_load_dword v14, v[6:7], off offset:3072
	global_load_dword v13, v[4:5], off offset:3072
	s_waitcnt vmcnt(1)
	v_min_u32_e32 v14, 31, v14
.LBB187_10:
	s_or_b64 exec, exec, s[12:13]
.LBB187_11:
	s_or_b64 exec, exec, s[10:11]
.LBB187_12:
	s_or_b64 exec, exec, s[6:7]
.LBB187_13:
	s_or_b64 exec, exec, s[4:5]
	s_waitcnt vmcnt(0)
	v_min_u32_e32 v2, 31, v2
	v_ashrrev_i32_e32 v2, v2, v11
	v_cmp_gt_i32_e64 s[0:1], s14, v8
	v_min_u32_e32 v4, 31, v10
	v_cndmask_b32_e64 v5, 0, v2, s[0:1]
	v_or_b32_e32 v2, 0x200, v0
	v_min_u32_e32 v3, 31, v3
	v_ashrrev_i32_e32 v4, v4, v9
	v_ashrrev_i32_e32 v3, v3, v12
	v_cmp_gt_i32_e64 s[0:1], s14, v2
	v_or_b32_e32 v2, 0x300, v0
	v_cndmask_b32_e32 v6, 0, v4, vcc
	v_cndmask_b32_e64 v4, 0, v3, s[0:1]
	v_ashrrev_i32_e32 v3, v14, v13
	v_cmp_gt_i32_e64 s[0:1], s14, v2
	v_cndmask_b32_e64 v3, 0, v3, s[0:1]
	s_and_saveexec_b64 s[0:1], vcc
	s_cbranch_execnz .LBB187_19
; %bb.14:
	s_or_b64 exec, exec, s[0:1]
	v_cmp_gt_i32_e32 vcc, s14, v0
	s_and_saveexec_b64 s[0:1], vcc
	s_cbranch_execnz .LBB187_20
.LBB187_15:
	s_or_b64 exec, exec, s[0:1]
	v_cmp_gt_i32_e32 vcc, s14, v0
	s_and_saveexec_b64 s[0:1], vcc
	s_cbranch_execnz .LBB187_21
.LBB187_16:
	s_or_b64 exec, exec, s[0:1]
	v_cmp_gt_i32_e32 vcc, s14, v0
	s_and_saveexec_b64 s[0:1], vcc
	s_cbranch_execz .LBB187_18
.LBB187_17:
	v_add_u32_e32 v0, s2, v0
	v_mov_b32_e32 v1, 0
	v_lshlrev_b64 v[0:1], 2, v[0:1]
	v_mov_b32_e32 v2, s9
	v_add_co_u32_e32 v0, vcc, s8, v0
	v_addc_co_u32_e32 v1, vcc, v2, v1, vcc
	global_store_dword v[0:1], v3, off
.LBB187_18:
	s_endpgm
.LBB187_19:
	v_mov_b32_e32 v2, 0
	v_lshlrev_b64 v[0:1], 2, v[1:2]
	v_mov_b32_e32 v2, s9
	v_add_co_u32_e32 v0, vcc, s8, v0
	v_addc_co_u32_e32 v1, vcc, v2, v1, vcc
	global_store_dword v[0:1], v6, off
	v_mov_b32_e32 v0, v8
	s_or_b64 exec, exec, s[0:1]
	v_cmp_gt_i32_e32 vcc, s14, v0
	s_and_saveexec_b64 s[0:1], vcc
	s_cbranch_execz .LBB187_15
.LBB187_20:
	v_add_u32_e32 v1, s2, v0
	v_mov_b32_e32 v2, 0
	v_lshlrev_b64 v[1:2], 2, v[1:2]
	v_mov_b32_e32 v6, s9
	v_add_co_u32_e32 v1, vcc, s8, v1
	v_addc_co_u32_e32 v2, vcc, v6, v2, vcc
	v_add_u32_e32 v0, 0x100, v0
	global_store_dword v[1:2], v5, off
	s_or_b64 exec, exec, s[0:1]
	v_cmp_gt_i32_e32 vcc, s14, v0
	s_and_saveexec_b64 s[0:1], vcc
	s_cbranch_execz .LBB187_16
.LBB187_21:
	v_add_u32_e32 v1, s2, v0
	v_mov_b32_e32 v2, 0
	v_lshlrev_b64 v[1:2], 2, v[1:2]
	v_mov_b32_e32 v5, s9
	v_add_co_u32_e32 v1, vcc, s8, v1
	v_addc_co_u32_e32 v2, vcc, v5, v2, vcc
	v_add_u32_e32 v0, 0x100, v0
	global_store_dword v[1:2], v4, off
	s_or_b64 exec, exec, s[0:1]
	v_cmp_gt_i32_e32 vcc, s14, v0
	s_and_saveexec_b64 s[0:1], vcc
	s_cbranch_execnz .LBB187_17
	s_branch .LBB187_18
	.section	.rodata,"a",@progbits
	.p2align	6, 0x0
	.amdhsa_kernel _ZN2at6native29vectorized_elementwise_kernelILi2ENS0_13BinaryFunctorIiiiZZZNS0_18rshift_kernel_cudaERNS_18TensorIteratorBaseEENKUlvE_clEvENKUlvE1_clEvEUliiE_EESt5arrayIPcLm3EEEEviT0_T1_
		.amdhsa_group_segment_fixed_size 0
		.amdhsa_private_segment_fixed_size 0
		.amdhsa_kernarg_size 32
		.amdhsa_user_sgpr_count 6
		.amdhsa_user_sgpr_private_segment_buffer 1
		.amdhsa_user_sgpr_dispatch_ptr 0
		.amdhsa_user_sgpr_queue_ptr 0
		.amdhsa_user_sgpr_kernarg_segment_ptr 1
		.amdhsa_user_sgpr_dispatch_id 0
		.amdhsa_user_sgpr_flat_scratch_init 0
		.amdhsa_user_sgpr_private_segment_size 0
		.amdhsa_uses_dynamic_stack 0
		.amdhsa_system_sgpr_private_segment_wavefront_offset 0
		.amdhsa_system_sgpr_workgroup_id_x 1
		.amdhsa_system_sgpr_workgroup_id_y 0
		.amdhsa_system_sgpr_workgroup_id_z 0
		.amdhsa_system_sgpr_workgroup_info 0
		.amdhsa_system_vgpr_workitem_id 0
		.amdhsa_next_free_vgpr 15
		.amdhsa_next_free_sgpr 15
		.amdhsa_reserve_vcc 1
		.amdhsa_reserve_flat_scratch 0
		.amdhsa_float_round_mode_32 0
		.amdhsa_float_round_mode_16_64 0
		.amdhsa_float_denorm_mode_32 3
		.amdhsa_float_denorm_mode_16_64 3
		.amdhsa_dx10_clamp 1
		.amdhsa_ieee_mode 1
		.amdhsa_fp16_overflow 0
		.amdhsa_exception_fp_ieee_invalid_op 0
		.amdhsa_exception_fp_denorm_src 0
		.amdhsa_exception_fp_ieee_div_zero 0
		.amdhsa_exception_fp_ieee_overflow 0
		.amdhsa_exception_fp_ieee_underflow 0
		.amdhsa_exception_fp_ieee_inexact 0
		.amdhsa_exception_int_div_zero 0
	.end_amdhsa_kernel
	.section	.text._ZN2at6native29vectorized_elementwise_kernelILi2ENS0_13BinaryFunctorIiiiZZZNS0_18rshift_kernel_cudaERNS_18TensorIteratorBaseEENKUlvE_clEvENKUlvE1_clEvEUliiE_EESt5arrayIPcLm3EEEEviT0_T1_,"axG",@progbits,_ZN2at6native29vectorized_elementwise_kernelILi2ENS0_13BinaryFunctorIiiiZZZNS0_18rshift_kernel_cudaERNS_18TensorIteratorBaseEENKUlvE_clEvENKUlvE1_clEvEUliiE_EESt5arrayIPcLm3EEEEviT0_T1_,comdat
.Lfunc_end187:
	.size	_ZN2at6native29vectorized_elementwise_kernelILi2ENS0_13BinaryFunctorIiiiZZZNS0_18rshift_kernel_cudaERNS_18TensorIteratorBaseEENKUlvE_clEvENKUlvE1_clEvEUliiE_EESt5arrayIPcLm3EEEEviT0_T1_, .Lfunc_end187-_ZN2at6native29vectorized_elementwise_kernelILi2ENS0_13BinaryFunctorIiiiZZZNS0_18rshift_kernel_cudaERNS_18TensorIteratorBaseEENKUlvE_clEvENKUlvE1_clEvEUliiE_EESt5arrayIPcLm3EEEEviT0_T1_
                                        ; -- End function
	.set _ZN2at6native29vectorized_elementwise_kernelILi2ENS0_13BinaryFunctorIiiiZZZNS0_18rshift_kernel_cudaERNS_18TensorIteratorBaseEENKUlvE_clEvENKUlvE1_clEvEUliiE_EESt5arrayIPcLm3EEEEviT0_T1_.num_vgpr, 15
	.set _ZN2at6native29vectorized_elementwise_kernelILi2ENS0_13BinaryFunctorIiiiZZZNS0_18rshift_kernel_cudaERNS_18TensorIteratorBaseEENKUlvE_clEvENKUlvE1_clEvEUliiE_EESt5arrayIPcLm3EEEEviT0_T1_.num_agpr, 0
	.set _ZN2at6native29vectorized_elementwise_kernelILi2ENS0_13BinaryFunctorIiiiZZZNS0_18rshift_kernel_cudaERNS_18TensorIteratorBaseEENKUlvE_clEvENKUlvE1_clEvEUliiE_EESt5arrayIPcLm3EEEEviT0_T1_.numbered_sgpr, 15
	.set _ZN2at6native29vectorized_elementwise_kernelILi2ENS0_13BinaryFunctorIiiiZZZNS0_18rshift_kernel_cudaERNS_18TensorIteratorBaseEENKUlvE_clEvENKUlvE1_clEvEUliiE_EESt5arrayIPcLm3EEEEviT0_T1_.num_named_barrier, 0
	.set _ZN2at6native29vectorized_elementwise_kernelILi2ENS0_13BinaryFunctorIiiiZZZNS0_18rshift_kernel_cudaERNS_18TensorIteratorBaseEENKUlvE_clEvENKUlvE1_clEvEUliiE_EESt5arrayIPcLm3EEEEviT0_T1_.private_seg_size, 0
	.set _ZN2at6native29vectorized_elementwise_kernelILi2ENS0_13BinaryFunctorIiiiZZZNS0_18rshift_kernel_cudaERNS_18TensorIteratorBaseEENKUlvE_clEvENKUlvE1_clEvEUliiE_EESt5arrayIPcLm3EEEEviT0_T1_.uses_vcc, 1
	.set _ZN2at6native29vectorized_elementwise_kernelILi2ENS0_13BinaryFunctorIiiiZZZNS0_18rshift_kernel_cudaERNS_18TensorIteratorBaseEENKUlvE_clEvENKUlvE1_clEvEUliiE_EESt5arrayIPcLm3EEEEviT0_T1_.uses_flat_scratch, 0
	.set _ZN2at6native29vectorized_elementwise_kernelILi2ENS0_13BinaryFunctorIiiiZZZNS0_18rshift_kernel_cudaERNS_18TensorIteratorBaseEENKUlvE_clEvENKUlvE1_clEvEUliiE_EESt5arrayIPcLm3EEEEviT0_T1_.has_dyn_sized_stack, 0
	.set _ZN2at6native29vectorized_elementwise_kernelILi2ENS0_13BinaryFunctorIiiiZZZNS0_18rshift_kernel_cudaERNS_18TensorIteratorBaseEENKUlvE_clEvENKUlvE1_clEvEUliiE_EESt5arrayIPcLm3EEEEviT0_T1_.has_recursion, 0
	.set _ZN2at6native29vectorized_elementwise_kernelILi2ENS0_13BinaryFunctorIiiiZZZNS0_18rshift_kernel_cudaERNS_18TensorIteratorBaseEENKUlvE_clEvENKUlvE1_clEvEUliiE_EESt5arrayIPcLm3EEEEviT0_T1_.has_indirect_call, 0
	.section	.AMDGPU.csdata,"",@progbits
; Kernel info:
; codeLenInByte = 948
; TotalNumSgprs: 19
; NumVgprs: 15
; ScratchSize: 0
; MemoryBound: 0
; FloatMode: 240
; IeeeMode: 1
; LDSByteSize: 0 bytes/workgroup (compile time only)
; SGPRBlocks: 2
; VGPRBlocks: 3
; NumSGPRsForWavesPerEU: 19
; NumVGPRsForWavesPerEU: 15
; Occupancy: 10
; WaveLimiterHint : 1
; COMPUTE_PGM_RSRC2:SCRATCH_EN: 0
; COMPUTE_PGM_RSRC2:USER_SGPR: 6
; COMPUTE_PGM_RSRC2:TRAP_HANDLER: 0
; COMPUTE_PGM_RSRC2:TGID_X_EN: 1
; COMPUTE_PGM_RSRC2:TGID_Y_EN: 0
; COMPUTE_PGM_RSRC2:TGID_Z_EN: 0
; COMPUTE_PGM_RSRC2:TIDIG_COMP_CNT: 0
	.section	.text._ZN2at6native27unrolled_elementwise_kernelINS0_13BinaryFunctorIiiiZZZNS0_18rshift_kernel_cudaERNS_18TensorIteratorBaseEENKUlvE_clEvENKUlvE1_clEvEUliiE_EESt5arrayIPcLm3EELi4E23TrivialOffsetCalculatorILi2EjESC_ILi1EjENS0_6memory15LoadWithoutCastENSF_16StoreWithoutCastEEEviT_T0_T2_T3_T4_T5_,"axG",@progbits,_ZN2at6native27unrolled_elementwise_kernelINS0_13BinaryFunctorIiiiZZZNS0_18rshift_kernel_cudaERNS_18TensorIteratorBaseEENKUlvE_clEvENKUlvE1_clEvEUliiE_EESt5arrayIPcLm3EELi4E23TrivialOffsetCalculatorILi2EjESC_ILi1EjENS0_6memory15LoadWithoutCastENSF_16StoreWithoutCastEEEviT_T0_T2_T3_T4_T5_,comdat
	.globl	_ZN2at6native27unrolled_elementwise_kernelINS0_13BinaryFunctorIiiiZZZNS0_18rshift_kernel_cudaERNS_18TensorIteratorBaseEENKUlvE_clEvENKUlvE1_clEvEUliiE_EESt5arrayIPcLm3EELi4E23TrivialOffsetCalculatorILi2EjESC_ILi1EjENS0_6memory15LoadWithoutCastENSF_16StoreWithoutCastEEEviT_T0_T2_T3_T4_T5_ ; -- Begin function _ZN2at6native27unrolled_elementwise_kernelINS0_13BinaryFunctorIiiiZZZNS0_18rshift_kernel_cudaERNS_18TensorIteratorBaseEENKUlvE_clEvENKUlvE1_clEvEUliiE_EESt5arrayIPcLm3EELi4E23TrivialOffsetCalculatorILi2EjESC_ILi1EjENS0_6memory15LoadWithoutCastENSF_16StoreWithoutCastEEEviT_T0_T2_T3_T4_T5_
	.p2align	8
	.type	_ZN2at6native27unrolled_elementwise_kernelINS0_13BinaryFunctorIiiiZZZNS0_18rshift_kernel_cudaERNS_18TensorIteratorBaseEENKUlvE_clEvENKUlvE1_clEvEUliiE_EESt5arrayIPcLm3EELi4E23TrivialOffsetCalculatorILi2EjESC_ILi1EjENS0_6memory15LoadWithoutCastENSF_16StoreWithoutCastEEEviT_T0_T2_T3_T4_T5_,@function
_ZN2at6native27unrolled_elementwise_kernelINS0_13BinaryFunctorIiiiZZZNS0_18rshift_kernel_cudaERNS_18TensorIteratorBaseEENKUlvE_clEvENKUlvE1_clEvEUliiE_EESt5arrayIPcLm3EELi4E23TrivialOffsetCalculatorILi2EjESC_ILi1EjENS0_6memory15LoadWithoutCastENSF_16StoreWithoutCastEEEviT_T0_T2_T3_T4_T5_: ; @_ZN2at6native27unrolled_elementwise_kernelINS0_13BinaryFunctorIiiiZZZNS0_18rshift_kernel_cudaERNS_18TensorIteratorBaseEENKUlvE_clEvENKUlvE1_clEvEUliiE_EESt5arrayIPcLm3EELi4E23TrivialOffsetCalculatorILi2EjESC_ILi1EjENS0_6memory15LoadWithoutCastENSF_16StoreWithoutCastEEEviT_T0_T2_T3_T4_T5_
; %bb.0:
	s_load_dword s0, s[4:5], 0x0
	s_load_dwordx4 s[8:11], s[4:5], 0x8
	s_load_dwordx2 s[12:13], s[4:5], 0x18
	s_lshl_b32 s16, s6, 10
                                        ; implicit-def: $vgpr5
	s_waitcnt lgkmcnt(0)
	s_sub_i32 s17, s0, s16
	v_cmp_gt_i32_e32 vcc, s17, v0
	v_cmp_le_i32_e64 s[0:1], s17, v0
	s_and_saveexec_b64 s[2:3], s[0:1]
	s_xor_b64 s[0:1], exec, s[2:3]
; %bb.1:
	v_or_b32_e32 v5, 0x100, v0
; %bb.2:
	s_or_saveexec_b64 s[2:3], s[0:1]
	v_mov_b32_e32 v10, 0
	v_or_b32_e32 v1, s16, v0
	v_mov_b32_e32 v4, 0
	v_mov_b32_e32 v9, 0
	;; [unrolled: 1-line block ×7, first 2 shown]
	s_xor_b64 exec, exec, s[2:3]
	s_cbranch_execz .LBB188_10
; %bb.3:
	v_mov_b32_e32 v2, 0
	v_lshlrev_b64 v[3:4], 2, v[1:2]
	v_mov_b32_e32 v6, s11
	v_add_co_u32_e64 v5, s[0:1], s10, v3
	v_addc_co_u32_e64 v6, s[0:1], v6, v4, s[0:1]
	global_load_dword v6, v[5:6], off
	v_mov_b32_e32 v5, s13
	v_add_co_u32_e64 v3, s[0:1], s12, v3
	v_addc_co_u32_e64 v4, s[0:1], v5, v4, s[0:1]
	global_load_dword v7, v[3:4], off
	v_or_b32_e32 v5, 0x100, v0
	v_cmp_gt_u32_e64 s[0:1], s17, v5
	v_mov_b32_e32 v8, v2
	v_mov_b32_e32 v3, v2
	;; [unrolled: 1-line block ×5, first 2 shown]
	s_and_saveexec_b64 s[4:5], s[0:1]
	s_cbranch_execz .LBB188_9
; %bb.4:
	v_add_u32_e32 v2, s16, v5
	v_mov_b32_e32 v3, 0
	v_lshlrev_b64 v[9:10], 2, v[2:3]
	v_mov_b32_e32 v2, s11
	v_add_co_u32_e64 v11, s[0:1], s10, v9
	v_addc_co_u32_e64 v12, s[0:1], v2, v10, s[0:1]
	v_mov_b32_e32 v2, s13
	v_add_co_u32_e64 v9, s[0:1], s12, v9
	v_addc_co_u32_e64 v10, s[0:1], v2, v10, s[0:1]
	global_load_dword v8, v[11:12], off
	global_load_dword v2, v[9:10], off
	v_or_b32_e32 v11, 0x200, v0
	v_cmp_gt_u32_e64 s[0:1], s17, v11
	v_mov_b32_e32 v9, v3
	v_mov_b32_e32 v4, v3
	;; [unrolled: 1-line block ×3, first 2 shown]
	s_and_saveexec_b64 s[6:7], s[0:1]
	s_cbranch_execz .LBB188_8
; %bb.5:
	v_add_u32_e32 v3, s16, v11
	v_mov_b32_e32 v4, 0
	v_lshlrev_b64 v[10:11], 2, v[3:4]
	v_mov_b32_e32 v3, s11
	v_add_co_u32_e64 v12, s[0:1], s10, v10
	v_addc_co_u32_e64 v13, s[0:1], v3, v11, s[0:1]
	v_mov_b32_e32 v3, s13
	v_add_co_u32_e64 v10, s[0:1], s12, v10
	v_addc_co_u32_e64 v11, s[0:1], v3, v11, s[0:1]
	global_load_dword v9, v[12:13], off
	global_load_dword v3, v[10:11], off
	v_or_b32_e32 v11, 0x300, v0
	v_cmp_gt_u32_e64 s[0:1], s17, v11
	v_mov_b32_e32 v10, v4
	s_and_saveexec_b64 s[14:15], s[0:1]
	s_cbranch_execz .LBB188_7
; %bb.6:
	v_add_u32_e32 v10, s16, v11
	v_mov_b32_e32 v11, 0
	v_lshlrev_b64 v[10:11], 2, v[10:11]
	v_mov_b32_e32 v4, s11
	v_add_co_u32_e64 v12, s[0:1], s10, v10
	v_addc_co_u32_e64 v13, s[0:1], v4, v11, s[0:1]
	v_mov_b32_e32 v4, s13
	v_add_co_u32_e64 v14, s[0:1], s12, v10
	v_addc_co_u32_e64 v15, s[0:1], v4, v11, s[0:1]
	global_load_dword v4, v[14:15], off
	global_load_dword v10, v[12:13], off
	s_waitcnt vmcnt(1)
	v_min_u32_e32 v4, 31, v4
.LBB188_7:
	s_or_b64 exec, exec, s[14:15]
.LBB188_8:
	s_or_b64 exec, exec, s[6:7]
.LBB188_9:
	s_or_b64 exec, exec, s[4:5]
.LBB188_10:
	s_or_b64 exec, exec, s[2:3]
	s_waitcnt vmcnt(0)
	v_min_u32_e32 v2, 31, v2
	v_min_u32_e32 v7, 31, v7
	v_ashrrev_i32_e32 v2, v2, v8
	v_cmp_gt_i32_e64 s[0:1], s17, v5
	v_ashrrev_i32_e32 v6, v7, v6
	v_cndmask_b32_e64 v7, 0, v2, s[0:1]
	v_or_b32_e32 v2, 0x200, v0
	v_min_u32_e32 v3, 31, v3
	v_ashrrev_i32_e32 v3, v3, v9
	v_cmp_gt_i32_e64 s[0:1], s17, v2
	v_or_b32_e32 v2, 0x300, v0
	v_cndmask_b32_e32 v11, 0, v6, vcc
	v_cndmask_b32_e64 v6, 0, v3, s[0:1]
	v_ashrrev_i32_e32 v3, v4, v10
	v_cmp_gt_i32_e64 s[0:1], s17, v2
	v_cndmask_b32_e64 v3, 0, v3, s[0:1]
	s_and_saveexec_b64 s[0:1], vcc
	s_cbranch_execnz .LBB188_15
; %bb.11:
	s_or_b64 exec, exec, s[0:1]
	v_cmp_gt_i32_e32 vcc, s17, v0
	s_and_saveexec_b64 s[0:1], vcc
	s_cbranch_execnz .LBB188_16
.LBB188_12:
	s_or_b64 exec, exec, s[0:1]
	v_cmp_gt_i32_e32 vcc, s17, v0
	s_and_saveexec_b64 s[0:1], vcc
	s_cbranch_execnz .LBB188_17
.LBB188_13:
	s_or_b64 exec, exec, s[0:1]
	v_cmp_gt_i32_e32 vcc, s17, v0
	s_and_saveexec_b64 s[0:1], vcc
	s_cbranch_execnz .LBB188_18
.LBB188_14:
	s_endpgm
.LBB188_15:
	v_mov_b32_e32 v2, 0
	v_lshlrev_b64 v[0:1], 2, v[1:2]
	v_mov_b32_e32 v2, s9
	v_add_co_u32_e32 v0, vcc, s8, v0
	v_addc_co_u32_e32 v1, vcc, v2, v1, vcc
	global_store_dword v[0:1], v11, off
	v_mov_b32_e32 v0, v5
	s_or_b64 exec, exec, s[0:1]
	v_cmp_gt_i32_e32 vcc, s17, v0
	s_and_saveexec_b64 s[0:1], vcc
	s_cbranch_execz .LBB188_12
.LBB188_16:
	v_add_u32_e32 v2, 0x100, v0
	v_add_u32_e32 v0, s16, v0
	v_mov_b32_e32 v1, 0
	v_lshlrev_b64 v[0:1], 2, v[0:1]
	v_mov_b32_e32 v4, s9
	v_add_co_u32_e32 v0, vcc, s8, v0
	v_addc_co_u32_e32 v1, vcc, v4, v1, vcc
	global_store_dword v[0:1], v7, off
	v_mov_b32_e32 v0, v2
	s_or_b64 exec, exec, s[0:1]
	v_cmp_gt_i32_e32 vcc, s17, v0
	s_and_saveexec_b64 s[0:1], vcc
	s_cbranch_execz .LBB188_13
.LBB188_17:
	v_add_u32_e32 v2, 0x100, v0
	v_add_u32_e32 v0, s16, v0
	v_mov_b32_e32 v1, 0
	v_lshlrev_b64 v[0:1], 2, v[0:1]
	v_mov_b32_e32 v4, s9
	v_add_co_u32_e32 v0, vcc, s8, v0
	v_addc_co_u32_e32 v1, vcc, v4, v1, vcc
	global_store_dword v[0:1], v6, off
	v_mov_b32_e32 v0, v2
	s_or_b64 exec, exec, s[0:1]
	v_cmp_gt_i32_e32 vcc, s17, v0
	s_and_saveexec_b64 s[0:1], vcc
	s_cbranch_execz .LBB188_14
.LBB188_18:
	v_add_u32_e32 v0, s16, v0
	v_mov_b32_e32 v1, 0
	v_lshlrev_b64 v[0:1], 2, v[0:1]
	v_mov_b32_e32 v2, s9
	v_add_co_u32_e32 v0, vcc, s8, v0
	v_addc_co_u32_e32 v1, vcc, v2, v1, vcc
	global_store_dword v[0:1], v3, off
	s_endpgm
	.section	.rodata,"a",@progbits
	.p2align	6, 0x0
	.amdhsa_kernel _ZN2at6native27unrolled_elementwise_kernelINS0_13BinaryFunctorIiiiZZZNS0_18rshift_kernel_cudaERNS_18TensorIteratorBaseEENKUlvE_clEvENKUlvE1_clEvEUliiE_EESt5arrayIPcLm3EELi4E23TrivialOffsetCalculatorILi2EjESC_ILi1EjENS0_6memory15LoadWithoutCastENSF_16StoreWithoutCastEEEviT_T0_T2_T3_T4_T5_
		.amdhsa_group_segment_fixed_size 0
		.amdhsa_private_segment_fixed_size 0
		.amdhsa_kernarg_size 36
		.amdhsa_user_sgpr_count 6
		.amdhsa_user_sgpr_private_segment_buffer 1
		.amdhsa_user_sgpr_dispatch_ptr 0
		.amdhsa_user_sgpr_queue_ptr 0
		.amdhsa_user_sgpr_kernarg_segment_ptr 1
		.amdhsa_user_sgpr_dispatch_id 0
		.amdhsa_user_sgpr_flat_scratch_init 0
		.amdhsa_user_sgpr_private_segment_size 0
		.amdhsa_uses_dynamic_stack 0
		.amdhsa_system_sgpr_private_segment_wavefront_offset 0
		.amdhsa_system_sgpr_workgroup_id_x 1
		.amdhsa_system_sgpr_workgroup_id_y 0
		.amdhsa_system_sgpr_workgroup_id_z 0
		.amdhsa_system_sgpr_workgroup_info 0
		.amdhsa_system_vgpr_workitem_id 0
		.amdhsa_next_free_vgpr 16
		.amdhsa_next_free_sgpr 18
		.amdhsa_reserve_vcc 1
		.amdhsa_reserve_flat_scratch 0
		.amdhsa_float_round_mode_32 0
		.amdhsa_float_round_mode_16_64 0
		.amdhsa_float_denorm_mode_32 3
		.amdhsa_float_denorm_mode_16_64 3
		.amdhsa_dx10_clamp 1
		.amdhsa_ieee_mode 1
		.amdhsa_fp16_overflow 0
		.amdhsa_exception_fp_ieee_invalid_op 0
		.amdhsa_exception_fp_denorm_src 0
		.amdhsa_exception_fp_ieee_div_zero 0
		.amdhsa_exception_fp_ieee_overflow 0
		.amdhsa_exception_fp_ieee_underflow 0
		.amdhsa_exception_fp_ieee_inexact 0
		.amdhsa_exception_int_div_zero 0
	.end_amdhsa_kernel
	.section	.text._ZN2at6native27unrolled_elementwise_kernelINS0_13BinaryFunctorIiiiZZZNS0_18rshift_kernel_cudaERNS_18TensorIteratorBaseEENKUlvE_clEvENKUlvE1_clEvEUliiE_EESt5arrayIPcLm3EELi4E23TrivialOffsetCalculatorILi2EjESC_ILi1EjENS0_6memory15LoadWithoutCastENSF_16StoreWithoutCastEEEviT_T0_T2_T3_T4_T5_,"axG",@progbits,_ZN2at6native27unrolled_elementwise_kernelINS0_13BinaryFunctorIiiiZZZNS0_18rshift_kernel_cudaERNS_18TensorIteratorBaseEENKUlvE_clEvENKUlvE1_clEvEUliiE_EESt5arrayIPcLm3EELi4E23TrivialOffsetCalculatorILi2EjESC_ILi1EjENS0_6memory15LoadWithoutCastENSF_16StoreWithoutCastEEEviT_T0_T2_T3_T4_T5_,comdat
.Lfunc_end188:
	.size	_ZN2at6native27unrolled_elementwise_kernelINS0_13BinaryFunctorIiiiZZZNS0_18rshift_kernel_cudaERNS_18TensorIteratorBaseEENKUlvE_clEvENKUlvE1_clEvEUliiE_EESt5arrayIPcLm3EELi4E23TrivialOffsetCalculatorILi2EjESC_ILi1EjENS0_6memory15LoadWithoutCastENSF_16StoreWithoutCastEEEviT_T0_T2_T3_T4_T5_, .Lfunc_end188-_ZN2at6native27unrolled_elementwise_kernelINS0_13BinaryFunctorIiiiZZZNS0_18rshift_kernel_cudaERNS_18TensorIteratorBaseEENKUlvE_clEvENKUlvE1_clEvEUliiE_EESt5arrayIPcLm3EELi4E23TrivialOffsetCalculatorILi2EjESC_ILi1EjENS0_6memory15LoadWithoutCastENSF_16StoreWithoutCastEEEviT_T0_T2_T3_T4_T5_
                                        ; -- End function
	.set _ZN2at6native27unrolled_elementwise_kernelINS0_13BinaryFunctorIiiiZZZNS0_18rshift_kernel_cudaERNS_18TensorIteratorBaseEENKUlvE_clEvENKUlvE1_clEvEUliiE_EESt5arrayIPcLm3EELi4E23TrivialOffsetCalculatorILi2EjESC_ILi1EjENS0_6memory15LoadWithoutCastENSF_16StoreWithoutCastEEEviT_T0_T2_T3_T4_T5_.num_vgpr, 16
	.set _ZN2at6native27unrolled_elementwise_kernelINS0_13BinaryFunctorIiiiZZZNS0_18rshift_kernel_cudaERNS_18TensorIteratorBaseEENKUlvE_clEvENKUlvE1_clEvEUliiE_EESt5arrayIPcLm3EELi4E23TrivialOffsetCalculatorILi2EjESC_ILi1EjENS0_6memory15LoadWithoutCastENSF_16StoreWithoutCastEEEviT_T0_T2_T3_T4_T5_.num_agpr, 0
	.set _ZN2at6native27unrolled_elementwise_kernelINS0_13BinaryFunctorIiiiZZZNS0_18rshift_kernel_cudaERNS_18TensorIteratorBaseEENKUlvE_clEvENKUlvE1_clEvEUliiE_EESt5arrayIPcLm3EELi4E23TrivialOffsetCalculatorILi2EjESC_ILi1EjENS0_6memory15LoadWithoutCastENSF_16StoreWithoutCastEEEviT_T0_T2_T3_T4_T5_.numbered_sgpr, 18
	.set _ZN2at6native27unrolled_elementwise_kernelINS0_13BinaryFunctorIiiiZZZNS0_18rshift_kernel_cudaERNS_18TensorIteratorBaseEENKUlvE_clEvENKUlvE1_clEvEUliiE_EESt5arrayIPcLm3EELi4E23TrivialOffsetCalculatorILi2EjESC_ILi1EjENS0_6memory15LoadWithoutCastENSF_16StoreWithoutCastEEEviT_T0_T2_T3_T4_T5_.num_named_barrier, 0
	.set _ZN2at6native27unrolled_elementwise_kernelINS0_13BinaryFunctorIiiiZZZNS0_18rshift_kernel_cudaERNS_18TensorIteratorBaseEENKUlvE_clEvENKUlvE1_clEvEUliiE_EESt5arrayIPcLm3EELi4E23TrivialOffsetCalculatorILi2EjESC_ILi1EjENS0_6memory15LoadWithoutCastENSF_16StoreWithoutCastEEEviT_T0_T2_T3_T4_T5_.private_seg_size, 0
	.set _ZN2at6native27unrolled_elementwise_kernelINS0_13BinaryFunctorIiiiZZZNS0_18rshift_kernel_cudaERNS_18TensorIteratorBaseEENKUlvE_clEvENKUlvE1_clEvEUliiE_EESt5arrayIPcLm3EELi4E23TrivialOffsetCalculatorILi2EjESC_ILi1EjENS0_6memory15LoadWithoutCastENSF_16StoreWithoutCastEEEviT_T0_T2_T3_T4_T5_.uses_vcc, 1
	.set _ZN2at6native27unrolled_elementwise_kernelINS0_13BinaryFunctorIiiiZZZNS0_18rshift_kernel_cudaERNS_18TensorIteratorBaseEENKUlvE_clEvENKUlvE1_clEvEUliiE_EESt5arrayIPcLm3EELi4E23TrivialOffsetCalculatorILi2EjESC_ILi1EjENS0_6memory15LoadWithoutCastENSF_16StoreWithoutCastEEEviT_T0_T2_T3_T4_T5_.uses_flat_scratch, 0
	.set _ZN2at6native27unrolled_elementwise_kernelINS0_13BinaryFunctorIiiiZZZNS0_18rshift_kernel_cudaERNS_18TensorIteratorBaseEENKUlvE_clEvENKUlvE1_clEvEUliiE_EESt5arrayIPcLm3EELi4E23TrivialOffsetCalculatorILi2EjESC_ILi1EjENS0_6memory15LoadWithoutCastENSF_16StoreWithoutCastEEEviT_T0_T2_T3_T4_T5_.has_dyn_sized_stack, 0
	.set _ZN2at6native27unrolled_elementwise_kernelINS0_13BinaryFunctorIiiiZZZNS0_18rshift_kernel_cudaERNS_18TensorIteratorBaseEENKUlvE_clEvENKUlvE1_clEvEUliiE_EESt5arrayIPcLm3EELi4E23TrivialOffsetCalculatorILi2EjESC_ILi1EjENS0_6memory15LoadWithoutCastENSF_16StoreWithoutCastEEEviT_T0_T2_T3_T4_T5_.has_recursion, 0
	.set _ZN2at6native27unrolled_elementwise_kernelINS0_13BinaryFunctorIiiiZZZNS0_18rshift_kernel_cudaERNS_18TensorIteratorBaseEENKUlvE_clEvENKUlvE1_clEvEUliiE_EESt5arrayIPcLm3EELi4E23TrivialOffsetCalculatorILi2EjESC_ILi1EjENS0_6memory15LoadWithoutCastENSF_16StoreWithoutCastEEEviT_T0_T2_T3_T4_T5_.has_indirect_call, 0
	.section	.AMDGPU.csdata,"",@progbits
; Kernel info:
; codeLenInByte = 908
; TotalNumSgprs: 22
; NumVgprs: 16
; ScratchSize: 0
; MemoryBound: 0
; FloatMode: 240
; IeeeMode: 1
; LDSByteSize: 0 bytes/workgroup (compile time only)
; SGPRBlocks: 2
; VGPRBlocks: 3
; NumSGPRsForWavesPerEU: 22
; NumVGPRsForWavesPerEU: 16
; Occupancy: 10
; WaveLimiterHint : 0
; COMPUTE_PGM_RSRC2:SCRATCH_EN: 0
; COMPUTE_PGM_RSRC2:USER_SGPR: 6
; COMPUTE_PGM_RSRC2:TRAP_HANDLER: 0
; COMPUTE_PGM_RSRC2:TGID_X_EN: 1
; COMPUTE_PGM_RSRC2:TGID_Y_EN: 0
; COMPUTE_PGM_RSRC2:TGID_Z_EN: 0
; COMPUTE_PGM_RSRC2:TIDIG_COMP_CNT: 0
	.section	.text._ZN2at6native32elementwise_kernel_manual_unrollILi128ELi4EZNS0_22gpu_kernel_impl_nocastINS0_13BinaryFunctorIiiiZZZNS0_18rshift_kernel_cudaERNS_18TensorIteratorBaseEENKUlvE_clEvENKUlvE1_clEvEUliiE_EEEEvS5_RKT_EUlibE_EEviT1_,"axG",@progbits,_ZN2at6native32elementwise_kernel_manual_unrollILi128ELi4EZNS0_22gpu_kernel_impl_nocastINS0_13BinaryFunctorIiiiZZZNS0_18rshift_kernel_cudaERNS_18TensorIteratorBaseEENKUlvE_clEvENKUlvE1_clEvEUliiE_EEEEvS5_RKT_EUlibE_EEviT1_,comdat
	.globl	_ZN2at6native32elementwise_kernel_manual_unrollILi128ELi4EZNS0_22gpu_kernel_impl_nocastINS0_13BinaryFunctorIiiiZZZNS0_18rshift_kernel_cudaERNS_18TensorIteratorBaseEENKUlvE_clEvENKUlvE1_clEvEUliiE_EEEEvS5_RKT_EUlibE_EEviT1_ ; -- Begin function _ZN2at6native32elementwise_kernel_manual_unrollILi128ELi4EZNS0_22gpu_kernel_impl_nocastINS0_13BinaryFunctorIiiiZZZNS0_18rshift_kernel_cudaERNS_18TensorIteratorBaseEENKUlvE_clEvENKUlvE1_clEvEUliiE_EEEEvS5_RKT_EUlibE_EEviT1_
	.p2align	8
	.type	_ZN2at6native32elementwise_kernel_manual_unrollILi128ELi4EZNS0_22gpu_kernel_impl_nocastINS0_13BinaryFunctorIiiiZZZNS0_18rshift_kernel_cudaERNS_18TensorIteratorBaseEENKUlvE_clEvENKUlvE1_clEvEUliiE_EEEEvS5_RKT_EUlibE_EEviT1_,@function
_ZN2at6native32elementwise_kernel_manual_unrollILi128ELi4EZNS0_22gpu_kernel_impl_nocastINS0_13BinaryFunctorIiiiZZZNS0_18rshift_kernel_cudaERNS_18TensorIteratorBaseEENKUlvE_clEvENKUlvE1_clEvEUliiE_EEEEvS5_RKT_EUlibE_EEviT1_: ; @_ZN2at6native32elementwise_kernel_manual_unrollILi128ELi4EZNS0_22gpu_kernel_impl_nocastINS0_13BinaryFunctorIiiiZZZNS0_18rshift_kernel_cudaERNS_18TensorIteratorBaseEENKUlvE_clEvENKUlvE1_clEvEUliiE_EEEEvS5_RKT_EUlibE_EEviT1_
; %bb.0:
	s_load_dword s36, s[4:5], 0x0
	s_load_dword s33, s[4:5], 0x8
	s_add_u32 s12, s4, 8
	s_addc_u32 s13, s5, 0
	v_lshl_or_b32 v11, s6, 9, v0
	v_or_b32_e32 v21, 0x180, v11
	s_waitcnt lgkmcnt(0)
	s_add_i32 s34, s33, -1
	s_cmp_gt_u32 s34, 1
	v_cmp_le_i32_e32 vcc, s36, v21
	s_cselect_b64 s[14:15], -1, 0
	s_and_saveexec_b64 s[0:1], vcc
	s_xor_b64 s[16:17], exec, s[0:1]
	s_cbranch_execz .LBB189_54
; %bb.1:
	s_load_dwordx4 s[8:11], s[12:13], 0x4
	s_load_dwordx2 s[22:23], s[12:13], 0x14
	s_load_dwordx4 s[4:7], s[12:13], 0xc4
	s_load_dwordx2 s[20:21], s[12:13], 0xd4
	s_load_dwordx2 s[18:19], s[12:13], 0x198
	s_load_dwordx4 s[0:3], s[12:13], 0x188
	s_cmp_lg_u32 s33, 0
	s_cselect_b64 s[26:27], -1, 0
	s_min_u32 s35, s34, 15
	s_cmp_gt_u32 s33, 1
	s_cselect_b64 s[24:25], -1, 0
	v_cmp_gt_i32_e32 vcc, s36, v11
	s_and_saveexec_b64 s[28:29], vcc
	s_cbranch_execnz .LBB189_5
; %bb.2:
	s_or_b64 exec, exec, s[28:29]
	v_cmp_gt_i32_e32 vcc, s36, v11
	s_and_saveexec_b64 s[28:29], vcc
	s_cbranch_execnz .LBB189_17
.LBB189_3:
	s_or_b64 exec, exec, s[28:29]
	v_cmp_gt_i32_e32 vcc, s36, v11
	s_and_saveexec_b64 s[28:29], vcc
	s_cbranch_execnz .LBB189_29
.LBB189_4:
	s_or_b64 exec, exec, s[28:29]
	v_cmp_gt_i32_e32 vcc, s36, v11
	s_and_saveexec_b64 s[28:29], vcc
	s_cbranch_execnz .LBB189_41
	s_branch .LBB189_53
.LBB189_5:
	s_andn2_b64 vcc, exec, s[14:15]
	s_cbranch_vccnz .LBB189_11
; %bb.6:
	s_andn2_b64 vcc, exec, s[26:27]
	s_cbranch_vccnz .LBB189_12
; %bb.7:
	s_add_i32 s30, s35, 1
	s_and_b32 s37, s30, 30
	s_add_u32 s30, s12, 0xffffffe8
	s_addc_u32 s31, s13, -1
	v_mov_b32_e32 v2, 0
	v_mov_b32_e32 v4, 0
	;; [unrolled: 1-line block ×4, first 2 shown]
.LBB189_8:                              ; =>This Inner Loop Header: Depth=1
	s_load_dwordx4 s[40:43], s[30:31], 0x1c
	s_load_dwordx2 s[38:39], s[30:31], 0x2c
	s_load_dwordx2 s[48:49], s[30:31], 0xec
	s_load_dwordx4 s[44:47], s[30:31], 0xdc
	s_add_u32 s30, s30, 24
	s_waitcnt lgkmcnt(0)
	v_mul_hi_u32 v3, s41, v1
	s_addc_u32 s31, s31, 0
	s_add_i32 s37, s37, -2
	s_cmp_lg_u32 s37, 0
	v_add_u32_e32 v3, v1, v3
	v_lshrrev_b32_e32 v3, s42, v3
	v_mul_lo_u32 v5, v3, s40
	v_mul_hi_u32 v6, s38, v3
	v_sub_u32_e32 v5, v1, v5
	v_add_u32_e32 v1, v3, v6
	v_lshrrev_b32_e32 v1, s39, v1
	v_mul_lo_u32 v8, v1, s43
	v_mul_lo_u32 v6, v5, s44
	;; [unrolled: 1-line block ×4, first 2 shown]
	v_sub_u32_e32 v3, v3, v8
	v_mul_lo_u32 v8, v3, s47
	v_mul_lo_u32 v9, v3, s48
	;; [unrolled: 1-line block ×3, first 2 shown]
	v_add3_u32 v0, v6, v0, v8
	v_add3_u32 v4, v7, v4, v9
	;; [unrolled: 1-line block ×3, first 2 shown]
	s_cbranch_scc1 .LBB189_8
; %bb.9:
	s_bitcmp1_b32 s35, 0
	s_cselect_b64 s[38:39], -1, 0
	s_and_b64 vcc, exec, s[38:39]
	s_cbranch_vccnz .LBB189_13
; %bb.10:
	s_load_dwordx2 s[38:39], s[30:31], 0x1c
	s_load_dword s37, s[30:31], 0x24
	s_load_dwordx2 s[40:41], s[30:31], 0xdc
	s_waitcnt lgkmcnt(0)
	v_mul_hi_u32 v3, s39, v1
	v_add_u32_e32 v3, v1, v3
	v_lshrrev_b32_e32 v3, s37, v3
	v_mul_lo_u32 v3, v3, s38
	s_load_dword s37, s[30:31], 0xe4
	v_sub_u32_e32 v3, v1, v3
	v_mad_u64_u32 v[0:1], s[30:31], v3, s40, v[0:1]
	v_mad_u64_u32 v[4:5], s[30:31], v3, s41, v[4:5]
	s_waitcnt lgkmcnt(0)
	v_mad_u64_u32 v[2:3], s[30:31], v3, s37, v[2:3]
	s_cbranch_execz .LBB189_14
	s_branch .LBB189_16
.LBB189_11:
                                        ; implicit-def: $vgpr0
                                        ; implicit-def: $vgpr4
                                        ; implicit-def: $vgpr2
	s_branch .LBB189_14
.LBB189_12:
	v_mov_b32_e32 v0, 0
	v_mov_b32_e32 v4, 0
	;; [unrolled: 1-line block ×3, first 2 shown]
.LBB189_13:
	s_cbranch_execnz .LBB189_16
.LBB189_14:
	s_waitcnt lgkmcnt(0)
	v_mul_hi_u32 v0, s9, v11
	s_andn2_b64 vcc, exec, s[24:25]
	v_add_u32_e32 v0, v11, v0
	v_lshrrev_b32_e32 v1, s10, v0
	v_mul_lo_u32 v0, v1, s8
	v_sub_u32_e32 v2, v11, v0
	v_mul_lo_u32 v0, v2, s4
	v_mul_lo_u32 v4, v2, s5
	;; [unrolled: 1-line block ×3, first 2 shown]
	s_cbranch_vccnz .LBB189_16
; %bb.15:
	v_mul_hi_u32 v3, s22, v1
	v_add_u32_e32 v3, v1, v3
	v_lshrrev_b32_e32 v3, s23, v3
	v_mul_lo_u32 v3, v3, s11
	v_sub_u32_e32 v3, v1, v3
	v_mad_u64_u32 v[0:1], s[30:31], v3, s7, v[0:1]
	v_mad_u64_u32 v[4:5], s[30:31], v3, s20, v[4:5]
	;; [unrolled: 1-line block ×3, first 2 shown]
.LBB189_16:
	s_waitcnt lgkmcnt(0)
	global_load_dword v1, v2, s[18:19]
	global_load_dword v3, v4, s[2:3]
	v_add_u32_e32 v11, 0x80, v11
	s_waitcnt vmcnt(1)
	v_min_u32_e32 v1, 31, v1
	s_waitcnt vmcnt(0)
	v_ashrrev_i32_e32 v1, v1, v3
	global_store_dword v0, v1, s[0:1]
	s_or_b64 exec, exec, s[28:29]
	v_cmp_gt_i32_e32 vcc, s36, v11
	s_and_saveexec_b64 s[28:29], vcc
	s_cbranch_execz .LBB189_3
.LBB189_17:
	s_andn2_b64 vcc, exec, s[14:15]
	s_cbranch_vccnz .LBB189_23
; %bb.18:
	s_andn2_b64 vcc, exec, s[26:27]
	s_cbranch_vccnz .LBB189_24
; %bb.19:
	s_add_i32 s30, s35, 1
	s_and_b32 s37, s30, 30
	s_add_u32 s30, s12, 0xffffffe8
	s_addc_u32 s31, s13, -1
	v_mov_b32_e32 v2, 0
	v_mov_b32_e32 v4, 0
	;; [unrolled: 1-line block ×4, first 2 shown]
.LBB189_20:                             ; =>This Inner Loop Header: Depth=1
	s_load_dwordx4 s[40:43], s[30:31], 0x1c
	s_load_dwordx2 s[38:39], s[30:31], 0x2c
	s_load_dwordx2 s[48:49], s[30:31], 0xec
	s_load_dwordx4 s[44:47], s[30:31], 0xdc
	s_add_u32 s30, s30, 24
	s_waitcnt lgkmcnt(0)
	v_mul_hi_u32 v3, s41, v1
	s_addc_u32 s31, s31, 0
	s_add_i32 s37, s37, -2
	s_cmp_eq_u32 s37, 0
	v_add_u32_e32 v3, v1, v3
	v_lshrrev_b32_e32 v3, s42, v3
	v_mul_lo_u32 v5, v3, s40
	v_mul_hi_u32 v6, s38, v3
	v_sub_u32_e32 v5, v1, v5
	v_add_u32_e32 v1, v3, v6
	v_lshrrev_b32_e32 v1, s39, v1
	v_mul_lo_u32 v8, v1, s43
	v_mul_lo_u32 v6, v5, s44
	v_mul_lo_u32 v7, v5, s45
	v_mul_lo_u32 v5, v5, s46
	v_sub_u32_e32 v3, v3, v8
	v_mul_lo_u32 v8, v3, s47
	v_mul_lo_u32 v9, v3, s48
	;; [unrolled: 1-line block ×3, first 2 shown]
	v_add3_u32 v0, v6, v0, v8
	v_add3_u32 v4, v7, v4, v9
	;; [unrolled: 1-line block ×3, first 2 shown]
	s_cbranch_scc0 .LBB189_20
; %bb.21:
	s_bitcmp1_b32 s35, 0
	s_cselect_b64 s[38:39], -1, 0
	s_and_b64 vcc, exec, s[38:39]
	s_cbranch_vccnz .LBB189_25
; %bb.22:
	s_load_dwordx2 s[38:39], s[30:31], 0x1c
	s_load_dword s37, s[30:31], 0x24
	s_load_dwordx2 s[40:41], s[30:31], 0xdc
	s_waitcnt lgkmcnt(0)
	v_mul_hi_u32 v3, s39, v1
	v_add_u32_e32 v3, v1, v3
	v_lshrrev_b32_e32 v3, s37, v3
	v_mul_lo_u32 v3, v3, s38
	s_load_dword s37, s[30:31], 0xe4
	v_sub_u32_e32 v3, v1, v3
	v_mad_u64_u32 v[0:1], s[30:31], v3, s40, v[0:1]
	v_mad_u64_u32 v[4:5], s[30:31], v3, s41, v[4:5]
	s_waitcnt lgkmcnt(0)
	v_mad_u64_u32 v[2:3], s[30:31], v3, s37, v[2:3]
	s_branch .LBB189_25
.LBB189_23:
                                        ; implicit-def: $vgpr0
                                        ; implicit-def: $vgpr4
                                        ; implicit-def: $vgpr2
	s_branch .LBB189_26
.LBB189_24:
	v_mov_b32_e32 v0, 0
	v_mov_b32_e32 v4, 0
	;; [unrolled: 1-line block ×3, first 2 shown]
.LBB189_25:
	s_cbranch_execnz .LBB189_28
.LBB189_26:
	s_waitcnt lgkmcnt(0)
	v_mul_hi_u32 v0, s9, v11
	s_andn2_b64 vcc, exec, s[24:25]
	v_add_u32_e32 v0, v11, v0
	v_lshrrev_b32_e32 v1, s10, v0
	v_mul_lo_u32 v0, v1, s8
	v_sub_u32_e32 v2, v11, v0
	v_mul_lo_u32 v0, v2, s4
	v_mul_lo_u32 v4, v2, s5
	;; [unrolled: 1-line block ×3, first 2 shown]
	s_cbranch_vccnz .LBB189_28
; %bb.27:
	v_mul_hi_u32 v3, s22, v1
	v_add_u32_e32 v3, v1, v3
	v_lshrrev_b32_e32 v3, s23, v3
	v_mul_lo_u32 v3, v3, s11
	v_sub_u32_e32 v3, v1, v3
	v_mad_u64_u32 v[0:1], s[30:31], v3, s7, v[0:1]
	v_mad_u64_u32 v[4:5], s[30:31], v3, s20, v[4:5]
	;; [unrolled: 1-line block ×3, first 2 shown]
.LBB189_28:
	s_waitcnt lgkmcnt(0)
	global_load_dword v1, v2, s[18:19]
	global_load_dword v3, v4, s[2:3]
	v_add_u32_e32 v11, 0x80, v11
	s_waitcnt vmcnt(1)
	v_min_u32_e32 v1, 31, v1
	s_waitcnt vmcnt(0)
	v_ashrrev_i32_e32 v1, v1, v3
	global_store_dword v0, v1, s[0:1]
	s_or_b64 exec, exec, s[28:29]
	v_cmp_gt_i32_e32 vcc, s36, v11
	s_and_saveexec_b64 s[28:29], vcc
	s_cbranch_execz .LBB189_4
.LBB189_29:
	s_andn2_b64 vcc, exec, s[14:15]
	s_cbranch_vccnz .LBB189_35
; %bb.30:
	s_andn2_b64 vcc, exec, s[26:27]
	s_cbranch_vccnz .LBB189_36
; %bb.31:
	s_add_i32 s30, s35, 1
	s_and_b32 s37, s30, 30
	s_add_u32 s30, s12, 0xffffffe8
	s_addc_u32 s31, s13, -1
	v_mov_b32_e32 v2, 0
	v_mov_b32_e32 v4, 0
	;; [unrolled: 1-line block ×4, first 2 shown]
.LBB189_32:                             ; =>This Inner Loop Header: Depth=1
	s_load_dwordx4 s[40:43], s[30:31], 0x1c
	s_load_dwordx2 s[38:39], s[30:31], 0x2c
	s_load_dwordx2 s[48:49], s[30:31], 0xec
	s_load_dwordx4 s[44:47], s[30:31], 0xdc
	s_add_u32 s30, s30, 24
	s_waitcnt lgkmcnt(0)
	v_mul_hi_u32 v3, s41, v1
	s_addc_u32 s31, s31, 0
	s_add_i32 s37, s37, -2
	s_cmp_eq_u32 s37, 0
	v_add_u32_e32 v3, v1, v3
	v_lshrrev_b32_e32 v3, s42, v3
	v_mul_lo_u32 v5, v3, s40
	v_mul_hi_u32 v6, s38, v3
	v_sub_u32_e32 v5, v1, v5
	v_add_u32_e32 v1, v3, v6
	v_lshrrev_b32_e32 v1, s39, v1
	v_mul_lo_u32 v8, v1, s43
	v_mul_lo_u32 v6, v5, s44
	;; [unrolled: 1-line block ×4, first 2 shown]
	v_sub_u32_e32 v3, v3, v8
	v_mul_lo_u32 v8, v3, s47
	v_mul_lo_u32 v9, v3, s48
	;; [unrolled: 1-line block ×3, first 2 shown]
	v_add3_u32 v0, v6, v0, v8
	v_add3_u32 v4, v7, v4, v9
	v_add3_u32 v2, v5, v2, v3
	s_cbranch_scc0 .LBB189_32
; %bb.33:
	s_bitcmp1_b32 s35, 0
	s_cselect_b64 s[38:39], -1, 0
	s_and_b64 vcc, exec, s[38:39]
	s_cbranch_vccnz .LBB189_37
; %bb.34:
	s_load_dwordx2 s[38:39], s[30:31], 0x1c
	s_load_dword s37, s[30:31], 0x24
	s_load_dwordx2 s[40:41], s[30:31], 0xdc
	s_waitcnt lgkmcnt(0)
	v_mul_hi_u32 v3, s39, v1
	v_add_u32_e32 v3, v1, v3
	v_lshrrev_b32_e32 v3, s37, v3
	v_mul_lo_u32 v3, v3, s38
	s_load_dword s37, s[30:31], 0xe4
	v_sub_u32_e32 v3, v1, v3
	v_mad_u64_u32 v[0:1], s[30:31], v3, s40, v[0:1]
	v_mad_u64_u32 v[4:5], s[30:31], v3, s41, v[4:5]
	s_waitcnt lgkmcnt(0)
	v_mad_u64_u32 v[2:3], s[30:31], v3, s37, v[2:3]
	s_branch .LBB189_37
.LBB189_35:
                                        ; implicit-def: $vgpr0
                                        ; implicit-def: $vgpr4
                                        ; implicit-def: $vgpr2
	s_branch .LBB189_38
.LBB189_36:
	v_mov_b32_e32 v0, 0
	v_mov_b32_e32 v4, 0
	;; [unrolled: 1-line block ×3, first 2 shown]
.LBB189_37:
	s_cbranch_execnz .LBB189_40
.LBB189_38:
	s_waitcnt lgkmcnt(0)
	v_mul_hi_u32 v0, s9, v11
	s_andn2_b64 vcc, exec, s[24:25]
	v_add_u32_e32 v0, v11, v0
	v_lshrrev_b32_e32 v1, s10, v0
	v_mul_lo_u32 v0, v1, s8
	v_sub_u32_e32 v2, v11, v0
	v_mul_lo_u32 v0, v2, s4
	v_mul_lo_u32 v4, v2, s5
	;; [unrolled: 1-line block ×3, first 2 shown]
	s_cbranch_vccnz .LBB189_40
; %bb.39:
	v_mul_hi_u32 v3, s22, v1
	v_add_u32_e32 v3, v1, v3
	v_lshrrev_b32_e32 v3, s23, v3
	v_mul_lo_u32 v3, v3, s11
	v_sub_u32_e32 v3, v1, v3
	v_mad_u64_u32 v[0:1], s[30:31], v3, s7, v[0:1]
	v_mad_u64_u32 v[4:5], s[30:31], v3, s20, v[4:5]
	;; [unrolled: 1-line block ×3, first 2 shown]
.LBB189_40:
	s_waitcnt lgkmcnt(0)
	global_load_dword v1, v2, s[18:19]
	global_load_dword v3, v4, s[2:3]
	v_add_u32_e32 v11, 0x80, v11
	s_waitcnt vmcnt(1)
	v_min_u32_e32 v1, 31, v1
	s_waitcnt vmcnt(0)
	v_ashrrev_i32_e32 v1, v1, v3
	global_store_dword v0, v1, s[0:1]
	s_or_b64 exec, exec, s[28:29]
	v_cmp_gt_i32_e32 vcc, s36, v11
	s_and_saveexec_b64 s[28:29], vcc
	s_cbranch_execz .LBB189_53
.LBB189_41:
	s_andn2_b64 vcc, exec, s[14:15]
	s_cbranch_vccnz .LBB189_47
; %bb.42:
	s_andn2_b64 vcc, exec, s[26:27]
	s_cbranch_vccnz .LBB189_48
; %bb.43:
	s_add_i32 s26, s35, 1
	s_and_b32 s30, s26, 30
	s_add_u32 s26, s12, 0xffffffe8
	s_addc_u32 s27, s13, -1
	v_mov_b32_e32 v2, 0
	v_mov_b32_e32 v4, 0
	;; [unrolled: 1-line block ×4, first 2 shown]
.LBB189_44:                             ; =>This Inner Loop Header: Depth=1
	s_load_dwordx4 s[36:39], s[26:27], 0x1c
	s_load_dwordx2 s[44:45], s[26:27], 0x2c
	s_load_dwordx2 s[46:47], s[26:27], 0xec
	s_load_dwordx4 s[40:43], s[26:27], 0xdc
	s_add_u32 s26, s26, 24
	s_waitcnt lgkmcnt(0)
	v_mul_hi_u32 v3, s37, v1
	s_addc_u32 s27, s27, 0
	s_add_i32 s30, s30, -2
	s_cmp_eq_u32 s30, 0
	v_add_u32_e32 v3, v1, v3
	v_lshrrev_b32_e32 v3, s38, v3
	v_mul_lo_u32 v5, v3, s36
	v_mul_hi_u32 v6, s44, v3
	v_sub_u32_e32 v5, v1, v5
	v_add_u32_e32 v1, v3, v6
	v_lshrrev_b32_e32 v1, s45, v1
	v_mul_lo_u32 v8, v1, s39
	v_mul_lo_u32 v6, v5, s40
	;; [unrolled: 1-line block ×4, first 2 shown]
	v_sub_u32_e32 v3, v3, v8
	v_mul_lo_u32 v8, v3, s43
	v_mul_lo_u32 v9, v3, s46
	;; [unrolled: 1-line block ×3, first 2 shown]
	v_add3_u32 v0, v6, v0, v8
	v_add3_u32 v4, v7, v4, v9
	;; [unrolled: 1-line block ×3, first 2 shown]
	s_cbranch_scc0 .LBB189_44
; %bb.45:
	s_bitcmp1_b32 s35, 0
	s_cselect_b64 s[30:31], -1, 0
	s_and_b64 vcc, exec, s[30:31]
	s_cbranch_vccnz .LBB189_49
; %bb.46:
	s_load_dwordx2 s[30:31], s[26:27], 0x1c
	s_load_dword s35, s[26:27], 0x24
	s_load_dwordx2 s[36:37], s[26:27], 0xdc
	s_waitcnt lgkmcnt(0)
	v_mul_hi_u32 v3, s31, v1
	v_add_u32_e32 v3, v1, v3
	v_lshrrev_b32_e32 v3, s35, v3
	v_mul_lo_u32 v3, v3, s30
	s_load_dword s30, s[26:27], 0xe4
	v_sub_u32_e32 v3, v1, v3
	v_mad_u64_u32 v[0:1], s[26:27], v3, s36, v[0:1]
	v_mad_u64_u32 v[4:5], s[26:27], v3, s37, v[4:5]
	s_waitcnt lgkmcnt(0)
	v_mad_u64_u32 v[2:3], s[26:27], v3, s30, v[2:3]
	s_branch .LBB189_49
.LBB189_47:
                                        ; implicit-def: $vgpr0
                                        ; implicit-def: $vgpr4
                                        ; implicit-def: $vgpr2
	s_branch .LBB189_50
.LBB189_48:
	v_mov_b32_e32 v0, 0
	v_mov_b32_e32 v4, 0
	;; [unrolled: 1-line block ×3, first 2 shown]
.LBB189_49:
	s_cbranch_execnz .LBB189_52
.LBB189_50:
	s_waitcnt lgkmcnt(0)
	v_mul_hi_u32 v0, s9, v11
	s_andn2_b64 vcc, exec, s[24:25]
	v_add_u32_e32 v0, v11, v0
	v_lshrrev_b32_e32 v1, s10, v0
	v_mul_lo_u32 v0, v1, s8
	v_sub_u32_e32 v2, v11, v0
	v_mul_lo_u32 v0, v2, s4
	v_mul_lo_u32 v4, v2, s5
	;; [unrolled: 1-line block ×3, first 2 shown]
	s_cbranch_vccnz .LBB189_52
; %bb.51:
	v_mul_hi_u32 v3, s22, v1
	v_add_u32_e32 v3, v1, v3
	v_lshrrev_b32_e32 v3, s23, v3
	v_mul_lo_u32 v3, v3, s11
	v_sub_u32_e32 v3, v1, v3
	v_mad_u64_u32 v[0:1], s[4:5], v3, s7, v[0:1]
	v_mad_u64_u32 v[4:5], s[4:5], v3, s20, v[4:5]
	v_mad_u64_u32 v[2:3], s[4:5], v3, s21, v[2:3]
.LBB189_52:
	s_waitcnt lgkmcnt(0)
	global_load_dword v1, v2, s[18:19]
	global_load_dword v3, v4, s[2:3]
	s_waitcnt vmcnt(1)
	v_min_u32_e32 v1, 31, v1
	s_waitcnt vmcnt(0)
	v_ashrrev_i32_e32 v1, v1, v3
	global_store_dword v0, v1, s[0:1]
.LBB189_53:
	s_or_b64 exec, exec, s[28:29]
                                        ; implicit-def: $vgpr21
                                        ; implicit-def: $vgpr11
.LBB189_54:
	s_waitcnt lgkmcnt(0)
	s_andn2_saveexec_b64 s[0:1], s[16:17]
	s_cbranch_execz .LBB189_61
; %bb.55:
	v_cndmask_b32_e64 v0, 0, 1, s[14:15]
	v_cmp_ne_u32_e64 s[0:1], 1, v0
	s_andn2_b64 vcc, exec, s[14:15]
	s_cbranch_vccnz .LBB189_62
; %bb.56:
	s_cmp_lg_u32 s33, 0
	s_cbranch_scc0 .LBB189_63
; %bb.57:
	s_min_u32 s4, s34, 15
	s_add_i32 s2, s4, 1
	s_and_b32 s5, s2, 30
	s_add_u32 s2, s12, 0xffffffe8
	s_addc_u32 s3, s13, -1
	v_mov_b32_e32 v4, 0
	v_mov_b32_e32 v2, 0
	;; [unrolled: 1-line block ×4, first 2 shown]
.LBB189_58:                             ; =>This Inner Loop Header: Depth=1
	s_load_dwordx4 s[8:11], s[2:3], 0x1c
	s_load_dwordx2 s[6:7], s[2:3], 0x2c
	s_load_dwordx2 s[14:15], s[2:3], 0xec
	s_load_dwordx4 s[16:19], s[2:3], 0xdc
	s_add_u32 s2, s2, 24
	s_waitcnt lgkmcnt(0)
	v_mul_hi_u32 v3, s9, v1
	s_addc_u32 s3, s3, 0
	s_add_i32 s5, s5, -2
	s_cmp_lg_u32 s5, 0
	v_add_u32_e32 v3, v1, v3
	v_lshrrev_b32_e32 v3, s10, v3
	v_mul_lo_u32 v5, v3, s8
	v_mul_hi_u32 v6, s6, v3
	v_sub_u32_e32 v5, v1, v5
	v_add_u32_e32 v1, v3, v6
	v_lshrrev_b32_e32 v1, s7, v1
	v_mul_lo_u32 v8, v1, s11
	v_mul_lo_u32 v6, v5, s16
	;; [unrolled: 1-line block ×4, first 2 shown]
	v_sub_u32_e32 v3, v3, v8
	v_mul_lo_u32 v8, v3, s19
	v_mul_lo_u32 v9, v3, s14
	;; [unrolled: 1-line block ×3, first 2 shown]
	v_add3_u32 v0, v6, v0, v8
	v_add3_u32 v2, v7, v2, v9
	;; [unrolled: 1-line block ×3, first 2 shown]
	s_cbranch_scc1 .LBB189_58
; %bb.59:
	s_bitcmp1_b32 s4, 0
	s_cselect_b64 s[4:5], -1, 0
	s_and_b64 vcc, exec, s[4:5]
	s_cbranch_vccnz .LBB189_64
; %bb.60:
	s_load_dwordx2 s[4:5], s[2:3], 0x1c
	s_load_dword s8, s[2:3], 0x24
	s_load_dwordx2 s[6:7], s[2:3], 0xdc
	s_waitcnt lgkmcnt(0)
	v_mul_hi_u32 v3, s5, v1
	v_add_u32_e32 v3, v1, v3
	v_lshrrev_b32_e32 v3, s8, v3
	v_mul_lo_u32 v3, v3, s4
	s_load_dword s4, s[2:3], 0xe4
	v_sub_u32_e32 v5, v1, v3
	v_mad_u64_u32 v[0:1], s[2:3], v5, s6, v[0:1]
	v_mad_u64_u32 v[2:3], s[2:3], v5, s7, v[2:3]
	s_waitcnt lgkmcnt(0)
	v_mad_u64_u32 v[4:5], s[2:3], v5, s4, v[4:5]
	s_cbranch_execz .LBB189_65
	s_branch .LBB189_67
.LBB189_61:
	s_endpgm
.LBB189_62:
                                        ; implicit-def: $vgpr0
                                        ; implicit-def: $vgpr2
                                        ; implicit-def: $vgpr4
	s_branch .LBB189_65
.LBB189_63:
	v_mov_b32_e32 v0, 0
	v_mov_b32_e32 v2, 0
	;; [unrolled: 1-line block ×3, first 2 shown]
.LBB189_64:
	s_cbranch_execnz .LBB189_67
.LBB189_65:
	s_load_dwordx4 s[4:7], s[12:13], 0x4
	s_load_dwordx4 s[8:11], s[12:13], 0xc4
	s_cmp_lt_u32 s33, 2
	s_waitcnt lgkmcnt(0)
	v_mul_hi_u32 v0, s5, v11
	v_add_u32_e32 v0, v11, v0
	v_lshrrev_b32_e32 v1, s6, v0
	v_mul_lo_u32 v0, v1, s4
	v_sub_u32_e32 v3, v11, v0
	v_mul_lo_u32 v0, v3, s8
	v_mul_lo_u32 v2, v3, s9
	;; [unrolled: 1-line block ×3, first 2 shown]
	s_cbranch_scc1 .LBB189_67
; %bb.66:
	s_load_dwordx4 s[4:7], s[12:13], 0x10
	s_load_dwordx4 s[8:11], s[12:13], 0xd0
	s_waitcnt lgkmcnt(0)
	v_mul_hi_u32 v3, s5, v1
	v_add_u32_e32 v3, v1, v3
	v_lshrrev_b32_e32 v3, s6, v3
	v_mul_lo_u32 v3, v3, s4
	v_sub_u32_e32 v5, v1, v3
	v_mad_u64_u32 v[0:1], s[2:3], v5, s8, v[0:1]
	v_mad_u64_u32 v[2:3], s[2:3], v5, s9, v[2:3]
	;; [unrolled: 1-line block ×3, first 2 shown]
.LBB189_67:
	s_and_b64 vcc, exec, s[0:1]
	v_add_u32_e32 v1, 0x80, v11
	s_cbranch_vccnz .LBB189_73
; %bb.68:
	s_cmp_lg_u32 s33, 0
	s_cbranch_scc0 .LBB189_74
; %bb.69:
	s_min_u32 s4, s34, 15
	s_add_i32 s2, s4, 1
	s_and_b32 s5, s2, 30
	s_add_u32 s2, s12, 0xffffffe8
	s_addc_u32 s3, s13, -1
	v_mov_b32_e32 v9, 0
	v_mov_b32_e32 v7, 0
	;; [unrolled: 1-line block ×4, first 2 shown]
.LBB189_70:                             ; =>This Inner Loop Header: Depth=1
	s_load_dwordx4 s[8:11], s[2:3], 0x1c
	s_load_dwordx2 s[6:7], s[2:3], 0x2c
	s_load_dwordx2 s[14:15], s[2:3], 0xec
	s_load_dwordx4 s[16:19], s[2:3], 0xdc
	s_add_u32 s2, s2, 24
	s_waitcnt lgkmcnt(0)
	v_mul_hi_u32 v6, s9, v3
	s_addc_u32 s3, s3, 0
	s_add_i32 s5, s5, -2
	s_cmp_lg_u32 s5, 0
	v_add_u32_e32 v6, v3, v6
	v_lshrrev_b32_e32 v6, s10, v6
	v_mul_lo_u32 v8, v6, s8
	v_mul_hi_u32 v10, s6, v6
	v_sub_u32_e32 v8, v3, v8
	v_add_u32_e32 v3, v6, v10
	v_lshrrev_b32_e32 v3, s7, v3
	v_mul_lo_u32 v13, v3, s11
	v_mul_lo_u32 v10, v8, s16
	;; [unrolled: 1-line block ×4, first 2 shown]
	v_sub_u32_e32 v6, v6, v13
	v_mul_lo_u32 v13, v6, s19
	v_mul_lo_u32 v14, v6, s14
	;; [unrolled: 1-line block ×3, first 2 shown]
	v_add3_u32 v5, v10, v5, v13
	v_add3_u32 v7, v12, v7, v14
	;; [unrolled: 1-line block ×3, first 2 shown]
	s_cbranch_scc1 .LBB189_70
; %bb.71:
	s_bitcmp1_b32 s4, 0
	s_cselect_b64 s[4:5], -1, 0
	s_and_b64 vcc, exec, s[4:5]
	s_cbranch_vccnz .LBB189_75
; %bb.72:
	s_load_dwordx2 s[4:5], s[2:3], 0x1c
	s_load_dword s8, s[2:3], 0x24
	s_load_dwordx2 s[6:7], s[2:3], 0xdc
	s_waitcnt lgkmcnt(0)
	v_mul_hi_u32 v6, s5, v3
	v_add_u32_e32 v6, v3, v6
	v_lshrrev_b32_e32 v6, s8, v6
	v_mul_lo_u32 v6, v6, s4
	s_load_dword s4, s[2:3], 0xe4
	v_sub_u32_e32 v3, v3, v6
	v_mad_u64_u32 v[5:6], s[2:3], v3, s6, v[5:6]
	v_mad_u64_u32 v[7:8], s[2:3], v3, s7, v[7:8]
	s_waitcnt lgkmcnt(0)
	v_mad_u64_u32 v[9:10], s[2:3], v3, s4, v[9:10]
	s_cbranch_execz .LBB189_76
	s_branch .LBB189_78
.LBB189_73:
                                        ; implicit-def: $vgpr5
                                        ; implicit-def: $vgpr7
                                        ; implicit-def: $vgpr9
	s_branch .LBB189_76
.LBB189_74:
	v_mov_b32_e32 v5, 0
	v_mov_b32_e32 v7, 0
	;; [unrolled: 1-line block ×3, first 2 shown]
.LBB189_75:
	s_cbranch_execnz .LBB189_78
.LBB189_76:
	s_load_dwordx4 s[4:7], s[12:13], 0x4
	s_load_dwordx4 s[8:11], s[12:13], 0xc4
	s_cmp_lt_u32 s33, 2
	s_waitcnt lgkmcnt(0)
	v_mul_hi_u32 v3, s5, v1
	v_add_u32_e32 v3, v1, v3
	v_lshrrev_b32_e32 v3, s6, v3
	v_mul_lo_u32 v5, v3, s4
	v_sub_u32_e32 v1, v1, v5
	v_mul_lo_u32 v5, v1, s8
	v_mul_lo_u32 v7, v1, s9
	;; [unrolled: 1-line block ×3, first 2 shown]
	s_cbranch_scc1 .LBB189_78
; %bb.77:
	s_load_dwordx4 s[4:7], s[12:13], 0x10
	s_load_dwordx4 s[8:11], s[12:13], 0xd0
	s_waitcnt lgkmcnt(0)
	v_mul_hi_u32 v1, s5, v3
	v_add_u32_e32 v1, v3, v1
	v_lshrrev_b32_e32 v1, s6, v1
	v_mul_lo_u32 v1, v1, s4
	v_sub_u32_e32 v1, v3, v1
	v_mad_u64_u32 v[5:6], s[2:3], v1, s8, v[5:6]
	v_mad_u64_u32 v[7:8], s[2:3], v1, s9, v[7:8]
	;; [unrolled: 1-line block ×3, first 2 shown]
.LBB189_78:
	s_and_b64 vcc, exec, s[0:1]
	v_add_u32_e32 v1, 0x100, v11
	s_cbranch_vccnz .LBB189_84
; %bb.79:
	s_cmp_lg_u32 s33, 0
	s_cbranch_scc0 .LBB189_85
; %bb.80:
	s_min_u32 s4, s34, 15
	s_add_i32 s2, s4, 1
	s_and_b32 s5, s2, 30
	s_add_u32 s2, s12, 0xffffffe8
	s_addc_u32 s3, s13, -1
	v_mov_b32_e32 v14, 0
	v_mov_b32_e32 v12, 0
	;; [unrolled: 1-line block ×4, first 2 shown]
.LBB189_81:                             ; =>This Inner Loop Header: Depth=1
	s_load_dwordx4 s[8:11], s[2:3], 0x1c
	s_load_dwordx2 s[6:7], s[2:3], 0x2c
	s_load_dwordx2 s[14:15], s[2:3], 0xec
	s_load_dwordx4 s[16:19], s[2:3], 0xdc
	s_add_u32 s2, s2, 24
	s_waitcnt lgkmcnt(0)
	v_mul_hi_u32 v6, s9, v3
	s_addc_u32 s3, s3, 0
	s_add_i32 s5, s5, -2
	s_cmp_lg_u32 s5, 0
	v_add_u32_e32 v6, v3, v6
	v_lshrrev_b32_e32 v6, s10, v6
	v_mul_lo_u32 v8, v6, s8
	v_mul_hi_u32 v11, s6, v6
	v_sub_u32_e32 v8, v3, v8
	v_add_u32_e32 v3, v6, v11
	v_lshrrev_b32_e32 v3, s7, v3
	v_mul_lo_u32 v15, v3, s11
	v_mul_lo_u32 v11, v8, s16
	;; [unrolled: 1-line block ×4, first 2 shown]
	v_sub_u32_e32 v6, v6, v15
	v_mul_lo_u32 v15, v6, s19
	v_mul_lo_u32 v16, v6, s14
	;; [unrolled: 1-line block ×3, first 2 shown]
	v_add3_u32 v10, v11, v10, v15
	v_add3_u32 v12, v13, v12, v16
	;; [unrolled: 1-line block ×3, first 2 shown]
	s_cbranch_scc1 .LBB189_81
; %bb.82:
	s_bitcmp1_b32 s4, 0
	s_cselect_b64 s[4:5], -1, 0
	s_and_b64 vcc, exec, s[4:5]
	s_cbranch_vccnz .LBB189_86
; %bb.83:
	s_load_dwordx2 s[4:5], s[2:3], 0x1c
	s_load_dword s8, s[2:3], 0x24
	s_load_dwordx2 s[6:7], s[2:3], 0xdc
	s_waitcnt lgkmcnt(0)
	v_mul_hi_u32 v6, s5, v3
	v_add_u32_e32 v6, v3, v6
	v_lshrrev_b32_e32 v6, s8, v6
	v_mul_lo_u32 v6, v6, s4
	s_load_dword s4, s[2:3], 0xe4
	v_sub_u32_e32 v3, v3, v6
	v_mad_u64_u32 v[10:11], s[2:3], v3, s6, v[10:11]
	v_mad_u64_u32 v[12:13], s[2:3], v3, s7, v[12:13]
	s_waitcnt lgkmcnt(0)
	v_mad_u64_u32 v[14:15], s[2:3], v3, s4, v[14:15]
	s_cbranch_execz .LBB189_87
	s_branch .LBB189_89
.LBB189_84:
                                        ; implicit-def: $vgpr10
                                        ; implicit-def: $vgpr12
                                        ; implicit-def: $vgpr14
	s_branch .LBB189_87
.LBB189_85:
	v_mov_b32_e32 v10, 0
	v_mov_b32_e32 v12, 0
	;; [unrolled: 1-line block ×3, first 2 shown]
.LBB189_86:
	s_cbranch_execnz .LBB189_89
.LBB189_87:
	s_load_dwordx4 s[4:7], s[12:13], 0x4
	s_load_dwordx4 s[8:11], s[12:13], 0xc4
	s_cmp_lt_u32 s33, 2
	s_waitcnt lgkmcnt(0)
	v_mul_hi_u32 v3, s5, v1
	v_add_u32_e32 v3, v1, v3
	v_lshrrev_b32_e32 v3, s6, v3
	v_mul_lo_u32 v6, v3, s4
	v_sub_u32_e32 v1, v1, v6
	v_mul_lo_u32 v10, v1, s8
	v_mul_lo_u32 v12, v1, s9
	;; [unrolled: 1-line block ×3, first 2 shown]
	s_cbranch_scc1 .LBB189_89
; %bb.88:
	s_load_dwordx4 s[4:7], s[12:13], 0x10
	s_load_dwordx4 s[8:11], s[12:13], 0xd0
	s_waitcnt lgkmcnt(0)
	v_mul_hi_u32 v1, s5, v3
	v_add_u32_e32 v1, v3, v1
	v_lshrrev_b32_e32 v1, s6, v1
	v_mul_lo_u32 v1, v1, s4
	v_sub_u32_e32 v1, v3, v1
	v_mad_u64_u32 v[10:11], s[2:3], v1, s8, v[10:11]
	v_mad_u64_u32 v[12:13], s[2:3], v1, s9, v[12:13]
	;; [unrolled: 1-line block ×3, first 2 shown]
.LBB189_89:
	s_and_b64 vcc, exec, s[0:1]
	s_cbranch_vccnz .LBB189_95
; %bb.90:
	s_cmp_lg_u32 s33, 0
	s_cbranch_scc0 .LBB189_96
; %bb.91:
	s_min_u32 s2, s34, 15
	s_add_i32 s0, s2, 1
	s_and_b32 s3, s0, 30
	s_add_u32 s0, s12, 0xffffffe8
	s_addc_u32 s1, s13, -1
	v_mov_b32_e32 v19, 0
	v_mov_b32_e32 v17, 0
	;; [unrolled: 1-line block ×4, first 2 shown]
.LBB189_92:                             ; =>This Inner Loop Header: Depth=1
	s_load_dwordx4 s[4:7], s[0:1], 0x1c
	s_load_dwordx2 s[14:15], s[0:1], 0x2c
	s_load_dwordx2 s[16:17], s[0:1], 0xec
	s_load_dwordx4 s[8:11], s[0:1], 0xdc
	s_add_u32 s0, s0, 24
	s_waitcnt lgkmcnt(0)
	v_mul_hi_u32 v3, s5, v1
	s_addc_u32 s1, s1, 0
	s_add_i32 s3, s3, -2
	s_cmp_lg_u32 s3, 0
	v_add_u32_e32 v3, v1, v3
	v_lshrrev_b32_e32 v3, s6, v3
	v_mul_lo_u32 v6, v3, s4
	v_mul_hi_u32 v8, s14, v3
	v_sub_u32_e32 v6, v1, v6
	v_add_u32_e32 v1, v3, v8
	v_lshrrev_b32_e32 v1, s15, v1
	v_mul_lo_u32 v13, v1, s7
	v_mul_lo_u32 v8, v6, s8
	;; [unrolled: 1-line block ×4, first 2 shown]
	v_sub_u32_e32 v3, v3, v13
	v_mul_lo_u32 v13, v3, s11
	v_mul_lo_u32 v16, v3, s16
	;; [unrolled: 1-line block ×3, first 2 shown]
	v_add3_u32 v15, v8, v15, v13
	v_add3_u32 v17, v11, v17, v16
	;; [unrolled: 1-line block ×3, first 2 shown]
	s_cbranch_scc1 .LBB189_92
; %bb.93:
	s_bitcmp1_b32 s2, 0
	s_cselect_b64 s[2:3], -1, 0
	s_and_b64 vcc, exec, s[2:3]
	s_cbranch_vccnz .LBB189_97
; %bb.94:
	s_load_dwordx2 s[2:3], s[0:1], 0x1c
	s_load_dword s6, s[0:1], 0x24
	s_load_dwordx2 s[4:5], s[0:1], 0xdc
	s_waitcnt lgkmcnt(0)
	v_mul_hi_u32 v3, s3, v1
	v_add_u32_e32 v3, v1, v3
	v_lshrrev_b32_e32 v3, s6, v3
	v_mul_lo_u32 v3, v3, s2
	s_load_dword s2, s[0:1], 0xe4
	v_sub_u32_e32 v1, v1, v3
	v_mad_u64_u32 v[15:16], s[0:1], v1, s4, v[15:16]
	v_mad_u64_u32 v[17:18], s[0:1], v1, s5, v[17:18]
	s_waitcnt lgkmcnt(0)
	v_mad_u64_u32 v[19:20], s[0:1], v1, s2, v[19:20]
	s_cbranch_execz .LBB189_98
	s_branch .LBB189_100
.LBB189_95:
                                        ; implicit-def: $vgpr15
                                        ; implicit-def: $vgpr17
                                        ; implicit-def: $vgpr19
	s_branch .LBB189_98
.LBB189_96:
	v_mov_b32_e32 v15, 0
	v_mov_b32_e32 v17, 0
	;; [unrolled: 1-line block ×3, first 2 shown]
.LBB189_97:
	s_cbranch_execnz .LBB189_100
.LBB189_98:
	s_load_dwordx4 s[0:3], s[12:13], 0x4
	s_load_dwordx4 s[4:7], s[12:13], 0xc4
	s_cmp_lt_u32 s33, 2
	s_waitcnt lgkmcnt(0)
	v_mul_hi_u32 v1, s1, v21
	v_add_u32_e32 v1, v21, v1
	v_lshrrev_b32_e32 v1, s2, v1
	v_mul_lo_u32 v3, v1, s0
	v_sub_u32_e32 v3, v21, v3
	v_mul_lo_u32 v15, v3, s4
	v_mul_lo_u32 v17, v3, s5
	;; [unrolled: 1-line block ×3, first 2 shown]
	s_cbranch_scc1 .LBB189_100
; %bb.99:
	s_load_dwordx4 s[0:3], s[12:13], 0x10
	s_load_dwordx4 s[4:7], s[12:13], 0xd0
	s_waitcnt lgkmcnt(0)
	v_mul_hi_u32 v3, s1, v1
	v_add_u32_e32 v3, v1, v3
	v_lshrrev_b32_e32 v3, s2, v3
	v_mul_lo_u32 v3, v3, s0
	v_sub_u32_e32 v1, v1, v3
	v_mad_u64_u32 v[15:16], s[0:1], v1, s4, v[15:16]
	v_mad_u64_u32 v[17:18], s[0:1], v1, s5, v[17:18]
	;; [unrolled: 1-line block ×3, first 2 shown]
.LBB189_100:
	s_load_dwordx2 s[0:1], s[12:13], 0x198
	s_waitcnt lgkmcnt(0)
	s_nop 2
	global_load_dword v1, v4, s[0:1]
	global_load_dword v3, v9, s[0:1]
	;; [unrolled: 1-line block ×4, first 2 shown]
	s_load_dwordx4 s[0:3], s[12:13], 0x188
	s_waitcnt lgkmcnt(0)
	global_load_dword v4, v2, s[2:3]
	global_load_dword v9, v7, s[2:3]
	;; [unrolled: 1-line block ×4, first 2 shown]
	s_waitcnt vmcnt(7)
	v_min_u32_e32 v1, 31, v1
	s_waitcnt vmcnt(6)
	v_min_u32_e32 v2, 31, v3
	;; [unrolled: 2-line block ×4, first 2 shown]
	s_waitcnt vmcnt(3)
	v_ashrrev_i32_e32 v1, v1, v4
	s_waitcnt vmcnt(2)
	v_ashrrev_i32_e32 v2, v2, v9
	;; [unrolled: 2-line block ×4, first 2 shown]
	global_store_dword v0, v1, s[0:1]
	global_store_dword v5, v2, s[0:1]
	;; [unrolled: 1-line block ×4, first 2 shown]
	s_endpgm
	.section	.rodata,"a",@progbits
	.p2align	6, 0x0
	.amdhsa_kernel _ZN2at6native32elementwise_kernel_manual_unrollILi128ELi4EZNS0_22gpu_kernel_impl_nocastINS0_13BinaryFunctorIiiiZZZNS0_18rshift_kernel_cudaERNS_18TensorIteratorBaseEENKUlvE_clEvENKUlvE1_clEvEUliiE_EEEEvS5_RKT_EUlibE_EEviT1_
		.amdhsa_group_segment_fixed_size 0
		.amdhsa_private_segment_fixed_size 0
		.amdhsa_kernarg_size 432
		.amdhsa_user_sgpr_count 6
		.amdhsa_user_sgpr_private_segment_buffer 1
		.amdhsa_user_sgpr_dispatch_ptr 0
		.amdhsa_user_sgpr_queue_ptr 0
		.amdhsa_user_sgpr_kernarg_segment_ptr 1
		.amdhsa_user_sgpr_dispatch_id 0
		.amdhsa_user_sgpr_flat_scratch_init 0
		.amdhsa_user_sgpr_private_segment_size 0
		.amdhsa_uses_dynamic_stack 0
		.amdhsa_system_sgpr_private_segment_wavefront_offset 0
		.amdhsa_system_sgpr_workgroup_id_x 1
		.amdhsa_system_sgpr_workgroup_id_y 0
		.amdhsa_system_sgpr_workgroup_id_z 0
		.amdhsa_system_sgpr_workgroup_info 0
		.amdhsa_system_vgpr_workitem_id 0
		.amdhsa_next_free_vgpr 22
		.amdhsa_next_free_sgpr 50
		.amdhsa_reserve_vcc 1
		.amdhsa_reserve_flat_scratch 0
		.amdhsa_float_round_mode_32 0
		.amdhsa_float_round_mode_16_64 0
		.amdhsa_float_denorm_mode_32 3
		.amdhsa_float_denorm_mode_16_64 3
		.amdhsa_dx10_clamp 1
		.amdhsa_ieee_mode 1
		.amdhsa_fp16_overflow 0
		.amdhsa_exception_fp_ieee_invalid_op 0
		.amdhsa_exception_fp_denorm_src 0
		.amdhsa_exception_fp_ieee_div_zero 0
		.amdhsa_exception_fp_ieee_overflow 0
		.amdhsa_exception_fp_ieee_underflow 0
		.amdhsa_exception_fp_ieee_inexact 0
		.amdhsa_exception_int_div_zero 0
	.end_amdhsa_kernel
	.section	.text._ZN2at6native32elementwise_kernel_manual_unrollILi128ELi4EZNS0_22gpu_kernel_impl_nocastINS0_13BinaryFunctorIiiiZZZNS0_18rshift_kernel_cudaERNS_18TensorIteratorBaseEENKUlvE_clEvENKUlvE1_clEvEUliiE_EEEEvS5_RKT_EUlibE_EEviT1_,"axG",@progbits,_ZN2at6native32elementwise_kernel_manual_unrollILi128ELi4EZNS0_22gpu_kernel_impl_nocastINS0_13BinaryFunctorIiiiZZZNS0_18rshift_kernel_cudaERNS_18TensorIteratorBaseEENKUlvE_clEvENKUlvE1_clEvEUliiE_EEEEvS5_RKT_EUlibE_EEviT1_,comdat
.Lfunc_end189:
	.size	_ZN2at6native32elementwise_kernel_manual_unrollILi128ELi4EZNS0_22gpu_kernel_impl_nocastINS0_13BinaryFunctorIiiiZZZNS0_18rshift_kernel_cudaERNS_18TensorIteratorBaseEENKUlvE_clEvENKUlvE1_clEvEUliiE_EEEEvS5_RKT_EUlibE_EEviT1_, .Lfunc_end189-_ZN2at6native32elementwise_kernel_manual_unrollILi128ELi4EZNS0_22gpu_kernel_impl_nocastINS0_13BinaryFunctorIiiiZZZNS0_18rshift_kernel_cudaERNS_18TensorIteratorBaseEENKUlvE_clEvENKUlvE1_clEvEUliiE_EEEEvS5_RKT_EUlibE_EEviT1_
                                        ; -- End function
	.set _ZN2at6native32elementwise_kernel_manual_unrollILi128ELi4EZNS0_22gpu_kernel_impl_nocastINS0_13BinaryFunctorIiiiZZZNS0_18rshift_kernel_cudaERNS_18TensorIteratorBaseEENKUlvE_clEvENKUlvE1_clEvEUliiE_EEEEvS5_RKT_EUlibE_EEviT1_.num_vgpr, 22
	.set _ZN2at6native32elementwise_kernel_manual_unrollILi128ELi4EZNS0_22gpu_kernel_impl_nocastINS0_13BinaryFunctorIiiiZZZNS0_18rshift_kernel_cudaERNS_18TensorIteratorBaseEENKUlvE_clEvENKUlvE1_clEvEUliiE_EEEEvS5_RKT_EUlibE_EEviT1_.num_agpr, 0
	.set _ZN2at6native32elementwise_kernel_manual_unrollILi128ELi4EZNS0_22gpu_kernel_impl_nocastINS0_13BinaryFunctorIiiiZZZNS0_18rshift_kernel_cudaERNS_18TensorIteratorBaseEENKUlvE_clEvENKUlvE1_clEvEUliiE_EEEEvS5_RKT_EUlibE_EEviT1_.numbered_sgpr, 50
	.set _ZN2at6native32elementwise_kernel_manual_unrollILi128ELi4EZNS0_22gpu_kernel_impl_nocastINS0_13BinaryFunctorIiiiZZZNS0_18rshift_kernel_cudaERNS_18TensorIteratorBaseEENKUlvE_clEvENKUlvE1_clEvEUliiE_EEEEvS5_RKT_EUlibE_EEviT1_.num_named_barrier, 0
	.set _ZN2at6native32elementwise_kernel_manual_unrollILi128ELi4EZNS0_22gpu_kernel_impl_nocastINS0_13BinaryFunctorIiiiZZZNS0_18rshift_kernel_cudaERNS_18TensorIteratorBaseEENKUlvE_clEvENKUlvE1_clEvEUliiE_EEEEvS5_RKT_EUlibE_EEviT1_.private_seg_size, 0
	.set _ZN2at6native32elementwise_kernel_manual_unrollILi128ELi4EZNS0_22gpu_kernel_impl_nocastINS0_13BinaryFunctorIiiiZZZNS0_18rshift_kernel_cudaERNS_18TensorIteratorBaseEENKUlvE_clEvENKUlvE1_clEvEUliiE_EEEEvS5_RKT_EUlibE_EEviT1_.uses_vcc, 1
	.set _ZN2at6native32elementwise_kernel_manual_unrollILi128ELi4EZNS0_22gpu_kernel_impl_nocastINS0_13BinaryFunctorIiiiZZZNS0_18rshift_kernel_cudaERNS_18TensorIteratorBaseEENKUlvE_clEvENKUlvE1_clEvEUliiE_EEEEvS5_RKT_EUlibE_EEviT1_.uses_flat_scratch, 0
	.set _ZN2at6native32elementwise_kernel_manual_unrollILi128ELi4EZNS0_22gpu_kernel_impl_nocastINS0_13BinaryFunctorIiiiZZZNS0_18rshift_kernel_cudaERNS_18TensorIteratorBaseEENKUlvE_clEvENKUlvE1_clEvEUliiE_EEEEvS5_RKT_EUlibE_EEviT1_.has_dyn_sized_stack, 0
	.set _ZN2at6native32elementwise_kernel_manual_unrollILi128ELi4EZNS0_22gpu_kernel_impl_nocastINS0_13BinaryFunctorIiiiZZZNS0_18rshift_kernel_cudaERNS_18TensorIteratorBaseEENKUlvE_clEvENKUlvE1_clEvEUliiE_EEEEvS5_RKT_EUlibE_EEviT1_.has_recursion, 0
	.set _ZN2at6native32elementwise_kernel_manual_unrollILi128ELi4EZNS0_22gpu_kernel_impl_nocastINS0_13BinaryFunctorIiiiZZZNS0_18rshift_kernel_cudaERNS_18TensorIteratorBaseEENKUlvE_clEvENKUlvE1_clEvEUliiE_EEEEvS5_RKT_EUlibE_EEviT1_.has_indirect_call, 0
	.section	.AMDGPU.csdata,"",@progbits
; Kernel info:
; codeLenInByte = 4748
; TotalNumSgprs: 54
; NumVgprs: 22
; ScratchSize: 0
; MemoryBound: 0
; FloatMode: 240
; IeeeMode: 1
; LDSByteSize: 0 bytes/workgroup (compile time only)
; SGPRBlocks: 6
; VGPRBlocks: 5
; NumSGPRsForWavesPerEU: 54
; NumVGPRsForWavesPerEU: 22
; Occupancy: 10
; WaveLimiterHint : 1
; COMPUTE_PGM_RSRC2:SCRATCH_EN: 0
; COMPUTE_PGM_RSRC2:USER_SGPR: 6
; COMPUTE_PGM_RSRC2:TRAP_HANDLER: 0
; COMPUTE_PGM_RSRC2:TGID_X_EN: 1
; COMPUTE_PGM_RSRC2:TGID_Y_EN: 0
; COMPUTE_PGM_RSRC2:TGID_Z_EN: 0
; COMPUTE_PGM_RSRC2:TIDIG_COMP_CNT: 0
	.section	.text._ZN2at6native32elementwise_kernel_manual_unrollILi128ELi4EZNS0_15gpu_kernel_implINS0_13BinaryFunctorIiiiZZZNS0_18rshift_kernel_cudaERNS_18TensorIteratorBaseEENKUlvE_clEvENKUlvE1_clEvEUliiE_EEEEvS5_RKT_EUlibE_EEviT1_,"axG",@progbits,_ZN2at6native32elementwise_kernel_manual_unrollILi128ELi4EZNS0_15gpu_kernel_implINS0_13BinaryFunctorIiiiZZZNS0_18rshift_kernel_cudaERNS_18TensorIteratorBaseEENKUlvE_clEvENKUlvE1_clEvEUliiE_EEEEvS5_RKT_EUlibE_EEviT1_,comdat
	.globl	_ZN2at6native32elementwise_kernel_manual_unrollILi128ELi4EZNS0_15gpu_kernel_implINS0_13BinaryFunctorIiiiZZZNS0_18rshift_kernel_cudaERNS_18TensorIteratorBaseEENKUlvE_clEvENKUlvE1_clEvEUliiE_EEEEvS5_RKT_EUlibE_EEviT1_ ; -- Begin function _ZN2at6native32elementwise_kernel_manual_unrollILi128ELi4EZNS0_15gpu_kernel_implINS0_13BinaryFunctorIiiiZZZNS0_18rshift_kernel_cudaERNS_18TensorIteratorBaseEENKUlvE_clEvENKUlvE1_clEvEUliiE_EEEEvS5_RKT_EUlibE_EEviT1_
	.p2align	8
	.type	_ZN2at6native32elementwise_kernel_manual_unrollILi128ELi4EZNS0_15gpu_kernel_implINS0_13BinaryFunctorIiiiZZZNS0_18rshift_kernel_cudaERNS_18TensorIteratorBaseEENKUlvE_clEvENKUlvE1_clEvEUliiE_EEEEvS5_RKT_EUlibE_EEviT1_,@function
_ZN2at6native32elementwise_kernel_manual_unrollILi128ELi4EZNS0_15gpu_kernel_implINS0_13BinaryFunctorIiiiZZZNS0_18rshift_kernel_cudaERNS_18TensorIteratorBaseEENKUlvE_clEvENKUlvE1_clEvEUliiE_EEEEvS5_RKT_EUlibE_EEviT1_: ; @_ZN2at6native32elementwise_kernel_manual_unrollILi128ELi4EZNS0_15gpu_kernel_implINS0_13BinaryFunctorIiiiZZZNS0_18rshift_kernel_cudaERNS_18TensorIteratorBaseEENKUlvE_clEvENKUlvE1_clEvEUliiE_EEEEvS5_RKT_EUlibE_EEviT1_
; %bb.0:
	v_mov_b32_e32 v1, 0
	global_load_ushort v2, v1, s[4:5] offset:45
	global_load_sbyte v3, v1, s[4:5] offset:47
	s_load_dword s48, s[4:5], 0x0
	s_load_dwordx4 s[8:11], s[4:5], 0x8
	s_load_dwordx2 s[2:3], s[4:5], 0x18
	s_load_dwordx4 s[12:15], s[4:5], 0x20
	v_lshl_or_b32 v4, s6, 9, v0
	v_or_b32_e32 v0, 0x180, v4
	s_mov_b64 s[16:17], 0
	s_waitcnt lgkmcnt(0)
	v_cmp_le_i32_e32 vcc, s48, v0
	s_mov_b64 s[6:7], 0
	s_waitcnt vmcnt(1)
	v_readfirstlane_b32 s33, v2
	s_waitcnt vmcnt(0)
	v_readfirstlane_b32 s15, v3
	s_lshr_b32 s54, s33, 8
	s_and_saveexec_b64 s[0:1], vcc
	s_xor_b64 s[4:5], exec, s[0:1]
	s_cbranch_execz .LBB190_1512
; %bb.1:
	v_cmp_gt_i32_e32 vcc, s48, v4
	s_mov_b64 s[0:1], -1
	s_mov_b64 s[26:27], 0
	s_mov_b64 s[20:21], 0
	;; [unrolled: 1-line block ×3, first 2 shown]
	s_and_saveexec_b64 s[22:23], vcc
	s_cbranch_execz .LBB190_375
; %bb.2:
	v_mul_lo_u32 v0, v4, s13
	v_mov_b32_e32 v1, s11
	s_and_b32 s18, s54, 0xff
	s_cmp_lt_i32 s18, 11
	v_ashrrev_i32_e32 v2, 31, v0
	v_add_co_u32_e32 v0, vcc, s10, v0
	v_addc_co_u32_e32 v1, vcc, v1, v2, vcc
	s_cbranch_scc1 .LBB190_9
; %bb.3:
	s_and_b32 s19, 0xffff, s18
	s_cmp_gt_i32 s19, 25
	s_cbranch_scc0 .LBB190_18
; %bb.4:
	s_cmp_gt_i32 s19, 28
	s_cbranch_scc0 .LBB190_28
; %bb.5:
	;; [unrolled: 3-line block ×4, first 2 shown]
	s_cmp_eq_u32 s19, 46
	s_cbranch_scc0 .LBB190_37
; %bb.8:
	global_load_dword v2, v[0:1], off
	s_waitcnt vmcnt(0)
	v_lshlrev_b32_e32 v2, 16, v2
	v_cvt_i32_f32_e32 v2, v2
	s_branch .LBB190_39
.LBB190_9:
                                        ; implicit-def: $vgpr2
	s_mov_b64 s[0:1], 0
	s_cbranch_execnz .LBB190_101
.LBB190_10:
	s_andn2_b64 vcc, exec, s[0:1]
	s_cbranch_vccnz .LBB190_148
.LBB190_11:
	v_mul_lo_u32 v0, v4, s14
	v_mov_b32_e32 v1, s3
	s_and_b32 s24, s15, 0xff
	s_cmp_lt_i32 s24, 11
	v_ashrrev_i32_e32 v3, 31, v0
	v_add_co_u32_e32 v0, vcc, s2, v0
	v_addc_co_u32_e32 v1, vcc, v1, v3, vcc
	s_cbranch_scc1 .LBB190_19
; %bb.12:
	s_and_b32 s25, 0xffff, s24
	s_cmp_gt_i32 s25, 25
	s_cbranch_scc0 .LBB190_29
; %bb.13:
	s_cmp_gt_i32 s25, 28
	s_cbranch_scc0 .LBB190_32
; %bb.14:
	;; [unrolled: 3-line block ×4, first 2 shown]
	s_cmp_eq_u32 s25, 46
	s_mov_b64 s[6:7], 0
	s_cbranch_scc0 .LBB190_149
; %bb.17:
	global_load_dword v3, v[0:1], off
	s_mov_b64 s[0:1], -1
	s_mov_b64 s[18:19], 0
	s_waitcnt vmcnt(0)
	v_lshlrev_b32_e32 v3, 16, v3
	v_cvt_i32_f32_e32 v3, v3
	s_branch .LBB190_151
.LBB190_18:
	s_mov_b64 s[0:1], 0
                                        ; implicit-def: $vgpr2
	s_cbranch_execnz .LBB190_68
	s_branch .LBB190_100
.LBB190_19:
	s_mov_b64 s[18:19], 0
                                        ; implicit-def: $vgpr3
	s_mov_b64 s[0:1], 0
	s_cbranch_execnz .LBB190_324
.LBB190_20:
	s_andn2_b64 vcc, exec, s[0:1]
	s_cbranch_vccnz .LBB190_372
.LBB190_21:
	v_mul_lo_u32 v1, v4, s12
	s_waitcnt vmcnt(0)
	v_min_u32_e32 v0, 31, v3
	v_mov_b32_e32 v3, s9
	v_ashrrev_i32_e32 v0, v0, v2
	v_ashrrev_i32_e32 v5, 31, v1
	s_and_b32 s30, s33, 0xff
	v_add_co_u32_e32 v2, vcc, s8, v1
	s_cmp_lt_i32 s30, 11
	v_addc_co_u32_e32 v3, vcc, v3, v5, vcc
	s_cbranch_scc1 .LBB190_30
; %bb.22:
	s_and_b32 s31, 0xffff, s30
	s_cmp_gt_i32 s31, 25
	s_cbranch_scc0 .LBB190_33
; %bb.23:
	s_cmp_gt_i32 s31, 28
	s_cbranch_scc0 .LBB190_36
; %bb.24:
	s_cmp_gt_i32 s31, 43
	s_cbranch_scc0 .LBB190_43
; %bb.25:
	s_cmp_gt_i32 s31, 45
	s_cbranch_scc0 .LBB190_154
; %bb.26:
	s_mov_b64 s[24:25], 0
	s_mov_b64 s[0:1], -1
	s_cmp_eq_u32 s31, 46
	s_mov_b64 s[6:7], 0
	s_cbranch_scc0 .LBB190_155
; %bb.27:
	v_cvt_f32_i32_e32 v1, v0
	s_movk_i32 s0, 0x7fff
	s_mov_b64 s[6:7], -1
	v_bfe_u32 v5, v1, 16, 1
	v_add3_u32 v1, v1, v5, s0
	v_lshrrev_b32_e32 v1, 16, v1
	global_store_dword v[2:3], v1, off
	s_mov_b64 s[0:1], 0
	s_branch .LBB190_155
.LBB190_28:
	s_mov_b64 s[6:7], -1
	s_mov_b64 s[0:1], 0
                                        ; implicit-def: $vgpr2
	s_branch .LBB190_51
.LBB190_29:
	s_mov_b64 s[6:7], -1
	s_mov_b64 s[18:19], 0
	s_mov_b64 s[0:1], 0
                                        ; implicit-def: $vgpr3
	s_branch .LBB190_290
.LBB190_30:
	s_mov_b64 s[24:25], -1
	s_mov_b64 s[0:1], 0
	s_mov_b64 s[6:7], 0
	s_branch .LBB190_224
.LBB190_31:
	s_mov_b64 s[6:7], -1
	s_mov_b64 s[0:1], 0
                                        ; implicit-def: $vgpr2
	s_branch .LBB190_46
.LBB190_32:
	s_mov_b64 s[6:7], -1
	s_mov_b64 s[18:19], 0
	s_mov_b64 s[0:1], 0
                                        ; implicit-def: $vgpr3
	s_branch .LBB190_273
.LBB190_33:
	s_mov_b64 s[24:25], -1
	s_mov_b64 s[0:1], 0
	s_mov_b64 s[6:7], 0
	s_branch .LBB190_182
.LBB190_34:
	s_mov_b64 s[6:7], -1
	s_branch .LBB190_38
.LBB190_35:
	s_mov_b64 s[6:7], -1
	s_mov_b64 s[18:19], 0
	s_mov_b64 s[0:1], 0
                                        ; implicit-def: $vgpr3
	s_branch .LBB190_268
.LBB190_36:
	s_mov_b64 s[24:25], -1
	s_mov_b64 s[0:1], 0
	s_mov_b64 s[6:7], 0
	s_branch .LBB190_165
.LBB190_37:
	s_mov_b64 s[20:21], -1
.LBB190_38:
	s_mov_b64 s[0:1], 0
                                        ; implicit-def: $vgpr2
.LBB190_39:
	s_and_b64 vcc, exec, s[6:7]
	s_cbranch_vccz .LBB190_45
; %bb.40:
	s_cmp_eq_u32 s19, 44
	s_cbranch_scc0 .LBB190_44
; %bb.41:
	global_load_ubyte v2, v[0:1], off
	s_mov_b64 s[0:1], -1
	s_mov_b64 s[20:21], 0
	s_waitcnt vmcnt(0)
	v_lshlrev_b32_e32 v3, 23, v2
	v_cvt_i32_f32_e32 v3, v3
	v_cmp_ne_u32_e32 vcc, 0, v2
	v_cndmask_b32_e32 v2, 0, v3, vcc
	s_branch .LBB190_45
.LBB190_42:
	s_mov_b64 s[6:7], -1
	s_mov_b64 s[18:19], 0
	s_branch .LBB190_150
.LBB190_43:
	s_mov_b64 s[24:25], -1
	s_mov_b64 s[0:1], 0
	s_mov_b64 s[6:7], 0
	s_branch .LBB190_161
.LBB190_44:
	s_mov_b64 s[20:21], -1
                                        ; implicit-def: $vgpr2
.LBB190_45:
	s_mov_b64 s[6:7], 0
.LBB190_46:
	s_and_b64 vcc, exec, s[6:7]
	s_cbranch_vccz .LBB190_50
; %bb.47:
	s_cmp_eq_u32 s19, 29
	s_cbranch_scc0 .LBB190_49
; %bb.48:
	global_load_dword v2, v[0:1], off
	s_mov_b64 s[0:1], -1
	s_mov_b64 s[20:21], 0
	s_branch .LBB190_50
.LBB190_49:
	s_mov_b64 s[20:21], -1
                                        ; implicit-def: $vgpr2
.LBB190_50:
	s_mov_b64 s[6:7], 0
.LBB190_51:
	s_and_b64 vcc, exec, s[6:7]
	s_cbranch_vccz .LBB190_67
; %bb.52:
	s_cmp_lt_i32 s19, 27
	s_cbranch_scc1 .LBB190_55
; %bb.53:
	s_cmp_gt_i32 s19, 27
	s_cbranch_scc0 .LBB190_56
; %bb.54:
	global_load_dword v2, v[0:1], off
	s_mov_b64 s[0:1], 0
	s_branch .LBB190_57
.LBB190_55:
	s_mov_b64 s[0:1], -1
                                        ; implicit-def: $vgpr2
	s_branch .LBB190_60
.LBB190_56:
	s_mov_b64 s[0:1], -1
                                        ; implicit-def: $vgpr2
.LBB190_57:
	s_andn2_b64 vcc, exec, s[0:1]
	s_cbranch_vccnz .LBB190_59
; %bb.58:
	global_load_ushort v2, v[0:1], off
.LBB190_59:
	s_mov_b64 s[0:1], 0
.LBB190_60:
	s_andn2_b64 vcc, exec, s[0:1]
	s_cbranch_vccnz .LBB190_66
; %bb.61:
	global_load_ubyte v3, v[0:1], off
	s_movk_i32 s0, 0x7f
	s_mov_b64 s[6:7], 0
	s_waitcnt vmcnt(0)
	v_cmp_lt_i16_e32 vcc, s0, v3
	s_and_saveexec_b64 s[0:1], vcc
	s_xor_b64 s[0:1], exec, s[0:1]
	s_cbranch_execz .LBB190_77
; %bb.62:
	s_movk_i32 s6, 0x80
	v_cmp_ne_u16_e32 vcc, s6, v3
	s_and_b64 s[6:7], vcc, exec
	s_andn2_saveexec_b64 s[0:1], s[0:1]
	s_cbranch_execnz .LBB190_78
.LBB190_63:
	s_or_b64 exec, exec, s[0:1]
	v_mov_b32_e32 v2, 0
	s_and_saveexec_b64 s[0:1], s[6:7]
	s_cbranch_execz .LBB190_65
.LBB190_64:
	v_lshlrev_b32_e32 v2, 24, v3
	v_and_b32_e32 v3, 0xffff, v3
	v_and_b32_e32 v5, 7, v3
	v_ffbh_u32_e32 v7, v5
	v_min_u32_e32 v7, 32, v7
	v_subrev_u32_e32 v8, 28, v7
	v_bfe_u32 v6, v3, 3, 4
	v_lshlrev_b32_e32 v3, v8, v3
	v_sub_u32_e32 v7, 29, v7
	v_and_b32_e32 v3, 7, v3
	v_cmp_eq_u32_e32 vcc, 0, v6
	v_cndmask_b32_e32 v6, v6, v7, vcc
	v_cndmask_b32_e32 v3, v5, v3, vcc
	v_mov_b32_e32 v5, 0x3b800000
	v_lshlrev_b32_e32 v3, 20, v3
	v_and_b32_e32 v2, 0x80000000, v2
	v_lshl_add_u32 v5, v6, 23, v5
	v_or3_b32 v2, v2, v5, v3
	v_cvt_i32_f32_e32 v2, v2
.LBB190_65:
	s_or_b64 exec, exec, s[0:1]
.LBB190_66:
	s_mov_b64 s[0:1], -1
.LBB190_67:
	s_branch .LBB190_100
.LBB190_68:
	s_cmp_gt_i32 s19, 22
	s_cbranch_scc0 .LBB190_76
; %bb.69:
	s_cmp_lt_i32 s19, 24
	s_cbranch_scc1 .LBB190_79
; %bb.70:
	s_cmp_gt_i32 s19, 24
	s_cbranch_scc0 .LBB190_80
; %bb.71:
	global_load_ubyte v3, v[0:1], off
	s_movk_i32 s0, 0x7f
	s_mov_b64 s[6:7], 0
	s_waitcnt vmcnt(0)
	v_cmp_lt_i16_e32 vcc, s0, v3
	s_and_saveexec_b64 s[0:1], vcc
	s_xor_b64 s[0:1], exec, s[0:1]
	s_cbranch_execz .LBB190_92
; %bb.72:
	s_movk_i32 s6, 0x80
	v_cmp_ne_u16_e32 vcc, s6, v3
	s_and_b64 s[6:7], vcc, exec
	s_andn2_saveexec_b64 s[0:1], s[0:1]
	s_cbranch_execnz .LBB190_93
.LBB190_73:
	s_or_b64 exec, exec, s[0:1]
	v_mov_b32_e32 v2, 0
	s_and_saveexec_b64 s[0:1], s[6:7]
	s_cbranch_execz .LBB190_75
.LBB190_74:
	v_lshlrev_b32_e32 v2, 24, v3
	v_and_b32_e32 v3, 0xffff, v3
	v_and_b32_e32 v5, 3, v3
	v_ffbh_u32_e32 v7, v5
	v_min_u32_e32 v7, 32, v7
	v_subrev_u32_e32 v8, 29, v7
	v_bfe_u32 v6, v3, 2, 5
	v_lshlrev_b32_e32 v3, v8, v3
	v_sub_u32_e32 v7, 30, v7
	v_and_b32_e32 v3, 3, v3
	v_cmp_eq_u32_e32 vcc, 0, v6
	v_cndmask_b32_e32 v6, v6, v7, vcc
	v_cndmask_b32_e32 v3, v5, v3, vcc
	v_mov_b32_e32 v5, 0x37800000
	v_lshlrev_b32_e32 v3, 21, v3
	v_and_b32_e32 v2, 0x80000000, v2
	v_lshl_add_u32 v5, v6, 23, v5
	v_or3_b32 v2, v2, v5, v3
	v_cvt_i32_f32_e32 v2, v2
.LBB190_75:
	s_or_b64 exec, exec, s[0:1]
	s_mov_b64 s[0:1], 0
	s_branch .LBB190_81
.LBB190_76:
	s_mov_b64 s[6:7], -1
                                        ; implicit-def: $vgpr2
	s_branch .LBB190_87
.LBB190_77:
	s_andn2_saveexec_b64 s[0:1], s[0:1]
	s_cbranch_execz .LBB190_63
.LBB190_78:
	v_cmp_ne_u16_e32 vcc, 0, v3
	s_andn2_b64 s[6:7], s[6:7], exec
	s_and_b64 s[24:25], vcc, exec
	s_or_b64 s[6:7], s[6:7], s[24:25]
	s_or_b64 exec, exec, s[0:1]
	v_mov_b32_e32 v2, 0
	s_and_saveexec_b64 s[0:1], s[6:7]
	s_cbranch_execnz .LBB190_64
	s_branch .LBB190_65
.LBB190_79:
	s_mov_b64 s[0:1], -1
                                        ; implicit-def: $vgpr2
	s_branch .LBB190_84
.LBB190_80:
	s_mov_b64 s[0:1], -1
                                        ; implicit-def: $vgpr2
.LBB190_81:
	s_and_b64 vcc, exec, s[0:1]
	s_cbranch_vccz .LBB190_83
; %bb.82:
	global_load_ubyte v2, v[0:1], off
	s_mov_b32 s0, 0x7f800000
	s_waitcnt vmcnt(0)
	v_lshlrev_b32_e32 v2, 24, v2
	v_and_b32_e32 v3, 0x7f000000, v2
	v_ffbh_u32_e32 v5, v3
	v_min_u32_e32 v5, 32, v5
	v_sub_u32_e64 v5, v5, 4 clamp
	v_lshlrev_b32_e32 v7, v5, v3
	v_lshlrev_b32_e32 v5, 23, v5
	v_lshrrev_b32_e32 v7, 4, v7
	v_add_u32_e32 v6, 0x1000000, v3
	v_sub_u32_e32 v5, v7, v5
	v_ashrrev_i32_e32 v6, 8, v6
	v_add_u32_e32 v5, 0x3c000000, v5
	v_and_or_b32 v5, v6, s0, v5
	v_cmp_ne_u32_e32 vcc, 0, v3
	v_cndmask_b32_e32 v3, 0, v5, vcc
	s_brev_b32 s0, 1
	v_and_or_b32 v2, v2, s0, v3
	v_cvt_i32_f32_e32 v2, v2
.LBB190_83:
	s_mov_b64 s[0:1], 0
.LBB190_84:
	s_andn2_b64 vcc, exec, s[0:1]
	s_cbranch_vccnz .LBB190_86
; %bb.85:
	global_load_ubyte v2, v[0:1], off
	s_movk_i32 s0, 0x7f00
	s_brev_b32 s1, 16
	s_waitcnt vmcnt(0)
	v_lshlrev_b16_e32 v3, 8, v2
	v_lshlrev_b32_e32 v2, 25, v2
	v_lshrrev_b32_e32 v5, 4, v2
	v_and_or_b32 v6, v3, s0, 0.5
	v_or_b32_e32 v5, 0x70000000, v5
	v_add_f32_e32 v6, -0.5, v6
	v_mul_f32_e32 v5, 0x7800000, v5
	v_cmp_gt_u32_e32 vcc, s1, v2
	v_bfe_i32 v3, v3, 0, 16
	v_cndmask_b32_e32 v2, v5, v6, vcc
	s_brev_b32 s0, 1
	v_and_or_b32 v2, v3, s0, v2
	v_cvt_i32_f32_e32 v2, v2
.LBB190_86:
	s_mov_b64 s[6:7], 0
	s_mov_b64 s[0:1], -1
.LBB190_87:
	s_andn2_b64 vcc, exec, s[6:7]
	s_cbranch_vccnz .LBB190_100
; %bb.88:
	s_cmp_gt_i32 s19, 14
	s_cbranch_scc0 .LBB190_91
; %bb.89:
	s_cmp_eq_u32 s19, 15
	s_cbranch_scc0 .LBB190_94
; %bb.90:
	global_load_ushort v2, v[0:1], off
	s_mov_b64 s[0:1], -1
	s_mov_b64 s[20:21], 0
	s_waitcnt vmcnt(0)
	v_lshlrev_b32_e32 v2, 16, v2
	v_cvt_i32_f32_e32 v2, v2
	s_branch .LBB190_95
.LBB190_91:
	s_mov_b64 s[6:7], -1
                                        ; implicit-def: $vgpr2
	s_branch .LBB190_96
.LBB190_92:
	s_andn2_saveexec_b64 s[0:1], s[0:1]
	s_cbranch_execz .LBB190_73
.LBB190_93:
	v_cmp_ne_u16_e32 vcc, 0, v3
	s_andn2_b64 s[6:7], s[6:7], exec
	s_and_b64 s[24:25], vcc, exec
	s_or_b64 s[6:7], s[6:7], s[24:25]
	s_or_b64 exec, exec, s[0:1]
	v_mov_b32_e32 v2, 0
	s_and_saveexec_b64 s[0:1], s[6:7]
	s_cbranch_execnz .LBB190_74
	s_branch .LBB190_75
.LBB190_94:
	s_mov_b64 s[20:21], -1
                                        ; implicit-def: $vgpr2
.LBB190_95:
	s_mov_b64 s[6:7], 0
.LBB190_96:
	s_and_b64 vcc, exec, s[6:7]
	s_cbranch_vccz .LBB190_100
; %bb.97:
	s_cmp_eq_u32 s19, 11
	s_cbranch_scc0 .LBB190_99
; %bb.98:
	global_load_ubyte v2, v[0:1], off
	s_mov_b64 s[0:1], -1
	s_mov_b64 s[20:21], 0
	s_waitcnt vmcnt(0)
	v_cmp_ne_u16_e32 vcc, 0, v2
	v_cndmask_b32_e64 v2, 0, 1, vcc
	s_branch .LBB190_100
.LBB190_99:
	s_mov_b64 s[20:21], -1
                                        ; implicit-def: $vgpr2
.LBB190_100:
	s_branch .LBB190_10
.LBB190_101:
	s_and_b32 s6, 0xffff, s18
	s_cmp_lt_i32 s6, 5
	s_cbranch_scc1 .LBB190_106
; %bb.102:
	s_cmp_lt_i32 s6, 8
	s_cbranch_scc1 .LBB190_107
; %bb.103:
	;; [unrolled: 3-line block ×3, first 2 shown]
	s_cmp_gt_i32 s6, 9
	s_cbranch_scc0 .LBB190_109
; %bb.105:
	global_load_dwordx2 v[2:3], v[0:1], off
	s_mov_b64 s[0:1], 0
	s_waitcnt vmcnt(0)
	v_cvt_i32_f64_e32 v2, v[2:3]
	s_branch .LBB190_110
.LBB190_106:
                                        ; implicit-def: $vgpr2
	s_branch .LBB190_128
.LBB190_107:
	s_mov_b64 s[0:1], -1
                                        ; implicit-def: $vgpr2
	s_branch .LBB190_116
.LBB190_108:
	s_mov_b64 s[0:1], -1
                                        ; implicit-def: $vgpr2
	s_branch .LBB190_113
.LBB190_109:
	s_mov_b64 s[0:1], -1
                                        ; implicit-def: $vgpr2
.LBB190_110:
	s_andn2_b64 vcc, exec, s[0:1]
	s_cbranch_vccnz .LBB190_112
; %bb.111:
	global_load_dword v2, v[0:1], off
	s_waitcnt vmcnt(0)
	v_cvt_i32_f32_e32 v2, v2
.LBB190_112:
	s_mov_b64 s[0:1], 0
.LBB190_113:
	s_andn2_b64 vcc, exec, s[0:1]
	s_cbranch_vccnz .LBB190_115
; %bb.114:
	global_load_dword v2, v[0:1], off
	s_waitcnt vmcnt(0)
	v_cvt_f32_f16_e32 v2, v2
	v_cvt_i32_f32_e32 v2, v2
.LBB190_115:
	s_mov_b64 s[0:1], 0
.LBB190_116:
	s_andn2_b64 vcc, exec, s[0:1]
	s_cbranch_vccnz .LBB190_127
; %bb.117:
	s_cmp_lt_i32 s6, 6
	s_cbranch_scc1 .LBB190_120
; %bb.118:
	s_cmp_gt_i32 s6, 6
	s_cbranch_scc0 .LBB190_121
; %bb.119:
	global_load_dwordx2 v[2:3], v[0:1], off
	s_mov_b64 s[0:1], 0
	s_waitcnt vmcnt(0)
	v_cvt_i32_f64_e32 v2, v[2:3]
	s_branch .LBB190_122
.LBB190_120:
	s_mov_b64 s[0:1], -1
                                        ; implicit-def: $vgpr2
	s_branch .LBB190_125
.LBB190_121:
	s_mov_b64 s[0:1], -1
                                        ; implicit-def: $vgpr2
.LBB190_122:
	s_andn2_b64 vcc, exec, s[0:1]
	s_cbranch_vccnz .LBB190_124
; %bb.123:
	global_load_dword v2, v[0:1], off
	s_waitcnt vmcnt(0)
	v_cvt_i32_f32_e32 v2, v2
.LBB190_124:
	s_mov_b64 s[0:1], 0
.LBB190_125:
	s_andn2_b64 vcc, exec, s[0:1]
	s_cbranch_vccnz .LBB190_127
; %bb.126:
	global_load_ushort v2, v[0:1], off
	s_waitcnt vmcnt(0)
	v_cvt_f32_f16_e32 v2, v2
	v_cvt_i32_f32_e32 v2, v2
.LBB190_127:
	s_cbranch_execnz .LBB190_147
.LBB190_128:
	s_cmp_lt_i32 s6, 2
	s_cbranch_scc1 .LBB190_132
; %bb.129:
	s_cmp_lt_i32 s6, 3
	s_cbranch_scc1 .LBB190_133
; %bb.130:
	s_cmp_gt_i32 s6, 3
	s_cbranch_scc0 .LBB190_134
; %bb.131:
	global_load_dword v2, v[0:1], off
	s_mov_b64 s[0:1], 0
	s_branch .LBB190_135
.LBB190_132:
	s_mov_b64 s[0:1], -1
                                        ; implicit-def: $vgpr2
	s_branch .LBB190_141
.LBB190_133:
	s_mov_b64 s[0:1], -1
                                        ; implicit-def: $vgpr2
	s_branch .LBB190_138
.LBB190_134:
	s_mov_b64 s[0:1], -1
                                        ; implicit-def: $vgpr2
.LBB190_135:
	s_andn2_b64 vcc, exec, s[0:1]
	s_cbranch_vccnz .LBB190_137
; %bb.136:
	global_load_dword v2, v[0:1], off
.LBB190_137:
	s_mov_b64 s[0:1], 0
.LBB190_138:
	s_andn2_b64 vcc, exec, s[0:1]
	s_cbranch_vccnz .LBB190_140
; %bb.139:
	global_load_sshort v2, v[0:1], off
.LBB190_140:
	s_mov_b64 s[0:1], 0
.LBB190_141:
	s_andn2_b64 vcc, exec, s[0:1]
	s_cbranch_vccnz .LBB190_147
; %bb.142:
	s_cmp_gt_i32 s6, 0
	s_cbranch_scc0 .LBB190_144
; %bb.143:
	global_load_sbyte v2, v[0:1], off
	s_mov_b64 s[0:1], 0
	s_branch .LBB190_145
.LBB190_144:
	s_mov_b64 s[0:1], -1
                                        ; implicit-def: $vgpr2
.LBB190_145:
	s_andn2_b64 vcc, exec, s[0:1]
	s_cbranch_vccnz .LBB190_147
; %bb.146:
	global_load_ubyte v2, v[0:1], off
.LBB190_147:
	s_branch .LBB190_11
.LBB190_148:
	s_mov_b64 s[0:1], 0
	s_mov_b64 s[18:19], 0
	s_branch .LBB190_373
.LBB190_149:
	s_mov_b64 s[18:19], -1
.LBB190_150:
	s_mov_b64 s[0:1], 0
                                        ; implicit-def: $vgpr3
.LBB190_151:
	s_and_b64 vcc, exec, s[6:7]
	s_cbranch_vccz .LBB190_267
; %bb.152:
	s_cmp_eq_u32 s25, 44
	s_cbranch_scc0 .LBB190_266
; %bb.153:
	global_load_ubyte v3, v[0:1], off
	s_mov_b64 s[0:1], -1
	s_mov_b64 s[18:19], 0
	s_waitcnt vmcnt(0)
	v_lshlrev_b32_e32 v5, 23, v3
	v_cvt_i32_f32_e32 v5, v5
	v_cmp_ne_u32_e32 vcc, 0, v3
	v_cndmask_b32_e32 v3, 0, v5, vcc
	s_branch .LBB190_267
.LBB190_154:
	s_mov_b64 s[24:25], -1
	s_mov_b64 s[0:1], 0
	s_mov_b64 s[6:7], 0
.LBB190_155:
	s_and_b64 vcc, exec, s[24:25]
	s_cbranch_vccz .LBB190_160
; %bb.156:
	s_cmp_eq_u32 s31, 44
	s_mov_b64 s[0:1], -1
	s_cbranch_scc0 .LBB190_160
; %bb.157:
	v_cvt_f32_i32_e32 v1, v0
	s_movk_i32 s0, 0xff
	v_mov_b32_e32 v6, 0xff
	v_bfe_u32 v5, v1, 23, 8
	v_cmp_ne_u32_e32 vcc, s0, v5
	s_and_saveexec_b64 s[6:7], vcc
; %bb.158:
	s_mov_b32 s0, 0x3fffff
	v_lshrrev_b32_e32 v6, 23, v1
	v_and_b32_e32 v7, 0x400000, v1
	v_and_or_b32 v1, v1, s0, v5
	v_cmp_ne_u32_e32 vcc, 0, v7
	v_cmp_ne_u32_e64 s[0:1], 0, v1
	s_and_b64 s[0:1], vcc, s[0:1]
	v_cndmask_b32_e64 v1, 0, 1, s[0:1]
	v_add_u32_e32 v6, v6, v1
; %bb.159:
	s_or_b64 exec, exec, s[6:7]
	s_mov_b64 s[6:7], -1
	s_mov_b64 s[0:1], 0
	global_store_byte v[2:3], v6, off
.LBB190_160:
	s_mov_b64 s[24:25], 0
.LBB190_161:
	s_and_b64 vcc, exec, s[24:25]
	s_cbranch_vccz .LBB190_164
; %bb.162:
	s_cmp_eq_u32 s31, 29
	s_mov_b64 s[0:1], -1
	s_cbranch_scc0 .LBB190_164
; %bb.163:
	v_ashrrev_i32_e32 v1, 31, v0
	global_store_dwordx2 v[2:3], v[0:1], off
	s_mov_b64 s[6:7], -1
	s_mov_b64 s[0:1], 0
.LBB190_164:
	s_mov_b64 s[24:25], 0
.LBB190_165:
	s_and_b64 vcc, exec, s[24:25]
	s_cbranch_vccz .LBB190_181
; %bb.166:
	s_cmp_lt_i32 s31, 27
	s_mov_b64 s[6:7], -1
	s_cbranch_scc1 .LBB190_172
; %bb.167:
	s_cmp_gt_i32 s31, 27
	s_cbranch_scc0 .LBB190_169
; %bb.168:
	s_mov_b64 s[6:7], 0
	global_store_dword v[2:3], v0, off
.LBB190_169:
	s_andn2_b64 vcc, exec, s[6:7]
	s_cbranch_vccnz .LBB190_171
; %bb.170:
	global_store_short v[2:3], v0, off
.LBB190_171:
	s_mov_b64 s[6:7], 0
.LBB190_172:
	s_andn2_b64 vcc, exec, s[6:7]
	s_cbranch_vccnz .LBB190_180
; %bb.173:
	v_cvt_f32_i32_e32 v1, v0
	s_mov_b32 s6, 0x43800000
	v_mov_b32_e32 v6, 0x80
	v_and_b32_e32 v5, 0x7fffffff, v1
	v_cmp_gt_u32_e32 vcc, s6, v5
	s_and_saveexec_b64 s[6:7], vcc
	s_cbranch_execz .LBB190_179
; %bb.174:
	s_mov_b32 s24, 0x3bffffff
	v_cmp_lt_u32_e32 vcc, s24, v5
	s_mov_b64 s[24:25], 0
                                        ; implicit-def: $vgpr5
	s_and_saveexec_b64 s[28:29], vcc
	s_xor_b64 s[28:29], exec, s[28:29]
	s_cbranch_execz .LBB190_404
; %bb.175:
	v_bfe_u32 v5, v1, 20, 1
	s_mov_b32 s34, 0x487ffff
	v_add3_u32 v5, v1, v5, s34
	s_mov_b64 s[24:25], exec
	v_lshrrev_b32_e32 v5, 20, v5
	s_andn2_saveexec_b64 s[28:29], s[28:29]
	s_cbranch_execnz .LBB190_405
.LBB190_176:
	s_or_b64 exec, exec, s[28:29]
	v_mov_b32_e32 v6, 0
	s_and_saveexec_b64 s[28:29], s[24:25]
.LBB190_177:
	v_lshrrev_b32_e32 v1, 24, v1
	s_movk_i32 s24, 0x80
	v_and_or_b32 v6, v1, s24, v5
.LBB190_178:
	s_or_b64 exec, exec, s[28:29]
.LBB190_179:
	s_or_b64 exec, exec, s[6:7]
	global_store_byte v[2:3], v6, off
.LBB190_180:
	s_mov_b64 s[6:7], -1
.LBB190_181:
	s_mov_b64 s[24:25], 0
.LBB190_182:
	s_and_b64 vcc, exec, s[24:25]
	s_cbranch_vccz .LBB190_223
; %bb.183:
	s_cmp_gt_i32 s31, 22
	s_mov_b64 s[24:25], -1
	s_cbranch_scc0 .LBB190_215
; %bb.184:
	s_cmp_lt_i32 s31, 24
	s_mov_b64 s[6:7], -1
	s_cbranch_scc1 .LBB190_204
; %bb.185:
	s_cmp_gt_i32 s31, 24
	s_cbranch_scc0 .LBB190_193
; %bb.186:
	v_cvt_f32_i32_e32 v1, v0
	s_mov_b32 s6, 0x47800000
	v_mov_b32_e32 v6, 0x80
	v_and_b32_e32 v5, 0x7fffffff, v1
	v_cmp_gt_u32_e32 vcc, s6, v5
	s_and_saveexec_b64 s[6:7], vcc
	s_cbranch_execz .LBB190_192
; %bb.187:
	s_mov_b32 s24, 0x37ffffff
	v_cmp_lt_u32_e32 vcc, s24, v5
	s_mov_b64 s[24:25], 0
                                        ; implicit-def: $vgpr5
	s_and_saveexec_b64 s[28:29], vcc
	s_xor_b64 s[28:29], exec, s[28:29]
	s_cbranch_execz .LBB190_519
; %bb.188:
	v_bfe_u32 v5, v1, 21, 1
	s_mov_b32 s34, 0x88fffff
	v_add3_u32 v5, v1, v5, s34
	s_mov_b64 s[24:25], exec
	v_lshrrev_b32_e32 v5, 21, v5
	s_andn2_saveexec_b64 s[28:29], s[28:29]
	s_cbranch_execnz .LBB190_520
.LBB190_189:
	s_or_b64 exec, exec, s[28:29]
	v_mov_b32_e32 v6, 0
	s_and_saveexec_b64 s[28:29], s[24:25]
.LBB190_190:
	v_lshrrev_b32_e32 v1, 24, v1
	s_movk_i32 s24, 0x80
	v_and_or_b32 v6, v1, s24, v5
.LBB190_191:
	s_or_b64 exec, exec, s[28:29]
.LBB190_192:
	s_or_b64 exec, exec, s[6:7]
	s_mov_b64 s[6:7], 0
	global_store_byte v[2:3], v6, off
.LBB190_193:
	s_and_b64 vcc, exec, s[6:7]
	s_cbranch_vccz .LBB190_203
; %bb.194:
	v_cvt_f32_i32_e32 v1, v0
	s_mov_b32 s6, 0x43f00000
                                        ; implicit-def: $vgpr5
	v_and_b32_e32 v6, 0x7fffffff, v1
	v_cmp_gt_u32_e32 vcc, s6, v6
	s_and_saveexec_b64 s[6:7], vcc
	s_xor_b64 s[6:7], exec, s[6:7]
	s_cbranch_execz .LBB190_200
; %bb.195:
	s_mov_b32 s24, 0x3c7fffff
	v_cmp_lt_u32_e32 vcc, s24, v6
                                        ; implicit-def: $vgpr5
	s_and_saveexec_b64 s[24:25], vcc
	s_xor_b64 s[24:25], exec, s[24:25]
; %bb.196:
	v_bfe_u32 v5, v1, 20, 1
	s_mov_b32 s28, 0x407ffff
	v_add3_u32 v5, v1, v5, s28
	v_lshrrev_b32_e32 v6, 20, v5
	v_and_b32_e32 v5, 0xff00000, v5
	s_mov_b32 s28, 0x7f00000
	v_mov_b32_e32 v7, 0x7e
	v_cmp_ne_u32_e32 vcc, s28, v5
	v_cndmask_b32_e32 v5, v7, v6, vcc
; %bb.197:
	s_andn2_saveexec_b64 s[24:25], s[24:25]
; %bb.198:
	s_mov_b32 s28, 0x46800000
	v_add_f32_e64 v5, |v1|, s28
; %bb.199:
	s_or_b64 exec, exec, s[24:25]
                                        ; implicit-def: $vgpr6
.LBB190_200:
	s_andn2_saveexec_b64 s[6:7], s[6:7]
; %bb.201:
	s_mov_b32 s24, 0x7f800000
	v_mov_b32_e32 v5, 0x7e
	v_mov_b32_e32 v7, 0x7f
	v_cmp_lt_u32_e32 vcc, s24, v6
	v_cndmask_b32_e32 v5, v5, v7, vcc
; %bb.202:
	s_or_b64 exec, exec, s[6:7]
	v_lshrrev_b32_e32 v1, 24, v1
	s_movk_i32 s6, 0x80
	v_and_or_b32 v1, v1, s6, v5
	global_store_byte v[2:3], v1, off
.LBB190_203:
	s_mov_b64 s[6:7], 0
.LBB190_204:
	s_andn2_b64 vcc, exec, s[6:7]
	s_cbranch_vccnz .LBB190_214
; %bb.205:
	v_cvt_f32_i32_e32 v1, v0
	s_mov_b32 s6, 0x47800000
                                        ; implicit-def: $vgpr5
	v_and_b32_e32 v6, 0x7fffffff, v1
	v_cmp_gt_u32_e32 vcc, s6, v6
	s_and_saveexec_b64 s[6:7], vcc
	s_xor_b64 s[6:7], exec, s[6:7]
	s_cbranch_execz .LBB190_211
; %bb.206:
	s_mov_b32 s24, 0x387fffff
	v_cmp_lt_u32_e32 vcc, s24, v6
                                        ; implicit-def: $vgpr5
	s_and_saveexec_b64 s[24:25], vcc
	s_xor_b64 s[24:25], exec, s[24:25]
; %bb.207:
	v_bfe_u32 v5, v1, 21, 1
	s_mov_b32 s28, 0x80fffff
	v_add3_u32 v5, v1, v5, s28
	v_lshrrev_b32_e32 v5, 21, v5
; %bb.208:
	s_andn2_saveexec_b64 s[24:25], s[24:25]
; %bb.209:
	s_mov_b32 s28, 0x43000000
	v_add_f32_e64 v5, |v1|, s28
; %bb.210:
	s_or_b64 exec, exec, s[24:25]
                                        ; implicit-def: $vgpr6
.LBB190_211:
	s_andn2_saveexec_b64 s[6:7], s[6:7]
; %bb.212:
	s_mov_b32 s24, 0x7f800000
	v_mov_b32_e32 v5, 0x7c
	v_mov_b32_e32 v7, 0x7f
	v_cmp_lt_u32_e32 vcc, s24, v6
	v_cndmask_b32_e32 v5, v5, v7, vcc
; %bb.213:
	s_or_b64 exec, exec, s[6:7]
	v_lshrrev_b32_e32 v1, 24, v1
	s_movk_i32 s6, 0x80
	v_and_or_b32 v1, v1, s6, v5
	global_store_byte v[2:3], v1, off
.LBB190_214:
	s_mov_b64 s[24:25], 0
	s_mov_b64 s[6:7], -1
.LBB190_215:
	s_andn2_b64 vcc, exec, s[24:25]
	s_cbranch_vccnz .LBB190_223
; %bb.216:
	s_cmp_gt_i32 s31, 14
	s_mov_b64 s[24:25], -1
	s_cbranch_scc0 .LBB190_220
; %bb.217:
	s_cmp_eq_u32 s31, 15
	s_mov_b64 s[0:1], -1
	s_cbranch_scc0 .LBB190_219
; %bb.218:
	v_cvt_f32_i32_e32 v1, v0
	s_movk_i32 s0, 0x7fff
	s_mov_b64 s[6:7], -1
	v_bfe_u32 v5, v1, 16, 1
	v_add3_u32 v1, v1, v5, s0
	global_store_short_d16_hi v[2:3], v1, off
	s_mov_b64 s[0:1], 0
.LBB190_219:
	s_mov_b64 s[24:25], 0
.LBB190_220:
	s_and_b64 vcc, exec, s[24:25]
	s_cbranch_vccz .LBB190_223
; %bb.221:
	s_cmp_eq_u32 s31, 11
	s_mov_b64 s[0:1], -1
	s_cbranch_scc0 .LBB190_223
; %bb.222:
	v_cmp_ne_u32_e32 vcc, 0, v0
	v_cndmask_b32_e64 v1, 0, 1, vcc
	s_mov_b64 s[6:7], -1
	s_mov_b64 s[0:1], 0
	global_store_byte v[2:3], v1, off
.LBB190_223:
	s_mov_b64 s[24:25], 0
.LBB190_224:
	s_and_b64 vcc, exec, s[24:25]
	s_cbranch_vccz .LBB190_263
; %bb.225:
	s_and_b32 s24, 0xffff, s30
	s_cmp_lt_i32 s24, 5
	s_mov_b64 s[6:7], -1
	s_cbranch_scc1 .LBB190_246
; %bb.226:
	s_cmp_lt_i32 s24, 8
	s_cbranch_scc1 .LBB190_236
; %bb.227:
	s_cmp_lt_i32 s24, 9
	s_cbranch_scc1 .LBB190_233
; %bb.228:
	s_cmp_gt_i32 s24, 9
	s_cbranch_scc0 .LBB190_230
; %bb.229:
	v_cvt_f64_i32_e32 v[5:6], v0
	v_mov_b32_e32 v7, 0
	v_mov_b32_e32 v8, v7
	s_mov_b64 s[6:7], 0
	global_store_dwordx4 v[2:3], v[5:8], off
.LBB190_230:
	s_andn2_b64 vcc, exec, s[6:7]
	s_cbranch_vccnz .LBB190_232
; %bb.231:
	v_cvt_f32_i32_e32 v5, v0
	v_mov_b32_e32 v6, 0
	global_store_dwordx2 v[2:3], v[5:6], off
.LBB190_232:
	s_mov_b64 s[6:7], 0
.LBB190_233:
	s_andn2_b64 vcc, exec, s[6:7]
	s_cbranch_vccnz .LBB190_235
; %bb.234:
	v_cvt_f32_i32_e32 v1, v0
	v_cvt_f16_f32_e32 v1, v1
	global_store_dword v[2:3], v1, off
.LBB190_235:
	s_mov_b64 s[6:7], 0
.LBB190_236:
	s_andn2_b64 vcc, exec, s[6:7]
	s_cbranch_vccnz .LBB190_245
; %bb.237:
	s_cmp_lt_i32 s24, 6
	s_mov_b64 s[6:7], -1
	s_cbranch_scc1 .LBB190_243
; %bb.238:
	s_cmp_gt_i32 s24, 6
	s_cbranch_scc0 .LBB190_240
; %bb.239:
	v_cvt_f64_i32_e32 v[5:6], v0
	s_mov_b64 s[6:7], 0
	global_store_dwordx2 v[2:3], v[5:6], off
.LBB190_240:
	s_andn2_b64 vcc, exec, s[6:7]
	s_cbranch_vccnz .LBB190_242
; %bb.241:
	v_cvt_f32_i32_e32 v1, v0
	global_store_dword v[2:3], v1, off
.LBB190_242:
	s_mov_b64 s[6:7], 0
.LBB190_243:
	s_andn2_b64 vcc, exec, s[6:7]
	s_cbranch_vccnz .LBB190_245
; %bb.244:
	v_cvt_f32_i32_e32 v1, v0
	v_cvt_f16_f32_e32 v1, v1
	global_store_short v[2:3], v1, off
.LBB190_245:
	s_mov_b64 s[6:7], 0
.LBB190_246:
	s_andn2_b64 vcc, exec, s[6:7]
	s_cbranch_vccnz .LBB190_262
; %bb.247:
	s_cmp_lt_i32 s24, 2
	s_mov_b64 s[6:7], -1
	s_cbranch_scc1 .LBB190_257
; %bb.248:
	s_cmp_lt_i32 s24, 3
	s_cbranch_scc1 .LBB190_254
; %bb.249:
	s_cmp_gt_i32 s24, 3
	s_cbranch_scc0 .LBB190_251
; %bb.250:
	v_ashrrev_i32_e32 v1, 31, v0
	global_store_dwordx2 v[2:3], v[0:1], off
	s_mov_b64 s[6:7], 0
.LBB190_251:
	s_andn2_b64 vcc, exec, s[6:7]
	s_cbranch_vccnz .LBB190_253
; %bb.252:
	global_store_dword v[2:3], v0, off
.LBB190_253:
	s_mov_b64 s[6:7], 0
.LBB190_254:
	s_andn2_b64 vcc, exec, s[6:7]
	s_cbranch_vccnz .LBB190_256
; %bb.255:
	global_store_short v[2:3], v0, off
.LBB190_256:
	s_mov_b64 s[6:7], 0
.LBB190_257:
	s_andn2_b64 vcc, exec, s[6:7]
	s_cbranch_vccnz .LBB190_262
; %bb.258:
	s_cmp_gt_i32 s24, 0
	s_mov_b64 s[6:7], -1
	s_cbranch_scc0 .LBB190_260
; %bb.259:
	global_store_byte v[2:3], v0, off
	s_mov_b64 s[6:7], 0
.LBB190_260:
	s_andn2_b64 vcc, exec, s[6:7]
	s_cbranch_vccnz .LBB190_262
; %bb.261:
	global_store_byte v[2:3], v0, off
.LBB190_262:
	s_mov_b64 s[6:7], -1
.LBB190_263:
	s_andn2_b64 vcc, exec, s[6:7]
	s_cbranch_vccnz .LBB190_265
; %bb.264:
	v_add_u32_e32 v4, 0x80, v4
	s_mov_b64 s[24:25], -1
	s_branch .LBB190_374
.LBB190_265:
	s_mov_b64 s[24:25], 0
                                        ; implicit-def: $vgpr4
	s_branch .LBB190_374
.LBB190_266:
	s_mov_b64 s[18:19], -1
                                        ; implicit-def: $vgpr3
.LBB190_267:
	s_mov_b64 s[6:7], 0
.LBB190_268:
	s_and_b64 vcc, exec, s[6:7]
	s_cbranch_vccz .LBB190_272
; %bb.269:
	s_cmp_eq_u32 s25, 29
	s_cbranch_scc0 .LBB190_271
; %bb.270:
	global_load_dword v3, v[0:1], off
	s_mov_b64 s[0:1], -1
	s_mov_b64 s[18:19], 0
	s_branch .LBB190_272
.LBB190_271:
	s_mov_b64 s[18:19], -1
                                        ; implicit-def: $vgpr3
.LBB190_272:
	s_mov_b64 s[6:7], 0
.LBB190_273:
	s_and_b64 vcc, exec, s[6:7]
	s_cbranch_vccz .LBB190_289
; %bb.274:
	s_cmp_lt_i32 s25, 27
	s_cbranch_scc1 .LBB190_277
; %bb.275:
	s_cmp_gt_i32 s25, 27
	s_cbranch_scc0 .LBB190_278
; %bb.276:
	global_load_dword v3, v[0:1], off
	s_mov_b64 s[0:1], 0
	s_branch .LBB190_279
.LBB190_277:
	s_mov_b64 s[0:1], -1
                                        ; implicit-def: $vgpr3
	s_branch .LBB190_282
.LBB190_278:
	s_mov_b64 s[0:1], -1
                                        ; implicit-def: $vgpr3
.LBB190_279:
	s_andn2_b64 vcc, exec, s[0:1]
	s_cbranch_vccnz .LBB190_281
; %bb.280:
	global_load_ushort v3, v[0:1], off
.LBB190_281:
	s_mov_b64 s[0:1], 0
.LBB190_282:
	s_andn2_b64 vcc, exec, s[0:1]
	s_cbranch_vccnz .LBB190_288
; %bb.283:
	global_load_ubyte v5, v[0:1], off
	s_movk_i32 s0, 0x7f
	s_mov_b64 s[6:7], 0
	s_waitcnt vmcnt(0)
	v_cmp_lt_i16_e32 vcc, s0, v5
	s_and_saveexec_b64 s[0:1], vcc
	s_xor_b64 s[0:1], exec, s[0:1]
	s_cbranch_execz .LBB190_300
; %bb.284:
	s_movk_i32 s6, 0x80
	v_cmp_ne_u16_e32 vcc, s6, v5
	s_and_b64 s[6:7], vcc, exec
	s_andn2_saveexec_b64 s[0:1], s[0:1]
	s_cbranch_execnz .LBB190_301
.LBB190_285:
	s_or_b64 exec, exec, s[0:1]
	v_mov_b32_e32 v3, 0
	s_and_saveexec_b64 s[0:1], s[6:7]
	s_cbranch_execz .LBB190_287
.LBB190_286:
	v_lshlrev_b32_e32 v3, 24, v5
	v_and_b32_e32 v5, 0xffff, v5
	v_and_b32_e32 v6, 7, v5
	v_ffbh_u32_e32 v8, v6
	v_min_u32_e32 v8, 32, v8
	v_subrev_u32_e32 v9, 28, v8
	v_bfe_u32 v7, v5, 3, 4
	v_lshlrev_b32_e32 v5, v9, v5
	v_sub_u32_e32 v8, 29, v8
	v_and_b32_e32 v5, 7, v5
	v_cmp_eq_u32_e32 vcc, 0, v7
	v_cndmask_b32_e32 v7, v7, v8, vcc
	v_cndmask_b32_e32 v5, v6, v5, vcc
	v_mov_b32_e32 v6, 0x3b800000
	v_lshlrev_b32_e32 v5, 20, v5
	v_and_b32_e32 v3, 0x80000000, v3
	v_lshl_add_u32 v6, v7, 23, v6
	v_or3_b32 v3, v3, v6, v5
	v_cvt_i32_f32_e32 v3, v3
.LBB190_287:
	s_or_b64 exec, exec, s[0:1]
.LBB190_288:
	s_mov_b64 s[0:1], -1
.LBB190_289:
	s_mov_b64 s[6:7], 0
.LBB190_290:
	s_and_b64 vcc, exec, s[6:7]
	s_cbranch_vccz .LBB190_323
; %bb.291:
	s_cmp_gt_i32 s25, 22
	s_cbranch_scc0 .LBB190_299
; %bb.292:
	s_cmp_lt_i32 s25, 24
	s_cbranch_scc1 .LBB190_302
; %bb.293:
	s_cmp_gt_i32 s25, 24
	s_cbranch_scc0 .LBB190_303
; %bb.294:
	global_load_ubyte v5, v[0:1], off
	s_movk_i32 s0, 0x7f
	s_mov_b64 s[6:7], 0
	s_waitcnt vmcnt(0)
	v_cmp_lt_i16_e32 vcc, s0, v5
	s_and_saveexec_b64 s[0:1], vcc
	s_xor_b64 s[0:1], exec, s[0:1]
	s_cbranch_execz .LBB190_315
; %bb.295:
	s_movk_i32 s6, 0x80
	v_cmp_ne_u16_e32 vcc, s6, v5
	s_and_b64 s[6:7], vcc, exec
	s_andn2_saveexec_b64 s[0:1], s[0:1]
	s_cbranch_execnz .LBB190_316
.LBB190_296:
	s_or_b64 exec, exec, s[0:1]
	v_mov_b32_e32 v3, 0
	s_and_saveexec_b64 s[0:1], s[6:7]
	s_cbranch_execz .LBB190_298
.LBB190_297:
	v_lshlrev_b32_e32 v3, 24, v5
	v_and_b32_e32 v5, 0xffff, v5
	v_and_b32_e32 v6, 3, v5
	v_ffbh_u32_e32 v8, v6
	v_min_u32_e32 v8, 32, v8
	v_subrev_u32_e32 v9, 29, v8
	v_bfe_u32 v7, v5, 2, 5
	v_lshlrev_b32_e32 v5, v9, v5
	v_sub_u32_e32 v8, 30, v8
	v_and_b32_e32 v5, 3, v5
	v_cmp_eq_u32_e32 vcc, 0, v7
	v_cndmask_b32_e32 v7, v7, v8, vcc
	v_cndmask_b32_e32 v5, v6, v5, vcc
	v_mov_b32_e32 v6, 0x37800000
	v_lshlrev_b32_e32 v5, 21, v5
	v_and_b32_e32 v3, 0x80000000, v3
	v_lshl_add_u32 v6, v7, 23, v6
	v_or3_b32 v3, v3, v6, v5
	v_cvt_i32_f32_e32 v3, v3
.LBB190_298:
	s_or_b64 exec, exec, s[0:1]
	s_mov_b64 s[0:1], 0
	s_branch .LBB190_304
.LBB190_299:
	s_mov_b64 s[6:7], -1
                                        ; implicit-def: $vgpr3
	s_branch .LBB190_310
.LBB190_300:
	s_andn2_saveexec_b64 s[0:1], s[0:1]
	s_cbranch_execz .LBB190_285
.LBB190_301:
	v_cmp_ne_u16_e32 vcc, 0, v5
	s_andn2_b64 s[6:7], s[6:7], exec
	s_and_b64 s[28:29], vcc, exec
	s_or_b64 s[6:7], s[6:7], s[28:29]
	s_or_b64 exec, exec, s[0:1]
	v_mov_b32_e32 v3, 0
	s_and_saveexec_b64 s[0:1], s[6:7]
	s_cbranch_execnz .LBB190_286
	s_branch .LBB190_287
.LBB190_302:
	s_mov_b64 s[0:1], -1
                                        ; implicit-def: $vgpr3
	s_branch .LBB190_307
.LBB190_303:
	s_mov_b64 s[0:1], -1
                                        ; implicit-def: $vgpr3
.LBB190_304:
	s_and_b64 vcc, exec, s[0:1]
	s_cbranch_vccz .LBB190_306
; %bb.305:
	global_load_ubyte v3, v[0:1], off
	s_mov_b32 s0, 0x7f800000
	s_waitcnt vmcnt(0)
	v_lshlrev_b32_e32 v3, 24, v3
	v_and_b32_e32 v5, 0x7f000000, v3
	v_ffbh_u32_e32 v6, v5
	v_min_u32_e32 v6, 32, v6
	v_sub_u32_e64 v6, v6, 4 clamp
	v_lshlrev_b32_e32 v8, v6, v5
	v_lshlrev_b32_e32 v6, 23, v6
	v_lshrrev_b32_e32 v8, 4, v8
	v_add_u32_e32 v7, 0x1000000, v5
	v_sub_u32_e32 v6, v8, v6
	v_ashrrev_i32_e32 v7, 8, v7
	v_add_u32_e32 v6, 0x3c000000, v6
	v_and_or_b32 v6, v7, s0, v6
	v_cmp_ne_u32_e32 vcc, 0, v5
	v_cndmask_b32_e32 v5, 0, v6, vcc
	s_brev_b32 s0, 1
	v_and_or_b32 v3, v3, s0, v5
	v_cvt_i32_f32_e32 v3, v3
.LBB190_306:
	s_mov_b64 s[0:1], 0
.LBB190_307:
	s_andn2_b64 vcc, exec, s[0:1]
	s_cbranch_vccnz .LBB190_309
; %bb.308:
	global_load_ubyte v3, v[0:1], off
	s_movk_i32 s0, 0x7f00
	s_brev_b32 s1, 16
	s_waitcnt vmcnt(0)
	v_lshlrev_b16_e32 v5, 8, v3
	v_lshlrev_b32_e32 v3, 25, v3
	v_lshrrev_b32_e32 v6, 4, v3
	v_and_or_b32 v7, v5, s0, 0.5
	v_or_b32_e32 v6, 0x70000000, v6
	v_add_f32_e32 v7, -0.5, v7
	v_mul_f32_e32 v6, 0x7800000, v6
	v_cmp_gt_u32_e32 vcc, s1, v3
	v_bfe_i32 v5, v5, 0, 16
	v_cndmask_b32_e32 v3, v6, v7, vcc
	s_brev_b32 s0, 1
	v_and_or_b32 v3, v5, s0, v3
	v_cvt_i32_f32_e32 v3, v3
.LBB190_309:
	s_mov_b64 s[6:7], 0
	s_mov_b64 s[0:1], -1
.LBB190_310:
	s_andn2_b64 vcc, exec, s[6:7]
	s_cbranch_vccnz .LBB190_323
; %bb.311:
	s_cmp_gt_i32 s25, 14
	s_cbranch_scc0 .LBB190_314
; %bb.312:
	s_cmp_eq_u32 s25, 15
	s_cbranch_scc0 .LBB190_317
; %bb.313:
	global_load_ushort v3, v[0:1], off
	s_mov_b64 s[0:1], -1
	s_mov_b64 s[18:19], 0
	s_waitcnt vmcnt(0)
	v_lshlrev_b32_e32 v3, 16, v3
	v_cvt_i32_f32_e32 v3, v3
	s_branch .LBB190_318
.LBB190_314:
	s_mov_b64 s[6:7], -1
                                        ; implicit-def: $vgpr3
	s_branch .LBB190_319
.LBB190_315:
	s_andn2_saveexec_b64 s[0:1], s[0:1]
	s_cbranch_execz .LBB190_296
.LBB190_316:
	v_cmp_ne_u16_e32 vcc, 0, v5
	s_andn2_b64 s[6:7], s[6:7], exec
	s_and_b64 s[28:29], vcc, exec
	s_or_b64 s[6:7], s[6:7], s[28:29]
	s_or_b64 exec, exec, s[0:1]
	v_mov_b32_e32 v3, 0
	s_and_saveexec_b64 s[0:1], s[6:7]
	s_cbranch_execnz .LBB190_297
	s_branch .LBB190_298
.LBB190_317:
	s_mov_b64 s[18:19], -1
                                        ; implicit-def: $vgpr3
.LBB190_318:
	s_mov_b64 s[6:7], 0
.LBB190_319:
	s_and_b64 vcc, exec, s[6:7]
	s_cbranch_vccz .LBB190_323
; %bb.320:
	s_cmp_eq_u32 s25, 11
	s_cbranch_scc0 .LBB190_322
; %bb.321:
	global_load_ubyte v3, v[0:1], off
	s_mov_b64 s[0:1], -1
	s_mov_b64 s[18:19], 0
	s_waitcnt vmcnt(0)
	v_cmp_ne_u16_e32 vcc, 0, v3
	v_cndmask_b32_e64 v3, 0, 1, vcc
	s_branch .LBB190_323
.LBB190_322:
	s_mov_b64 s[18:19], -1
                                        ; implicit-def: $vgpr3
.LBB190_323:
	s_branch .LBB190_20
.LBB190_324:
	s_and_b32 s6, 0xffff, s24
	s_cmp_lt_i32 s6, 5
	s_cbranch_scc1 .LBB190_329
; %bb.325:
	s_cmp_lt_i32 s6, 8
	s_cbranch_scc1 .LBB190_330
; %bb.326:
	;; [unrolled: 3-line block ×3, first 2 shown]
	s_cmp_gt_i32 s6, 9
	s_cbranch_scc0 .LBB190_332
; %bb.328:
	global_load_dwordx2 v[5:6], v[0:1], off
	s_mov_b64 s[0:1], 0
	s_waitcnt vmcnt(0)
	v_cvt_i32_f64_e32 v3, v[5:6]
	s_branch .LBB190_333
.LBB190_329:
	s_mov_b64 s[0:1], -1
                                        ; implicit-def: $vgpr3
	s_branch .LBB190_351
.LBB190_330:
	s_mov_b64 s[0:1], -1
                                        ; implicit-def: $vgpr3
	s_branch .LBB190_339
.LBB190_331:
	s_mov_b64 s[0:1], -1
                                        ; implicit-def: $vgpr3
	s_branch .LBB190_336
.LBB190_332:
	s_mov_b64 s[0:1], -1
                                        ; implicit-def: $vgpr3
.LBB190_333:
	s_andn2_b64 vcc, exec, s[0:1]
	s_cbranch_vccnz .LBB190_335
; %bb.334:
	global_load_dword v3, v[0:1], off
	s_waitcnt vmcnt(0)
	v_cvt_i32_f32_e32 v3, v3
.LBB190_335:
	s_mov_b64 s[0:1], 0
.LBB190_336:
	s_andn2_b64 vcc, exec, s[0:1]
	s_cbranch_vccnz .LBB190_338
; %bb.337:
	global_load_dword v3, v[0:1], off
	s_waitcnt vmcnt(0)
	v_cvt_f32_f16_e32 v3, v3
	v_cvt_i32_f32_e32 v3, v3
.LBB190_338:
	s_mov_b64 s[0:1], 0
.LBB190_339:
	s_andn2_b64 vcc, exec, s[0:1]
	s_cbranch_vccnz .LBB190_350
; %bb.340:
	s_cmp_lt_i32 s6, 6
	s_cbranch_scc1 .LBB190_343
; %bb.341:
	s_cmp_gt_i32 s6, 6
	s_cbranch_scc0 .LBB190_344
; %bb.342:
	global_load_dwordx2 v[5:6], v[0:1], off
	s_mov_b64 s[0:1], 0
	s_waitcnt vmcnt(0)
	v_cvt_i32_f64_e32 v3, v[5:6]
	s_branch .LBB190_345
.LBB190_343:
	s_mov_b64 s[0:1], -1
                                        ; implicit-def: $vgpr3
	s_branch .LBB190_348
.LBB190_344:
	s_mov_b64 s[0:1], -1
                                        ; implicit-def: $vgpr3
.LBB190_345:
	s_andn2_b64 vcc, exec, s[0:1]
	s_cbranch_vccnz .LBB190_347
; %bb.346:
	global_load_dword v3, v[0:1], off
	s_waitcnt vmcnt(0)
	v_cvt_i32_f32_e32 v3, v3
.LBB190_347:
	s_mov_b64 s[0:1], 0
.LBB190_348:
	s_andn2_b64 vcc, exec, s[0:1]
	s_cbranch_vccnz .LBB190_350
; %bb.349:
	global_load_ushort v3, v[0:1], off
	s_waitcnt vmcnt(0)
	v_cvt_f32_f16_e32 v3, v3
	v_cvt_i32_f32_e32 v3, v3
.LBB190_350:
	s_mov_b64 s[0:1], 0
.LBB190_351:
	s_andn2_b64 vcc, exec, s[0:1]
	s_cbranch_vccnz .LBB190_371
; %bb.352:
	s_cmp_lt_i32 s6, 2
	s_cbranch_scc1 .LBB190_356
; %bb.353:
	s_cmp_lt_i32 s6, 3
	s_cbranch_scc1 .LBB190_357
; %bb.354:
	s_cmp_gt_i32 s6, 3
	s_cbranch_scc0 .LBB190_358
; %bb.355:
	global_load_dword v3, v[0:1], off
	s_mov_b64 s[0:1], 0
	s_branch .LBB190_359
.LBB190_356:
	s_mov_b64 s[0:1], -1
                                        ; implicit-def: $vgpr3
	s_branch .LBB190_365
.LBB190_357:
	s_mov_b64 s[0:1], -1
                                        ; implicit-def: $vgpr3
	s_branch .LBB190_362
.LBB190_358:
	s_mov_b64 s[0:1], -1
                                        ; implicit-def: $vgpr3
.LBB190_359:
	s_andn2_b64 vcc, exec, s[0:1]
	s_cbranch_vccnz .LBB190_361
; %bb.360:
	global_load_dword v3, v[0:1], off
.LBB190_361:
	s_mov_b64 s[0:1], 0
.LBB190_362:
	s_andn2_b64 vcc, exec, s[0:1]
	s_cbranch_vccnz .LBB190_364
; %bb.363:
	global_load_sshort v3, v[0:1], off
.LBB190_364:
	s_mov_b64 s[0:1], 0
.LBB190_365:
	s_andn2_b64 vcc, exec, s[0:1]
	s_cbranch_vccnz .LBB190_371
; %bb.366:
	s_cmp_gt_i32 s6, 0
	s_cbranch_scc0 .LBB190_368
; %bb.367:
	global_load_sbyte v3, v[0:1], off
	s_mov_b64 s[0:1], 0
	s_branch .LBB190_369
.LBB190_368:
	s_mov_b64 s[0:1], -1
                                        ; implicit-def: $vgpr3
.LBB190_369:
	s_andn2_b64 vcc, exec, s[0:1]
	s_cbranch_vccnz .LBB190_371
; %bb.370:
	global_load_ubyte v3, v[0:1], off
.LBB190_371:
	s_branch .LBB190_21
.LBB190_372:
	s_mov_b64 s[0:1], 0
.LBB190_373:
                                        ; implicit-def: $vgpr4
	s_mov_b64 s[24:25], 0
.LBB190_374:
	s_and_b64 s[6:7], s[0:1], exec
	s_and_b64 s[18:19], s[18:19], exec
	;; [unrolled: 1-line block ×3, first 2 shown]
	s_orn2_b64 s[0:1], s[24:25], exec
.LBB190_375:
	s_or_b64 exec, exec, s[22:23]
	s_mov_b64 s[30:31], 0
	s_mov_b64 s[28:29], 0
                                        ; implicit-def: $sgpr55
                                        ; implicit-def: $vgpr0_vgpr1
                                        ; implicit-def: $vgpr5
	s_and_saveexec_b64 s[22:23], s[0:1]
	s_cbranch_execz .LBB190_384
; %bb.376:
	v_cmp_gt_i32_e32 vcc, s48, v4
	s_mov_b64 s[0:1], -1
	s_mov_b64 s[24:25], s[20:21]
	s_mov_b64 s[26:27], s[18:19]
	;; [unrolled: 1-line block ×3, first 2 shown]
	s_and_saveexec_b64 s[30:31], vcc
	s_cbranch_execz .LBB190_757
; %bb.377:
	v_mul_lo_u32 v0, v4, s13
	v_mov_b32_e32 v1, s11
	s_and_b32 s28, s54, 0xff
	s_cmp_lt_i32 s28, 11
	s_waitcnt vmcnt(0)
	v_ashrrev_i32_e32 v2, 31, v0
	v_add_co_u32_e32 v0, vcc, s10, v0
	v_addc_co_u32_e32 v1, vcc, v1, v2, vcc
	s_cbranch_scc1 .LBB190_387
; %bb.378:
	s_and_b32 s29, 0xffff, s28
	s_cmp_gt_i32 s29, 25
	s_cbranch_scc0 .LBB190_396
; %bb.379:
	s_cmp_gt_i32 s29, 28
	s_cbranch_scc0 .LBB190_398
; %bb.380:
	;; [unrolled: 3-line block ×4, first 2 shown]
	s_cmp_eq_u32 s29, 46
	s_mov_b64 s[26:27], 0
	s_cbranch_scc0 .LBB190_406
; %bb.383:
	global_load_dword v2, v[0:1], off
	s_mov_b64 s[24:25], 0
	s_waitcnt vmcnt(0)
	v_lshlrev_b32_e32 v2, 16, v2
	v_cvt_i32_f32_e32 v2, v2
	s_branch .LBB190_407
.LBB190_384:
	s_or_b64 exec, exec, s[22:23]
	s_mov_b64 s[22:23], 0
	s_and_saveexec_b64 s[0:1], s[20:21]
	s_cbranch_execnz .LBB190_1220
.LBB190_385:
	s_or_b64 exec, exec, s[0:1]
	s_and_saveexec_b64 s[0:1], s[26:27]
	s_xor_b64 s[0:1], exec, s[0:1]
	s_cbranch_execz .LBB190_1221
.LBB190_386:
	global_load_ubyte v2, v[0:1], off
	s_or_b64 s[28:29], s[28:29], exec
	s_waitcnt vmcnt(0)
	v_cmp_ne_u16_e32 vcc, 0, v2
	v_cndmask_b32_e64 v5, 0, 1, vcc
	s_or_b64 exec, exec, s[0:1]
	s_and_saveexec_b64 s[0:1], s[30:31]
	s_cbranch_execz .LBB190_1267
	s_branch .LBB190_1222
.LBB190_387:
	s_mov_b64 s[0:1], 0
                                        ; implicit-def: $vgpr2
	s_mov_b64 s[24:25], s[20:21]
	s_cbranch_execnz .LBB190_469
.LBB190_388:
	s_andn2_b64 vcc, exec, s[0:1]
	s_cbranch_vccnz .LBB190_517
.LBB190_389:
	v_mul_lo_u32 v0, v4, s14
	v_mov_b32_e32 v1, s3
	s_and_b32 s34, s15, 0xff
	s_cmp_lt_i32 s34, 11
	v_ashrrev_i32_e32 v3, 31, v0
	v_add_co_u32_e32 v0, vcc, s2, v0
	v_addc_co_u32_e32 v1, vcc, v1, v3, vcc
	s_cbranch_scc1 .LBB190_397
; %bb.390:
	s_and_b32 s35, 0xffff, s34
	s_cmp_gt_i32 s35, 25
	s_cbranch_scc0 .LBB190_399
; %bb.391:
	s_cmp_gt_i32 s35, 28
	s_cbranch_scc0 .LBB190_401
; %bb.392:
	;; [unrolled: 3-line block ×4, first 2 shown]
	s_cmp_eq_u32 s35, 46
	s_mov_b64 s[28:29], 0
	s_cbranch_scc0 .LBB190_521
; %bb.395:
	global_load_dword v3, v[0:1], off
	s_mov_b64 s[0:1], -1
	s_mov_b64 s[26:27], 0
	s_waitcnt vmcnt(0)
	v_lshlrev_b32_e32 v3, 16, v3
	v_cvt_i32_f32_e32 v3, v3
	s_branch .LBB190_522
.LBB190_396:
	s_mov_b64 s[26:27], -1
	s_mov_b64 s[0:1], 0
	s_mov_b64 s[24:25], s[20:21]
                                        ; implicit-def: $vgpr2
	s_branch .LBB190_435
.LBB190_397:
	s_mov_b64 s[28:29], -1
	s_mov_b64 s[0:1], 0
                                        ; implicit-def: $vgpr3
	s_mov_b64 s[26:27], s[18:19]
	s_branch .LBB190_583
.LBB190_398:
	s_mov_b64 s[26:27], -1
	s_mov_b64 s[0:1], 0
	s_mov_b64 s[24:25], s[20:21]
                                        ; implicit-def: $vgpr2
	s_branch .LBB190_418
.LBB190_399:
	s_mov_b64 s[28:29], -1
	s_mov_b64 s[0:1], 0
	s_mov_b64 s[26:27], s[18:19]
                                        ; implicit-def: $vgpr3
	s_branch .LBB190_549
.LBB190_400:
	s_mov_b64 s[26:27], -1
	s_mov_b64 s[0:1], 0
	s_mov_b64 s[24:25], s[20:21]
                                        ; implicit-def: $vgpr2
	s_branch .LBB190_413
.LBB190_401:
	s_mov_b64 s[28:29], -1
	s_mov_b64 s[0:1], 0
	s_mov_b64 s[26:27], s[18:19]
                                        ; implicit-def: $vgpr3
	s_branch .LBB190_532
.LBB190_402:
	s_mov_b64 s[26:27], -1
	s_mov_b64 s[0:1], 0
	s_mov_b64 s[24:25], s[20:21]
                                        ; implicit-def: $vgpr2
	s_branch .LBB190_407
.LBB190_403:
	s_mov_b64 s[28:29], -1
	s_mov_b64 s[0:1], 0
	s_mov_b64 s[26:27], s[18:19]
                                        ; implicit-def: $vgpr3
	s_branch .LBB190_527
.LBB190_404:
	s_andn2_saveexec_b64 s[28:29], s[28:29]
	s_cbranch_execz .LBB190_176
.LBB190_405:
	s_mov_b32 s34, 0x46000000
	v_add_f32_e64 v5, |v1|, s34
	v_and_b32_e32 v5, 0xff, v5
	v_cmp_ne_u32_e32 vcc, 0, v5
	s_andn2_b64 s[24:25], s[24:25], exec
	s_and_b64 s[34:35], vcc, exec
	s_or_b64 s[24:25], s[24:25], s[34:35]
	s_or_b64 exec, exec, s[28:29]
	v_mov_b32_e32 v6, 0
	s_and_saveexec_b64 s[28:29], s[24:25]
	s_cbranch_execnz .LBB190_177
	s_branch .LBB190_178
.LBB190_406:
	s_mov_b64 s[24:25], -1
                                        ; implicit-def: $vgpr2
	s_mov_b64 s[0:1], 0
.LBB190_407:
	s_and_b64 vcc, exec, s[26:27]
	s_cbranch_vccz .LBB190_412
; %bb.408:
	s_cmp_eq_u32 s29, 44
	s_cbranch_scc0 .LBB190_411
; %bb.409:
	global_load_ubyte v2, v[0:1], off
	s_mov_b64 s[0:1], -1
	s_mov_b64 s[24:25], 0
	s_waitcnt vmcnt(0)
	v_lshlrev_b32_e32 v3, 23, v2
	v_cvt_i32_f32_e32 v3, v3
	v_cmp_ne_u32_e32 vcc, 0, v2
	v_cndmask_b32_e32 v2, 0, v3, vcc
	s_branch .LBB190_412
.LBB190_410:
	s_mov_b64 s[28:29], -1
	s_mov_b64 s[0:1], 0
	s_mov_b64 s[26:27], s[18:19]
                                        ; implicit-def: $vgpr3
	s_branch .LBB190_522
.LBB190_411:
	s_mov_b64 s[24:25], -1
                                        ; implicit-def: $vgpr2
.LBB190_412:
	s_mov_b64 s[26:27], 0
.LBB190_413:
	s_and_b64 vcc, exec, s[26:27]
	s_cbranch_vccz .LBB190_417
; %bb.414:
	s_cmp_eq_u32 s29, 29
	s_cbranch_scc0 .LBB190_416
; %bb.415:
	global_load_dword v2, v[0:1], off
	s_mov_b64 s[0:1], -1
	s_mov_b64 s[24:25], 0
	s_branch .LBB190_417
.LBB190_416:
	s_mov_b64 s[24:25], -1
                                        ; implicit-def: $vgpr2
.LBB190_417:
	s_mov_b64 s[26:27], 0
.LBB190_418:
	s_and_b64 vcc, exec, s[26:27]
	s_cbranch_vccz .LBB190_434
; %bb.419:
	s_cmp_lt_i32 s29, 27
	s_cbranch_scc1 .LBB190_422
; %bb.420:
	s_cmp_gt_i32 s29, 27
	s_cbranch_scc0 .LBB190_423
; %bb.421:
	global_load_dword v2, v[0:1], off
	s_mov_b64 s[0:1], 0
	s_branch .LBB190_424
.LBB190_422:
	s_mov_b64 s[0:1], -1
                                        ; implicit-def: $vgpr2
	s_branch .LBB190_427
.LBB190_423:
	s_mov_b64 s[0:1], -1
                                        ; implicit-def: $vgpr2
.LBB190_424:
	s_andn2_b64 vcc, exec, s[0:1]
	s_cbranch_vccnz .LBB190_426
; %bb.425:
	global_load_ushort v2, v[0:1], off
.LBB190_426:
	s_mov_b64 s[0:1], 0
.LBB190_427:
	s_andn2_b64 vcc, exec, s[0:1]
	s_cbranch_vccnz .LBB190_433
; %bb.428:
	global_load_ubyte v3, v[0:1], off
	s_movk_i32 s0, 0x7f
	s_mov_b64 s[26:27], 0
	s_waitcnt vmcnt(0)
	v_cmp_lt_i16_e32 vcc, s0, v3
	s_and_saveexec_b64 s[0:1], vcc
	s_xor_b64 s[0:1], exec, s[0:1]
	s_cbranch_execz .LBB190_445
; %bb.429:
	s_movk_i32 s26, 0x80
	v_cmp_ne_u16_e32 vcc, s26, v3
	s_and_b64 s[26:27], vcc, exec
	s_andn2_saveexec_b64 s[0:1], s[0:1]
	s_cbranch_execnz .LBB190_446
.LBB190_430:
	s_or_b64 exec, exec, s[0:1]
	v_mov_b32_e32 v2, 0
	s_and_saveexec_b64 s[0:1], s[26:27]
	s_cbranch_execz .LBB190_432
.LBB190_431:
	v_lshlrev_b32_e32 v2, 24, v3
	v_and_b32_e32 v3, 0xffff, v3
	v_and_b32_e32 v5, 7, v3
	v_ffbh_u32_e32 v7, v5
	v_min_u32_e32 v7, 32, v7
	v_subrev_u32_e32 v8, 28, v7
	v_bfe_u32 v6, v3, 3, 4
	v_lshlrev_b32_e32 v3, v8, v3
	v_sub_u32_e32 v7, 29, v7
	v_and_b32_e32 v3, 7, v3
	v_cmp_eq_u32_e32 vcc, 0, v6
	v_cndmask_b32_e32 v6, v6, v7, vcc
	v_cndmask_b32_e32 v3, v5, v3, vcc
	v_mov_b32_e32 v5, 0x3b800000
	v_lshlrev_b32_e32 v3, 20, v3
	v_and_b32_e32 v2, 0x80000000, v2
	v_lshl_add_u32 v5, v6, 23, v5
	v_or3_b32 v2, v2, v5, v3
	v_cvt_i32_f32_e32 v2, v2
.LBB190_432:
	s_or_b64 exec, exec, s[0:1]
.LBB190_433:
	s_mov_b64 s[0:1], -1
.LBB190_434:
	s_mov_b64 s[26:27], 0
.LBB190_435:
	s_and_b64 vcc, exec, s[26:27]
	s_cbranch_vccz .LBB190_468
; %bb.436:
	s_cmp_gt_i32 s29, 22
	s_cbranch_scc0 .LBB190_444
; %bb.437:
	s_cmp_lt_i32 s29, 24
	s_cbranch_scc1 .LBB190_447
; %bb.438:
	s_cmp_gt_i32 s29, 24
	s_cbranch_scc0 .LBB190_448
; %bb.439:
	global_load_ubyte v3, v[0:1], off
	s_movk_i32 s0, 0x7f
	s_mov_b64 s[26:27], 0
	s_waitcnt vmcnt(0)
	v_cmp_lt_i16_e32 vcc, s0, v3
	s_and_saveexec_b64 s[0:1], vcc
	s_xor_b64 s[0:1], exec, s[0:1]
	s_cbranch_execz .LBB190_460
; %bb.440:
	s_movk_i32 s26, 0x80
	v_cmp_ne_u16_e32 vcc, s26, v3
	s_and_b64 s[26:27], vcc, exec
	s_andn2_saveexec_b64 s[0:1], s[0:1]
	s_cbranch_execnz .LBB190_461
.LBB190_441:
	s_or_b64 exec, exec, s[0:1]
	v_mov_b32_e32 v2, 0
	s_and_saveexec_b64 s[0:1], s[26:27]
	s_cbranch_execz .LBB190_443
.LBB190_442:
	v_lshlrev_b32_e32 v2, 24, v3
	v_and_b32_e32 v3, 0xffff, v3
	v_and_b32_e32 v5, 3, v3
	v_ffbh_u32_e32 v7, v5
	v_min_u32_e32 v7, 32, v7
	v_subrev_u32_e32 v8, 29, v7
	v_bfe_u32 v6, v3, 2, 5
	v_lshlrev_b32_e32 v3, v8, v3
	v_sub_u32_e32 v7, 30, v7
	v_and_b32_e32 v3, 3, v3
	v_cmp_eq_u32_e32 vcc, 0, v6
	v_cndmask_b32_e32 v6, v6, v7, vcc
	v_cndmask_b32_e32 v3, v5, v3, vcc
	v_mov_b32_e32 v5, 0x37800000
	v_lshlrev_b32_e32 v3, 21, v3
	v_and_b32_e32 v2, 0x80000000, v2
	v_lshl_add_u32 v5, v6, 23, v5
	v_or3_b32 v2, v2, v5, v3
	v_cvt_i32_f32_e32 v2, v2
.LBB190_443:
	s_or_b64 exec, exec, s[0:1]
	s_mov_b64 s[0:1], 0
	s_branch .LBB190_449
.LBB190_444:
	s_mov_b64 s[26:27], -1
                                        ; implicit-def: $vgpr2
	s_branch .LBB190_455
.LBB190_445:
	s_andn2_saveexec_b64 s[0:1], s[0:1]
	s_cbranch_execz .LBB190_430
.LBB190_446:
	v_cmp_ne_u16_e32 vcc, 0, v3
	s_andn2_b64 s[26:27], s[26:27], exec
	s_and_b64 s[34:35], vcc, exec
	s_or_b64 s[26:27], s[26:27], s[34:35]
	s_or_b64 exec, exec, s[0:1]
	v_mov_b32_e32 v2, 0
	s_and_saveexec_b64 s[0:1], s[26:27]
	s_cbranch_execnz .LBB190_431
	s_branch .LBB190_432
.LBB190_447:
	s_mov_b64 s[0:1], -1
                                        ; implicit-def: $vgpr2
	s_branch .LBB190_452
.LBB190_448:
	s_mov_b64 s[0:1], -1
                                        ; implicit-def: $vgpr2
.LBB190_449:
	s_and_b64 vcc, exec, s[0:1]
	s_cbranch_vccz .LBB190_451
; %bb.450:
	global_load_ubyte v2, v[0:1], off
	s_mov_b32 s0, 0x7f800000
	s_waitcnt vmcnt(0)
	v_lshlrev_b32_e32 v2, 24, v2
	v_and_b32_e32 v3, 0x7f000000, v2
	v_ffbh_u32_e32 v5, v3
	v_min_u32_e32 v5, 32, v5
	v_sub_u32_e64 v5, v5, 4 clamp
	v_lshlrev_b32_e32 v7, v5, v3
	v_lshlrev_b32_e32 v5, 23, v5
	v_lshrrev_b32_e32 v7, 4, v7
	v_add_u32_e32 v6, 0x1000000, v3
	v_sub_u32_e32 v5, v7, v5
	v_ashrrev_i32_e32 v6, 8, v6
	v_add_u32_e32 v5, 0x3c000000, v5
	v_and_or_b32 v5, v6, s0, v5
	v_cmp_ne_u32_e32 vcc, 0, v3
	v_cndmask_b32_e32 v3, 0, v5, vcc
	s_brev_b32 s0, 1
	v_and_or_b32 v2, v2, s0, v3
	v_cvt_i32_f32_e32 v2, v2
.LBB190_451:
	s_mov_b64 s[0:1], 0
.LBB190_452:
	s_andn2_b64 vcc, exec, s[0:1]
	s_cbranch_vccnz .LBB190_454
; %bb.453:
	global_load_ubyte v2, v[0:1], off
	s_movk_i32 s0, 0x7f00
	s_brev_b32 s1, 16
	s_waitcnt vmcnt(0)
	v_lshlrev_b16_e32 v3, 8, v2
	v_lshlrev_b32_e32 v2, 25, v2
	v_lshrrev_b32_e32 v5, 4, v2
	v_and_or_b32 v6, v3, s0, 0.5
	v_or_b32_e32 v5, 0x70000000, v5
	v_add_f32_e32 v6, -0.5, v6
	v_mul_f32_e32 v5, 0x7800000, v5
	v_cmp_gt_u32_e32 vcc, s1, v2
	v_bfe_i32 v3, v3, 0, 16
	v_cndmask_b32_e32 v2, v5, v6, vcc
	s_brev_b32 s0, 1
	v_and_or_b32 v2, v3, s0, v2
	v_cvt_i32_f32_e32 v2, v2
.LBB190_454:
	s_mov_b64 s[26:27], 0
	s_mov_b64 s[0:1], -1
.LBB190_455:
	s_andn2_b64 vcc, exec, s[26:27]
	s_cbranch_vccnz .LBB190_468
; %bb.456:
	s_cmp_gt_i32 s29, 14
	s_cbranch_scc0 .LBB190_459
; %bb.457:
	s_cmp_eq_u32 s29, 15
	s_cbranch_scc0 .LBB190_462
; %bb.458:
	global_load_ushort v2, v[0:1], off
	s_mov_b64 s[0:1], -1
	s_mov_b64 s[24:25], 0
	s_waitcnt vmcnt(0)
	v_lshlrev_b32_e32 v2, 16, v2
	v_cvt_i32_f32_e32 v2, v2
	s_branch .LBB190_463
.LBB190_459:
	s_mov_b64 s[26:27], -1
                                        ; implicit-def: $vgpr2
	s_branch .LBB190_464
.LBB190_460:
	s_andn2_saveexec_b64 s[0:1], s[0:1]
	s_cbranch_execz .LBB190_441
.LBB190_461:
	v_cmp_ne_u16_e32 vcc, 0, v3
	s_andn2_b64 s[26:27], s[26:27], exec
	s_and_b64 s[34:35], vcc, exec
	s_or_b64 s[26:27], s[26:27], s[34:35]
	s_or_b64 exec, exec, s[0:1]
	v_mov_b32_e32 v2, 0
	s_and_saveexec_b64 s[0:1], s[26:27]
	s_cbranch_execnz .LBB190_442
	s_branch .LBB190_443
.LBB190_462:
	s_mov_b64 s[24:25], -1
                                        ; implicit-def: $vgpr2
.LBB190_463:
	s_mov_b64 s[26:27], 0
.LBB190_464:
	s_and_b64 vcc, exec, s[26:27]
	s_cbranch_vccz .LBB190_468
; %bb.465:
	s_cmp_eq_u32 s29, 11
	s_cbranch_scc0 .LBB190_467
; %bb.466:
	global_load_ubyte v2, v[0:1], off
	s_mov_b64 s[0:1], -1
	s_mov_b64 s[24:25], 0
	s_waitcnt vmcnt(0)
	v_cmp_ne_u16_e32 vcc, 0, v2
	v_cndmask_b32_e64 v2, 0, 1, vcc
	s_branch .LBB190_468
.LBB190_467:
	s_mov_b64 s[24:25], -1
                                        ; implicit-def: $vgpr2
.LBB190_468:
	s_branch .LBB190_388
.LBB190_469:
	s_and_b32 s26, 0xffff, s28
	s_cmp_lt_i32 s26, 5
	s_cbranch_scc1 .LBB190_474
; %bb.470:
	s_cmp_lt_i32 s26, 8
	s_cbranch_scc1 .LBB190_475
; %bb.471:
	s_cmp_lt_i32 s26, 9
	s_cbranch_scc1 .LBB190_476
; %bb.472:
	s_cmp_gt_i32 s26, 9
	s_cbranch_scc0 .LBB190_477
; %bb.473:
	global_load_dwordx2 v[2:3], v[0:1], off
	s_mov_b64 s[0:1], 0
	s_waitcnt vmcnt(0)
	v_cvt_i32_f64_e32 v2, v[2:3]
	s_branch .LBB190_478
.LBB190_474:
	s_mov_b64 s[0:1], -1
                                        ; implicit-def: $vgpr2
	s_branch .LBB190_496
.LBB190_475:
	s_mov_b64 s[0:1], -1
                                        ; implicit-def: $vgpr2
	s_branch .LBB190_484
.LBB190_476:
	s_mov_b64 s[0:1], -1
                                        ; implicit-def: $vgpr2
	s_branch .LBB190_481
.LBB190_477:
	s_mov_b64 s[0:1], -1
                                        ; implicit-def: $vgpr2
.LBB190_478:
	s_andn2_b64 vcc, exec, s[0:1]
	s_cbranch_vccnz .LBB190_480
; %bb.479:
	global_load_dword v2, v[0:1], off
	s_waitcnt vmcnt(0)
	v_cvt_i32_f32_e32 v2, v2
.LBB190_480:
	s_mov_b64 s[0:1], 0
.LBB190_481:
	s_andn2_b64 vcc, exec, s[0:1]
	s_cbranch_vccnz .LBB190_483
; %bb.482:
	global_load_dword v2, v[0:1], off
	s_waitcnt vmcnt(0)
	v_cvt_f32_f16_e32 v2, v2
	v_cvt_i32_f32_e32 v2, v2
.LBB190_483:
	s_mov_b64 s[0:1], 0
.LBB190_484:
	s_andn2_b64 vcc, exec, s[0:1]
	s_cbranch_vccnz .LBB190_495
; %bb.485:
	s_cmp_lt_i32 s26, 6
	s_cbranch_scc1 .LBB190_488
; %bb.486:
	s_cmp_gt_i32 s26, 6
	s_cbranch_scc0 .LBB190_489
; %bb.487:
	global_load_dwordx2 v[2:3], v[0:1], off
	s_mov_b64 s[0:1], 0
	s_waitcnt vmcnt(0)
	v_cvt_i32_f64_e32 v2, v[2:3]
	s_branch .LBB190_490
.LBB190_488:
	s_mov_b64 s[0:1], -1
                                        ; implicit-def: $vgpr2
	s_branch .LBB190_493
.LBB190_489:
	s_mov_b64 s[0:1], -1
                                        ; implicit-def: $vgpr2
.LBB190_490:
	s_andn2_b64 vcc, exec, s[0:1]
	s_cbranch_vccnz .LBB190_492
; %bb.491:
	global_load_dword v2, v[0:1], off
	s_waitcnt vmcnt(0)
	v_cvt_i32_f32_e32 v2, v2
.LBB190_492:
	s_mov_b64 s[0:1], 0
.LBB190_493:
	s_andn2_b64 vcc, exec, s[0:1]
	s_cbranch_vccnz .LBB190_495
; %bb.494:
	global_load_ushort v2, v[0:1], off
	s_waitcnt vmcnt(0)
	v_cvt_f32_f16_e32 v2, v2
	v_cvt_i32_f32_e32 v2, v2
.LBB190_495:
	s_mov_b64 s[0:1], 0
.LBB190_496:
	s_andn2_b64 vcc, exec, s[0:1]
	s_cbranch_vccnz .LBB190_516
; %bb.497:
	s_cmp_lt_i32 s26, 2
	s_cbranch_scc1 .LBB190_501
; %bb.498:
	s_cmp_lt_i32 s26, 3
	s_cbranch_scc1 .LBB190_502
; %bb.499:
	s_cmp_gt_i32 s26, 3
	s_cbranch_scc0 .LBB190_503
; %bb.500:
	global_load_dword v2, v[0:1], off
	s_mov_b64 s[0:1], 0
	s_branch .LBB190_504
.LBB190_501:
	s_mov_b64 s[0:1], -1
                                        ; implicit-def: $vgpr2
	s_branch .LBB190_510
.LBB190_502:
	s_mov_b64 s[0:1], -1
                                        ; implicit-def: $vgpr2
	s_branch .LBB190_507
.LBB190_503:
	s_mov_b64 s[0:1], -1
                                        ; implicit-def: $vgpr2
.LBB190_504:
	s_andn2_b64 vcc, exec, s[0:1]
	s_cbranch_vccnz .LBB190_506
; %bb.505:
	global_load_dword v2, v[0:1], off
.LBB190_506:
	s_mov_b64 s[0:1], 0
.LBB190_507:
	s_andn2_b64 vcc, exec, s[0:1]
	s_cbranch_vccnz .LBB190_509
; %bb.508:
	global_load_sshort v2, v[0:1], off
.LBB190_509:
	s_mov_b64 s[0:1], 0
.LBB190_510:
	s_andn2_b64 vcc, exec, s[0:1]
	s_cbranch_vccnz .LBB190_516
; %bb.511:
	s_cmp_gt_i32 s26, 0
	s_cbranch_scc0 .LBB190_513
; %bb.512:
	global_load_sbyte v2, v[0:1], off
	s_mov_b64 s[0:1], 0
	s_branch .LBB190_514
.LBB190_513:
	s_mov_b64 s[0:1], -1
                                        ; implicit-def: $vgpr2
.LBB190_514:
	s_andn2_b64 vcc, exec, s[0:1]
	s_cbranch_vccnz .LBB190_516
; %bb.515:
	global_load_ubyte v2, v[0:1], off
.LBB190_516:
	s_branch .LBB190_389
.LBB190_517:
	s_mov_b64 s[34:35], 0
	s_mov_b64 s[0:1], s[6:7]
	;; [unrolled: 1-line block ×3, first 2 shown]
.LBB190_518:
                                        ; implicit-def: $vgpr4
	s_branch .LBB190_756
.LBB190_519:
	s_andn2_saveexec_b64 s[28:29], s[28:29]
	s_cbranch_execz .LBB190_189
.LBB190_520:
	s_mov_b32 s34, 0x42800000
	v_add_f32_e64 v5, |v1|, s34
	v_and_b32_e32 v5, 0xff, v5
	v_cmp_ne_u32_e32 vcc, 0, v5
	s_andn2_b64 s[24:25], s[24:25], exec
	s_and_b64 s[34:35], vcc, exec
	s_or_b64 s[24:25], s[24:25], s[34:35]
	s_or_b64 exec, exec, s[28:29]
	v_mov_b32_e32 v6, 0
	s_and_saveexec_b64 s[28:29], s[24:25]
	s_cbranch_execnz .LBB190_190
	s_branch .LBB190_191
.LBB190_521:
	s_mov_b64 s[26:27], -1
                                        ; implicit-def: $vgpr3
	s_mov_b64 s[0:1], 0
.LBB190_522:
	s_and_b64 vcc, exec, s[28:29]
	s_cbranch_vccz .LBB190_526
; %bb.523:
	s_cmp_eq_u32 s35, 44
	s_cbranch_scc0 .LBB190_525
; %bb.524:
	global_load_ubyte v3, v[0:1], off
	s_mov_b64 s[0:1], -1
	s_mov_b64 s[26:27], 0
	s_waitcnt vmcnt(0)
	v_lshlrev_b32_e32 v5, 23, v3
	v_cvt_i32_f32_e32 v5, v5
	v_cmp_ne_u32_e32 vcc, 0, v3
	v_cndmask_b32_e32 v3, 0, v5, vcc
	s_branch .LBB190_526
.LBB190_525:
	s_mov_b64 s[26:27], -1
                                        ; implicit-def: $vgpr3
.LBB190_526:
	s_mov_b64 s[28:29], 0
.LBB190_527:
	s_and_b64 vcc, exec, s[28:29]
	s_cbranch_vccz .LBB190_531
; %bb.528:
	s_cmp_eq_u32 s35, 29
	s_cbranch_scc0 .LBB190_530
; %bb.529:
	global_load_dword v3, v[0:1], off
	s_mov_b64 s[0:1], -1
	s_mov_b64 s[26:27], 0
	s_branch .LBB190_531
.LBB190_530:
	s_mov_b64 s[26:27], -1
                                        ; implicit-def: $vgpr3
.LBB190_531:
	s_mov_b64 s[28:29], 0
.LBB190_532:
	s_and_b64 vcc, exec, s[28:29]
	s_cbranch_vccz .LBB190_548
; %bb.533:
	s_cmp_lt_i32 s35, 27
	s_cbranch_scc1 .LBB190_536
; %bb.534:
	s_cmp_gt_i32 s35, 27
	s_cbranch_scc0 .LBB190_537
; %bb.535:
	global_load_dword v3, v[0:1], off
	s_mov_b64 s[0:1], 0
	s_branch .LBB190_538
.LBB190_536:
	s_mov_b64 s[0:1], -1
                                        ; implicit-def: $vgpr3
	s_branch .LBB190_541
.LBB190_537:
	s_mov_b64 s[0:1], -1
                                        ; implicit-def: $vgpr3
.LBB190_538:
	s_andn2_b64 vcc, exec, s[0:1]
	s_cbranch_vccnz .LBB190_540
; %bb.539:
	global_load_ushort v3, v[0:1], off
.LBB190_540:
	s_mov_b64 s[0:1], 0
.LBB190_541:
	s_andn2_b64 vcc, exec, s[0:1]
	s_cbranch_vccnz .LBB190_547
; %bb.542:
	global_load_ubyte v5, v[0:1], off
	s_movk_i32 s0, 0x7f
	s_mov_b64 s[28:29], 0
	s_waitcnt vmcnt(0)
	v_cmp_lt_i16_e32 vcc, s0, v5
	s_and_saveexec_b64 s[0:1], vcc
	s_xor_b64 s[0:1], exec, s[0:1]
	s_cbranch_execz .LBB190_559
; %bb.543:
	s_movk_i32 s28, 0x80
	v_cmp_ne_u16_e32 vcc, s28, v5
	s_and_b64 s[28:29], vcc, exec
	s_andn2_saveexec_b64 s[0:1], s[0:1]
	s_cbranch_execnz .LBB190_560
.LBB190_544:
	s_or_b64 exec, exec, s[0:1]
	v_mov_b32_e32 v3, 0
	s_and_saveexec_b64 s[0:1], s[28:29]
	s_cbranch_execz .LBB190_546
.LBB190_545:
	v_lshlrev_b32_e32 v3, 24, v5
	v_and_b32_e32 v5, 0xffff, v5
	v_and_b32_e32 v6, 7, v5
	v_ffbh_u32_e32 v8, v6
	v_min_u32_e32 v8, 32, v8
	v_subrev_u32_e32 v9, 28, v8
	v_bfe_u32 v7, v5, 3, 4
	v_lshlrev_b32_e32 v5, v9, v5
	v_sub_u32_e32 v8, 29, v8
	v_and_b32_e32 v5, 7, v5
	v_cmp_eq_u32_e32 vcc, 0, v7
	v_cndmask_b32_e32 v7, v7, v8, vcc
	v_cndmask_b32_e32 v5, v6, v5, vcc
	v_mov_b32_e32 v6, 0x3b800000
	v_lshlrev_b32_e32 v5, 20, v5
	v_and_b32_e32 v3, 0x80000000, v3
	v_lshl_add_u32 v6, v7, 23, v6
	v_or3_b32 v3, v3, v6, v5
	v_cvt_i32_f32_e32 v3, v3
.LBB190_546:
	s_or_b64 exec, exec, s[0:1]
.LBB190_547:
	s_mov_b64 s[0:1], -1
.LBB190_548:
	s_mov_b64 s[28:29], 0
.LBB190_549:
	s_and_b64 vcc, exec, s[28:29]
	s_cbranch_vccz .LBB190_582
; %bb.550:
	s_cmp_gt_i32 s35, 22
	s_cbranch_scc0 .LBB190_558
; %bb.551:
	s_cmp_lt_i32 s35, 24
	s_cbranch_scc1 .LBB190_561
; %bb.552:
	s_cmp_gt_i32 s35, 24
	s_cbranch_scc0 .LBB190_562
; %bb.553:
	global_load_ubyte v5, v[0:1], off
	s_movk_i32 s0, 0x7f
	s_mov_b64 s[28:29], 0
	s_waitcnt vmcnt(0)
	v_cmp_lt_i16_e32 vcc, s0, v5
	s_and_saveexec_b64 s[0:1], vcc
	s_xor_b64 s[0:1], exec, s[0:1]
	s_cbranch_execz .LBB190_574
; %bb.554:
	s_movk_i32 s28, 0x80
	v_cmp_ne_u16_e32 vcc, s28, v5
	s_and_b64 s[28:29], vcc, exec
	s_andn2_saveexec_b64 s[0:1], s[0:1]
	s_cbranch_execnz .LBB190_575
.LBB190_555:
	s_or_b64 exec, exec, s[0:1]
	v_mov_b32_e32 v3, 0
	s_and_saveexec_b64 s[0:1], s[28:29]
	s_cbranch_execz .LBB190_557
.LBB190_556:
	v_lshlrev_b32_e32 v3, 24, v5
	v_and_b32_e32 v5, 0xffff, v5
	v_and_b32_e32 v6, 3, v5
	v_ffbh_u32_e32 v8, v6
	v_min_u32_e32 v8, 32, v8
	v_subrev_u32_e32 v9, 29, v8
	v_bfe_u32 v7, v5, 2, 5
	v_lshlrev_b32_e32 v5, v9, v5
	v_sub_u32_e32 v8, 30, v8
	v_and_b32_e32 v5, 3, v5
	v_cmp_eq_u32_e32 vcc, 0, v7
	v_cndmask_b32_e32 v7, v7, v8, vcc
	v_cndmask_b32_e32 v5, v6, v5, vcc
	v_mov_b32_e32 v6, 0x37800000
	v_lshlrev_b32_e32 v5, 21, v5
	v_and_b32_e32 v3, 0x80000000, v3
	v_lshl_add_u32 v6, v7, 23, v6
	v_or3_b32 v3, v3, v6, v5
	v_cvt_i32_f32_e32 v3, v3
.LBB190_557:
	s_or_b64 exec, exec, s[0:1]
	s_mov_b64 s[0:1], 0
	s_branch .LBB190_563
.LBB190_558:
	s_mov_b64 s[28:29], -1
                                        ; implicit-def: $vgpr3
	s_branch .LBB190_569
.LBB190_559:
	s_andn2_saveexec_b64 s[0:1], s[0:1]
	s_cbranch_execz .LBB190_544
.LBB190_560:
	v_cmp_ne_u16_e32 vcc, 0, v5
	s_andn2_b64 s[28:29], s[28:29], exec
	s_and_b64 s[36:37], vcc, exec
	s_or_b64 s[28:29], s[28:29], s[36:37]
	s_or_b64 exec, exec, s[0:1]
	v_mov_b32_e32 v3, 0
	s_and_saveexec_b64 s[0:1], s[28:29]
	s_cbranch_execnz .LBB190_545
	s_branch .LBB190_546
.LBB190_561:
	s_mov_b64 s[0:1], -1
                                        ; implicit-def: $vgpr3
	s_branch .LBB190_566
.LBB190_562:
	s_mov_b64 s[0:1], -1
                                        ; implicit-def: $vgpr3
.LBB190_563:
	s_and_b64 vcc, exec, s[0:1]
	s_cbranch_vccz .LBB190_565
; %bb.564:
	global_load_ubyte v3, v[0:1], off
	s_mov_b32 s0, 0x7f800000
	s_waitcnt vmcnt(0)
	v_lshlrev_b32_e32 v3, 24, v3
	v_and_b32_e32 v5, 0x7f000000, v3
	v_ffbh_u32_e32 v6, v5
	v_min_u32_e32 v6, 32, v6
	v_sub_u32_e64 v6, v6, 4 clamp
	v_lshlrev_b32_e32 v8, v6, v5
	v_lshlrev_b32_e32 v6, 23, v6
	v_lshrrev_b32_e32 v8, 4, v8
	v_add_u32_e32 v7, 0x1000000, v5
	v_sub_u32_e32 v6, v8, v6
	v_ashrrev_i32_e32 v7, 8, v7
	v_add_u32_e32 v6, 0x3c000000, v6
	v_and_or_b32 v6, v7, s0, v6
	v_cmp_ne_u32_e32 vcc, 0, v5
	v_cndmask_b32_e32 v5, 0, v6, vcc
	s_brev_b32 s0, 1
	v_and_or_b32 v3, v3, s0, v5
	v_cvt_i32_f32_e32 v3, v3
.LBB190_565:
	s_mov_b64 s[0:1], 0
.LBB190_566:
	s_andn2_b64 vcc, exec, s[0:1]
	s_cbranch_vccnz .LBB190_568
; %bb.567:
	global_load_ubyte v3, v[0:1], off
	s_movk_i32 s0, 0x7f00
	s_brev_b32 s1, 16
	s_waitcnt vmcnt(0)
	v_lshlrev_b16_e32 v5, 8, v3
	v_lshlrev_b32_e32 v3, 25, v3
	v_lshrrev_b32_e32 v6, 4, v3
	v_and_or_b32 v7, v5, s0, 0.5
	v_or_b32_e32 v6, 0x70000000, v6
	v_add_f32_e32 v7, -0.5, v7
	v_mul_f32_e32 v6, 0x7800000, v6
	v_cmp_gt_u32_e32 vcc, s1, v3
	v_bfe_i32 v5, v5, 0, 16
	v_cndmask_b32_e32 v3, v6, v7, vcc
	s_brev_b32 s0, 1
	v_and_or_b32 v3, v5, s0, v3
	v_cvt_i32_f32_e32 v3, v3
.LBB190_568:
	s_mov_b64 s[28:29], 0
	s_mov_b64 s[0:1], -1
.LBB190_569:
	s_andn2_b64 vcc, exec, s[28:29]
	s_cbranch_vccnz .LBB190_582
; %bb.570:
	s_cmp_gt_i32 s35, 14
	s_cbranch_scc0 .LBB190_573
; %bb.571:
	s_cmp_eq_u32 s35, 15
	s_cbranch_scc0 .LBB190_576
; %bb.572:
	global_load_ushort v3, v[0:1], off
	s_mov_b64 s[0:1], -1
	s_mov_b64 s[26:27], 0
	s_waitcnt vmcnt(0)
	v_lshlrev_b32_e32 v3, 16, v3
	v_cvt_i32_f32_e32 v3, v3
	s_branch .LBB190_577
.LBB190_573:
	s_mov_b64 s[28:29], -1
                                        ; implicit-def: $vgpr3
	s_branch .LBB190_578
.LBB190_574:
	s_andn2_saveexec_b64 s[0:1], s[0:1]
	s_cbranch_execz .LBB190_555
.LBB190_575:
	v_cmp_ne_u16_e32 vcc, 0, v5
	s_andn2_b64 s[28:29], s[28:29], exec
	s_and_b64 s[36:37], vcc, exec
	s_or_b64 s[28:29], s[28:29], s[36:37]
	s_or_b64 exec, exec, s[0:1]
	v_mov_b32_e32 v3, 0
	s_and_saveexec_b64 s[0:1], s[28:29]
	s_cbranch_execnz .LBB190_556
	s_branch .LBB190_557
.LBB190_576:
	s_mov_b64 s[26:27], -1
                                        ; implicit-def: $vgpr3
.LBB190_577:
	s_mov_b64 s[28:29], 0
.LBB190_578:
	s_and_b64 vcc, exec, s[28:29]
	s_cbranch_vccz .LBB190_582
; %bb.579:
	s_cmp_eq_u32 s35, 11
	s_cbranch_scc0 .LBB190_581
; %bb.580:
	global_load_ubyte v3, v[0:1], off
	s_mov_b64 s[0:1], -1
	s_mov_b64 s[26:27], 0
	s_waitcnt vmcnt(0)
	v_cmp_ne_u16_e32 vcc, 0, v3
	v_cndmask_b32_e64 v3, 0, 1, vcc
	s_branch .LBB190_582
.LBB190_581:
	s_mov_b64 s[26:27], -1
                                        ; implicit-def: $vgpr3
.LBB190_582:
	s_mov_b64 s[28:29], 0
.LBB190_583:
	s_and_b64 vcc, exec, s[28:29]
	s_cbranch_vccz .LBB190_632
; %bb.584:
	s_and_b32 s28, 0xffff, s34
	s_cmp_lt_i32 s28, 5
	s_cbranch_scc1 .LBB190_589
; %bb.585:
	s_cmp_lt_i32 s28, 8
	s_cbranch_scc1 .LBB190_590
; %bb.586:
	;; [unrolled: 3-line block ×3, first 2 shown]
	s_cmp_gt_i32 s28, 9
	s_cbranch_scc0 .LBB190_592
; %bb.588:
	global_load_dwordx2 v[5:6], v[0:1], off
	s_mov_b64 s[0:1], 0
	s_waitcnt vmcnt(0)
	v_cvt_i32_f64_e32 v3, v[5:6]
	s_branch .LBB190_593
.LBB190_589:
	s_mov_b64 s[0:1], -1
                                        ; implicit-def: $vgpr3
	s_branch .LBB190_611
.LBB190_590:
	s_mov_b64 s[0:1], -1
                                        ; implicit-def: $vgpr3
	s_branch .LBB190_599
.LBB190_591:
	s_mov_b64 s[0:1], -1
                                        ; implicit-def: $vgpr3
	s_branch .LBB190_596
.LBB190_592:
	s_mov_b64 s[0:1], -1
                                        ; implicit-def: $vgpr3
.LBB190_593:
	s_andn2_b64 vcc, exec, s[0:1]
	s_cbranch_vccnz .LBB190_595
; %bb.594:
	global_load_dword v3, v[0:1], off
	s_waitcnt vmcnt(0)
	v_cvt_i32_f32_e32 v3, v3
.LBB190_595:
	s_mov_b64 s[0:1], 0
.LBB190_596:
	s_andn2_b64 vcc, exec, s[0:1]
	s_cbranch_vccnz .LBB190_598
; %bb.597:
	global_load_dword v3, v[0:1], off
	s_waitcnt vmcnt(0)
	v_cvt_f32_f16_e32 v3, v3
	v_cvt_i32_f32_e32 v3, v3
.LBB190_598:
	s_mov_b64 s[0:1], 0
.LBB190_599:
	s_andn2_b64 vcc, exec, s[0:1]
	s_cbranch_vccnz .LBB190_610
; %bb.600:
	s_cmp_lt_i32 s28, 6
	s_cbranch_scc1 .LBB190_603
; %bb.601:
	s_cmp_gt_i32 s28, 6
	s_cbranch_scc0 .LBB190_604
; %bb.602:
	global_load_dwordx2 v[5:6], v[0:1], off
	s_mov_b64 s[0:1], 0
	s_waitcnt vmcnt(0)
	v_cvt_i32_f64_e32 v3, v[5:6]
	s_branch .LBB190_605
.LBB190_603:
	s_mov_b64 s[0:1], -1
                                        ; implicit-def: $vgpr3
	s_branch .LBB190_608
.LBB190_604:
	s_mov_b64 s[0:1], -1
                                        ; implicit-def: $vgpr3
.LBB190_605:
	s_andn2_b64 vcc, exec, s[0:1]
	s_cbranch_vccnz .LBB190_607
; %bb.606:
	global_load_dword v3, v[0:1], off
	s_waitcnt vmcnt(0)
	v_cvt_i32_f32_e32 v3, v3
.LBB190_607:
	s_mov_b64 s[0:1], 0
.LBB190_608:
	s_andn2_b64 vcc, exec, s[0:1]
	s_cbranch_vccnz .LBB190_610
; %bb.609:
	global_load_ushort v3, v[0:1], off
	s_waitcnt vmcnt(0)
	v_cvt_f32_f16_e32 v3, v3
	v_cvt_i32_f32_e32 v3, v3
.LBB190_610:
	s_mov_b64 s[0:1], 0
.LBB190_611:
	s_andn2_b64 vcc, exec, s[0:1]
	s_cbranch_vccnz .LBB190_631
; %bb.612:
	s_cmp_lt_i32 s28, 2
	s_cbranch_scc1 .LBB190_616
; %bb.613:
	s_cmp_lt_i32 s28, 3
	s_cbranch_scc1 .LBB190_617
; %bb.614:
	s_cmp_gt_i32 s28, 3
	s_cbranch_scc0 .LBB190_618
; %bb.615:
	global_load_dword v3, v[0:1], off
	s_mov_b64 s[0:1], 0
	s_branch .LBB190_619
.LBB190_616:
	s_mov_b64 s[0:1], -1
                                        ; implicit-def: $vgpr3
	s_branch .LBB190_625
.LBB190_617:
	s_mov_b64 s[0:1], -1
                                        ; implicit-def: $vgpr3
	s_branch .LBB190_622
.LBB190_618:
	s_mov_b64 s[0:1], -1
                                        ; implicit-def: $vgpr3
.LBB190_619:
	s_andn2_b64 vcc, exec, s[0:1]
	s_cbranch_vccnz .LBB190_621
; %bb.620:
	global_load_dword v3, v[0:1], off
.LBB190_621:
	s_mov_b64 s[0:1], 0
.LBB190_622:
	s_andn2_b64 vcc, exec, s[0:1]
	s_cbranch_vccnz .LBB190_624
; %bb.623:
	global_load_sshort v3, v[0:1], off
.LBB190_624:
	s_mov_b64 s[0:1], 0
.LBB190_625:
	s_andn2_b64 vcc, exec, s[0:1]
	s_cbranch_vccnz .LBB190_631
; %bb.626:
	s_cmp_gt_i32 s28, 0
	s_cbranch_scc0 .LBB190_628
; %bb.627:
	global_load_sbyte v3, v[0:1], off
	s_mov_b64 s[0:1], 0
	s_branch .LBB190_629
.LBB190_628:
	s_mov_b64 s[0:1], -1
                                        ; implicit-def: $vgpr3
.LBB190_629:
	s_andn2_b64 vcc, exec, s[0:1]
	s_cbranch_vccnz .LBB190_631
; %bb.630:
	global_load_ubyte v3, v[0:1], off
.LBB190_631:
	s_mov_b64 s[0:1], -1
.LBB190_632:
	s_andn2_b64 vcc, exec, s[0:1]
	s_cbranch_vccnz .LBB190_640
; %bb.633:
	v_mul_lo_u32 v1, v4, s12
	s_waitcnt vmcnt(0)
	v_min_u32_e32 v0, 31, v3
	v_mov_b32_e32 v3, s9
	v_ashrrev_i32_e32 v0, v0, v2
	v_ashrrev_i32_e32 v5, 31, v1
	s_and_b32 s38, s33, 0xff
	v_add_co_u32_e32 v2, vcc, s8, v1
	s_cmp_lt_i32 s38, 11
	v_addc_co_u32_e32 v3, vcc, v3, v5, vcc
	s_cbranch_scc1 .LBB190_641
; %bb.634:
	s_and_b32 s39, 0xffff, s38
	s_cmp_gt_i32 s39, 25
	s_cbranch_scc0 .LBB190_642
; %bb.635:
	s_cmp_gt_i32 s39, 28
	s_cbranch_scc0 .LBB190_643
; %bb.636:
	;; [unrolled: 3-line block ×4, first 2 shown]
	s_mov_b64 s[34:35], 0
	s_mov_b64 s[0:1], -1
	s_cmp_eq_u32 s39, 46
	s_mov_b64 s[28:29], 0
	s_cbranch_scc0 .LBB190_646
; %bb.639:
	v_cvt_f32_i32_e32 v1, v0
	s_movk_i32 s0, 0x7fff
	s_mov_b64 s[28:29], -1
	v_bfe_u32 v5, v1, 16, 1
	v_add3_u32 v1, v1, v5, s0
	v_lshrrev_b32_e32 v1, 16, v1
	global_store_dword v[2:3], v1, off
	s_mov_b64 s[0:1], 0
	s_branch .LBB190_646
.LBB190_640:
	s_mov_b64 s[34:35], 0
                                        ; implicit-def: $vgpr4
	s_mov_b64 s[0:1], s[6:7]
	s_branch .LBB190_756
.LBB190_641:
	s_mov_b64 s[34:35], -1
	s_mov_b64 s[28:29], 0
	s_mov_b64 s[0:1], s[6:7]
	s_branch .LBB190_715
.LBB190_642:
	s_mov_b64 s[34:35], -1
	s_mov_b64 s[28:29], 0
	s_mov_b64 s[0:1], s[6:7]
	s_branch .LBB190_673
.LBB190_643:
	s_mov_b64 s[34:35], -1
	s_mov_b64 s[28:29], 0
	s_mov_b64 s[0:1], s[6:7]
	s_branch .LBB190_656
.LBB190_644:
	s_mov_b64 s[34:35], -1
	s_mov_b64 s[28:29], 0
	s_mov_b64 s[0:1], s[6:7]
	s_branch .LBB190_652
.LBB190_645:
	s_mov_b64 s[34:35], -1
	s_mov_b64 s[28:29], 0
	s_mov_b64 s[0:1], s[6:7]
.LBB190_646:
	s_and_b64 vcc, exec, s[34:35]
	s_cbranch_vccz .LBB190_651
; %bb.647:
	s_cmp_eq_u32 s39, 44
	s_mov_b64 s[0:1], -1
	s_cbranch_scc0 .LBB190_651
; %bb.648:
	v_cvt_f32_i32_e32 v1, v0
	s_movk_i32 s0, 0xff
	v_mov_b32_e32 v6, 0xff
	v_bfe_u32 v5, v1, 23, 8
	v_cmp_ne_u32_e32 vcc, s0, v5
	s_and_saveexec_b64 s[28:29], vcc
; %bb.649:
	s_mov_b32 s0, 0x3fffff
	v_lshrrev_b32_e32 v6, 23, v1
	v_and_b32_e32 v7, 0x400000, v1
	v_and_or_b32 v1, v1, s0, v5
	v_cmp_ne_u32_e32 vcc, 0, v7
	v_cmp_ne_u32_e64 s[0:1], 0, v1
	s_and_b64 s[0:1], vcc, s[0:1]
	v_cndmask_b32_e64 v1, 0, 1, s[0:1]
	v_add_u32_e32 v6, v6, v1
; %bb.650:
	s_or_b64 exec, exec, s[28:29]
	s_mov_b64 s[28:29], -1
	s_mov_b64 s[0:1], 0
	global_store_byte v[2:3], v6, off
.LBB190_651:
	s_mov_b64 s[34:35], 0
.LBB190_652:
	s_and_b64 vcc, exec, s[34:35]
	s_cbranch_vccz .LBB190_655
; %bb.653:
	s_cmp_eq_u32 s39, 29
	s_mov_b64 s[0:1], -1
	s_cbranch_scc0 .LBB190_655
; %bb.654:
	v_ashrrev_i32_e32 v1, 31, v0
	global_store_dwordx2 v[2:3], v[0:1], off
	s_mov_b64 s[28:29], -1
	s_mov_b64 s[0:1], 0
.LBB190_655:
	s_mov_b64 s[34:35], 0
.LBB190_656:
	s_and_b64 vcc, exec, s[34:35]
	s_cbranch_vccz .LBB190_672
; %bb.657:
	s_cmp_lt_i32 s39, 27
	s_mov_b64 s[28:29], -1
	s_cbranch_scc1 .LBB190_663
; %bb.658:
	s_cmp_gt_i32 s39, 27
	s_cbranch_scc0 .LBB190_660
; %bb.659:
	s_mov_b64 s[28:29], 0
	global_store_dword v[2:3], v0, off
.LBB190_660:
	s_andn2_b64 vcc, exec, s[28:29]
	s_cbranch_vccnz .LBB190_662
; %bb.661:
	global_store_short v[2:3], v0, off
.LBB190_662:
	s_mov_b64 s[28:29], 0
.LBB190_663:
	s_andn2_b64 vcc, exec, s[28:29]
	s_cbranch_vccnz .LBB190_671
; %bb.664:
	v_cvt_f32_i32_e32 v1, v0
	s_mov_b32 s28, 0x43800000
	v_mov_b32_e32 v6, 0x80
	v_and_b32_e32 v5, 0x7fffffff, v1
	v_cmp_gt_u32_e32 vcc, s28, v5
	s_and_saveexec_b64 s[28:29], vcc
	s_cbranch_execz .LBB190_670
; %bb.665:
	s_mov_b32 s34, 0x3bffffff
	v_cmp_lt_u32_e32 vcc, s34, v5
	s_mov_b64 s[34:35], 0
                                        ; implicit-def: $vgpr5
	s_and_saveexec_b64 s[36:37], vcc
	s_xor_b64 s[36:37], exec, s[36:37]
	s_cbranch_execz .LBB190_772
; %bb.666:
	v_bfe_u32 v5, v1, 20, 1
	s_mov_b32 s40, 0x487ffff
	v_add3_u32 v5, v1, v5, s40
	s_mov_b64 s[34:35], exec
	v_lshrrev_b32_e32 v5, 20, v5
	s_andn2_saveexec_b64 s[36:37], s[36:37]
	s_cbranch_execnz .LBB190_773
.LBB190_667:
	s_or_b64 exec, exec, s[36:37]
	v_mov_b32_e32 v6, 0
	s_and_saveexec_b64 s[36:37], s[34:35]
.LBB190_668:
	v_lshrrev_b32_e32 v1, 24, v1
	s_movk_i32 s34, 0x80
	v_and_or_b32 v6, v1, s34, v5
.LBB190_669:
	s_or_b64 exec, exec, s[36:37]
.LBB190_670:
	s_or_b64 exec, exec, s[28:29]
	global_store_byte v[2:3], v6, off
.LBB190_671:
	s_mov_b64 s[28:29], -1
.LBB190_672:
	s_mov_b64 s[34:35], 0
.LBB190_673:
	s_and_b64 vcc, exec, s[34:35]
	s_cbranch_vccz .LBB190_714
; %bb.674:
	s_cmp_gt_i32 s39, 22
	s_mov_b64 s[34:35], -1
	s_cbranch_scc0 .LBB190_706
; %bb.675:
	s_cmp_lt_i32 s39, 24
	s_mov_b64 s[28:29], -1
	s_cbranch_scc1 .LBB190_695
; %bb.676:
	s_cmp_gt_i32 s39, 24
	s_cbranch_scc0 .LBB190_684
; %bb.677:
	v_cvt_f32_i32_e32 v1, v0
	s_mov_b32 s28, 0x47800000
	v_mov_b32_e32 v6, 0x80
	v_and_b32_e32 v5, 0x7fffffff, v1
	v_cmp_gt_u32_e32 vcc, s28, v5
	s_and_saveexec_b64 s[28:29], vcc
	s_cbranch_execz .LBB190_683
; %bb.678:
	s_mov_b32 s34, 0x37ffffff
	v_cmp_lt_u32_e32 vcc, s34, v5
	s_mov_b64 s[34:35], 0
                                        ; implicit-def: $vgpr5
	s_and_saveexec_b64 s[36:37], vcc
	s_xor_b64 s[36:37], exec, s[36:37]
	s_cbranch_execz .LBB190_900
; %bb.679:
	v_bfe_u32 v5, v1, 21, 1
	s_mov_b32 s40, 0x88fffff
	v_add3_u32 v5, v1, v5, s40
	s_mov_b64 s[34:35], exec
	v_lshrrev_b32_e32 v5, 21, v5
	s_andn2_saveexec_b64 s[36:37], s[36:37]
	s_cbranch_execnz .LBB190_901
.LBB190_680:
	s_or_b64 exec, exec, s[36:37]
	v_mov_b32_e32 v6, 0
	s_and_saveexec_b64 s[36:37], s[34:35]
.LBB190_681:
	v_lshrrev_b32_e32 v1, 24, v1
	s_movk_i32 s34, 0x80
	v_and_or_b32 v6, v1, s34, v5
.LBB190_682:
	s_or_b64 exec, exec, s[36:37]
.LBB190_683:
	s_or_b64 exec, exec, s[28:29]
	s_mov_b64 s[28:29], 0
	global_store_byte v[2:3], v6, off
.LBB190_684:
	s_and_b64 vcc, exec, s[28:29]
	s_cbranch_vccz .LBB190_694
; %bb.685:
	v_cvt_f32_i32_e32 v1, v0
	s_mov_b32 s28, 0x43f00000
                                        ; implicit-def: $vgpr5
	v_and_b32_e32 v6, 0x7fffffff, v1
	v_cmp_gt_u32_e32 vcc, s28, v6
	s_and_saveexec_b64 s[28:29], vcc
	s_xor_b64 s[28:29], exec, s[28:29]
	s_cbranch_execz .LBB190_691
; %bb.686:
	s_mov_b32 s34, 0x3c7fffff
	v_cmp_lt_u32_e32 vcc, s34, v6
                                        ; implicit-def: $vgpr5
	s_and_saveexec_b64 s[34:35], vcc
	s_xor_b64 s[34:35], exec, s[34:35]
; %bb.687:
	v_bfe_u32 v5, v1, 20, 1
	s_mov_b32 s36, 0x407ffff
	v_add3_u32 v5, v1, v5, s36
	v_lshrrev_b32_e32 v6, 20, v5
	v_and_b32_e32 v5, 0xff00000, v5
	s_mov_b32 s36, 0x7f00000
	v_mov_b32_e32 v7, 0x7e
	v_cmp_ne_u32_e32 vcc, s36, v5
	v_cndmask_b32_e32 v5, v7, v6, vcc
; %bb.688:
	s_andn2_saveexec_b64 s[34:35], s[34:35]
; %bb.689:
	s_mov_b32 s36, 0x46800000
	v_add_f32_e64 v5, |v1|, s36
; %bb.690:
	s_or_b64 exec, exec, s[34:35]
                                        ; implicit-def: $vgpr6
.LBB190_691:
	s_andn2_saveexec_b64 s[28:29], s[28:29]
; %bb.692:
	s_mov_b32 s34, 0x7f800000
	v_mov_b32_e32 v5, 0x7e
	v_mov_b32_e32 v7, 0x7f
	v_cmp_lt_u32_e32 vcc, s34, v6
	v_cndmask_b32_e32 v5, v5, v7, vcc
; %bb.693:
	s_or_b64 exec, exec, s[28:29]
	v_lshrrev_b32_e32 v1, 24, v1
	s_movk_i32 s28, 0x80
	v_and_or_b32 v1, v1, s28, v5
	global_store_byte v[2:3], v1, off
.LBB190_694:
	s_mov_b64 s[28:29], 0
.LBB190_695:
	s_andn2_b64 vcc, exec, s[28:29]
	s_cbranch_vccnz .LBB190_705
; %bb.696:
	v_cvt_f32_i32_e32 v1, v0
	s_mov_b32 s28, 0x47800000
                                        ; implicit-def: $vgpr5
	v_and_b32_e32 v6, 0x7fffffff, v1
	v_cmp_gt_u32_e32 vcc, s28, v6
	s_and_saveexec_b64 s[28:29], vcc
	s_xor_b64 s[28:29], exec, s[28:29]
	s_cbranch_execz .LBB190_702
; %bb.697:
	s_mov_b32 s34, 0x387fffff
	v_cmp_lt_u32_e32 vcc, s34, v6
                                        ; implicit-def: $vgpr5
	s_and_saveexec_b64 s[34:35], vcc
	s_xor_b64 s[34:35], exec, s[34:35]
; %bb.698:
	v_bfe_u32 v5, v1, 21, 1
	s_mov_b32 s36, 0x80fffff
	v_add3_u32 v5, v1, v5, s36
	v_lshrrev_b32_e32 v5, 21, v5
; %bb.699:
	s_andn2_saveexec_b64 s[34:35], s[34:35]
; %bb.700:
	s_mov_b32 s36, 0x43000000
	v_add_f32_e64 v5, |v1|, s36
; %bb.701:
	s_or_b64 exec, exec, s[34:35]
                                        ; implicit-def: $vgpr6
.LBB190_702:
	s_andn2_saveexec_b64 s[28:29], s[28:29]
; %bb.703:
	s_mov_b32 s34, 0x7f800000
	v_mov_b32_e32 v5, 0x7c
	v_mov_b32_e32 v7, 0x7f
	v_cmp_lt_u32_e32 vcc, s34, v6
	v_cndmask_b32_e32 v5, v5, v7, vcc
; %bb.704:
	s_or_b64 exec, exec, s[28:29]
	v_lshrrev_b32_e32 v1, 24, v1
	s_movk_i32 s28, 0x80
	v_and_or_b32 v1, v1, s28, v5
	global_store_byte v[2:3], v1, off
.LBB190_705:
	s_mov_b64 s[34:35], 0
	s_mov_b64 s[28:29], -1
.LBB190_706:
	s_andn2_b64 vcc, exec, s[34:35]
	s_cbranch_vccnz .LBB190_714
; %bb.707:
	s_cmp_gt_i32 s39, 14
	s_mov_b64 s[34:35], -1
	s_cbranch_scc0 .LBB190_711
; %bb.708:
	s_cmp_eq_u32 s39, 15
	s_mov_b64 s[0:1], -1
	s_cbranch_scc0 .LBB190_710
; %bb.709:
	v_cvt_f32_i32_e32 v1, v0
	s_movk_i32 s0, 0x7fff
	s_mov_b64 s[28:29], -1
	v_bfe_u32 v5, v1, 16, 1
	v_add3_u32 v1, v1, v5, s0
	global_store_short_d16_hi v[2:3], v1, off
	s_mov_b64 s[0:1], 0
.LBB190_710:
	s_mov_b64 s[34:35], 0
.LBB190_711:
	s_and_b64 vcc, exec, s[34:35]
	s_cbranch_vccz .LBB190_714
; %bb.712:
	s_cmp_eq_u32 s39, 11
	s_mov_b64 s[0:1], -1
	s_cbranch_scc0 .LBB190_714
; %bb.713:
	v_cmp_ne_u32_e32 vcc, 0, v0
	v_cndmask_b32_e64 v1, 0, 1, vcc
	s_mov_b64 s[28:29], -1
	s_mov_b64 s[0:1], 0
	global_store_byte v[2:3], v1, off
.LBB190_714:
	s_mov_b64 s[34:35], 0
.LBB190_715:
	s_and_b64 vcc, exec, s[34:35]
	s_cbranch_vccz .LBB190_754
; %bb.716:
	s_and_b32 s34, 0xffff, s38
	s_cmp_lt_i32 s34, 5
	s_mov_b64 s[28:29], -1
	s_cbranch_scc1 .LBB190_737
; %bb.717:
	s_cmp_lt_i32 s34, 8
	s_cbranch_scc1 .LBB190_727
; %bb.718:
	s_cmp_lt_i32 s34, 9
	s_cbranch_scc1 .LBB190_724
; %bb.719:
	s_cmp_gt_i32 s34, 9
	s_cbranch_scc0 .LBB190_721
; %bb.720:
	v_cvt_f64_i32_e32 v[5:6], v0
	v_mov_b32_e32 v7, 0
	v_mov_b32_e32 v8, v7
	s_mov_b64 s[28:29], 0
	global_store_dwordx4 v[2:3], v[5:8], off
.LBB190_721:
	s_andn2_b64 vcc, exec, s[28:29]
	s_cbranch_vccnz .LBB190_723
; %bb.722:
	v_cvt_f32_i32_e32 v5, v0
	v_mov_b32_e32 v6, 0
	global_store_dwordx2 v[2:3], v[5:6], off
.LBB190_723:
	s_mov_b64 s[28:29], 0
.LBB190_724:
	s_andn2_b64 vcc, exec, s[28:29]
	s_cbranch_vccnz .LBB190_726
; %bb.725:
	v_cvt_f32_i32_e32 v1, v0
	v_cvt_f16_f32_e32 v1, v1
	global_store_dword v[2:3], v1, off
.LBB190_726:
	s_mov_b64 s[28:29], 0
.LBB190_727:
	s_andn2_b64 vcc, exec, s[28:29]
	s_cbranch_vccnz .LBB190_736
; %bb.728:
	s_cmp_lt_i32 s34, 6
	s_mov_b64 s[28:29], -1
	s_cbranch_scc1 .LBB190_734
; %bb.729:
	s_cmp_gt_i32 s34, 6
	s_cbranch_scc0 .LBB190_731
; %bb.730:
	v_cvt_f64_i32_e32 v[5:6], v0
	s_mov_b64 s[28:29], 0
	global_store_dwordx2 v[2:3], v[5:6], off
.LBB190_731:
	s_andn2_b64 vcc, exec, s[28:29]
	s_cbranch_vccnz .LBB190_733
; %bb.732:
	v_cvt_f32_i32_e32 v1, v0
	global_store_dword v[2:3], v1, off
.LBB190_733:
	s_mov_b64 s[28:29], 0
.LBB190_734:
	s_andn2_b64 vcc, exec, s[28:29]
	s_cbranch_vccnz .LBB190_736
; %bb.735:
	v_cvt_f32_i32_e32 v1, v0
	v_cvt_f16_f32_e32 v1, v1
	global_store_short v[2:3], v1, off
.LBB190_736:
	s_mov_b64 s[28:29], 0
.LBB190_737:
	s_andn2_b64 vcc, exec, s[28:29]
	s_cbranch_vccnz .LBB190_753
; %bb.738:
	s_cmp_lt_i32 s34, 2
	s_mov_b64 s[28:29], -1
	s_cbranch_scc1 .LBB190_748
; %bb.739:
	s_cmp_lt_i32 s34, 3
	s_cbranch_scc1 .LBB190_745
; %bb.740:
	s_cmp_gt_i32 s34, 3
	s_cbranch_scc0 .LBB190_742
; %bb.741:
	v_ashrrev_i32_e32 v1, 31, v0
	s_mov_b64 s[28:29], 0
	global_store_dwordx2 v[2:3], v[0:1], off
.LBB190_742:
	s_andn2_b64 vcc, exec, s[28:29]
	s_cbranch_vccnz .LBB190_744
; %bb.743:
	global_store_dword v[2:3], v0, off
.LBB190_744:
	s_mov_b64 s[28:29], 0
.LBB190_745:
	s_andn2_b64 vcc, exec, s[28:29]
	s_cbranch_vccnz .LBB190_747
; %bb.746:
	global_store_short v[2:3], v0, off
.LBB190_747:
	s_mov_b64 s[28:29], 0
.LBB190_748:
	s_andn2_b64 vcc, exec, s[28:29]
	s_cbranch_vccnz .LBB190_753
; %bb.749:
	s_cmp_gt_i32 s34, 0
	s_mov_b64 s[28:29], -1
	s_cbranch_scc0 .LBB190_751
; %bb.750:
	s_mov_b64 s[28:29], 0
	global_store_byte v[2:3], v0, off
.LBB190_751:
	s_andn2_b64 vcc, exec, s[28:29]
	s_cbranch_vccnz .LBB190_753
; %bb.752:
	global_store_byte v[2:3], v0, off
.LBB190_753:
	s_mov_b64 s[28:29], -1
.LBB190_754:
	s_andn2_b64 vcc, exec, s[28:29]
	s_cbranch_vccnz .LBB190_767
; %bb.755:
	v_add_u32_e32 v4, 0x80, v4
	s_mov_b64 s[34:35], -1
.LBB190_756:
	s_andn2_b64 s[28:29], s[6:7], exec
	s_and_b64 s[0:1], s[0:1], exec
	s_or_b64 s[28:29], s[28:29], s[0:1]
	s_andn2_b64 s[0:1], s[18:19], exec
	s_and_b64 s[26:27], s[26:27], exec
	s_or_b64 s[26:27], s[0:1], s[26:27]
	;; [unrolled: 3-line block ×3, first 2 shown]
	s_orn2_b64 s[0:1], s[34:35], exec
.LBB190_757:
	s_or_b64 exec, exec, s[30:31]
	s_mov_b64 s[34:35], 0
	s_mov_b64 s[36:37], 0
	;; [unrolled: 1-line block ×3, first 2 shown]
                                        ; implicit-def: $sgpr55
                                        ; implicit-def: $vgpr0_vgpr1
                                        ; implicit-def: $vgpr5
	s_and_saveexec_b64 s[30:31], s[0:1]
	s_cbranch_execz .LBB190_1219
; %bb.758:
	v_cmp_gt_i32_e32 vcc, s48, v4
	s_mov_b64 s[46:47], -1
	s_mov_b64 s[0:1], s[24:25]
	s_mov_b64 s[38:39], s[26:27]
	;; [unrolled: 1-line block ×3, first 2 shown]
	s_and_saveexec_b64 s[34:35], vcc
	s_cbranch_execz .LBB190_1138
; %bb.759:
	v_mul_lo_u32 v0, v4, s13
	v_mov_b32_e32 v1, s11
	s_and_b32 s40, s54, 0xff
	s_cmp_lt_i32 s40, 11
	s_waitcnt vmcnt(0)
	v_ashrrev_i32_e32 v2, 31, v0
	v_add_co_u32_e32 v0, vcc, s10, v0
	v_addc_co_u32_e32 v1, vcc, v1, v2, vcc
	s_cbranch_scc1 .LBB190_766
; %bb.760:
	s_and_b32 s41, 0xffff, s40
	s_cmp_gt_i32 s41, 25
	s_cbranch_scc0 .LBB190_768
; %bb.761:
	s_cmp_gt_i32 s41, 28
	s_cbranch_scc0 .LBB190_769
; %bb.762:
	;; [unrolled: 3-line block ×4, first 2 shown]
	s_cmp_eq_u32 s41, 46
	s_mov_b64 s[38:39], 0
	s_cbranch_scc0 .LBB190_774
; %bb.765:
	global_load_dword v2, v[0:1], off
	s_mov_b64 s[0:1], -1
	s_waitcnt vmcnt(0)
	v_lshlrev_b32_e32 v2, 16, v2
	v_cvt_i32_f32_e32 v2, v2
	s_branch .LBB190_775
.LBB190_766:
	s_mov_b64 s[38:39], -1
	s_mov_b64 s[0:1], 0
                                        ; implicit-def: $vgpr2
	s_mov_b64 s[36:37], s[24:25]
	s_branch .LBB190_836
.LBB190_767:
	s_mov_b64 s[34:35], 0
	s_branch .LBB190_518
.LBB190_768:
	s_mov_b64 s[38:39], -1
	s_mov_b64 s[0:1], 0
	s_mov_b64 s[36:37], s[24:25]
                                        ; implicit-def: $vgpr2
	s_branch .LBB190_802
.LBB190_769:
	s_mov_b64 s[38:39], -1
	s_mov_b64 s[0:1], 0
	s_mov_b64 s[36:37], s[24:25]
                                        ; implicit-def: $vgpr2
	s_branch .LBB190_785
.LBB190_770:
	s_mov_b64 s[38:39], -1
	s_mov_b64 s[0:1], 0
	s_mov_b64 s[36:37], s[24:25]
                                        ; implicit-def: $vgpr2
	s_branch .LBB190_780
.LBB190_771:
	s_mov_b64 s[38:39], -1
	s_mov_b64 s[0:1], 0
	s_mov_b64 s[36:37], s[24:25]
                                        ; implicit-def: $vgpr2
	s_branch .LBB190_775
.LBB190_772:
	s_andn2_saveexec_b64 s[36:37], s[36:37]
	s_cbranch_execz .LBB190_667
.LBB190_773:
	s_mov_b32 s40, 0x46000000
	v_add_f32_e64 v5, |v1|, s40
	v_and_b32_e32 v5, 0xff, v5
	v_cmp_ne_u32_e32 vcc, 0, v5
	s_andn2_b64 s[34:35], s[34:35], exec
	s_and_b64 s[40:41], vcc, exec
	s_or_b64 s[34:35], s[34:35], s[40:41]
	s_or_b64 exec, exec, s[36:37]
	v_mov_b32_e32 v6, 0
	s_and_saveexec_b64 s[36:37], s[34:35]
	s_cbranch_execnz .LBB190_668
	s_branch .LBB190_669
.LBB190_774:
	s_mov_b64 s[36:37], -1
                                        ; implicit-def: $vgpr2
	s_mov_b64 s[0:1], 0
.LBB190_775:
	s_and_b64 vcc, exec, s[38:39]
	s_cbranch_vccz .LBB190_779
; %bb.776:
	s_cmp_eq_u32 s41, 44
	s_cbranch_scc0 .LBB190_778
; %bb.777:
	global_load_ubyte v2, v[0:1], off
	s_mov_b64 s[0:1], -1
	s_mov_b64 s[36:37], 0
	s_waitcnt vmcnt(0)
	v_lshlrev_b32_e32 v3, 23, v2
	v_cvt_i32_f32_e32 v3, v3
	v_cmp_ne_u32_e32 vcc, 0, v2
	v_cndmask_b32_e32 v2, 0, v3, vcc
	s_branch .LBB190_779
.LBB190_778:
	s_mov_b64 s[36:37], -1
                                        ; implicit-def: $vgpr2
.LBB190_779:
	s_mov_b64 s[38:39], 0
.LBB190_780:
	s_and_b64 vcc, exec, s[38:39]
	s_cbranch_vccz .LBB190_784
; %bb.781:
	s_cmp_eq_u32 s41, 29
	s_cbranch_scc0 .LBB190_783
; %bb.782:
	global_load_dword v2, v[0:1], off
	s_mov_b64 s[0:1], -1
	s_mov_b64 s[36:37], 0
	s_branch .LBB190_784
.LBB190_783:
	s_mov_b64 s[36:37], -1
                                        ; implicit-def: $vgpr2
.LBB190_784:
	s_mov_b64 s[38:39], 0
.LBB190_785:
	s_and_b64 vcc, exec, s[38:39]
	s_cbranch_vccz .LBB190_801
; %bb.786:
	s_cmp_lt_i32 s41, 27
	s_cbranch_scc1 .LBB190_789
; %bb.787:
	s_cmp_gt_i32 s41, 27
	s_cbranch_scc0 .LBB190_790
; %bb.788:
	global_load_dword v2, v[0:1], off
	s_mov_b64 s[0:1], 0
	s_branch .LBB190_791
.LBB190_789:
	s_mov_b64 s[0:1], -1
                                        ; implicit-def: $vgpr2
	s_branch .LBB190_794
.LBB190_790:
	s_mov_b64 s[0:1], -1
                                        ; implicit-def: $vgpr2
.LBB190_791:
	s_andn2_b64 vcc, exec, s[0:1]
	s_cbranch_vccnz .LBB190_793
; %bb.792:
	global_load_ushort v2, v[0:1], off
.LBB190_793:
	s_mov_b64 s[0:1], 0
.LBB190_794:
	s_andn2_b64 vcc, exec, s[0:1]
	s_cbranch_vccnz .LBB190_800
; %bb.795:
	global_load_ubyte v3, v[0:1], off
	s_movk_i32 s0, 0x7f
	s_mov_b64 s[38:39], 0
	s_waitcnt vmcnt(0)
	v_cmp_lt_i16_e32 vcc, s0, v3
	s_and_saveexec_b64 s[0:1], vcc
	s_xor_b64 s[0:1], exec, s[0:1]
	s_cbranch_execz .LBB190_812
; %bb.796:
	s_movk_i32 s38, 0x80
	v_cmp_ne_u16_e32 vcc, s38, v3
	s_and_b64 s[38:39], vcc, exec
	s_andn2_saveexec_b64 s[0:1], s[0:1]
	s_cbranch_execnz .LBB190_813
.LBB190_797:
	s_or_b64 exec, exec, s[0:1]
	v_mov_b32_e32 v2, 0
	s_and_saveexec_b64 s[0:1], s[38:39]
	s_cbranch_execz .LBB190_799
.LBB190_798:
	v_lshlrev_b32_e32 v2, 24, v3
	v_and_b32_e32 v3, 0xffff, v3
	v_and_b32_e32 v5, 7, v3
	v_ffbh_u32_e32 v7, v5
	v_min_u32_e32 v7, 32, v7
	v_subrev_u32_e32 v8, 28, v7
	v_bfe_u32 v6, v3, 3, 4
	v_lshlrev_b32_e32 v3, v8, v3
	v_sub_u32_e32 v7, 29, v7
	v_and_b32_e32 v3, 7, v3
	v_cmp_eq_u32_e32 vcc, 0, v6
	v_cndmask_b32_e32 v6, v6, v7, vcc
	v_cndmask_b32_e32 v3, v5, v3, vcc
	v_mov_b32_e32 v5, 0x3b800000
	v_lshlrev_b32_e32 v3, 20, v3
	v_and_b32_e32 v2, 0x80000000, v2
	v_lshl_add_u32 v5, v6, 23, v5
	v_or3_b32 v2, v2, v5, v3
	v_cvt_i32_f32_e32 v2, v2
.LBB190_799:
	s_or_b64 exec, exec, s[0:1]
.LBB190_800:
	s_mov_b64 s[0:1], -1
.LBB190_801:
	s_mov_b64 s[38:39], 0
.LBB190_802:
	s_and_b64 vcc, exec, s[38:39]
	s_cbranch_vccz .LBB190_835
; %bb.803:
	s_cmp_gt_i32 s41, 22
	s_cbranch_scc0 .LBB190_811
; %bb.804:
	s_cmp_lt_i32 s41, 24
	s_cbranch_scc1 .LBB190_814
; %bb.805:
	s_cmp_gt_i32 s41, 24
	s_cbranch_scc0 .LBB190_815
; %bb.806:
	global_load_ubyte v3, v[0:1], off
	s_movk_i32 s0, 0x7f
	s_mov_b64 s[38:39], 0
	s_waitcnt vmcnt(0)
	v_cmp_lt_i16_e32 vcc, s0, v3
	s_and_saveexec_b64 s[0:1], vcc
	s_xor_b64 s[0:1], exec, s[0:1]
	s_cbranch_execz .LBB190_827
; %bb.807:
	s_movk_i32 s38, 0x80
	v_cmp_ne_u16_e32 vcc, s38, v3
	s_and_b64 s[38:39], vcc, exec
	s_andn2_saveexec_b64 s[0:1], s[0:1]
	s_cbranch_execnz .LBB190_828
.LBB190_808:
	s_or_b64 exec, exec, s[0:1]
	v_mov_b32_e32 v2, 0
	s_and_saveexec_b64 s[0:1], s[38:39]
	s_cbranch_execz .LBB190_810
.LBB190_809:
	v_lshlrev_b32_e32 v2, 24, v3
	v_and_b32_e32 v3, 0xffff, v3
	v_and_b32_e32 v5, 3, v3
	v_ffbh_u32_e32 v7, v5
	v_min_u32_e32 v7, 32, v7
	v_subrev_u32_e32 v8, 29, v7
	v_bfe_u32 v6, v3, 2, 5
	v_lshlrev_b32_e32 v3, v8, v3
	v_sub_u32_e32 v7, 30, v7
	v_and_b32_e32 v3, 3, v3
	v_cmp_eq_u32_e32 vcc, 0, v6
	v_cndmask_b32_e32 v6, v6, v7, vcc
	v_cndmask_b32_e32 v3, v5, v3, vcc
	v_mov_b32_e32 v5, 0x37800000
	v_lshlrev_b32_e32 v3, 21, v3
	v_and_b32_e32 v2, 0x80000000, v2
	v_lshl_add_u32 v5, v6, 23, v5
	v_or3_b32 v2, v2, v5, v3
	v_cvt_i32_f32_e32 v2, v2
.LBB190_810:
	s_or_b64 exec, exec, s[0:1]
	s_mov_b64 s[0:1], 0
	s_branch .LBB190_816
.LBB190_811:
	s_mov_b64 s[38:39], -1
                                        ; implicit-def: $vgpr2
	s_branch .LBB190_822
.LBB190_812:
	s_andn2_saveexec_b64 s[0:1], s[0:1]
	s_cbranch_execz .LBB190_797
.LBB190_813:
	v_cmp_ne_u16_e32 vcc, 0, v3
	s_andn2_b64 s[38:39], s[38:39], exec
	s_and_b64 s[42:43], vcc, exec
	s_or_b64 s[38:39], s[38:39], s[42:43]
	s_or_b64 exec, exec, s[0:1]
	v_mov_b32_e32 v2, 0
	s_and_saveexec_b64 s[0:1], s[38:39]
	s_cbranch_execnz .LBB190_798
	s_branch .LBB190_799
.LBB190_814:
	s_mov_b64 s[0:1], -1
                                        ; implicit-def: $vgpr2
	s_branch .LBB190_819
.LBB190_815:
	s_mov_b64 s[0:1], -1
                                        ; implicit-def: $vgpr2
.LBB190_816:
	s_and_b64 vcc, exec, s[0:1]
	s_cbranch_vccz .LBB190_818
; %bb.817:
	global_load_ubyte v2, v[0:1], off
	s_mov_b32 s0, 0x7f800000
	s_waitcnt vmcnt(0)
	v_lshlrev_b32_e32 v2, 24, v2
	v_and_b32_e32 v3, 0x7f000000, v2
	v_ffbh_u32_e32 v5, v3
	v_min_u32_e32 v5, 32, v5
	v_sub_u32_e64 v5, v5, 4 clamp
	v_lshlrev_b32_e32 v7, v5, v3
	v_lshlrev_b32_e32 v5, 23, v5
	v_lshrrev_b32_e32 v7, 4, v7
	v_add_u32_e32 v6, 0x1000000, v3
	v_sub_u32_e32 v5, v7, v5
	v_ashrrev_i32_e32 v6, 8, v6
	v_add_u32_e32 v5, 0x3c000000, v5
	v_and_or_b32 v5, v6, s0, v5
	v_cmp_ne_u32_e32 vcc, 0, v3
	v_cndmask_b32_e32 v3, 0, v5, vcc
	s_brev_b32 s0, 1
	v_and_or_b32 v2, v2, s0, v3
	v_cvt_i32_f32_e32 v2, v2
.LBB190_818:
	s_mov_b64 s[0:1], 0
.LBB190_819:
	s_andn2_b64 vcc, exec, s[0:1]
	s_cbranch_vccnz .LBB190_821
; %bb.820:
	global_load_ubyte v2, v[0:1], off
	s_movk_i32 s0, 0x7f00
	s_brev_b32 s1, 16
	s_waitcnt vmcnt(0)
	v_lshlrev_b16_e32 v3, 8, v2
	v_lshlrev_b32_e32 v2, 25, v2
	v_lshrrev_b32_e32 v5, 4, v2
	v_and_or_b32 v6, v3, s0, 0.5
	v_or_b32_e32 v5, 0x70000000, v5
	v_add_f32_e32 v6, -0.5, v6
	v_mul_f32_e32 v5, 0x7800000, v5
	v_cmp_gt_u32_e32 vcc, s1, v2
	v_bfe_i32 v3, v3, 0, 16
	v_cndmask_b32_e32 v2, v5, v6, vcc
	s_brev_b32 s0, 1
	v_and_or_b32 v2, v3, s0, v2
	v_cvt_i32_f32_e32 v2, v2
.LBB190_821:
	s_mov_b64 s[38:39], 0
	s_mov_b64 s[0:1], -1
.LBB190_822:
	s_andn2_b64 vcc, exec, s[38:39]
	s_cbranch_vccnz .LBB190_835
; %bb.823:
	s_cmp_gt_i32 s41, 14
	s_cbranch_scc0 .LBB190_826
; %bb.824:
	s_cmp_eq_u32 s41, 15
	s_cbranch_scc0 .LBB190_829
; %bb.825:
	global_load_ushort v2, v[0:1], off
	s_mov_b64 s[0:1], -1
	s_mov_b64 s[36:37], 0
	s_waitcnt vmcnt(0)
	v_lshlrev_b32_e32 v2, 16, v2
	v_cvt_i32_f32_e32 v2, v2
	s_branch .LBB190_830
.LBB190_826:
	s_mov_b64 s[38:39], -1
                                        ; implicit-def: $vgpr2
	s_branch .LBB190_831
.LBB190_827:
	s_andn2_saveexec_b64 s[0:1], s[0:1]
	s_cbranch_execz .LBB190_808
.LBB190_828:
	v_cmp_ne_u16_e32 vcc, 0, v3
	s_andn2_b64 s[38:39], s[38:39], exec
	s_and_b64 s[42:43], vcc, exec
	s_or_b64 s[38:39], s[38:39], s[42:43]
	s_or_b64 exec, exec, s[0:1]
	v_mov_b32_e32 v2, 0
	s_and_saveexec_b64 s[0:1], s[38:39]
	s_cbranch_execnz .LBB190_809
	s_branch .LBB190_810
.LBB190_829:
	s_mov_b64 s[36:37], -1
                                        ; implicit-def: $vgpr2
.LBB190_830:
	s_mov_b64 s[38:39], 0
.LBB190_831:
	s_and_b64 vcc, exec, s[38:39]
	s_cbranch_vccz .LBB190_835
; %bb.832:
	s_cmp_eq_u32 s41, 11
	s_cbranch_scc0 .LBB190_834
; %bb.833:
	global_load_ubyte v2, v[0:1], off
	s_mov_b64 s[0:1], -1
	s_mov_b64 s[36:37], 0
	s_waitcnt vmcnt(0)
	v_cmp_ne_u16_e32 vcc, 0, v2
	v_cndmask_b32_e64 v2, 0, 1, vcc
	s_branch .LBB190_835
.LBB190_834:
	s_mov_b64 s[36:37], -1
                                        ; implicit-def: $vgpr2
.LBB190_835:
	s_mov_b64 s[38:39], 0
.LBB190_836:
	s_and_b64 vcc, exec, s[38:39]
	s_cbranch_vccz .LBB190_885
; %bb.837:
	s_and_b32 s38, 0xffff, s40
	s_cmp_lt_i32 s38, 5
	s_cbranch_scc1 .LBB190_842
; %bb.838:
	s_cmp_lt_i32 s38, 8
	s_cbranch_scc1 .LBB190_843
; %bb.839:
	;; [unrolled: 3-line block ×3, first 2 shown]
	s_cmp_gt_i32 s38, 9
	s_cbranch_scc0 .LBB190_845
; %bb.841:
	global_load_dwordx2 v[2:3], v[0:1], off
	s_mov_b64 s[0:1], 0
	s_waitcnt vmcnt(0)
	v_cvt_i32_f64_e32 v2, v[2:3]
	s_branch .LBB190_846
.LBB190_842:
	s_mov_b64 s[0:1], -1
                                        ; implicit-def: $vgpr2
	s_branch .LBB190_864
.LBB190_843:
	s_mov_b64 s[0:1], -1
                                        ; implicit-def: $vgpr2
	s_branch .LBB190_852
.LBB190_844:
	s_mov_b64 s[0:1], -1
                                        ; implicit-def: $vgpr2
	s_branch .LBB190_849
.LBB190_845:
	s_mov_b64 s[0:1], -1
                                        ; implicit-def: $vgpr2
.LBB190_846:
	s_andn2_b64 vcc, exec, s[0:1]
	s_cbranch_vccnz .LBB190_848
; %bb.847:
	global_load_dword v2, v[0:1], off
	s_waitcnt vmcnt(0)
	v_cvt_i32_f32_e32 v2, v2
.LBB190_848:
	s_mov_b64 s[0:1], 0
.LBB190_849:
	s_andn2_b64 vcc, exec, s[0:1]
	s_cbranch_vccnz .LBB190_851
; %bb.850:
	global_load_dword v2, v[0:1], off
	s_waitcnt vmcnt(0)
	v_cvt_f32_f16_e32 v2, v2
	v_cvt_i32_f32_e32 v2, v2
.LBB190_851:
	s_mov_b64 s[0:1], 0
.LBB190_852:
	s_andn2_b64 vcc, exec, s[0:1]
	s_cbranch_vccnz .LBB190_863
; %bb.853:
	s_cmp_lt_i32 s38, 6
	s_cbranch_scc1 .LBB190_856
; %bb.854:
	s_cmp_gt_i32 s38, 6
	s_cbranch_scc0 .LBB190_857
; %bb.855:
	global_load_dwordx2 v[2:3], v[0:1], off
	s_mov_b64 s[0:1], 0
	s_waitcnt vmcnt(0)
	v_cvt_i32_f64_e32 v2, v[2:3]
	s_branch .LBB190_858
.LBB190_856:
	s_mov_b64 s[0:1], -1
                                        ; implicit-def: $vgpr2
	s_branch .LBB190_861
.LBB190_857:
	s_mov_b64 s[0:1], -1
                                        ; implicit-def: $vgpr2
.LBB190_858:
	s_andn2_b64 vcc, exec, s[0:1]
	s_cbranch_vccnz .LBB190_860
; %bb.859:
	global_load_dword v2, v[0:1], off
	s_waitcnt vmcnt(0)
	v_cvt_i32_f32_e32 v2, v2
.LBB190_860:
	s_mov_b64 s[0:1], 0
.LBB190_861:
	s_andn2_b64 vcc, exec, s[0:1]
	s_cbranch_vccnz .LBB190_863
; %bb.862:
	global_load_ushort v2, v[0:1], off
	s_waitcnt vmcnt(0)
	v_cvt_f32_f16_e32 v2, v2
	v_cvt_i32_f32_e32 v2, v2
.LBB190_863:
	s_mov_b64 s[0:1], 0
.LBB190_864:
	s_andn2_b64 vcc, exec, s[0:1]
	s_cbranch_vccnz .LBB190_884
; %bb.865:
	s_cmp_lt_i32 s38, 2
	s_cbranch_scc1 .LBB190_869
; %bb.866:
	s_cmp_lt_i32 s38, 3
	s_cbranch_scc1 .LBB190_870
; %bb.867:
	s_cmp_gt_i32 s38, 3
	s_cbranch_scc0 .LBB190_871
; %bb.868:
	global_load_dword v2, v[0:1], off
	s_mov_b64 s[0:1], 0
	s_branch .LBB190_872
.LBB190_869:
	s_mov_b64 s[0:1], -1
                                        ; implicit-def: $vgpr2
	s_branch .LBB190_878
.LBB190_870:
	s_mov_b64 s[0:1], -1
                                        ; implicit-def: $vgpr2
	s_branch .LBB190_875
.LBB190_871:
	s_mov_b64 s[0:1], -1
                                        ; implicit-def: $vgpr2
.LBB190_872:
	s_andn2_b64 vcc, exec, s[0:1]
	s_cbranch_vccnz .LBB190_874
; %bb.873:
	global_load_dword v2, v[0:1], off
.LBB190_874:
	s_mov_b64 s[0:1], 0
.LBB190_875:
	s_andn2_b64 vcc, exec, s[0:1]
	s_cbranch_vccnz .LBB190_877
; %bb.876:
	global_load_sshort v2, v[0:1], off
.LBB190_877:
	s_mov_b64 s[0:1], 0
.LBB190_878:
	s_andn2_b64 vcc, exec, s[0:1]
	s_cbranch_vccnz .LBB190_884
; %bb.879:
	s_cmp_gt_i32 s38, 0
	s_cbranch_scc0 .LBB190_881
; %bb.880:
	global_load_sbyte v2, v[0:1], off
	s_mov_b64 s[0:1], 0
	s_branch .LBB190_882
.LBB190_881:
	s_mov_b64 s[0:1], -1
                                        ; implicit-def: $vgpr2
.LBB190_882:
	s_andn2_b64 vcc, exec, s[0:1]
	s_cbranch_vccnz .LBB190_884
; %bb.883:
	global_load_ubyte v2, v[0:1], off
.LBB190_884:
	s_mov_b64 s[0:1], -1
.LBB190_885:
	s_andn2_b64 vcc, exec, s[0:1]
	s_cbranch_vccnz .LBB190_893
; %bb.886:
	v_mul_lo_u32 v0, v4, s14
	v_mov_b32_e32 v1, s3
	s_and_b32 s42, s15, 0xff
	s_cmp_lt_i32 s42, 11
	v_ashrrev_i32_e32 v3, 31, v0
	v_add_co_u32_e32 v0, vcc, s2, v0
	v_addc_co_u32_e32 v1, vcc, v1, v3, vcc
	s_cbranch_scc1 .LBB190_895
; %bb.887:
	s_and_b32 s43, 0xffff, s42
	s_cmp_gt_i32 s43, 25
	s_cbranch_scc0 .LBB190_896
; %bb.888:
	s_cmp_gt_i32 s43, 28
	s_cbranch_scc0 .LBB190_897
; %bb.889:
	;; [unrolled: 3-line block ×4, first 2 shown]
	s_cmp_eq_u32 s43, 46
	s_mov_b64 s[40:41], 0
	s_cbranch_scc0 .LBB190_902
; %bb.892:
	global_load_dword v3, v[0:1], off
	s_mov_b64 s[0:1], -1
	s_mov_b64 s[38:39], 0
	s_waitcnt vmcnt(0)
	v_lshlrev_b32_e32 v3, 16, v3
	v_cvt_i32_f32_e32 v3, v3
	s_branch .LBB190_903
.LBB190_893:
	s_mov_b64 s[42:43], 0
	s_mov_b64 s[0:1], s[28:29]
	;; [unrolled: 1-line block ×3, first 2 shown]
.LBB190_894:
                                        ; implicit-def: $vgpr4
	s_branch .LBB190_1137
.LBB190_895:
	s_mov_b64 s[40:41], -1
	s_mov_b64 s[0:1], 0
                                        ; implicit-def: $vgpr3
	s_mov_b64 s[38:39], s[26:27]
	s_branch .LBB190_964
.LBB190_896:
	s_mov_b64 s[40:41], -1
	s_mov_b64 s[0:1], 0
	s_mov_b64 s[38:39], s[26:27]
                                        ; implicit-def: $vgpr3
	s_branch .LBB190_930
.LBB190_897:
	s_mov_b64 s[40:41], -1
	s_mov_b64 s[0:1], 0
	s_mov_b64 s[38:39], s[26:27]
                                        ; implicit-def: $vgpr3
	s_branch .LBB190_913
.LBB190_898:
	s_mov_b64 s[40:41], -1
	s_mov_b64 s[0:1], 0
	s_mov_b64 s[38:39], s[26:27]
                                        ; implicit-def: $vgpr3
	s_branch .LBB190_908
.LBB190_899:
	s_mov_b64 s[40:41], -1
	s_mov_b64 s[0:1], 0
	s_mov_b64 s[38:39], s[26:27]
                                        ; implicit-def: $vgpr3
	s_branch .LBB190_903
.LBB190_900:
	s_andn2_saveexec_b64 s[36:37], s[36:37]
	s_cbranch_execz .LBB190_680
.LBB190_901:
	s_mov_b32 s40, 0x42800000
	v_add_f32_e64 v5, |v1|, s40
	v_and_b32_e32 v5, 0xff, v5
	v_cmp_ne_u32_e32 vcc, 0, v5
	s_andn2_b64 s[34:35], s[34:35], exec
	s_and_b64 s[40:41], vcc, exec
	s_or_b64 s[34:35], s[34:35], s[40:41]
	s_or_b64 exec, exec, s[36:37]
	v_mov_b32_e32 v6, 0
	s_and_saveexec_b64 s[36:37], s[34:35]
	s_cbranch_execnz .LBB190_681
	s_branch .LBB190_682
.LBB190_902:
	s_mov_b64 s[38:39], -1
                                        ; implicit-def: $vgpr3
	s_mov_b64 s[0:1], 0
.LBB190_903:
	s_and_b64 vcc, exec, s[40:41]
	s_cbranch_vccz .LBB190_907
; %bb.904:
	s_cmp_eq_u32 s43, 44
	s_cbranch_scc0 .LBB190_906
; %bb.905:
	global_load_ubyte v3, v[0:1], off
	s_mov_b64 s[0:1], -1
	s_mov_b64 s[38:39], 0
	s_waitcnt vmcnt(0)
	v_lshlrev_b32_e32 v5, 23, v3
	v_cvt_i32_f32_e32 v5, v5
	v_cmp_ne_u32_e32 vcc, 0, v3
	v_cndmask_b32_e32 v3, 0, v5, vcc
	s_branch .LBB190_907
.LBB190_906:
	s_mov_b64 s[38:39], -1
                                        ; implicit-def: $vgpr3
.LBB190_907:
	s_mov_b64 s[40:41], 0
.LBB190_908:
	s_and_b64 vcc, exec, s[40:41]
	s_cbranch_vccz .LBB190_912
; %bb.909:
	s_cmp_eq_u32 s43, 29
	s_cbranch_scc0 .LBB190_911
; %bb.910:
	global_load_dword v3, v[0:1], off
	s_mov_b64 s[0:1], -1
	s_mov_b64 s[38:39], 0
	s_branch .LBB190_912
.LBB190_911:
	s_mov_b64 s[38:39], -1
                                        ; implicit-def: $vgpr3
.LBB190_912:
	s_mov_b64 s[40:41], 0
.LBB190_913:
	s_and_b64 vcc, exec, s[40:41]
	s_cbranch_vccz .LBB190_929
; %bb.914:
	s_cmp_lt_i32 s43, 27
	s_cbranch_scc1 .LBB190_917
; %bb.915:
	s_cmp_gt_i32 s43, 27
	s_cbranch_scc0 .LBB190_918
; %bb.916:
	global_load_dword v3, v[0:1], off
	s_mov_b64 s[0:1], 0
	s_branch .LBB190_919
.LBB190_917:
	s_mov_b64 s[0:1], -1
                                        ; implicit-def: $vgpr3
	s_branch .LBB190_922
.LBB190_918:
	s_mov_b64 s[0:1], -1
                                        ; implicit-def: $vgpr3
.LBB190_919:
	s_andn2_b64 vcc, exec, s[0:1]
	s_cbranch_vccnz .LBB190_921
; %bb.920:
	global_load_ushort v3, v[0:1], off
.LBB190_921:
	s_mov_b64 s[0:1], 0
.LBB190_922:
	s_andn2_b64 vcc, exec, s[0:1]
	s_cbranch_vccnz .LBB190_928
; %bb.923:
	global_load_ubyte v5, v[0:1], off
	s_movk_i32 s0, 0x7f
	s_mov_b64 s[40:41], 0
	s_waitcnt vmcnt(0)
	v_cmp_lt_i16_e32 vcc, s0, v5
	s_and_saveexec_b64 s[0:1], vcc
	s_xor_b64 s[0:1], exec, s[0:1]
	s_cbranch_execz .LBB190_940
; %bb.924:
	s_movk_i32 s40, 0x80
	v_cmp_ne_u16_e32 vcc, s40, v5
	s_and_b64 s[40:41], vcc, exec
	s_andn2_saveexec_b64 s[0:1], s[0:1]
	s_cbranch_execnz .LBB190_941
.LBB190_925:
	s_or_b64 exec, exec, s[0:1]
	v_mov_b32_e32 v3, 0
	s_and_saveexec_b64 s[0:1], s[40:41]
	s_cbranch_execz .LBB190_927
.LBB190_926:
	v_lshlrev_b32_e32 v3, 24, v5
	v_and_b32_e32 v5, 0xffff, v5
	v_and_b32_e32 v6, 7, v5
	v_ffbh_u32_e32 v8, v6
	v_min_u32_e32 v8, 32, v8
	v_subrev_u32_e32 v9, 28, v8
	v_bfe_u32 v7, v5, 3, 4
	v_lshlrev_b32_e32 v5, v9, v5
	v_sub_u32_e32 v8, 29, v8
	v_and_b32_e32 v5, 7, v5
	v_cmp_eq_u32_e32 vcc, 0, v7
	v_cndmask_b32_e32 v7, v7, v8, vcc
	v_cndmask_b32_e32 v5, v6, v5, vcc
	v_mov_b32_e32 v6, 0x3b800000
	v_lshlrev_b32_e32 v5, 20, v5
	v_and_b32_e32 v3, 0x80000000, v3
	v_lshl_add_u32 v6, v7, 23, v6
	v_or3_b32 v3, v3, v6, v5
	v_cvt_i32_f32_e32 v3, v3
.LBB190_927:
	s_or_b64 exec, exec, s[0:1]
.LBB190_928:
	s_mov_b64 s[0:1], -1
.LBB190_929:
	s_mov_b64 s[40:41], 0
.LBB190_930:
	s_and_b64 vcc, exec, s[40:41]
	s_cbranch_vccz .LBB190_963
; %bb.931:
	s_cmp_gt_i32 s43, 22
	s_cbranch_scc0 .LBB190_939
; %bb.932:
	s_cmp_lt_i32 s43, 24
	s_cbranch_scc1 .LBB190_942
; %bb.933:
	s_cmp_gt_i32 s43, 24
	s_cbranch_scc0 .LBB190_943
; %bb.934:
	global_load_ubyte v5, v[0:1], off
	s_movk_i32 s0, 0x7f
	s_mov_b64 s[40:41], 0
	s_waitcnt vmcnt(0)
	v_cmp_lt_i16_e32 vcc, s0, v5
	s_and_saveexec_b64 s[0:1], vcc
	s_xor_b64 s[0:1], exec, s[0:1]
	s_cbranch_execz .LBB190_955
; %bb.935:
	s_movk_i32 s40, 0x80
	v_cmp_ne_u16_e32 vcc, s40, v5
	s_and_b64 s[40:41], vcc, exec
	s_andn2_saveexec_b64 s[0:1], s[0:1]
	s_cbranch_execnz .LBB190_956
.LBB190_936:
	s_or_b64 exec, exec, s[0:1]
	v_mov_b32_e32 v3, 0
	s_and_saveexec_b64 s[0:1], s[40:41]
	s_cbranch_execz .LBB190_938
.LBB190_937:
	v_lshlrev_b32_e32 v3, 24, v5
	v_and_b32_e32 v5, 0xffff, v5
	v_and_b32_e32 v6, 3, v5
	v_ffbh_u32_e32 v8, v6
	v_min_u32_e32 v8, 32, v8
	v_subrev_u32_e32 v9, 29, v8
	v_bfe_u32 v7, v5, 2, 5
	v_lshlrev_b32_e32 v5, v9, v5
	v_sub_u32_e32 v8, 30, v8
	v_and_b32_e32 v5, 3, v5
	v_cmp_eq_u32_e32 vcc, 0, v7
	v_cndmask_b32_e32 v7, v7, v8, vcc
	v_cndmask_b32_e32 v5, v6, v5, vcc
	v_mov_b32_e32 v6, 0x37800000
	v_lshlrev_b32_e32 v5, 21, v5
	v_and_b32_e32 v3, 0x80000000, v3
	v_lshl_add_u32 v6, v7, 23, v6
	v_or3_b32 v3, v3, v6, v5
	v_cvt_i32_f32_e32 v3, v3
.LBB190_938:
	s_or_b64 exec, exec, s[0:1]
	s_mov_b64 s[0:1], 0
	s_branch .LBB190_944
.LBB190_939:
	s_mov_b64 s[40:41], -1
                                        ; implicit-def: $vgpr3
	s_branch .LBB190_950
.LBB190_940:
	s_andn2_saveexec_b64 s[0:1], s[0:1]
	s_cbranch_execz .LBB190_925
.LBB190_941:
	v_cmp_ne_u16_e32 vcc, 0, v5
	s_andn2_b64 s[40:41], s[40:41], exec
	s_and_b64 s[44:45], vcc, exec
	s_or_b64 s[40:41], s[40:41], s[44:45]
	s_or_b64 exec, exec, s[0:1]
	v_mov_b32_e32 v3, 0
	s_and_saveexec_b64 s[0:1], s[40:41]
	s_cbranch_execnz .LBB190_926
	s_branch .LBB190_927
.LBB190_942:
	s_mov_b64 s[0:1], -1
                                        ; implicit-def: $vgpr3
	s_branch .LBB190_947
.LBB190_943:
	s_mov_b64 s[0:1], -1
                                        ; implicit-def: $vgpr3
.LBB190_944:
	s_and_b64 vcc, exec, s[0:1]
	s_cbranch_vccz .LBB190_946
; %bb.945:
	global_load_ubyte v3, v[0:1], off
	s_mov_b32 s0, 0x7f800000
	s_waitcnt vmcnt(0)
	v_lshlrev_b32_e32 v3, 24, v3
	v_and_b32_e32 v5, 0x7f000000, v3
	v_ffbh_u32_e32 v6, v5
	v_min_u32_e32 v6, 32, v6
	v_sub_u32_e64 v6, v6, 4 clamp
	v_lshlrev_b32_e32 v8, v6, v5
	v_lshlrev_b32_e32 v6, 23, v6
	v_lshrrev_b32_e32 v8, 4, v8
	v_add_u32_e32 v7, 0x1000000, v5
	v_sub_u32_e32 v6, v8, v6
	v_ashrrev_i32_e32 v7, 8, v7
	v_add_u32_e32 v6, 0x3c000000, v6
	v_and_or_b32 v6, v7, s0, v6
	v_cmp_ne_u32_e32 vcc, 0, v5
	v_cndmask_b32_e32 v5, 0, v6, vcc
	s_brev_b32 s0, 1
	v_and_or_b32 v3, v3, s0, v5
	v_cvt_i32_f32_e32 v3, v3
.LBB190_946:
	s_mov_b64 s[0:1], 0
.LBB190_947:
	s_andn2_b64 vcc, exec, s[0:1]
	s_cbranch_vccnz .LBB190_949
; %bb.948:
	global_load_ubyte v3, v[0:1], off
	s_movk_i32 s0, 0x7f00
	s_brev_b32 s1, 16
	s_waitcnt vmcnt(0)
	v_lshlrev_b16_e32 v5, 8, v3
	v_lshlrev_b32_e32 v3, 25, v3
	v_lshrrev_b32_e32 v6, 4, v3
	v_and_or_b32 v7, v5, s0, 0.5
	v_or_b32_e32 v6, 0x70000000, v6
	v_add_f32_e32 v7, -0.5, v7
	v_mul_f32_e32 v6, 0x7800000, v6
	v_cmp_gt_u32_e32 vcc, s1, v3
	v_bfe_i32 v5, v5, 0, 16
	v_cndmask_b32_e32 v3, v6, v7, vcc
	s_brev_b32 s0, 1
	v_and_or_b32 v3, v5, s0, v3
	v_cvt_i32_f32_e32 v3, v3
.LBB190_949:
	s_mov_b64 s[40:41], 0
	s_mov_b64 s[0:1], -1
.LBB190_950:
	s_andn2_b64 vcc, exec, s[40:41]
	s_cbranch_vccnz .LBB190_963
; %bb.951:
	s_cmp_gt_i32 s43, 14
	s_cbranch_scc0 .LBB190_954
; %bb.952:
	s_cmp_eq_u32 s43, 15
	s_cbranch_scc0 .LBB190_957
; %bb.953:
	global_load_ushort v3, v[0:1], off
	s_mov_b64 s[0:1], -1
	s_mov_b64 s[38:39], 0
	s_waitcnt vmcnt(0)
	v_lshlrev_b32_e32 v3, 16, v3
	v_cvt_i32_f32_e32 v3, v3
	s_branch .LBB190_958
.LBB190_954:
	s_mov_b64 s[40:41], -1
                                        ; implicit-def: $vgpr3
	s_branch .LBB190_959
.LBB190_955:
	s_andn2_saveexec_b64 s[0:1], s[0:1]
	s_cbranch_execz .LBB190_936
.LBB190_956:
	v_cmp_ne_u16_e32 vcc, 0, v5
	s_andn2_b64 s[40:41], s[40:41], exec
	s_and_b64 s[44:45], vcc, exec
	s_or_b64 s[40:41], s[40:41], s[44:45]
	s_or_b64 exec, exec, s[0:1]
	v_mov_b32_e32 v3, 0
	s_and_saveexec_b64 s[0:1], s[40:41]
	s_cbranch_execnz .LBB190_937
	s_branch .LBB190_938
.LBB190_957:
	s_mov_b64 s[38:39], -1
                                        ; implicit-def: $vgpr3
.LBB190_958:
	s_mov_b64 s[40:41], 0
.LBB190_959:
	s_and_b64 vcc, exec, s[40:41]
	s_cbranch_vccz .LBB190_963
; %bb.960:
	s_cmp_eq_u32 s43, 11
	s_cbranch_scc0 .LBB190_962
; %bb.961:
	global_load_ubyte v3, v[0:1], off
	s_mov_b64 s[0:1], -1
	s_mov_b64 s[38:39], 0
	s_waitcnt vmcnt(0)
	v_cmp_ne_u16_e32 vcc, 0, v3
	v_cndmask_b32_e64 v3, 0, 1, vcc
	s_branch .LBB190_963
.LBB190_962:
	s_mov_b64 s[38:39], -1
                                        ; implicit-def: $vgpr3
.LBB190_963:
	s_mov_b64 s[40:41], 0
.LBB190_964:
	s_and_b64 vcc, exec, s[40:41]
	s_cbranch_vccz .LBB190_1013
; %bb.965:
	s_and_b32 s40, 0xffff, s42
	s_cmp_lt_i32 s40, 5
	s_cbranch_scc1 .LBB190_970
; %bb.966:
	s_cmp_lt_i32 s40, 8
	s_cbranch_scc1 .LBB190_971
; %bb.967:
	;; [unrolled: 3-line block ×3, first 2 shown]
	s_cmp_gt_i32 s40, 9
	s_cbranch_scc0 .LBB190_973
; %bb.969:
	global_load_dwordx2 v[5:6], v[0:1], off
	s_mov_b64 s[0:1], 0
	s_waitcnt vmcnt(0)
	v_cvt_i32_f64_e32 v3, v[5:6]
	s_branch .LBB190_974
.LBB190_970:
	s_mov_b64 s[0:1], -1
                                        ; implicit-def: $vgpr3
	s_branch .LBB190_992
.LBB190_971:
	s_mov_b64 s[0:1], -1
                                        ; implicit-def: $vgpr3
	s_branch .LBB190_980
.LBB190_972:
	s_mov_b64 s[0:1], -1
                                        ; implicit-def: $vgpr3
	s_branch .LBB190_977
.LBB190_973:
	s_mov_b64 s[0:1], -1
                                        ; implicit-def: $vgpr3
.LBB190_974:
	s_andn2_b64 vcc, exec, s[0:1]
	s_cbranch_vccnz .LBB190_976
; %bb.975:
	global_load_dword v3, v[0:1], off
	s_waitcnt vmcnt(0)
	v_cvt_i32_f32_e32 v3, v3
.LBB190_976:
	s_mov_b64 s[0:1], 0
.LBB190_977:
	s_andn2_b64 vcc, exec, s[0:1]
	s_cbranch_vccnz .LBB190_979
; %bb.978:
	global_load_dword v3, v[0:1], off
	s_waitcnt vmcnt(0)
	v_cvt_f32_f16_e32 v3, v3
	v_cvt_i32_f32_e32 v3, v3
.LBB190_979:
	s_mov_b64 s[0:1], 0
.LBB190_980:
	s_andn2_b64 vcc, exec, s[0:1]
	s_cbranch_vccnz .LBB190_991
; %bb.981:
	s_cmp_lt_i32 s40, 6
	s_cbranch_scc1 .LBB190_984
; %bb.982:
	s_cmp_gt_i32 s40, 6
	s_cbranch_scc0 .LBB190_985
; %bb.983:
	global_load_dwordx2 v[5:6], v[0:1], off
	s_mov_b64 s[0:1], 0
	s_waitcnt vmcnt(0)
	v_cvt_i32_f64_e32 v3, v[5:6]
	s_branch .LBB190_986
.LBB190_984:
	s_mov_b64 s[0:1], -1
                                        ; implicit-def: $vgpr3
	s_branch .LBB190_989
.LBB190_985:
	s_mov_b64 s[0:1], -1
                                        ; implicit-def: $vgpr3
.LBB190_986:
	s_andn2_b64 vcc, exec, s[0:1]
	s_cbranch_vccnz .LBB190_988
; %bb.987:
	global_load_dword v3, v[0:1], off
	s_waitcnt vmcnt(0)
	v_cvt_i32_f32_e32 v3, v3
.LBB190_988:
	s_mov_b64 s[0:1], 0
.LBB190_989:
	s_andn2_b64 vcc, exec, s[0:1]
	s_cbranch_vccnz .LBB190_991
; %bb.990:
	global_load_ushort v3, v[0:1], off
	s_waitcnt vmcnt(0)
	v_cvt_f32_f16_e32 v3, v3
	v_cvt_i32_f32_e32 v3, v3
.LBB190_991:
	s_mov_b64 s[0:1], 0
.LBB190_992:
	s_andn2_b64 vcc, exec, s[0:1]
	s_cbranch_vccnz .LBB190_1012
; %bb.993:
	s_cmp_lt_i32 s40, 2
	s_cbranch_scc1 .LBB190_997
; %bb.994:
	s_cmp_lt_i32 s40, 3
	s_cbranch_scc1 .LBB190_998
; %bb.995:
	s_cmp_gt_i32 s40, 3
	s_cbranch_scc0 .LBB190_999
; %bb.996:
	global_load_dword v3, v[0:1], off
	s_mov_b64 s[0:1], 0
	s_branch .LBB190_1000
.LBB190_997:
	s_mov_b64 s[0:1], -1
                                        ; implicit-def: $vgpr3
	s_branch .LBB190_1006
.LBB190_998:
	s_mov_b64 s[0:1], -1
                                        ; implicit-def: $vgpr3
	s_branch .LBB190_1003
.LBB190_999:
	s_mov_b64 s[0:1], -1
                                        ; implicit-def: $vgpr3
.LBB190_1000:
	s_andn2_b64 vcc, exec, s[0:1]
	s_cbranch_vccnz .LBB190_1002
; %bb.1001:
	global_load_dword v3, v[0:1], off
.LBB190_1002:
	s_mov_b64 s[0:1], 0
.LBB190_1003:
	s_andn2_b64 vcc, exec, s[0:1]
	s_cbranch_vccnz .LBB190_1005
; %bb.1004:
	global_load_sshort v3, v[0:1], off
.LBB190_1005:
	s_mov_b64 s[0:1], 0
.LBB190_1006:
	s_andn2_b64 vcc, exec, s[0:1]
	s_cbranch_vccnz .LBB190_1012
; %bb.1007:
	s_cmp_gt_i32 s40, 0
	s_cbranch_scc0 .LBB190_1009
; %bb.1008:
	global_load_sbyte v3, v[0:1], off
	s_mov_b64 s[0:1], 0
	s_branch .LBB190_1010
.LBB190_1009:
	s_mov_b64 s[0:1], -1
                                        ; implicit-def: $vgpr3
.LBB190_1010:
	s_andn2_b64 vcc, exec, s[0:1]
	s_cbranch_vccnz .LBB190_1012
; %bb.1011:
	global_load_ubyte v3, v[0:1], off
.LBB190_1012:
	s_mov_b64 s[0:1], -1
.LBB190_1013:
	s_andn2_b64 vcc, exec, s[0:1]
	s_cbranch_vccnz .LBB190_1021
; %bb.1014:
	v_mul_lo_u32 v1, v4, s12
	s_waitcnt vmcnt(0)
	v_min_u32_e32 v0, 31, v3
	v_mov_b32_e32 v3, s9
	v_ashrrev_i32_e32 v0, v0, v2
	v_ashrrev_i32_e32 v5, 31, v1
	s_and_b32 s46, s33, 0xff
	v_add_co_u32_e32 v2, vcc, s8, v1
	s_cmp_lt_i32 s46, 11
	v_addc_co_u32_e32 v3, vcc, v3, v5, vcc
	s_cbranch_scc1 .LBB190_1022
; %bb.1015:
	s_and_b32 s47, 0xffff, s46
	s_cmp_gt_i32 s47, 25
	s_cbranch_scc0 .LBB190_1023
; %bb.1016:
	s_cmp_gt_i32 s47, 28
	s_cbranch_scc0 .LBB190_1024
; %bb.1017:
	;; [unrolled: 3-line block ×4, first 2 shown]
	s_mov_b64 s[42:43], 0
	s_mov_b64 s[0:1], -1
	s_cmp_eq_u32 s47, 46
	s_mov_b64 s[40:41], 0
	s_cbranch_scc0 .LBB190_1027
; %bb.1020:
	v_cvt_f32_i32_e32 v1, v0
	s_movk_i32 s0, 0x7fff
	s_mov_b64 s[40:41], -1
	v_bfe_u32 v5, v1, 16, 1
	v_add3_u32 v1, v1, v5, s0
	v_lshrrev_b32_e32 v1, 16, v1
	global_store_dword v[2:3], v1, off
	s_mov_b64 s[0:1], 0
	s_branch .LBB190_1027
.LBB190_1021:
	s_mov_b64 s[42:43], 0
                                        ; implicit-def: $vgpr4
	s_mov_b64 s[0:1], s[28:29]
	s_branch .LBB190_1137
.LBB190_1022:
	s_mov_b64 s[42:43], -1
	s_mov_b64 s[40:41], 0
	s_mov_b64 s[0:1], s[28:29]
	s_branch .LBB190_1096
.LBB190_1023:
	s_mov_b64 s[42:43], -1
	s_mov_b64 s[40:41], 0
	s_mov_b64 s[0:1], s[28:29]
	s_branch .LBB190_1054
.LBB190_1024:
	s_mov_b64 s[42:43], -1
	s_mov_b64 s[40:41], 0
	s_mov_b64 s[0:1], s[28:29]
	s_branch .LBB190_1037
.LBB190_1025:
	s_mov_b64 s[42:43], -1
	s_mov_b64 s[40:41], 0
	s_mov_b64 s[0:1], s[28:29]
	s_branch .LBB190_1033
.LBB190_1026:
	s_mov_b64 s[42:43], -1
	s_mov_b64 s[40:41], 0
	s_mov_b64 s[0:1], s[28:29]
.LBB190_1027:
	s_and_b64 vcc, exec, s[42:43]
	s_cbranch_vccz .LBB190_1032
; %bb.1028:
	s_cmp_eq_u32 s47, 44
	s_mov_b64 s[0:1], -1
	s_cbranch_scc0 .LBB190_1032
; %bb.1029:
	v_cvt_f32_i32_e32 v1, v0
	s_movk_i32 s0, 0xff
	v_mov_b32_e32 v6, 0xff
	v_bfe_u32 v5, v1, 23, 8
	v_cmp_ne_u32_e32 vcc, s0, v5
	s_and_saveexec_b64 s[40:41], vcc
; %bb.1030:
	s_mov_b32 s0, 0x3fffff
	v_lshrrev_b32_e32 v6, 23, v1
	v_and_b32_e32 v7, 0x400000, v1
	v_and_or_b32 v1, v1, s0, v5
	v_cmp_ne_u32_e32 vcc, 0, v7
	v_cmp_ne_u32_e64 s[0:1], 0, v1
	s_and_b64 s[0:1], vcc, s[0:1]
	v_cndmask_b32_e64 v1, 0, 1, s[0:1]
	v_add_u32_e32 v6, v6, v1
; %bb.1031:
	s_or_b64 exec, exec, s[40:41]
	s_mov_b64 s[40:41], -1
	s_mov_b64 s[0:1], 0
	global_store_byte v[2:3], v6, off
.LBB190_1032:
	s_mov_b64 s[42:43], 0
.LBB190_1033:
	s_and_b64 vcc, exec, s[42:43]
	s_cbranch_vccz .LBB190_1036
; %bb.1034:
	s_cmp_eq_u32 s47, 29
	s_mov_b64 s[0:1], -1
	s_cbranch_scc0 .LBB190_1036
; %bb.1035:
	v_ashrrev_i32_e32 v1, 31, v0
	global_store_dwordx2 v[2:3], v[0:1], off
	s_mov_b64 s[40:41], -1
	s_mov_b64 s[0:1], 0
.LBB190_1036:
	s_mov_b64 s[42:43], 0
.LBB190_1037:
	s_and_b64 vcc, exec, s[42:43]
	s_cbranch_vccz .LBB190_1053
; %bb.1038:
	s_cmp_lt_i32 s47, 27
	s_mov_b64 s[40:41], -1
	s_cbranch_scc1 .LBB190_1044
; %bb.1039:
	s_cmp_gt_i32 s47, 27
	s_cbranch_scc0 .LBB190_1041
; %bb.1040:
	s_mov_b64 s[40:41], 0
	global_store_dword v[2:3], v0, off
.LBB190_1041:
	s_andn2_b64 vcc, exec, s[40:41]
	s_cbranch_vccnz .LBB190_1043
; %bb.1042:
	global_store_short v[2:3], v0, off
.LBB190_1043:
	s_mov_b64 s[40:41], 0
.LBB190_1044:
	s_andn2_b64 vcc, exec, s[40:41]
	s_cbranch_vccnz .LBB190_1052
; %bb.1045:
	v_cvt_f32_i32_e32 v1, v0
	s_mov_b32 s40, 0x43800000
	v_mov_b32_e32 v6, 0x80
	v_and_b32_e32 v5, 0x7fffffff, v1
	v_cmp_gt_u32_e32 vcc, s40, v5
	s_and_saveexec_b64 s[40:41], vcc
	s_cbranch_execz .LBB190_1051
; %bb.1046:
	s_mov_b32 s42, 0x3bffffff
	v_cmp_lt_u32_e32 vcc, s42, v5
	s_mov_b64 s[42:43], 0
                                        ; implicit-def: $vgpr5
	s_and_saveexec_b64 s[44:45], vcc
	s_xor_b64 s[44:45], exec, s[44:45]
	s_cbranch_execz .LBB190_1153
; %bb.1047:
	v_bfe_u32 v5, v1, 20, 1
	s_mov_b32 s49, 0x487ffff
	v_add3_u32 v5, v1, v5, s49
	s_mov_b64 s[42:43], exec
	v_lshrrev_b32_e32 v5, 20, v5
	s_andn2_saveexec_b64 s[44:45], s[44:45]
	s_cbranch_execnz .LBB190_1154
.LBB190_1048:
	s_or_b64 exec, exec, s[44:45]
	v_mov_b32_e32 v6, 0
	s_and_saveexec_b64 s[44:45], s[42:43]
.LBB190_1049:
	v_lshrrev_b32_e32 v1, 24, v1
	s_movk_i32 s42, 0x80
	v_and_or_b32 v6, v1, s42, v5
.LBB190_1050:
	s_or_b64 exec, exec, s[44:45]
.LBB190_1051:
	s_or_b64 exec, exec, s[40:41]
	global_store_byte v[2:3], v6, off
.LBB190_1052:
	s_mov_b64 s[40:41], -1
.LBB190_1053:
	s_mov_b64 s[42:43], 0
.LBB190_1054:
	s_and_b64 vcc, exec, s[42:43]
	s_cbranch_vccz .LBB190_1095
; %bb.1055:
	s_cmp_gt_i32 s47, 22
	s_mov_b64 s[42:43], -1
	s_cbranch_scc0 .LBB190_1087
; %bb.1056:
	s_cmp_lt_i32 s47, 24
	s_mov_b64 s[40:41], -1
	s_cbranch_scc1 .LBB190_1076
; %bb.1057:
	s_cmp_gt_i32 s47, 24
	s_cbranch_scc0 .LBB190_1065
; %bb.1058:
	v_cvt_f32_i32_e32 v1, v0
	s_mov_b32 s40, 0x47800000
	v_mov_b32_e32 v6, 0x80
	v_and_b32_e32 v5, 0x7fffffff, v1
	v_cmp_gt_u32_e32 vcc, s40, v5
	s_and_saveexec_b64 s[40:41], vcc
	s_cbranch_execz .LBB190_1064
; %bb.1059:
	s_mov_b32 s42, 0x37ffffff
	v_cmp_lt_u32_e32 vcc, s42, v5
	s_mov_b64 s[42:43], 0
                                        ; implicit-def: $vgpr5
	s_and_saveexec_b64 s[44:45], vcc
	s_xor_b64 s[44:45], exec, s[44:45]
	s_cbranch_execz .LBB190_2147
; %bb.1060:
	v_bfe_u32 v5, v1, 21, 1
	s_mov_b32 s49, 0x88fffff
	v_add3_u32 v5, v1, v5, s49
	s_mov_b64 s[42:43], exec
	v_lshrrev_b32_e32 v5, 21, v5
	s_andn2_saveexec_b64 s[44:45], s[44:45]
	s_cbranch_execnz .LBB190_2148
.LBB190_1061:
	s_or_b64 exec, exec, s[44:45]
	v_mov_b32_e32 v6, 0
	s_and_saveexec_b64 s[44:45], s[42:43]
.LBB190_1062:
	v_lshrrev_b32_e32 v1, 24, v1
	s_movk_i32 s42, 0x80
	v_and_or_b32 v6, v1, s42, v5
.LBB190_1063:
	s_or_b64 exec, exec, s[44:45]
.LBB190_1064:
	s_or_b64 exec, exec, s[40:41]
	s_mov_b64 s[40:41], 0
	global_store_byte v[2:3], v6, off
.LBB190_1065:
	s_and_b64 vcc, exec, s[40:41]
	s_cbranch_vccz .LBB190_1075
; %bb.1066:
	v_cvt_f32_i32_e32 v1, v0
	s_mov_b32 s40, 0x43f00000
                                        ; implicit-def: $vgpr5
	v_and_b32_e32 v6, 0x7fffffff, v1
	v_cmp_gt_u32_e32 vcc, s40, v6
	s_and_saveexec_b64 s[40:41], vcc
	s_xor_b64 s[40:41], exec, s[40:41]
	s_cbranch_execz .LBB190_1072
; %bb.1067:
	s_mov_b32 s42, 0x3c7fffff
	v_cmp_lt_u32_e32 vcc, s42, v6
                                        ; implicit-def: $vgpr5
	s_and_saveexec_b64 s[42:43], vcc
	s_xor_b64 s[42:43], exec, s[42:43]
; %bb.1068:
	v_bfe_u32 v5, v1, 20, 1
	s_mov_b32 s44, 0x407ffff
	v_add3_u32 v5, v1, v5, s44
	v_lshrrev_b32_e32 v6, 20, v5
	v_and_b32_e32 v5, 0xff00000, v5
	s_mov_b32 s44, 0x7f00000
	v_mov_b32_e32 v7, 0x7e
	v_cmp_ne_u32_e32 vcc, s44, v5
	v_cndmask_b32_e32 v5, v7, v6, vcc
; %bb.1069:
	s_andn2_saveexec_b64 s[42:43], s[42:43]
; %bb.1070:
	s_mov_b32 s44, 0x46800000
	v_add_f32_e64 v5, |v1|, s44
; %bb.1071:
	s_or_b64 exec, exec, s[42:43]
                                        ; implicit-def: $vgpr6
.LBB190_1072:
	s_andn2_saveexec_b64 s[40:41], s[40:41]
; %bb.1073:
	s_mov_b32 s42, 0x7f800000
	v_mov_b32_e32 v5, 0x7e
	v_mov_b32_e32 v7, 0x7f
	v_cmp_lt_u32_e32 vcc, s42, v6
	v_cndmask_b32_e32 v5, v5, v7, vcc
; %bb.1074:
	s_or_b64 exec, exec, s[40:41]
	v_lshrrev_b32_e32 v1, 24, v1
	s_movk_i32 s40, 0x80
	v_and_or_b32 v1, v1, s40, v5
	global_store_byte v[2:3], v1, off
.LBB190_1075:
	s_mov_b64 s[40:41], 0
.LBB190_1076:
	s_andn2_b64 vcc, exec, s[40:41]
	s_cbranch_vccnz .LBB190_1086
; %bb.1077:
	v_cvt_f32_i32_e32 v1, v0
	s_mov_b32 s40, 0x47800000
                                        ; implicit-def: $vgpr5
	v_and_b32_e32 v6, 0x7fffffff, v1
	v_cmp_gt_u32_e32 vcc, s40, v6
	s_and_saveexec_b64 s[40:41], vcc
	s_xor_b64 s[40:41], exec, s[40:41]
	s_cbranch_execz .LBB190_1083
; %bb.1078:
	s_mov_b32 s42, 0x387fffff
	v_cmp_lt_u32_e32 vcc, s42, v6
                                        ; implicit-def: $vgpr5
	s_and_saveexec_b64 s[42:43], vcc
	s_xor_b64 s[42:43], exec, s[42:43]
; %bb.1079:
	v_bfe_u32 v5, v1, 21, 1
	s_mov_b32 s44, 0x80fffff
	v_add3_u32 v5, v1, v5, s44
	v_lshrrev_b32_e32 v5, 21, v5
; %bb.1080:
	s_andn2_saveexec_b64 s[42:43], s[42:43]
; %bb.1081:
	s_mov_b32 s44, 0x43000000
	v_add_f32_e64 v5, |v1|, s44
; %bb.1082:
	s_or_b64 exec, exec, s[42:43]
                                        ; implicit-def: $vgpr6
.LBB190_1083:
	s_andn2_saveexec_b64 s[40:41], s[40:41]
; %bb.1084:
	s_mov_b32 s42, 0x7f800000
	v_mov_b32_e32 v5, 0x7c
	v_mov_b32_e32 v7, 0x7f
	v_cmp_lt_u32_e32 vcc, s42, v6
	v_cndmask_b32_e32 v5, v5, v7, vcc
; %bb.1085:
	s_or_b64 exec, exec, s[40:41]
	v_lshrrev_b32_e32 v1, 24, v1
	s_movk_i32 s40, 0x80
	v_and_or_b32 v1, v1, s40, v5
	global_store_byte v[2:3], v1, off
.LBB190_1086:
	s_mov_b64 s[42:43], 0
	s_mov_b64 s[40:41], -1
.LBB190_1087:
	s_andn2_b64 vcc, exec, s[42:43]
	s_cbranch_vccnz .LBB190_1095
; %bb.1088:
	s_cmp_gt_i32 s47, 14
	s_mov_b64 s[42:43], -1
	s_cbranch_scc0 .LBB190_1092
; %bb.1089:
	s_cmp_eq_u32 s47, 15
	s_mov_b64 s[0:1], -1
	s_cbranch_scc0 .LBB190_1091
; %bb.1090:
	v_cvt_f32_i32_e32 v1, v0
	s_movk_i32 s0, 0x7fff
	s_mov_b64 s[40:41], -1
	v_bfe_u32 v5, v1, 16, 1
	v_add3_u32 v1, v1, v5, s0
	global_store_short_d16_hi v[2:3], v1, off
	s_mov_b64 s[0:1], 0
.LBB190_1091:
	s_mov_b64 s[42:43], 0
.LBB190_1092:
	s_and_b64 vcc, exec, s[42:43]
	s_cbranch_vccz .LBB190_1095
; %bb.1093:
	s_cmp_eq_u32 s47, 11
	s_mov_b64 s[0:1], -1
	s_cbranch_scc0 .LBB190_1095
; %bb.1094:
	v_cmp_ne_u32_e32 vcc, 0, v0
	v_cndmask_b32_e64 v1, 0, 1, vcc
	s_mov_b64 s[40:41], -1
	s_mov_b64 s[0:1], 0
	global_store_byte v[2:3], v1, off
.LBB190_1095:
	s_mov_b64 s[42:43], 0
.LBB190_1096:
	s_and_b64 vcc, exec, s[42:43]
	s_cbranch_vccz .LBB190_1135
; %bb.1097:
	s_and_b32 s42, 0xffff, s46
	s_cmp_lt_i32 s42, 5
	s_mov_b64 s[40:41], -1
	s_cbranch_scc1 .LBB190_1118
; %bb.1098:
	s_cmp_lt_i32 s42, 8
	s_cbranch_scc1 .LBB190_1108
; %bb.1099:
	s_cmp_lt_i32 s42, 9
	s_cbranch_scc1 .LBB190_1105
; %bb.1100:
	s_cmp_gt_i32 s42, 9
	s_cbranch_scc0 .LBB190_1102
; %bb.1101:
	v_cvt_f64_i32_e32 v[5:6], v0
	v_mov_b32_e32 v7, 0
	v_mov_b32_e32 v8, v7
	s_mov_b64 s[40:41], 0
	global_store_dwordx4 v[2:3], v[5:8], off
.LBB190_1102:
	s_andn2_b64 vcc, exec, s[40:41]
	s_cbranch_vccnz .LBB190_1104
; %bb.1103:
	v_cvt_f32_i32_e32 v5, v0
	v_mov_b32_e32 v6, 0
	global_store_dwordx2 v[2:3], v[5:6], off
.LBB190_1104:
	s_mov_b64 s[40:41], 0
.LBB190_1105:
	s_andn2_b64 vcc, exec, s[40:41]
	s_cbranch_vccnz .LBB190_1107
; %bb.1106:
	v_cvt_f32_i32_e32 v1, v0
	v_cvt_f16_f32_e32 v1, v1
	global_store_dword v[2:3], v1, off
.LBB190_1107:
	s_mov_b64 s[40:41], 0
.LBB190_1108:
	s_andn2_b64 vcc, exec, s[40:41]
	s_cbranch_vccnz .LBB190_1117
; %bb.1109:
	s_cmp_lt_i32 s42, 6
	s_mov_b64 s[40:41], -1
	s_cbranch_scc1 .LBB190_1115
; %bb.1110:
	s_cmp_gt_i32 s42, 6
	s_cbranch_scc0 .LBB190_1112
; %bb.1111:
	v_cvt_f64_i32_e32 v[5:6], v0
	s_mov_b64 s[40:41], 0
	global_store_dwordx2 v[2:3], v[5:6], off
.LBB190_1112:
	s_andn2_b64 vcc, exec, s[40:41]
	s_cbranch_vccnz .LBB190_1114
; %bb.1113:
	v_cvt_f32_i32_e32 v1, v0
	global_store_dword v[2:3], v1, off
.LBB190_1114:
	s_mov_b64 s[40:41], 0
.LBB190_1115:
	s_andn2_b64 vcc, exec, s[40:41]
	s_cbranch_vccnz .LBB190_1117
; %bb.1116:
	v_cvt_f32_i32_e32 v1, v0
	v_cvt_f16_f32_e32 v1, v1
	global_store_short v[2:3], v1, off
.LBB190_1117:
	s_mov_b64 s[40:41], 0
.LBB190_1118:
	s_andn2_b64 vcc, exec, s[40:41]
	s_cbranch_vccnz .LBB190_1134
; %bb.1119:
	s_cmp_lt_i32 s42, 2
	s_mov_b64 s[40:41], -1
	s_cbranch_scc1 .LBB190_1129
; %bb.1120:
	s_cmp_lt_i32 s42, 3
	s_cbranch_scc1 .LBB190_1126
; %bb.1121:
	s_cmp_gt_i32 s42, 3
	s_cbranch_scc0 .LBB190_1123
; %bb.1122:
	v_ashrrev_i32_e32 v1, 31, v0
	s_mov_b64 s[40:41], 0
	global_store_dwordx2 v[2:3], v[0:1], off
.LBB190_1123:
	s_andn2_b64 vcc, exec, s[40:41]
	s_cbranch_vccnz .LBB190_1125
; %bb.1124:
	global_store_dword v[2:3], v0, off
.LBB190_1125:
	s_mov_b64 s[40:41], 0
.LBB190_1126:
	s_andn2_b64 vcc, exec, s[40:41]
	s_cbranch_vccnz .LBB190_1128
; %bb.1127:
	global_store_short v[2:3], v0, off
.LBB190_1128:
	s_mov_b64 s[40:41], 0
.LBB190_1129:
	s_andn2_b64 vcc, exec, s[40:41]
	s_cbranch_vccnz .LBB190_1134
; %bb.1130:
	s_cmp_gt_i32 s42, 0
	s_mov_b64 s[40:41], -1
	s_cbranch_scc0 .LBB190_1132
; %bb.1131:
	s_mov_b64 s[40:41], 0
	global_store_byte v[2:3], v0, off
.LBB190_1132:
	s_andn2_b64 vcc, exec, s[40:41]
	s_cbranch_vccnz .LBB190_1134
; %bb.1133:
	global_store_byte v[2:3], v0, off
.LBB190_1134:
	s_mov_b64 s[40:41], -1
.LBB190_1135:
	s_andn2_b64 vcc, exec, s[40:41]
	s_cbranch_vccnz .LBB190_1148
; %bb.1136:
	v_add_u32_e32 v4, 0x80, v4
	s_mov_b64 s[42:43], -1
.LBB190_1137:
	s_andn2_b64 s[40:41], s[28:29], exec
	s_and_b64 s[0:1], s[0:1], exec
	s_or_b64 s[40:41], s[40:41], s[0:1]
	s_andn2_b64 s[0:1], s[26:27], exec
	s_and_b64 s[38:39], s[38:39], exec
	s_or_b64 s[38:39], s[0:1], s[38:39]
	;; [unrolled: 3-line block ×3, first 2 shown]
	s_orn2_b64 s[46:47], s[42:43], exec
.LBB190_1138:
	s_or_b64 exec, exec, s[34:35]
	s_mov_b64 s[42:43], 0
	s_mov_b64 s[36:37], 0
	;; [unrolled: 1-line block ×3, first 2 shown]
                                        ; implicit-def: $sgpr55
                                        ; implicit-def: $vgpr0_vgpr1
                                        ; implicit-def: $vgpr5
	s_and_saveexec_b64 s[34:35], s[46:47]
	s_cbranch_execz .LBB190_1218
; %bb.1139:
	v_cmp_gt_i32_e32 vcc, s48, v4
	s_mov_b64 s[46:47], 0
	s_mov_b64 s[48:49], s[0:1]
	;; [unrolled: 1-line block ×4, first 2 shown]
                                        ; implicit-def: $sgpr55
                                        ; implicit-def: $vgpr0_vgpr1
                                        ; implicit-def: $vgpr5
	s_and_saveexec_b64 s[36:37], vcc
	s_cbranch_execz .LBB190_1217
; %bb.1140:
	v_mul_lo_u32 v0, v4, s13
	v_mov_b32_e32 v1, s11
	s_and_b32 s55, s54, 0xff
	s_cmp_lt_i32 s55, 11
	s_waitcnt vmcnt(0)
	v_ashrrev_i32_e32 v2, 31, v0
	v_add_co_u32_e32 v0, vcc, s10, v0
	v_addc_co_u32_e32 v1, vcc, v1, v2, vcc
	s_cbranch_scc1 .LBB190_1147
; %bb.1141:
	s_and_b32 s50, 0xffff, s55
	s_cmp_gt_i32 s50, 25
	s_cbranch_scc0 .LBB190_1149
; %bb.1142:
	s_cmp_gt_i32 s50, 28
	s_cbranch_scc0 .LBB190_1150
; %bb.1143:
	;; [unrolled: 3-line block ×4, first 2 shown]
	s_cmp_eq_u32 s50, 46
	s_mov_b64 s[48:49], 0
	s_cbranch_scc0 .LBB190_1155
; %bb.1146:
	global_load_dword v2, v[0:1], off
	s_mov_b64 s[46:47], -1
	s_waitcnt vmcnt(0)
	v_lshlrev_b32_e32 v2, 16, v2
	v_cvt_i32_f32_e32 v5, v2
	s_branch .LBB190_1157
.LBB190_1147:
	s_mov_b64 s[48:49], -1
                                        ; implicit-def: $vgpr5
	s_mov_b64 s[42:43], s[0:1]
	s_branch .LBB190_1216
.LBB190_1148:
	s_mov_b64 s[42:43], 0
	s_branch .LBB190_894
.LBB190_1149:
	s_mov_b64 s[48:49], -1
	s_mov_b64 s[42:43], s[0:1]
                                        ; implicit-def: $vgpr5
	s_branch .LBB190_1184
.LBB190_1150:
	s_mov_b64 s[48:49], -1
	s_mov_b64 s[42:43], s[0:1]
                                        ; implicit-def: $vgpr5
	s_branch .LBB190_1167
.LBB190_1151:
	s_mov_b64 s[48:49], -1
	s_mov_b64 s[42:43], s[0:1]
                                        ; implicit-def: $vgpr5
	s_branch .LBB190_1162
.LBB190_1152:
	s_mov_b64 s[48:49], -1
	s_mov_b64 s[42:43], s[0:1]
	s_branch .LBB190_1156
.LBB190_1153:
	s_andn2_saveexec_b64 s[44:45], s[44:45]
	s_cbranch_execz .LBB190_1048
.LBB190_1154:
	s_mov_b32 s49, 0x46000000
	v_add_f32_e64 v5, |v1|, s49
	v_and_b32_e32 v5, 0xff, v5
	v_cmp_ne_u32_e32 vcc, 0, v5
	s_andn2_b64 s[42:43], s[42:43], exec
	s_and_b64 s[50:51], vcc, exec
	s_or_b64 s[42:43], s[42:43], s[50:51]
	s_or_b64 exec, exec, s[44:45]
	v_mov_b32_e32 v6, 0
	s_and_saveexec_b64 s[44:45], s[42:43]
	s_cbranch_execnz .LBB190_1049
	s_branch .LBB190_1050
.LBB190_1155:
	s_mov_b64 s[42:43], -1
.LBB190_1156:
                                        ; implicit-def: $vgpr5
.LBB190_1157:
	s_and_b64 vcc, exec, s[48:49]
	s_cbranch_vccz .LBB190_1161
; %bb.1158:
	s_cmp_eq_u32 s50, 44
	s_cbranch_scc0 .LBB190_1160
; %bb.1159:
	global_load_ubyte v2, v[0:1], off
	s_mov_b64 s[42:43], 0
	s_mov_b64 s[46:47], -1
	s_waitcnt vmcnt(0)
	v_lshlrev_b32_e32 v3, 23, v2
	v_cvt_i32_f32_e32 v3, v3
	v_cmp_ne_u32_e32 vcc, 0, v2
	v_cndmask_b32_e32 v5, 0, v3, vcc
	s_branch .LBB190_1161
.LBB190_1160:
	s_mov_b64 s[42:43], -1
                                        ; implicit-def: $vgpr5
.LBB190_1161:
	s_mov_b64 s[48:49], 0
.LBB190_1162:
	s_and_b64 vcc, exec, s[48:49]
	s_cbranch_vccz .LBB190_1166
; %bb.1163:
	s_cmp_eq_u32 s50, 29
	s_cbranch_scc0 .LBB190_1165
; %bb.1164:
	global_load_dword v5, v[0:1], off
	s_mov_b64 s[42:43], 0
	s_mov_b64 s[46:47], -1
	s_branch .LBB190_1166
.LBB190_1165:
	s_mov_b64 s[42:43], -1
                                        ; implicit-def: $vgpr5
.LBB190_1166:
	s_mov_b64 s[48:49], 0
.LBB190_1167:
	s_and_b64 vcc, exec, s[48:49]
	s_cbranch_vccz .LBB190_1183
; %bb.1168:
	s_cmp_lt_i32 s50, 27
	s_cbranch_scc1 .LBB190_1171
; %bb.1169:
	s_cmp_gt_i32 s50, 27
	s_cbranch_scc0 .LBB190_1172
; %bb.1170:
	global_load_dword v5, v[0:1], off
	s_mov_b64 s[46:47], 0
	s_branch .LBB190_1173
.LBB190_1171:
	s_mov_b64 s[46:47], -1
                                        ; implicit-def: $vgpr5
	s_branch .LBB190_1176
.LBB190_1172:
	s_mov_b64 s[46:47], -1
                                        ; implicit-def: $vgpr5
.LBB190_1173:
	s_andn2_b64 vcc, exec, s[46:47]
	s_cbranch_vccnz .LBB190_1175
; %bb.1174:
	global_load_ushort v5, v[0:1], off
.LBB190_1175:
	s_mov_b64 s[46:47], 0
.LBB190_1176:
	s_andn2_b64 vcc, exec, s[46:47]
	s_cbranch_vccnz .LBB190_1182
; %bb.1177:
	global_load_ubyte v2, v[0:1], off
	s_movk_i32 s46, 0x7f
	s_mov_b64 s[48:49], 0
	s_waitcnt vmcnt(0)
	v_cmp_lt_i16_e32 vcc, s46, v2
	s_and_saveexec_b64 s[46:47], vcc
	s_xor_b64 s[46:47], exec, s[46:47]
	s_cbranch_execz .LBB190_1194
; %bb.1178:
	s_movk_i32 s48, 0x80
	v_cmp_ne_u16_e32 vcc, s48, v2
	s_and_b64 s[48:49], vcc, exec
	s_andn2_saveexec_b64 s[46:47], s[46:47]
	s_cbranch_execnz .LBB190_1195
.LBB190_1179:
	s_or_b64 exec, exec, s[46:47]
	v_mov_b32_e32 v5, 0
	s_and_saveexec_b64 s[46:47], s[48:49]
	s_cbranch_execz .LBB190_1181
.LBB190_1180:
	v_lshlrev_b32_e32 v3, 24, v2
	v_and_b32_e32 v2, 0xffff, v2
	v_and_b32_e32 v5, 7, v2
	v_ffbh_u32_e32 v7, v5
	v_min_u32_e32 v7, 32, v7
	v_subrev_u32_e32 v8, 28, v7
	v_bfe_u32 v6, v2, 3, 4
	v_lshlrev_b32_e32 v2, v8, v2
	v_sub_u32_e32 v7, 29, v7
	v_and_b32_e32 v2, 7, v2
	v_cmp_eq_u32_e32 vcc, 0, v6
	v_cndmask_b32_e32 v6, v6, v7, vcc
	v_cndmask_b32_e32 v2, v5, v2, vcc
	v_mov_b32_e32 v5, 0x3b800000
	v_lshlrev_b32_e32 v2, 20, v2
	v_and_b32_e32 v3, 0x80000000, v3
	v_lshl_add_u32 v5, v6, 23, v5
	v_or3_b32 v2, v3, v5, v2
	v_cvt_i32_f32_e32 v5, v2
.LBB190_1181:
	s_or_b64 exec, exec, s[46:47]
.LBB190_1182:
	s_mov_b64 s[46:47], -1
.LBB190_1183:
	s_mov_b64 s[48:49], 0
.LBB190_1184:
	s_and_b64 vcc, exec, s[48:49]
	s_cbranch_vccz .LBB190_1215
; %bb.1185:
	s_cmp_gt_i32 s50, 22
	s_cbranch_scc0 .LBB190_1193
; %bb.1186:
	s_cmp_lt_i32 s50, 24
	s_cbranch_scc1 .LBB190_1196
; %bb.1187:
	s_cmp_gt_i32 s50, 24
	s_cbranch_scc0 .LBB190_1197
; %bb.1188:
	global_load_ubyte v2, v[0:1], off
	s_movk_i32 s44, 0x7f
	s_mov_b64 s[46:47], 0
	s_waitcnt vmcnt(0)
	v_cmp_lt_i16_e32 vcc, s44, v2
	s_and_saveexec_b64 s[44:45], vcc
	s_xor_b64 s[44:45], exec, s[44:45]
	s_cbranch_execz .LBB190_1209
; %bb.1189:
	s_movk_i32 s46, 0x80
	v_cmp_ne_u16_e32 vcc, s46, v2
	s_and_b64 s[46:47], vcc, exec
	s_andn2_saveexec_b64 s[44:45], s[44:45]
	s_cbranch_execnz .LBB190_1210
.LBB190_1190:
	s_or_b64 exec, exec, s[44:45]
	v_mov_b32_e32 v5, 0
	s_and_saveexec_b64 s[44:45], s[46:47]
	s_cbranch_execz .LBB190_1192
.LBB190_1191:
	v_lshlrev_b32_e32 v3, 24, v2
	v_and_b32_e32 v2, 0xffff, v2
	v_and_b32_e32 v5, 3, v2
	v_ffbh_u32_e32 v7, v5
	v_min_u32_e32 v7, 32, v7
	v_subrev_u32_e32 v8, 29, v7
	v_bfe_u32 v6, v2, 2, 5
	v_lshlrev_b32_e32 v2, v8, v2
	v_sub_u32_e32 v7, 30, v7
	v_and_b32_e32 v2, 3, v2
	v_cmp_eq_u32_e32 vcc, 0, v6
	v_cndmask_b32_e32 v6, v6, v7, vcc
	v_cndmask_b32_e32 v2, v5, v2, vcc
	v_mov_b32_e32 v5, 0x37800000
	v_lshlrev_b32_e32 v2, 21, v2
	v_and_b32_e32 v3, 0x80000000, v3
	v_lshl_add_u32 v5, v6, 23, v5
	v_or3_b32 v2, v3, v5, v2
	v_cvt_i32_f32_e32 v5, v2
.LBB190_1192:
	s_or_b64 exec, exec, s[44:45]
	s_mov_b64 s[44:45], 0
	s_branch .LBB190_1198
.LBB190_1193:
	s_mov_b64 s[44:45], -1
                                        ; implicit-def: $vgpr5
	s_branch .LBB190_1204
.LBB190_1194:
	s_andn2_saveexec_b64 s[46:47], s[46:47]
	s_cbranch_execz .LBB190_1179
.LBB190_1195:
	v_cmp_ne_u16_e32 vcc, 0, v2
	s_andn2_b64 s[48:49], s[48:49], exec
	s_and_b64 s[52:53], vcc, exec
	s_or_b64 s[48:49], s[48:49], s[52:53]
	s_or_b64 exec, exec, s[46:47]
	v_mov_b32_e32 v5, 0
	s_and_saveexec_b64 s[46:47], s[48:49]
	s_cbranch_execnz .LBB190_1180
	s_branch .LBB190_1181
.LBB190_1196:
	s_mov_b64 s[44:45], -1
                                        ; implicit-def: $vgpr5
	s_branch .LBB190_1201
.LBB190_1197:
	s_mov_b64 s[44:45], -1
                                        ; implicit-def: $vgpr5
.LBB190_1198:
	s_and_b64 vcc, exec, s[44:45]
	s_cbranch_vccz .LBB190_1200
; %bb.1199:
	global_load_ubyte v2, v[0:1], off
	s_mov_b32 s44, 0x7f800000
	s_waitcnt vmcnt(0)
	v_lshlrev_b32_e32 v2, 24, v2
	v_and_b32_e32 v3, 0x7f000000, v2
	v_ffbh_u32_e32 v5, v3
	v_min_u32_e32 v5, 32, v5
	v_sub_u32_e64 v5, v5, 4 clamp
	v_lshlrev_b32_e32 v7, v5, v3
	v_lshlrev_b32_e32 v5, 23, v5
	v_lshrrev_b32_e32 v7, 4, v7
	v_add_u32_e32 v6, 0x1000000, v3
	v_sub_u32_e32 v5, v7, v5
	v_ashrrev_i32_e32 v6, 8, v6
	v_add_u32_e32 v5, 0x3c000000, v5
	v_and_or_b32 v5, v6, s44, v5
	v_cmp_ne_u32_e32 vcc, 0, v3
	v_cndmask_b32_e32 v3, 0, v5, vcc
	s_brev_b32 s44, 1
	v_and_or_b32 v2, v2, s44, v3
	v_cvt_i32_f32_e32 v5, v2
.LBB190_1200:
	s_mov_b64 s[44:45], 0
.LBB190_1201:
	s_andn2_b64 vcc, exec, s[44:45]
	s_cbranch_vccnz .LBB190_1203
; %bb.1202:
	global_load_ubyte v2, v[0:1], off
	s_movk_i32 s44, 0x7f00
	s_brev_b32 s45, 16
	s_waitcnt vmcnt(0)
	v_lshlrev_b16_e32 v3, 8, v2
	v_lshlrev_b32_e32 v2, 25, v2
	v_lshrrev_b32_e32 v5, 4, v2
	v_and_or_b32 v6, v3, s44, 0.5
	v_or_b32_e32 v5, 0x70000000, v5
	v_add_f32_e32 v6, -0.5, v6
	v_mul_f32_e32 v5, 0x7800000, v5
	v_cmp_gt_u32_e32 vcc, s45, v2
	v_bfe_i32 v3, v3, 0, 16
	v_cndmask_b32_e32 v2, v5, v6, vcc
	s_brev_b32 s44, 1
	v_and_or_b32 v2, v3, s44, v2
	v_cvt_i32_f32_e32 v5, v2
.LBB190_1203:
	s_mov_b64 s[44:45], 0
	s_mov_b64 s[46:47], -1
.LBB190_1204:
	s_andn2_b64 vcc, exec, s[44:45]
	s_mov_b64 s[44:45], 0
	s_cbranch_vccnz .LBB190_1215
; %bb.1205:
	s_cmp_gt_i32 s50, 14
	s_cbranch_scc0 .LBB190_1208
; %bb.1206:
	s_cmp_eq_u32 s50, 15
	s_cbranch_scc0 .LBB190_1211
; %bb.1207:
	global_load_ushort v2, v[0:1], off
	s_mov_b64 s[42:43], 0
	s_mov_b64 s[46:47], -1
	s_waitcnt vmcnt(0)
	v_lshlrev_b32_e32 v2, 16, v2
	v_cvt_i32_f32_e32 v5, v2
	s_branch .LBB190_1212
.LBB190_1208:
	s_mov_b64 s[48:49], -1
                                        ; implicit-def: $vgpr5
	s_branch .LBB190_1213
.LBB190_1209:
	s_andn2_saveexec_b64 s[44:45], s[44:45]
	s_cbranch_execz .LBB190_1190
.LBB190_1210:
	v_cmp_ne_u16_e32 vcc, 0, v2
	s_andn2_b64 s[46:47], s[46:47], exec
	s_and_b64 s[48:49], vcc, exec
	s_or_b64 s[46:47], s[46:47], s[48:49]
	s_or_b64 exec, exec, s[44:45]
	v_mov_b32_e32 v5, 0
	s_and_saveexec_b64 s[44:45], s[46:47]
	s_cbranch_execnz .LBB190_1191
	s_branch .LBB190_1192
.LBB190_1211:
	s_mov_b64 s[42:43], -1
                                        ; implicit-def: $vgpr5
.LBB190_1212:
	s_mov_b64 s[48:49], 0
.LBB190_1213:
	s_and_b64 vcc, exec, s[48:49]
	s_cbranch_vccz .LBB190_1215
; %bb.1214:
	s_cmp_lg_u32 s50, 11
	s_cselect_b64 s[48:49], -1, 0
	s_andn2_b64 s[42:43], s[42:43], exec
	s_and_b64 s[48:49], s[48:49], exec
	s_mov_b64 s[44:45], -1
	s_or_b64 s[42:43], s[42:43], s[48:49]
.LBB190_1215:
	s_mov_b64 s[48:49], 0
.LBB190_1216:
	s_and_b64 s[52:53], s[46:47], exec
	s_and_b64 s[46:47], s[44:45], exec
	s_andn2_b64 s[44:45], s[0:1], exec
	s_and_b64 s[42:43], s[42:43], exec
	s_and_b64 s[50:51], s[48:49], exec
	s_or_b64 s[48:49], s[44:45], s[42:43]
.LBB190_1217:
	s_or_b64 exec, exec, s[36:37]
	s_and_b64 s[42:43], s[46:47], exec
	s_andn2_b64 s[0:1], s[0:1], exec
	s_and_b64 s[46:47], s[48:49], exec
	s_and_b64 s[44:45], s[52:53], exec
	;; [unrolled: 1-line block ×3, first 2 shown]
	s_or_b64 s[0:1], s[0:1], s[46:47]
.LBB190_1218:
	s_or_b64 exec, exec, s[34:35]
	s_andn2_b64 s[28:29], s[28:29], exec
	s_and_b64 s[34:35], s[40:41], exec
	s_or_b64 s[28:29], s[28:29], s[34:35]
	s_andn2_b64 s[26:27], s[26:27], exec
	s_and_b64 s[34:35], s[38:39], exec
	s_andn2_b64 s[24:25], s[24:25], exec
	s_and_b64 s[0:1], s[0:1], exec
	s_or_b64 s[26:27], s[26:27], s[34:35]
	s_and_b64 s[38:39], s[44:45], exec
	s_and_b64 s[36:37], s[36:37], exec
	;; [unrolled: 1-line block ×3, first 2 shown]
	s_or_b64 s[24:25], s[24:25], s[0:1]
.LBB190_1219:
	s_or_b64 exec, exec, s[30:31]
	s_andn2_b64 s[0:1], s[6:7], exec
	s_and_b64 s[6:7], s[28:29], exec
	s_or_b64 s[6:7], s[0:1], s[6:7]
	s_andn2_b64 s[0:1], s[18:19], exec
	s_and_b64 s[18:19], s[26:27], exec
	s_or_b64 s[18:19], s[0:1], s[18:19]
	s_andn2_b64 s[0:1], s[20:21], exec
	s_and_b64 s[20:21], s[24:25], exec
	s_and_b64 s[28:29], s[38:39], exec
	;; [unrolled: 1-line block ×4, first 2 shown]
	s_or_b64 s[20:21], s[0:1], s[20:21]
	s_or_b64 exec, exec, s[22:23]
	s_mov_b64 s[22:23], 0
	s_and_saveexec_b64 s[0:1], s[20:21]
	s_cbranch_execz .LBB190_385
.LBB190_1220:
	s_mov_b64 s[22:23], exec
	s_andn2_b64 s[26:27], s[26:27], exec
	s_trap 2
	s_or_b64 exec, exec, s[0:1]
	s_and_saveexec_b64 s[0:1], s[26:27]
	s_xor_b64 s[0:1], exec, s[0:1]
	s_cbranch_execnz .LBB190_386
.LBB190_1221:
	s_or_b64 exec, exec, s[0:1]
	s_and_saveexec_b64 s[0:1], s[30:31]
	s_cbranch_execz .LBB190_1267
.LBB190_1222:
	s_sext_i32_i16 s20, s55
	s_cmp_lt_i32 s20, 5
	s_cbranch_scc1 .LBB190_1227
; %bb.1223:
	s_cmp_lt_i32 s20, 8
	s_cbranch_scc1 .LBB190_1228
; %bb.1224:
	;; [unrolled: 3-line block ×3, first 2 shown]
	s_cmp_gt_i32 s20, 9
	s_cbranch_scc0 .LBB190_1230
; %bb.1226:
	global_load_dwordx2 v[2:3], v[0:1], off
	s_mov_b64 s[20:21], 0
	s_waitcnt vmcnt(0)
	v_cvt_i32_f64_e32 v5, v[2:3]
	s_branch .LBB190_1231
.LBB190_1227:
                                        ; implicit-def: $vgpr5
	s_branch .LBB190_1248
.LBB190_1228:
                                        ; implicit-def: $vgpr5
	s_branch .LBB190_1237
.LBB190_1229:
	s_mov_b64 s[20:21], -1
                                        ; implicit-def: $vgpr5
	s_branch .LBB190_1234
.LBB190_1230:
	s_mov_b64 s[20:21], -1
                                        ; implicit-def: $vgpr5
.LBB190_1231:
	s_andn2_b64 vcc, exec, s[20:21]
	s_cbranch_vccnz .LBB190_1233
; %bb.1232:
	global_load_dword v2, v[0:1], off
	s_waitcnt vmcnt(0)
	v_cvt_i32_f32_e32 v5, v2
.LBB190_1233:
	s_mov_b64 s[20:21], 0
.LBB190_1234:
	s_andn2_b64 vcc, exec, s[20:21]
	s_cbranch_vccnz .LBB190_1236
; %bb.1235:
	global_load_dword v2, v[0:1], off
	s_waitcnt vmcnt(0)
	v_cvt_f32_f16_e32 v2, v2
	v_cvt_i32_f32_e32 v5, v2
.LBB190_1236:
	s_cbranch_execnz .LBB190_1247
.LBB190_1237:
	s_sext_i32_i16 s20, s55
	s_cmp_lt_i32 s20, 6
	s_cbranch_scc1 .LBB190_1240
; %bb.1238:
	s_cmp_gt_i32 s20, 6
	s_cbranch_scc0 .LBB190_1241
; %bb.1239:
	global_load_dwordx2 v[2:3], v[0:1], off
	s_mov_b64 s[20:21], 0
	s_waitcnt vmcnt(0)
	v_cvt_i32_f64_e32 v5, v[2:3]
	s_branch .LBB190_1242
.LBB190_1240:
	s_mov_b64 s[20:21], -1
                                        ; implicit-def: $vgpr5
	s_branch .LBB190_1245
.LBB190_1241:
	s_mov_b64 s[20:21], -1
                                        ; implicit-def: $vgpr5
.LBB190_1242:
	s_andn2_b64 vcc, exec, s[20:21]
	s_cbranch_vccnz .LBB190_1244
; %bb.1243:
	global_load_dword v2, v[0:1], off
	s_waitcnt vmcnt(0)
	v_cvt_i32_f32_e32 v5, v2
.LBB190_1244:
	s_mov_b64 s[20:21], 0
.LBB190_1245:
	s_andn2_b64 vcc, exec, s[20:21]
	s_cbranch_vccnz .LBB190_1247
; %bb.1246:
	global_load_ushort v2, v[0:1], off
	s_waitcnt vmcnt(0)
	v_cvt_f32_f16_e32 v2, v2
	v_cvt_i32_f32_e32 v5, v2
.LBB190_1247:
	s_cbranch_execnz .LBB190_1266
.LBB190_1248:
	s_sext_i32_i16 s20, s55
	s_cmp_lt_i32 s20, 2
	s_cbranch_scc1 .LBB190_1252
; %bb.1249:
	s_cmp_lt_i32 s20, 3
	s_cbranch_scc1 .LBB190_1253
; %bb.1250:
	s_cmp_gt_i32 s20, 3
	s_cbranch_scc0 .LBB190_1254
; %bb.1251:
	global_load_dword v5, v[0:1], off
	s_mov_b64 s[20:21], 0
	s_branch .LBB190_1255
.LBB190_1252:
                                        ; implicit-def: $vgpr5
	s_branch .LBB190_1261
.LBB190_1253:
	s_mov_b64 s[20:21], -1
                                        ; implicit-def: $vgpr5
	s_branch .LBB190_1258
.LBB190_1254:
	s_mov_b64 s[20:21], -1
                                        ; implicit-def: $vgpr5
.LBB190_1255:
	s_andn2_b64 vcc, exec, s[20:21]
	s_cbranch_vccnz .LBB190_1257
; %bb.1256:
	global_load_dword v5, v[0:1], off
.LBB190_1257:
	s_mov_b64 s[20:21], 0
.LBB190_1258:
	s_andn2_b64 vcc, exec, s[20:21]
	s_cbranch_vccnz .LBB190_1260
; %bb.1259:
	global_load_sshort v5, v[0:1], off
.LBB190_1260:
	s_cbranch_execnz .LBB190_1266
.LBB190_1261:
	s_sext_i32_i16 s20, s55
	s_cmp_gt_i32 s20, 0
	s_cbranch_scc0 .LBB190_1263
; %bb.1262:
	global_load_sbyte v5, v[0:1], off
	s_mov_b64 s[20:21], 0
	s_branch .LBB190_1264
.LBB190_1263:
	s_mov_b64 s[20:21], -1
                                        ; implicit-def: $vgpr5
.LBB190_1264:
	s_andn2_b64 vcc, exec, s[20:21]
	s_cbranch_vccnz .LBB190_1266
; %bb.1265:
	global_load_ubyte v5, v[0:1], off
.LBB190_1266:
	s_or_b64 s[28:29], s[28:29], exec
.LBB190_1267:
	s_or_b64 exec, exec, s[0:1]
	s_mov_b64 s[26:27], 0
	s_mov_b64 s[30:31], 0
	;; [unrolled: 1-line block ×3, first 2 shown]
                                        ; implicit-def: $sgpr34
                                        ; implicit-def: $vgpr0_vgpr1
                                        ; implicit-def: $vgpr6
	s_and_saveexec_b64 s[0:1], s[28:29]
	s_cbranch_execz .LBB190_1275
; %bb.1268:
	v_mul_lo_u32 v0, v4, s14
	v_mov_b32_e32 v1, s3
	s_and_b32 s34, s15, 0xff
	s_cmp_lt_i32 s34, 11
	s_waitcnt vmcnt(0)
	v_ashrrev_i32_e32 v2, 31, v0
	v_add_co_u32_e32 v0, vcc, s2, v0
	v_addc_co_u32_e32 v1, vcc, v1, v2, vcc
	s_cbranch_scc1 .LBB190_1278
; %bb.1269:
	s_and_b32 s30, 0xffff, s34
	s_cmp_gt_i32 s30, 25
	s_cbranch_scc0 .LBB190_1279
; %bb.1270:
	s_cmp_gt_i32 s30, 28
	s_cbranch_scc0 .LBB190_1280
; %bb.1271:
	;; [unrolled: 3-line block ×4, first 2 shown]
	s_cmp_eq_u32 s30, 46
	s_mov_b64 s[28:29], 0
	s_cbranch_scc0 .LBB190_1283
; %bb.1274:
	global_load_dword v2, v[0:1], off
	s_mov_b64 s[20:21], 0
	s_mov_b64 s[24:25], -1
	s_waitcnt vmcnt(0)
	v_lshlrev_b32_e32 v2, 16, v2
	v_cvt_i32_f32_e32 v6, v2
	s_branch .LBB190_1285
.LBB190_1275:
	s_or_b64 exec, exec, s[0:1]
	s_and_saveexec_b64 s[0:1], s[18:19]
	s_cbranch_execnz .LBB190_1344
.LBB190_1276:
	s_or_b64 exec, exec, s[0:1]
	s_and_saveexec_b64 s[0:1], s[26:27]
	s_xor_b64 s[0:1], exec, s[0:1]
	s_cbranch_execz .LBB190_1345
.LBB190_1277:
	global_load_ubyte v2, v[0:1], off
	s_or_b64 s[24:25], s[24:25], exec
	s_waitcnt vmcnt(0)
	v_cmp_ne_u16_e32 vcc, 0, v2
	v_cndmask_b32_e64 v6, 0, 1, vcc
	s_or_b64 exec, exec, s[0:1]
	s_and_saveexec_b64 s[0:1], s[30:31]
	s_cbranch_execz .LBB190_1391
	s_branch .LBB190_1346
.LBB190_1278:
	s_mov_b64 s[28:29], -1
                                        ; implicit-def: $vgpr6
	s_mov_b64 s[20:21], s[18:19]
	s_branch .LBB190_1343
.LBB190_1279:
	s_mov_b64 s[20:21], s[18:19]
                                        ; implicit-def: $vgpr6
	s_cbranch_execnz .LBB190_1312
	s_branch .LBB190_1342
.LBB190_1280:
	s_mov_b64 s[28:29], -1
	s_mov_b64 s[20:21], s[18:19]
                                        ; implicit-def: $vgpr6
	s_branch .LBB190_1295
.LBB190_1281:
	s_mov_b64 s[28:29], -1
	s_mov_b64 s[20:21], s[18:19]
                                        ; implicit-def: $vgpr6
	s_branch .LBB190_1290
.LBB190_1282:
	s_mov_b64 s[28:29], -1
	s_mov_b64 s[20:21], s[18:19]
	s_branch .LBB190_1284
.LBB190_1283:
	s_mov_b64 s[20:21], -1
.LBB190_1284:
                                        ; implicit-def: $vgpr6
.LBB190_1285:
	s_and_b64 vcc, exec, s[28:29]
	s_cbranch_vccz .LBB190_1289
; %bb.1286:
	s_cmp_eq_u32 s30, 44
	s_cbranch_scc0 .LBB190_1288
; %bb.1287:
	global_load_ubyte v2, v[0:1], off
	s_mov_b64 s[20:21], 0
	s_mov_b64 s[24:25], -1
	s_waitcnt vmcnt(0)
	v_lshlrev_b32_e32 v3, 23, v2
	v_cvt_i32_f32_e32 v3, v3
	v_cmp_ne_u32_e32 vcc, 0, v2
	v_cndmask_b32_e32 v6, 0, v3, vcc
	s_branch .LBB190_1289
.LBB190_1288:
	s_mov_b64 s[20:21], -1
                                        ; implicit-def: $vgpr6
.LBB190_1289:
	s_mov_b64 s[28:29], 0
.LBB190_1290:
	s_and_b64 vcc, exec, s[28:29]
	s_cbranch_vccz .LBB190_1294
; %bb.1291:
	s_cmp_eq_u32 s30, 29
	s_cbranch_scc0 .LBB190_1293
; %bb.1292:
	global_load_dword v6, v[0:1], off
	s_mov_b64 s[20:21], 0
	s_mov_b64 s[24:25], -1
	s_branch .LBB190_1294
.LBB190_1293:
	s_mov_b64 s[20:21], -1
                                        ; implicit-def: $vgpr6
.LBB190_1294:
	s_mov_b64 s[28:29], 0
.LBB190_1295:
	s_and_b64 vcc, exec, s[28:29]
	s_cbranch_vccz .LBB190_1311
; %bb.1296:
	s_cmp_lt_i32 s30, 27
	s_cbranch_scc1 .LBB190_1299
; %bb.1297:
	s_cmp_gt_i32 s30, 27
	s_cbranch_scc0 .LBB190_1300
; %bb.1298:
	global_load_dword v6, v[0:1], off
	s_mov_b64 s[24:25], 0
	s_branch .LBB190_1301
.LBB190_1299:
	s_mov_b64 s[24:25], -1
                                        ; implicit-def: $vgpr6
	s_branch .LBB190_1304
.LBB190_1300:
	s_mov_b64 s[24:25], -1
                                        ; implicit-def: $vgpr6
.LBB190_1301:
	s_andn2_b64 vcc, exec, s[24:25]
	s_cbranch_vccnz .LBB190_1303
; %bb.1302:
	global_load_ushort v6, v[0:1], off
.LBB190_1303:
	s_mov_b64 s[24:25], 0
.LBB190_1304:
	s_andn2_b64 vcc, exec, s[24:25]
	s_cbranch_vccnz .LBB190_1310
; %bb.1305:
	global_load_ubyte v2, v[0:1], off
	s_movk_i32 s24, 0x7f
	s_mov_b64 s[28:29], 0
	s_waitcnt vmcnt(0)
	v_cmp_lt_i16_e32 vcc, s24, v2
	s_and_saveexec_b64 s[24:25], vcc
	s_xor_b64 s[24:25], exec, s[24:25]
	s_cbranch_execz .LBB190_1321
; %bb.1306:
	s_movk_i32 s28, 0x80
	v_cmp_ne_u16_e32 vcc, s28, v2
	s_and_b64 s[28:29], vcc, exec
	s_andn2_saveexec_b64 s[24:25], s[24:25]
	s_cbranch_execnz .LBB190_1322
.LBB190_1307:
	s_or_b64 exec, exec, s[24:25]
	v_mov_b32_e32 v6, 0
	s_and_saveexec_b64 s[24:25], s[28:29]
	s_cbranch_execz .LBB190_1309
.LBB190_1308:
	v_lshlrev_b32_e32 v3, 24, v2
	v_and_b32_e32 v2, 0xffff, v2
	v_and_b32_e32 v6, 7, v2
	v_ffbh_u32_e32 v8, v6
	v_min_u32_e32 v8, 32, v8
	v_subrev_u32_e32 v9, 28, v8
	v_bfe_u32 v7, v2, 3, 4
	v_lshlrev_b32_e32 v2, v9, v2
	v_sub_u32_e32 v8, 29, v8
	v_and_b32_e32 v2, 7, v2
	v_cmp_eq_u32_e32 vcc, 0, v7
	v_cndmask_b32_e32 v7, v7, v8, vcc
	v_cndmask_b32_e32 v2, v6, v2, vcc
	v_mov_b32_e32 v6, 0x3b800000
	v_lshlrev_b32_e32 v2, 20, v2
	v_and_b32_e32 v3, 0x80000000, v3
	v_lshl_add_u32 v6, v7, 23, v6
	v_or3_b32 v2, v3, v6, v2
	v_cvt_i32_f32_e32 v6, v2
.LBB190_1309:
	s_or_b64 exec, exec, s[24:25]
.LBB190_1310:
	s_mov_b64 s[24:25], -1
.LBB190_1311:
	s_branch .LBB190_1342
.LBB190_1312:
	s_cmp_gt_i32 s30, 22
	s_cbranch_scc0 .LBB190_1320
; %bb.1313:
	s_cmp_lt_i32 s30, 24
	s_cbranch_scc1 .LBB190_1323
; %bb.1314:
	s_cmp_gt_i32 s30, 24
	s_cbranch_scc0 .LBB190_1324
; %bb.1315:
	global_load_ubyte v2, v[0:1], off
	s_movk_i32 s24, 0x7f
	s_waitcnt vmcnt(0)
	v_cmp_lt_i16_e32 vcc, s24, v2
	s_and_saveexec_b64 s[24:25], vcc
	s_xor_b64 s[24:25], exec, s[24:25]
	s_cbranch_execz .LBB190_1336
; %bb.1316:
	s_movk_i32 s26, 0x80
	v_cmp_ne_u16_e32 vcc, s26, v2
	s_and_b64 s[26:27], vcc, exec
	s_andn2_saveexec_b64 s[24:25], s[24:25]
	s_cbranch_execnz .LBB190_1337
.LBB190_1317:
	s_or_b64 exec, exec, s[24:25]
	v_mov_b32_e32 v6, 0
	s_and_saveexec_b64 s[24:25], s[26:27]
	s_cbranch_execz .LBB190_1319
.LBB190_1318:
	v_lshlrev_b32_e32 v3, 24, v2
	v_and_b32_e32 v2, 0xffff, v2
	v_and_b32_e32 v6, 3, v2
	v_ffbh_u32_e32 v8, v6
	v_min_u32_e32 v8, 32, v8
	v_subrev_u32_e32 v9, 29, v8
	v_bfe_u32 v7, v2, 2, 5
	v_lshlrev_b32_e32 v2, v9, v2
	v_sub_u32_e32 v8, 30, v8
	v_and_b32_e32 v2, 3, v2
	v_cmp_eq_u32_e32 vcc, 0, v7
	v_cndmask_b32_e32 v7, v7, v8, vcc
	v_cndmask_b32_e32 v2, v6, v2, vcc
	v_mov_b32_e32 v6, 0x37800000
	v_lshlrev_b32_e32 v2, 21, v2
	v_and_b32_e32 v3, 0x80000000, v3
	v_lshl_add_u32 v6, v7, 23, v6
	v_or3_b32 v2, v3, v6, v2
	v_cvt_i32_f32_e32 v6, v2
.LBB190_1319:
	s_or_b64 exec, exec, s[24:25]
	s_mov_b64 s[24:25], 0
	s_branch .LBB190_1325
.LBB190_1320:
	s_mov_b64 s[26:27], -1
                                        ; implicit-def: $vgpr6
	s_branch .LBB190_1331
.LBB190_1321:
	s_andn2_saveexec_b64 s[24:25], s[24:25]
	s_cbranch_execz .LBB190_1307
.LBB190_1322:
	v_cmp_ne_u16_e32 vcc, 0, v2
	s_andn2_b64 s[28:29], s[28:29], exec
	s_and_b64 s[36:37], vcc, exec
	s_or_b64 s[28:29], s[28:29], s[36:37]
	s_or_b64 exec, exec, s[24:25]
	v_mov_b32_e32 v6, 0
	s_and_saveexec_b64 s[24:25], s[28:29]
	s_cbranch_execnz .LBB190_1308
	s_branch .LBB190_1309
.LBB190_1323:
	s_mov_b64 s[24:25], -1
                                        ; implicit-def: $vgpr6
	s_branch .LBB190_1328
.LBB190_1324:
	s_mov_b64 s[24:25], -1
                                        ; implicit-def: $vgpr6
.LBB190_1325:
	s_and_b64 vcc, exec, s[24:25]
	s_cbranch_vccz .LBB190_1327
; %bb.1326:
	global_load_ubyte v2, v[0:1], off
	s_mov_b32 s24, 0x7f800000
	s_waitcnt vmcnt(0)
	v_lshlrev_b32_e32 v2, 24, v2
	v_and_b32_e32 v3, 0x7f000000, v2
	v_ffbh_u32_e32 v6, v3
	v_min_u32_e32 v6, 32, v6
	v_sub_u32_e64 v6, v6, 4 clamp
	v_lshlrev_b32_e32 v8, v6, v3
	v_lshlrev_b32_e32 v6, 23, v6
	v_lshrrev_b32_e32 v8, 4, v8
	v_add_u32_e32 v7, 0x1000000, v3
	v_sub_u32_e32 v6, v8, v6
	v_ashrrev_i32_e32 v7, 8, v7
	v_add_u32_e32 v6, 0x3c000000, v6
	v_and_or_b32 v6, v7, s24, v6
	v_cmp_ne_u32_e32 vcc, 0, v3
	v_cndmask_b32_e32 v3, 0, v6, vcc
	s_brev_b32 s24, 1
	v_and_or_b32 v2, v2, s24, v3
	v_cvt_i32_f32_e32 v6, v2
.LBB190_1327:
	s_mov_b64 s[24:25], 0
.LBB190_1328:
	s_andn2_b64 vcc, exec, s[24:25]
	s_cbranch_vccnz .LBB190_1330
; %bb.1329:
	global_load_ubyte v2, v[0:1], off
	s_movk_i32 s24, 0x7f00
	s_brev_b32 s25, 16
	s_waitcnt vmcnt(0)
	v_lshlrev_b16_e32 v3, 8, v2
	v_lshlrev_b32_e32 v2, 25, v2
	v_lshrrev_b32_e32 v6, 4, v2
	v_and_or_b32 v7, v3, s24, 0.5
	v_or_b32_e32 v6, 0x70000000, v6
	v_add_f32_e32 v7, -0.5, v7
	v_mul_f32_e32 v6, 0x7800000, v6
	v_cmp_gt_u32_e32 vcc, s25, v2
	v_bfe_i32 v3, v3, 0, 16
	v_cndmask_b32_e32 v2, v6, v7, vcc
	s_brev_b32 s24, 1
	v_and_or_b32 v2, v3, s24, v2
	v_cvt_i32_f32_e32 v6, v2
.LBB190_1330:
	s_mov_b64 s[26:27], 0
	s_mov_b64 s[24:25], -1
.LBB190_1331:
	s_andn2_b64 vcc, exec, s[26:27]
	s_mov_b64 s[26:27], 0
	s_cbranch_vccnz .LBB190_1342
; %bb.1332:
	s_cmp_gt_i32 s30, 14
	s_cbranch_scc0 .LBB190_1335
; %bb.1333:
	s_cmp_eq_u32 s30, 15
	s_cbranch_scc0 .LBB190_1338
; %bb.1334:
	global_load_ushort v2, v[0:1], off
	s_mov_b64 s[20:21], 0
	s_mov_b64 s[24:25], -1
	s_waitcnt vmcnt(0)
	v_lshlrev_b32_e32 v2, 16, v2
	v_cvt_i32_f32_e32 v6, v2
	s_branch .LBB190_1339
.LBB190_1335:
	s_mov_b64 s[28:29], -1
                                        ; implicit-def: $vgpr6
	s_branch .LBB190_1340
.LBB190_1336:
	s_andn2_saveexec_b64 s[24:25], s[24:25]
	s_cbranch_execz .LBB190_1317
.LBB190_1337:
	v_cmp_ne_u16_e32 vcc, 0, v2
	s_andn2_b64 s[26:27], s[26:27], exec
	s_and_b64 s[28:29], vcc, exec
	s_or_b64 s[26:27], s[26:27], s[28:29]
	s_or_b64 exec, exec, s[24:25]
	v_mov_b32_e32 v6, 0
	s_and_saveexec_b64 s[24:25], s[26:27]
	s_cbranch_execnz .LBB190_1318
	s_branch .LBB190_1319
.LBB190_1338:
	s_mov_b64 s[20:21], -1
                                        ; implicit-def: $vgpr6
.LBB190_1339:
	s_mov_b64 s[28:29], 0
.LBB190_1340:
	s_and_b64 vcc, exec, s[28:29]
	s_cbranch_vccz .LBB190_1342
; %bb.1341:
	s_cmp_lg_u32 s30, 11
	s_cselect_b64 s[28:29], -1, 0
	s_andn2_b64 s[20:21], s[20:21], exec
	s_and_b64 s[28:29], s[28:29], exec
	s_mov_b64 s[26:27], -1
	s_or_b64 s[20:21], s[20:21], s[28:29]
.LBB190_1342:
	s_mov_b64 s[28:29], 0
.LBB190_1343:
	s_andn2_b64 s[18:19], s[18:19], exec
	s_and_b64 s[20:21], s[20:21], exec
	s_and_b64 s[24:25], s[24:25], exec
	;; [unrolled: 1-line block ×4, first 2 shown]
	s_or_b64 s[18:19], s[18:19], s[20:21]
	s_or_b64 exec, exec, s[0:1]
	s_and_saveexec_b64 s[0:1], s[18:19]
	s_cbranch_execz .LBB190_1276
.LBB190_1344:
	s_or_b64 s[22:23], s[22:23], exec
	s_andn2_b64 s[26:27], s[26:27], exec
	s_trap 2
	s_or_b64 exec, exec, s[0:1]
	s_and_saveexec_b64 s[0:1], s[26:27]
	s_xor_b64 s[0:1], exec, s[0:1]
	s_cbranch_execnz .LBB190_1277
.LBB190_1345:
	s_or_b64 exec, exec, s[0:1]
	s_and_saveexec_b64 s[0:1], s[30:31]
	s_cbranch_execz .LBB190_1391
.LBB190_1346:
	s_sext_i32_i16 s18, s34
	s_cmp_lt_i32 s18, 5
	s_cbranch_scc1 .LBB190_1351
; %bb.1347:
	s_cmp_lt_i32 s18, 8
	s_cbranch_scc1 .LBB190_1352
; %bb.1348:
	;; [unrolled: 3-line block ×3, first 2 shown]
	s_cmp_gt_i32 s18, 9
	s_cbranch_scc0 .LBB190_1354
; %bb.1350:
	global_load_dwordx2 v[2:3], v[0:1], off
	s_mov_b64 s[18:19], 0
	s_waitcnt vmcnt(0)
	v_cvt_i32_f64_e32 v6, v[2:3]
	s_branch .LBB190_1355
.LBB190_1351:
                                        ; implicit-def: $vgpr6
	s_branch .LBB190_1372
.LBB190_1352:
                                        ; implicit-def: $vgpr6
	s_branch .LBB190_1361
.LBB190_1353:
	s_mov_b64 s[18:19], -1
                                        ; implicit-def: $vgpr6
	s_branch .LBB190_1358
.LBB190_1354:
	s_mov_b64 s[18:19], -1
                                        ; implicit-def: $vgpr6
.LBB190_1355:
	s_andn2_b64 vcc, exec, s[18:19]
	s_cbranch_vccnz .LBB190_1357
; %bb.1356:
	global_load_dword v2, v[0:1], off
	s_waitcnt vmcnt(0)
	v_cvt_i32_f32_e32 v6, v2
.LBB190_1357:
	s_mov_b64 s[18:19], 0
.LBB190_1358:
	s_andn2_b64 vcc, exec, s[18:19]
	s_cbranch_vccnz .LBB190_1360
; %bb.1359:
	global_load_dword v2, v[0:1], off
	s_waitcnt vmcnt(0)
	v_cvt_f32_f16_e32 v2, v2
	v_cvt_i32_f32_e32 v6, v2
.LBB190_1360:
	s_cbranch_execnz .LBB190_1371
.LBB190_1361:
	s_sext_i32_i16 s18, s34
	s_cmp_lt_i32 s18, 6
	s_cbranch_scc1 .LBB190_1364
; %bb.1362:
	s_cmp_gt_i32 s18, 6
	s_cbranch_scc0 .LBB190_1365
; %bb.1363:
	global_load_dwordx2 v[2:3], v[0:1], off
	s_mov_b64 s[18:19], 0
	s_waitcnt vmcnt(0)
	v_cvt_i32_f64_e32 v6, v[2:3]
	s_branch .LBB190_1366
.LBB190_1364:
	s_mov_b64 s[18:19], -1
                                        ; implicit-def: $vgpr6
	s_branch .LBB190_1369
.LBB190_1365:
	s_mov_b64 s[18:19], -1
                                        ; implicit-def: $vgpr6
.LBB190_1366:
	s_andn2_b64 vcc, exec, s[18:19]
	s_cbranch_vccnz .LBB190_1368
; %bb.1367:
	global_load_dword v2, v[0:1], off
	s_waitcnt vmcnt(0)
	v_cvt_i32_f32_e32 v6, v2
.LBB190_1368:
	s_mov_b64 s[18:19], 0
.LBB190_1369:
	s_andn2_b64 vcc, exec, s[18:19]
	s_cbranch_vccnz .LBB190_1371
; %bb.1370:
	global_load_ushort v2, v[0:1], off
	s_waitcnt vmcnt(0)
	v_cvt_f32_f16_e32 v2, v2
	v_cvt_i32_f32_e32 v6, v2
.LBB190_1371:
	s_cbranch_execnz .LBB190_1390
.LBB190_1372:
	s_sext_i32_i16 s18, s34
	s_cmp_lt_i32 s18, 2
	s_cbranch_scc1 .LBB190_1376
; %bb.1373:
	s_cmp_lt_i32 s18, 3
	s_cbranch_scc1 .LBB190_1377
; %bb.1374:
	s_cmp_gt_i32 s18, 3
	s_cbranch_scc0 .LBB190_1378
; %bb.1375:
	global_load_dword v6, v[0:1], off
	s_mov_b64 s[18:19], 0
	s_branch .LBB190_1379
.LBB190_1376:
                                        ; implicit-def: $vgpr6
	s_branch .LBB190_1385
.LBB190_1377:
	s_mov_b64 s[18:19], -1
                                        ; implicit-def: $vgpr6
	s_branch .LBB190_1382
.LBB190_1378:
	s_mov_b64 s[18:19], -1
                                        ; implicit-def: $vgpr6
.LBB190_1379:
	s_andn2_b64 vcc, exec, s[18:19]
	s_cbranch_vccnz .LBB190_1381
; %bb.1380:
	global_load_dword v6, v[0:1], off
.LBB190_1381:
	s_mov_b64 s[18:19], 0
.LBB190_1382:
	s_andn2_b64 vcc, exec, s[18:19]
	s_cbranch_vccnz .LBB190_1384
; %bb.1383:
	global_load_sshort v6, v[0:1], off
.LBB190_1384:
	s_cbranch_execnz .LBB190_1390
.LBB190_1385:
	s_sext_i32_i16 s18, s34
	s_cmp_gt_i32 s18, 0
	s_cbranch_scc0 .LBB190_1387
; %bb.1386:
	global_load_sbyte v6, v[0:1], off
	s_mov_b64 s[18:19], 0
	s_branch .LBB190_1388
.LBB190_1387:
	s_mov_b64 s[18:19], -1
                                        ; implicit-def: $vgpr6
.LBB190_1388:
	s_andn2_b64 vcc, exec, s[18:19]
	s_cbranch_vccnz .LBB190_1390
; %bb.1389:
	global_load_ubyte v6, v[0:1], off
.LBB190_1390:
	s_or_b64 s[24:25], s[24:25], exec
.LBB190_1391:
	s_or_b64 exec, exec, s[0:1]
	s_mov_b64 s[26:27], 0
	s_mov_b64 s[20:21], 0
                                        ; implicit-def: $sgpr30
                                        ; implicit-def: $vgpr2_vgpr3
                                        ; implicit-def: $vgpr0
	s_and_saveexec_b64 s[18:19], s[24:25]
	s_cbranch_execz .LBB190_1399
; %bb.1392:
	v_mul_lo_u32 v1, v4, s12
	s_waitcnt vmcnt(0)
	v_min_u32_e32 v0, 31, v6
	v_mov_b32_e32 v3, s9
	s_and_b32 s30, s33, 0xff
	v_ashrrev_i32_e32 v4, 31, v1
	v_add_co_u32_e32 v2, vcc, s8, v1
	v_ashrrev_i32_e32 v0, v0, v5
	s_cmp_lt_i32 s30, 11
	v_addc_co_u32_e32 v3, vcc, v3, v4, vcc
	s_cbranch_scc1 .LBB190_1402
; %bb.1393:
	s_and_b32 s31, 0xffff, s30
	s_mov_b64 s[24:25], -1
	s_cmp_gt_i32 s31, 25
	s_mov_b64 s[0:1], s[6:7]
	s_cbranch_scc0 .LBB190_1430
; %bb.1394:
	s_mov_b64 s[20:21], -1
	s_cmp_gt_i32 s31, 28
	s_mov_b64 s[0:1], s[6:7]
	s_cbranch_scc0 .LBB190_1414
; %bb.1395:
	s_cmp_gt_i32 s31, 43
	s_mov_b64 s[0:1], s[6:7]
	s_cbranch_scc0 .LBB190_1410
; %bb.1396:
	;; [unrolled: 4-line block ×3, first 2 shown]
	s_cmp_eq_u32 s31, 46
	s_mov_b64 s[0:1], -1
	s_cbranch_scc0 .LBB190_1403
; %bb.1398:
	v_cvt_f32_i32_e32 v1, v0
	s_movk_i32 s0, 0x7fff
	s_mov_b64 s[20:21], 0
	v_bfe_u32 v4, v1, 16, 1
	v_add3_u32 v1, v1, v4, s0
	v_lshrrev_b32_e32 v1, 16, v1
	global_store_dword v[2:3], v1, off
	s_mov_b64 s[0:1], 0
	s_branch .LBB190_1404
.LBB190_1399:
	s_or_b64 exec, exec, s[18:19]
	s_and_saveexec_b64 s[0:1], s[6:7]
	s_cbranch_execnz .LBB190_1472
.LBB190_1400:
	s_or_b64 exec, exec, s[0:1]
	s_and_saveexec_b64 s[0:1], s[26:27]
	s_xor_b64 s[0:1], exec, s[0:1]
	s_cbranch_execz .LBB190_1473
.LBB190_1401:
	v_cmp_ne_u32_e32 vcc, 0, v0
	v_cndmask_b32_e64 v1, 0, 1, vcc
	s_waitcnt vmcnt(0)
	global_store_byte v[2:3], v1, off
	s_or_b64 exec, exec, s[0:1]
	s_and_saveexec_b64 s[0:1], s[20:21]
	s_xor_b64 s[0:1], exec, s[0:1]
	s_cbranch_execz .LBB190_1511
	s_branch .LBB190_1474
.LBB190_1402:
	s_mov_b64 s[24:25], 0
	s_mov_b64 s[20:21], -1
	s_mov_b64 s[0:1], s[6:7]
	s_branch .LBB190_1471
.LBB190_1403:
	s_mov_b64 s[20:21], 0
.LBB190_1404:
	s_and_b64 vcc, exec, s[20:21]
	s_cbranch_vccz .LBB190_1409
; %bb.1405:
	s_cmp_eq_u32 s31, 44
	s_mov_b64 s[0:1], -1
	s_cbranch_scc0 .LBB190_1409
; %bb.1406:
	v_cvt_f32_i32_e32 v1, v0
	s_movk_i32 s0, 0xff
	v_mov_b32_e32 v5, 0xff
	v_bfe_u32 v4, v1, 23, 8
	v_cmp_ne_u32_e32 vcc, s0, v4
	s_and_saveexec_b64 s[20:21], vcc
; %bb.1407:
	s_mov_b32 s0, 0x3fffff
	v_lshrrev_b32_e32 v5, 23, v1
	v_and_b32_e32 v6, 0x400000, v1
	v_and_or_b32 v1, v1, s0, v4
	v_cmp_ne_u32_e32 vcc, 0, v6
	v_cmp_ne_u32_e64 s[0:1], 0, v1
	s_and_b64 s[0:1], vcc, s[0:1]
	v_cndmask_b32_e64 v1, 0, 1, s[0:1]
	v_add_u32_e32 v5, v5, v1
; %bb.1408:
	s_or_b64 exec, exec, s[20:21]
	s_mov_b64 s[0:1], 0
	global_store_byte v[2:3], v5, off
.LBB190_1409:
	s_mov_b64 s[20:21], 0
.LBB190_1410:
	s_and_b64 vcc, exec, s[20:21]
	s_cbranch_vccz .LBB190_1413
; %bb.1411:
	s_cmp_eq_u32 s31, 29
	s_mov_b64 s[0:1], -1
	s_cbranch_scc0 .LBB190_1413
; %bb.1412:
	v_ashrrev_i32_e32 v1, 31, v0
	global_store_dwordx2 v[2:3], v[0:1], off
	s_mov_b64 s[0:1], 0
.LBB190_1413:
	s_mov_b64 s[20:21], 0
.LBB190_1414:
	s_and_b64 vcc, exec, s[20:21]
	s_cbranch_vccz .LBB190_1429
; %bb.1415:
	s_cmp_lt_i32 s31, 27
	s_mov_b64 s[20:21], -1
	s_cbranch_scc1 .LBB190_1421
; %bb.1416:
	s_cmp_gt_i32 s31, 27
	s_cbranch_scc0 .LBB190_1418
; %bb.1417:
	s_mov_b64 s[20:21], 0
	global_store_dword v[2:3], v0, off
.LBB190_1418:
	s_andn2_b64 vcc, exec, s[20:21]
	s_cbranch_vccnz .LBB190_1420
; %bb.1419:
	global_store_short v[2:3], v0, off
.LBB190_1420:
	s_mov_b64 s[20:21], 0
.LBB190_1421:
	s_andn2_b64 vcc, exec, s[20:21]
	s_cbranch_vccnz .LBB190_1429
; %bb.1422:
	v_cvt_f32_i32_e32 v1, v0
	s_mov_b32 s20, 0x43800000
	v_mov_b32_e32 v5, 0x80
	v_and_b32_e32 v4, 0x7fffffff, v1
	v_cmp_gt_u32_e32 vcc, s20, v4
	s_and_saveexec_b64 s[20:21], vcc
	s_cbranch_execz .LBB190_1428
; %bb.1423:
	s_mov_b32 s24, 0x3bffffff
	v_cmp_lt_u32_e32 vcc, s24, v4
	s_mov_b64 s[24:25], 0
                                        ; implicit-def: $vgpr4
	s_and_saveexec_b64 s[26:27], vcc
	s_xor_b64 s[26:27], exec, s[26:27]
	s_cbranch_execz .LBB190_1526
; %bb.1424:
	v_bfe_u32 v4, v1, 20, 1
	s_mov_b32 s28, 0x487ffff
	v_add3_u32 v4, v1, v4, s28
	s_mov_b64 s[24:25], exec
	v_lshrrev_b32_e32 v4, 20, v4
	s_andn2_saveexec_b64 s[26:27], s[26:27]
	s_cbranch_execnz .LBB190_1527
.LBB190_1425:
	s_or_b64 exec, exec, s[26:27]
	v_mov_b32_e32 v5, 0
	s_and_saveexec_b64 s[26:27], s[24:25]
.LBB190_1426:
	v_lshrrev_b32_e32 v1, 24, v1
	s_movk_i32 s24, 0x80
	v_and_or_b32 v5, v1, s24, v4
.LBB190_1427:
	s_or_b64 exec, exec, s[26:27]
.LBB190_1428:
	s_or_b64 exec, exec, s[20:21]
	global_store_byte v[2:3], v5, off
.LBB190_1429:
	s_mov_b64 s[24:25], 0
.LBB190_1430:
	s_mov_b64 s[20:21], 0
	s_and_b64 vcc, exec, s[24:25]
	s_cbranch_vccz .LBB190_1470
; %bb.1431:
	s_cmp_gt_i32 s31, 22
	s_mov_b64 s[24:25], -1
	s_cbranch_scc0 .LBB190_1463
; %bb.1432:
	s_cmp_lt_i32 s31, 24
	s_cbranch_scc1 .LBB190_1452
; %bb.1433:
	s_cmp_gt_i32 s31, 24
	s_cbranch_scc0 .LBB190_1441
; %bb.1434:
	v_cvt_f32_i32_e32 v1, v0
	s_mov_b32 s24, 0x47800000
	v_mov_b32_e32 v5, 0x80
	v_and_b32_e32 v4, 0x7fffffff, v1
	v_cmp_gt_u32_e32 vcc, s24, v4
	s_and_saveexec_b64 s[24:25], vcc
	s_cbranch_execz .LBB190_1440
; %bb.1435:
	s_mov_b32 s26, 0x37ffffff
	v_cmp_lt_u32_e32 vcc, s26, v4
	s_mov_b64 s[26:27], 0
                                        ; implicit-def: $vgpr4
	s_and_saveexec_b64 s[28:29], vcc
	s_xor_b64 s[28:29], exec, s[28:29]
	s_cbranch_execz .LBB190_1646
; %bb.1436:
	v_bfe_u32 v4, v1, 21, 1
	s_mov_b32 s34, 0x88fffff
	v_add3_u32 v4, v1, v4, s34
	s_mov_b64 s[26:27], exec
	v_lshrrev_b32_e32 v4, 21, v4
	s_andn2_saveexec_b64 s[28:29], s[28:29]
	s_cbranch_execnz .LBB190_1647
.LBB190_1437:
	s_or_b64 exec, exec, s[28:29]
	v_mov_b32_e32 v5, 0
	s_and_saveexec_b64 s[28:29], s[26:27]
.LBB190_1438:
	v_lshrrev_b32_e32 v1, 24, v1
	s_movk_i32 s26, 0x80
	v_and_or_b32 v5, v1, s26, v4
.LBB190_1439:
	s_or_b64 exec, exec, s[28:29]
.LBB190_1440:
	s_or_b64 exec, exec, s[24:25]
	s_mov_b64 s[24:25], 0
	global_store_byte v[2:3], v5, off
.LBB190_1441:
	s_and_b64 vcc, exec, s[24:25]
	s_cbranch_vccz .LBB190_1451
; %bb.1442:
	v_cvt_f32_i32_e32 v1, v0
	s_mov_b32 s24, 0x43f00000
                                        ; implicit-def: $vgpr4
	v_and_b32_e32 v5, 0x7fffffff, v1
	v_cmp_gt_u32_e32 vcc, s24, v5
	s_and_saveexec_b64 s[24:25], vcc
	s_xor_b64 s[24:25], exec, s[24:25]
	s_cbranch_execz .LBB190_1448
; %bb.1443:
	s_mov_b32 s26, 0x3c7fffff
	v_cmp_lt_u32_e32 vcc, s26, v5
                                        ; implicit-def: $vgpr4
	s_and_saveexec_b64 s[26:27], vcc
	s_xor_b64 s[26:27], exec, s[26:27]
; %bb.1444:
	v_bfe_u32 v4, v1, 20, 1
	s_mov_b32 s28, 0x407ffff
	v_add3_u32 v4, v1, v4, s28
	v_lshrrev_b32_e32 v5, 20, v4
	v_and_b32_e32 v4, 0xff00000, v4
	s_mov_b32 s28, 0x7f00000
	v_mov_b32_e32 v6, 0x7e
	v_cmp_ne_u32_e32 vcc, s28, v4
	v_cndmask_b32_e32 v4, v6, v5, vcc
; %bb.1445:
	s_andn2_saveexec_b64 s[26:27], s[26:27]
; %bb.1446:
	s_mov_b32 s28, 0x46800000
	v_add_f32_e64 v4, |v1|, s28
; %bb.1447:
	s_or_b64 exec, exec, s[26:27]
                                        ; implicit-def: $vgpr5
.LBB190_1448:
	s_andn2_saveexec_b64 s[24:25], s[24:25]
; %bb.1449:
	s_mov_b32 s26, 0x7f800000
	v_mov_b32_e32 v4, 0x7e
	v_mov_b32_e32 v6, 0x7f
	v_cmp_lt_u32_e32 vcc, s26, v5
	v_cndmask_b32_e32 v4, v4, v6, vcc
; %bb.1450:
	s_or_b64 exec, exec, s[24:25]
	v_lshrrev_b32_e32 v1, 24, v1
	s_movk_i32 s24, 0x80
	v_and_or_b32 v1, v1, s24, v4
	global_store_byte v[2:3], v1, off
.LBB190_1451:
	s_mov_b64 s[24:25], 0
.LBB190_1452:
	s_andn2_b64 vcc, exec, s[24:25]
	s_cbranch_vccnz .LBB190_1462
; %bb.1453:
	v_cvt_f32_i32_e32 v1, v0
	s_mov_b32 s24, 0x47800000
                                        ; implicit-def: $vgpr4
	v_and_b32_e32 v5, 0x7fffffff, v1
	v_cmp_gt_u32_e32 vcc, s24, v5
	s_and_saveexec_b64 s[24:25], vcc
	s_xor_b64 s[24:25], exec, s[24:25]
	s_cbranch_execz .LBB190_1459
; %bb.1454:
	s_mov_b32 s26, 0x387fffff
	v_cmp_lt_u32_e32 vcc, s26, v5
                                        ; implicit-def: $vgpr4
	s_and_saveexec_b64 s[26:27], vcc
	s_xor_b64 s[26:27], exec, s[26:27]
; %bb.1455:
	v_bfe_u32 v4, v1, 21, 1
	s_mov_b32 s28, 0x80fffff
	v_add3_u32 v4, v1, v4, s28
	v_lshrrev_b32_e32 v4, 21, v4
; %bb.1456:
	s_andn2_saveexec_b64 s[26:27], s[26:27]
; %bb.1457:
	s_mov_b32 s28, 0x43000000
	v_add_f32_e64 v4, |v1|, s28
; %bb.1458:
	s_or_b64 exec, exec, s[26:27]
                                        ; implicit-def: $vgpr5
.LBB190_1459:
	s_andn2_saveexec_b64 s[24:25], s[24:25]
; %bb.1460:
	s_mov_b32 s26, 0x7f800000
	v_mov_b32_e32 v4, 0x7c
	v_mov_b32_e32 v6, 0x7f
	v_cmp_lt_u32_e32 vcc, s26, v5
	v_cndmask_b32_e32 v4, v4, v6, vcc
; %bb.1461:
	s_or_b64 exec, exec, s[24:25]
	v_lshrrev_b32_e32 v1, 24, v1
	s_movk_i32 s24, 0x80
	v_and_or_b32 v1, v1, s24, v4
	global_store_byte v[2:3], v1, off
.LBB190_1462:
	s_mov_b64 s[24:25], 0
.LBB190_1463:
	s_andn2_b64 vcc, exec, s[24:25]
	s_mov_b64 s[24:25], 0
	s_cbranch_vccnz .LBB190_1471
; %bb.1464:
	s_cmp_gt_i32 s31, 14
	s_mov_b64 s[26:27], -1
	s_cbranch_scc0 .LBB190_1468
; %bb.1465:
	s_cmp_eq_u32 s31, 15
	s_mov_b64 s[0:1], -1
	s_cbranch_scc0 .LBB190_1467
; %bb.1466:
	v_cvt_f32_i32_e32 v1, v0
	s_movk_i32 s0, 0x7fff
	v_bfe_u32 v4, v1, 16, 1
	v_add3_u32 v1, v1, v4, s0
	global_store_short_d16_hi v[2:3], v1, off
	s_mov_b64 s[0:1], 0
.LBB190_1467:
	s_mov_b64 s[26:27], 0
.LBB190_1468:
	s_and_b64 vcc, exec, s[26:27]
	s_cbranch_vccz .LBB190_1471
; %bb.1469:
	s_cmp_lg_u32 s31, 11
	s_cselect_b64 s[26:27], -1, 0
	s_andn2_b64 s[0:1], s[0:1], exec
	s_and_b64 s[26:27], s[26:27], exec
	s_mov_b64 s[24:25], -1
	s_or_b64 s[0:1], s[0:1], s[26:27]
	s_branch .LBB190_1471
.LBB190_1470:
	s_mov_b64 s[24:25], 0
.LBB190_1471:
	s_andn2_b64 s[6:7], s[6:7], exec
	s_and_b64 s[0:1], s[0:1], exec
	s_and_b64 s[20:21], s[20:21], exec
	;; [unrolled: 1-line block ×3, first 2 shown]
	s_or_b64 s[6:7], s[6:7], s[0:1]
	s_or_b64 exec, exec, s[18:19]
	s_and_saveexec_b64 s[0:1], s[6:7]
	s_cbranch_execz .LBB190_1400
.LBB190_1472:
	s_or_b64 s[22:23], s[22:23], exec
	s_andn2_b64 s[26:27], s[26:27], exec
	s_trap 2
	s_or_b64 exec, exec, s[0:1]
	s_and_saveexec_b64 s[0:1], s[26:27]
	s_xor_b64 s[0:1], exec, s[0:1]
	s_cbranch_execnz .LBB190_1401
.LBB190_1473:
	s_or_b64 exec, exec, s[0:1]
	s_and_saveexec_b64 s[0:1], s[20:21]
	s_xor_b64 s[0:1], exec, s[0:1]
	s_cbranch_execz .LBB190_1511
.LBB190_1474:
	s_sext_i32_i16 s18, s30
	s_cmp_lt_i32 s18, 5
	s_mov_b64 s[6:7], -1
	s_cbranch_scc1 .LBB190_1495
; %bb.1475:
	s_cmp_lt_i32 s18, 8
	s_cbranch_scc1 .LBB190_1485
; %bb.1476:
	s_cmp_lt_i32 s18, 9
	s_cbranch_scc1 .LBB190_1482
; %bb.1477:
	s_cmp_gt_i32 s18, 9
	s_cbranch_scc0 .LBB190_1479
; %bb.1478:
	s_waitcnt vmcnt(0)
	v_cvt_f64_i32_e32 v[4:5], v0
	v_mov_b32_e32 v6, 0
	v_mov_b32_e32 v7, v6
	s_mov_b64 s[6:7], 0
	global_store_dwordx4 v[2:3], v[4:7], off
.LBB190_1479:
	s_andn2_b64 vcc, exec, s[6:7]
	s_cbranch_vccnz .LBB190_1481
; %bb.1480:
	v_cvt_f32_i32_e32 v4, v0
	s_waitcnt vmcnt(0)
	v_mov_b32_e32 v5, 0
	global_store_dwordx2 v[2:3], v[4:5], off
.LBB190_1481:
	s_mov_b64 s[6:7], 0
.LBB190_1482:
	s_andn2_b64 vcc, exec, s[6:7]
	s_cbranch_vccnz .LBB190_1484
; %bb.1483:
	v_cvt_f32_i32_e32 v1, v0
	v_cvt_f16_f32_e32 v1, v1
	s_waitcnt vmcnt(0)
	global_store_dword v[2:3], v1, off
.LBB190_1484:
	s_mov_b64 s[6:7], 0
.LBB190_1485:
	s_andn2_b64 vcc, exec, s[6:7]
	s_cbranch_vccnz .LBB190_1494
; %bb.1486:
	s_sext_i32_i16 s18, s30
	s_cmp_lt_i32 s18, 6
	s_mov_b64 s[6:7], -1
	s_cbranch_scc1 .LBB190_1492
; %bb.1487:
	s_cmp_gt_i32 s18, 6
	s_cbranch_scc0 .LBB190_1489
; %bb.1488:
	s_waitcnt vmcnt(0)
	v_cvt_f64_i32_e32 v[4:5], v0
	s_mov_b64 s[6:7], 0
	global_store_dwordx2 v[2:3], v[4:5], off
.LBB190_1489:
	s_andn2_b64 vcc, exec, s[6:7]
	s_cbranch_vccnz .LBB190_1491
; %bb.1490:
	v_cvt_f32_i32_e32 v1, v0
	s_waitcnt vmcnt(0)
	global_store_dword v[2:3], v1, off
.LBB190_1491:
	s_mov_b64 s[6:7], 0
.LBB190_1492:
	s_andn2_b64 vcc, exec, s[6:7]
	s_cbranch_vccnz .LBB190_1494
; %bb.1493:
	v_cvt_f32_i32_e32 v1, v0
	v_cvt_f16_f32_e32 v1, v1
	s_waitcnt vmcnt(0)
	global_store_short v[2:3], v1, off
.LBB190_1494:
	s_mov_b64 s[6:7], 0
.LBB190_1495:
	s_andn2_b64 vcc, exec, s[6:7]
	s_cbranch_vccnz .LBB190_1511
; %bb.1496:
	s_sext_i32_i16 s18, s30
	s_cmp_lt_i32 s18, 2
	s_mov_b64 s[6:7], -1
	s_cbranch_scc1 .LBB190_1506
; %bb.1497:
	s_cmp_lt_i32 s18, 3
	s_cbranch_scc1 .LBB190_1503
; %bb.1498:
	s_cmp_gt_i32 s18, 3
	s_cbranch_scc0 .LBB190_1500
; %bb.1499:
	v_ashrrev_i32_e32 v1, 31, v0
	s_mov_b64 s[6:7], 0
	s_waitcnt vmcnt(0)
	global_store_dwordx2 v[2:3], v[0:1], off
.LBB190_1500:
	s_andn2_b64 vcc, exec, s[6:7]
	s_cbranch_vccnz .LBB190_1502
; %bb.1501:
	s_waitcnt vmcnt(0)
	global_store_dword v[2:3], v0, off
.LBB190_1502:
	s_mov_b64 s[6:7], 0
.LBB190_1503:
	s_andn2_b64 vcc, exec, s[6:7]
	s_cbranch_vccnz .LBB190_1505
; %bb.1504:
	s_waitcnt vmcnt(0)
	global_store_short v[2:3], v0, off
.LBB190_1505:
	s_mov_b64 s[6:7], 0
.LBB190_1506:
	s_andn2_b64 vcc, exec, s[6:7]
	s_cbranch_vccnz .LBB190_1511
; %bb.1507:
	s_sext_i32_i16 s6, s30
	s_cmp_gt_i32 s6, 0
	s_mov_b64 s[6:7], -1
	s_cbranch_scc0 .LBB190_1509
; %bb.1508:
	s_mov_b64 s[6:7], 0
	s_waitcnt vmcnt(0)
	global_store_byte v[2:3], v0, off
.LBB190_1509:
	s_andn2_b64 vcc, exec, s[6:7]
	s_cbranch_vccnz .LBB190_1511
; %bb.1510:
	s_waitcnt vmcnt(0)
	global_store_byte v[2:3], v0, off
.LBB190_1511:
	s_or_b64 exec, exec, s[0:1]
	s_and_b64 s[6:7], s[22:23], exec
                                        ; implicit-def: $vgpr4
.LBB190_1512:
	s_or_saveexec_b64 s[4:5], s[4:5]
	s_mov_b64 s[0:1], 0
                                        ; implicit-def: $sgpr20
                                        ; implicit-def: $vgpr0_vgpr1
                                        ; implicit-def: $vgpr2
	s_xor_b64 exec, exec, s[4:5]
	s_cbranch_execz .LBB190_2949
; %bb.1513:
	s_waitcnt vmcnt(0)
	v_mul_lo_u32 v5, s13, v4
	v_mov_b32_e32 v1, s11
	s_and_b32 s24, s54, 0xff
	s_cmp_lt_i32 s24, 11
	v_ashrrev_i32_e32 v2, 31, v5
	v_add_co_u32_e32 v0, vcc, s10, v5
	v_addc_co_u32_e32 v1, vcc, v1, v2, vcc
	s_cbranch_scc1 .LBB190_1520
; %bb.1514:
	s_and_b32 s22, 0xffff, s24
	s_cmp_gt_i32 s22, 25
	s_cbranch_scc0 .LBB190_1522
; %bb.1515:
	s_cmp_gt_i32 s22, 28
	s_cbranch_scc0 .LBB190_1523
; %bb.1516:
	;; [unrolled: 3-line block ×4, first 2 shown]
	s_cmp_eq_u32 s22, 46
	s_mov_b64 s[18:19], 0
	s_cbranch_scc0 .LBB190_1528
; %bb.1519:
	global_load_dword v2, v[0:1], off
	s_mov_b64 s[20:21], -1
	s_waitcnt vmcnt(0)
	v_lshlrev_b32_e32 v2, 16, v2
	v_cvt_i32_f32_e32 v2, v2
	s_branch .LBB190_1529
.LBB190_1520:
	s_mov_b64 s[20:21], 0
                                        ; implicit-def: $vgpr2
	s_mov_b64 s[18:19], s[6:7]
	s_cbranch_execnz .LBB190_1587
.LBB190_1521:
	s_andn2_b64 vcc, exec, s[20:21]
	s_cbranch_vccz .LBB190_1632
	s_branch .LBB190_2947
.LBB190_1522:
	s_mov_b64 s[20:21], 0
                                        ; implicit-def: $vgpr2
	s_cbranch_execnz .LBB190_1554
	s_branch .LBB190_1583
.LBB190_1523:
	s_mov_b64 s[20:21], 0
                                        ; implicit-def: $vgpr2
	s_cbranch_execz .LBB190_1553
	s_branch .LBB190_1538
.LBB190_1524:
	s_mov_b64 s[20:21], 0
                                        ; implicit-def: $vgpr2
	s_cbranch_execnz .LBB190_1534
	s_branch .LBB190_1537
.LBB190_1525:
	s_mov_b64 s[18:19], -1
	s_mov_b64 s[20:21], 0
                                        ; implicit-def: $vgpr2
	s_branch .LBB190_1529
.LBB190_1526:
	s_andn2_saveexec_b64 s[26:27], s[26:27]
	s_cbranch_execz .LBB190_1425
.LBB190_1527:
	s_mov_b32 s28, 0x46000000
	v_add_f32_e64 v4, |v1|, s28
	v_and_b32_e32 v4, 0xff, v4
	v_cmp_ne_u32_e32 vcc, 0, v4
	s_andn2_b64 s[24:25], s[24:25], exec
	s_and_b64 s[28:29], vcc, exec
	s_or_b64 s[24:25], s[24:25], s[28:29]
	s_or_b64 exec, exec, s[26:27]
	v_mov_b32_e32 v5, 0
	s_and_saveexec_b64 s[26:27], s[24:25]
	s_cbranch_execnz .LBB190_1426
	s_branch .LBB190_1427
.LBB190_1528:
	s_mov_b64 s[0:1], -1
                                        ; implicit-def: $vgpr2
	s_mov_b64 s[20:21], 0
.LBB190_1529:
	s_and_b64 vcc, exec, s[18:19]
	s_cbranch_vccz .LBB190_1532
; %bb.1530:
	s_cmp_eq_u32 s22, 44
	s_cbranch_scc0 .LBB190_1533
; %bb.1531:
	global_load_ubyte v2, v[0:1], off
	s_mov_b64 s[0:1], 0
	s_mov_b64 s[20:21], -1
	s_waitcnt vmcnt(0)
	v_lshlrev_b32_e32 v3, 23, v2
	v_cvt_i32_f32_e32 v3, v3
	v_cmp_ne_u32_e32 vcc, 0, v2
	v_cndmask_b32_e32 v2, 0, v3, vcc
.LBB190_1532:
	s_branch .LBB190_1537
.LBB190_1533:
	s_mov_b64 s[0:1], -1
                                        ; implicit-def: $vgpr2
	s_branch .LBB190_1537
.LBB190_1534:
	s_cmp_eq_u32 s22, 29
	s_cbranch_scc0 .LBB190_1536
; %bb.1535:
	global_load_dword v2, v[0:1], off
	s_mov_b64 s[0:1], 0
	s_mov_b64 s[20:21], -1
	s_branch .LBB190_1537
.LBB190_1536:
	s_mov_b64 s[0:1], -1
                                        ; implicit-def: $vgpr2
.LBB190_1537:
	s_branch .LBB190_1553
.LBB190_1538:
	s_cmp_lt_i32 s22, 27
	s_cbranch_scc1 .LBB190_1541
; %bb.1539:
	s_cmp_gt_i32 s22, 27
	s_cbranch_scc0 .LBB190_1542
; %bb.1540:
	global_load_dword v2, v[0:1], off
	s_mov_b64 s[18:19], 0
	s_branch .LBB190_1543
.LBB190_1541:
	s_mov_b64 s[18:19], -1
                                        ; implicit-def: $vgpr2
	s_branch .LBB190_1546
.LBB190_1542:
	s_mov_b64 s[18:19], -1
                                        ; implicit-def: $vgpr2
.LBB190_1543:
	s_andn2_b64 vcc, exec, s[18:19]
	s_cbranch_vccnz .LBB190_1545
; %bb.1544:
	global_load_ushort v2, v[0:1], off
.LBB190_1545:
	s_mov_b64 s[18:19], 0
.LBB190_1546:
	s_andn2_b64 vcc, exec, s[18:19]
	s_cbranch_vccnz .LBB190_1552
; %bb.1547:
	global_load_ubyte v3, v[0:1], off
	s_movk_i32 s18, 0x7f
	s_mov_b64 s[20:21], 0
	s_waitcnt vmcnt(0)
	v_cmp_lt_i16_e32 vcc, s18, v3
	s_and_saveexec_b64 s[18:19], vcc
	s_xor_b64 s[18:19], exec, s[18:19]
	s_cbranch_execz .LBB190_1563
; %bb.1548:
	s_movk_i32 s20, 0x80
	v_cmp_ne_u16_e32 vcc, s20, v3
	s_and_b64 s[20:21], vcc, exec
	s_andn2_saveexec_b64 s[18:19], s[18:19]
	s_cbranch_execnz .LBB190_1564
.LBB190_1549:
	s_or_b64 exec, exec, s[18:19]
	v_mov_b32_e32 v2, 0
	s_and_saveexec_b64 s[18:19], s[20:21]
	s_cbranch_execz .LBB190_1551
.LBB190_1550:
	v_lshlrev_b32_e32 v2, 24, v3
	v_and_b32_e32 v3, 0xffff, v3
	v_and_b32_e32 v6, 7, v3
	v_ffbh_u32_e32 v8, v6
	v_min_u32_e32 v8, 32, v8
	v_subrev_u32_e32 v9, 28, v8
	v_bfe_u32 v7, v3, 3, 4
	v_lshlrev_b32_e32 v3, v9, v3
	v_sub_u32_e32 v8, 29, v8
	v_and_b32_e32 v3, 7, v3
	v_cmp_eq_u32_e32 vcc, 0, v7
	v_cndmask_b32_e32 v7, v7, v8, vcc
	v_cndmask_b32_e32 v3, v6, v3, vcc
	v_mov_b32_e32 v6, 0x3b800000
	v_lshlrev_b32_e32 v3, 20, v3
	v_and_b32_e32 v2, 0x80000000, v2
	v_lshl_add_u32 v6, v7, 23, v6
	v_or3_b32 v2, v2, v6, v3
	v_cvt_i32_f32_e32 v2, v2
.LBB190_1551:
	s_or_b64 exec, exec, s[18:19]
.LBB190_1552:
	s_mov_b64 s[20:21], -1
.LBB190_1553:
	s_branch .LBB190_1583
.LBB190_1554:
	s_cmp_gt_i32 s22, 22
	s_cbranch_scc0 .LBB190_1562
; %bb.1555:
	s_cmp_lt_i32 s22, 24
	s_cbranch_scc1 .LBB190_1565
; %bb.1556:
	s_cmp_gt_i32 s22, 24
	s_cbranch_scc0 .LBB190_1566
; %bb.1557:
	global_load_ubyte v3, v[0:1], off
	s_movk_i32 s16, 0x7f
	s_mov_b64 s[18:19], 0
	s_waitcnt vmcnt(0)
	v_cmp_lt_i16_e32 vcc, s16, v3
	s_and_saveexec_b64 s[16:17], vcc
	s_xor_b64 s[16:17], exec, s[16:17]
	s_cbranch_execz .LBB190_1577
; %bb.1558:
	s_movk_i32 s18, 0x80
	v_cmp_ne_u16_e32 vcc, s18, v3
	s_and_b64 s[18:19], vcc, exec
	s_andn2_saveexec_b64 s[16:17], s[16:17]
	s_cbranch_execnz .LBB190_1578
.LBB190_1559:
	s_or_b64 exec, exec, s[16:17]
	v_mov_b32_e32 v2, 0
	s_and_saveexec_b64 s[16:17], s[18:19]
	s_cbranch_execz .LBB190_1561
.LBB190_1560:
	v_lshlrev_b32_e32 v2, 24, v3
	v_and_b32_e32 v3, 0xffff, v3
	v_and_b32_e32 v6, 3, v3
	v_ffbh_u32_e32 v8, v6
	v_min_u32_e32 v8, 32, v8
	v_subrev_u32_e32 v9, 29, v8
	v_bfe_u32 v7, v3, 2, 5
	v_lshlrev_b32_e32 v3, v9, v3
	v_sub_u32_e32 v8, 30, v8
	v_and_b32_e32 v3, 3, v3
	v_cmp_eq_u32_e32 vcc, 0, v7
	v_cndmask_b32_e32 v7, v7, v8, vcc
	v_cndmask_b32_e32 v3, v6, v3, vcc
	v_mov_b32_e32 v6, 0x37800000
	v_lshlrev_b32_e32 v3, 21, v3
	v_and_b32_e32 v2, 0x80000000, v2
	v_lshl_add_u32 v6, v7, 23, v6
	v_or3_b32 v2, v2, v6, v3
	v_cvt_i32_f32_e32 v2, v2
.LBB190_1561:
	s_or_b64 exec, exec, s[16:17]
	s_mov_b64 s[16:17], 0
	s_branch .LBB190_1567
.LBB190_1562:
                                        ; implicit-def: $vgpr2
	s_mov_b64 s[16:17], 0
	s_branch .LBB190_1573
.LBB190_1563:
	s_andn2_saveexec_b64 s[18:19], s[18:19]
	s_cbranch_execz .LBB190_1549
.LBB190_1564:
	v_cmp_ne_u16_e32 vcc, 0, v3
	s_andn2_b64 s[20:21], s[20:21], exec
	s_and_b64 s[26:27], vcc, exec
	s_or_b64 s[20:21], s[20:21], s[26:27]
	s_or_b64 exec, exec, s[18:19]
	v_mov_b32_e32 v2, 0
	s_and_saveexec_b64 s[18:19], s[20:21]
	s_cbranch_execnz .LBB190_1550
	s_branch .LBB190_1551
.LBB190_1565:
	s_mov_b64 s[16:17], -1
                                        ; implicit-def: $vgpr2
	s_branch .LBB190_1570
.LBB190_1566:
	s_mov_b64 s[16:17], -1
                                        ; implicit-def: $vgpr2
.LBB190_1567:
	s_and_b64 vcc, exec, s[16:17]
	s_cbranch_vccz .LBB190_1569
; %bb.1568:
	global_load_ubyte v2, v[0:1], off
	s_mov_b32 s16, 0x7f800000
	s_waitcnt vmcnt(0)
	v_lshlrev_b32_e32 v2, 24, v2
	v_and_b32_e32 v3, 0x7f000000, v2
	v_ffbh_u32_e32 v6, v3
	v_min_u32_e32 v6, 32, v6
	v_sub_u32_e64 v6, v6, 4 clamp
	v_lshlrev_b32_e32 v8, v6, v3
	v_lshlrev_b32_e32 v6, 23, v6
	v_lshrrev_b32_e32 v8, 4, v8
	v_add_u32_e32 v7, 0x1000000, v3
	v_sub_u32_e32 v6, v8, v6
	v_ashrrev_i32_e32 v7, 8, v7
	v_add_u32_e32 v6, 0x3c000000, v6
	v_and_or_b32 v6, v7, s16, v6
	v_cmp_ne_u32_e32 vcc, 0, v3
	v_cndmask_b32_e32 v3, 0, v6, vcc
	s_brev_b32 s16, 1
	v_and_or_b32 v2, v2, s16, v3
	v_cvt_i32_f32_e32 v2, v2
.LBB190_1569:
	s_mov_b64 s[16:17], 0
.LBB190_1570:
	s_andn2_b64 vcc, exec, s[16:17]
	s_cbranch_vccnz .LBB190_1572
; %bb.1571:
	global_load_ubyte v2, v[0:1], off
	s_movk_i32 s16, 0x7f00
	s_brev_b32 s17, 16
	s_waitcnt vmcnt(0)
	v_lshlrev_b16_e32 v3, 8, v2
	v_lshlrev_b32_e32 v2, 25, v2
	v_lshrrev_b32_e32 v6, 4, v2
	v_and_or_b32 v7, v3, s16, 0.5
	v_or_b32_e32 v6, 0x70000000, v6
	v_add_f32_e32 v7, -0.5, v7
	v_mul_f32_e32 v6, 0x7800000, v6
	v_cmp_gt_u32_e32 vcc, s17, v2
	v_bfe_i32 v3, v3, 0, 16
	v_cndmask_b32_e32 v2, v6, v7, vcc
	s_brev_b32 s16, 1
	v_and_or_b32 v2, v3, s16, v2
	v_cvt_i32_f32_e32 v2, v2
.LBB190_1572:
	s_mov_b64 s[20:21], -1
	s_mov_b64 s[16:17], 0
	s_cbranch_execnz .LBB190_1583
.LBB190_1573:
	s_cmp_gt_i32 s22, 14
	s_cbranch_scc0 .LBB190_1576
; %bb.1574:
	s_cmp_eq_u32 s22, 15
	s_cbranch_scc0 .LBB190_1579
; %bb.1575:
	global_load_ushort v2, v[0:1], off
	s_mov_b64 s[0:1], 0
	s_mov_b64 s[20:21], -1
	s_waitcnt vmcnt(0)
	v_lshlrev_b32_e32 v2, 16, v2
	v_cvt_i32_f32_e32 v2, v2
	s_branch .LBB190_1580
.LBB190_1576:
	s_mov_b64 s[18:19], -1
                                        ; implicit-def: $vgpr2
	s_branch .LBB190_1581
.LBB190_1577:
	s_andn2_saveexec_b64 s[16:17], s[16:17]
	s_cbranch_execz .LBB190_1559
.LBB190_1578:
	v_cmp_ne_u16_e32 vcc, 0, v3
	s_andn2_b64 s[18:19], s[18:19], exec
	s_and_b64 s[20:21], vcc, exec
	s_or_b64 s[18:19], s[18:19], s[20:21]
	s_or_b64 exec, exec, s[16:17]
	v_mov_b32_e32 v2, 0
	s_and_saveexec_b64 s[16:17], s[18:19]
	s_cbranch_execnz .LBB190_1560
	s_branch .LBB190_1561
.LBB190_1579:
	s_mov_b64 s[0:1], -1
                                        ; implicit-def: $vgpr2
.LBB190_1580:
	s_mov_b64 s[18:19], 0
.LBB190_1581:
	s_and_b64 vcc, exec, s[18:19]
	s_cbranch_vccz .LBB190_1583
; %bb.1582:
	s_cmp_lg_u32 s22, 11
	s_mov_b64 s[16:17], -1
	s_cselect_b64 s[0:1], -1, 0
.LBB190_1583:
	s_and_b64 vcc, exec, s[0:1]
	s_mov_b64 s[18:19], s[6:7]
	s_cbranch_vccnz .LBB190_1644
; %bb.1584:
	s_andn2_b64 vcc, exec, s[16:17]
	s_cbranch_vccnz .LBB190_1586
.LBB190_1585:
	global_load_ubyte v2, v[0:1], off
	s_mov_b64 s[20:21], -1
	s_waitcnt vmcnt(0)
	v_cmp_ne_u16_e32 vcc, 0, v2
	v_cndmask_b32_e64 v2, 0, 1, vcc
.LBB190_1586:
	s_branch .LBB190_1521
.LBB190_1587:
	s_and_b32 s16, 0xffff, s24
	s_cmp_lt_i32 s16, 5
	s_cbranch_scc1 .LBB190_1592
; %bb.1588:
	s_cmp_lt_i32 s16, 8
	s_cbranch_scc1 .LBB190_1593
; %bb.1589:
	;; [unrolled: 3-line block ×3, first 2 shown]
	s_cmp_gt_i32 s16, 9
	s_cbranch_scc0 .LBB190_1595
; %bb.1591:
	global_load_dwordx2 v[2:3], v[0:1], off
	s_mov_b64 s[0:1], 0
	s_waitcnt vmcnt(0)
	v_cvt_i32_f64_e32 v2, v[2:3]
	s_branch .LBB190_1596
.LBB190_1592:
                                        ; implicit-def: $vgpr2
	s_branch .LBB190_1613
.LBB190_1593:
                                        ; implicit-def: $vgpr2
	s_branch .LBB190_1602
.LBB190_1594:
	s_mov_b64 s[0:1], -1
                                        ; implicit-def: $vgpr2
	s_branch .LBB190_1599
.LBB190_1595:
	s_mov_b64 s[0:1], -1
                                        ; implicit-def: $vgpr2
.LBB190_1596:
	s_andn2_b64 vcc, exec, s[0:1]
	s_cbranch_vccnz .LBB190_1598
; %bb.1597:
	global_load_dword v2, v[0:1], off
	s_waitcnt vmcnt(0)
	v_cvt_i32_f32_e32 v2, v2
.LBB190_1598:
	s_mov_b64 s[0:1], 0
.LBB190_1599:
	s_andn2_b64 vcc, exec, s[0:1]
	s_cbranch_vccnz .LBB190_1601
; %bb.1600:
	global_load_dword v2, v[0:1], off
	s_waitcnt vmcnt(0)
	v_cvt_f32_f16_e32 v2, v2
	v_cvt_i32_f32_e32 v2, v2
.LBB190_1601:
	s_cbranch_execnz .LBB190_1612
.LBB190_1602:
	s_cmp_lt_i32 s16, 6
	s_cbranch_scc1 .LBB190_1605
; %bb.1603:
	s_cmp_gt_i32 s16, 6
	s_cbranch_scc0 .LBB190_1606
; %bb.1604:
	global_load_dwordx2 v[2:3], v[0:1], off
	s_mov_b64 s[0:1], 0
	s_waitcnt vmcnt(0)
	v_cvt_i32_f64_e32 v2, v[2:3]
	s_branch .LBB190_1607
.LBB190_1605:
	s_mov_b64 s[0:1], -1
                                        ; implicit-def: $vgpr2
	s_branch .LBB190_1610
.LBB190_1606:
	s_mov_b64 s[0:1], -1
                                        ; implicit-def: $vgpr2
.LBB190_1607:
	s_andn2_b64 vcc, exec, s[0:1]
	s_cbranch_vccnz .LBB190_1609
; %bb.1608:
	global_load_dword v2, v[0:1], off
	s_waitcnt vmcnt(0)
	v_cvt_i32_f32_e32 v2, v2
.LBB190_1609:
	s_mov_b64 s[0:1], 0
.LBB190_1610:
	s_andn2_b64 vcc, exec, s[0:1]
	s_cbranch_vccnz .LBB190_1612
; %bb.1611:
	global_load_ushort v2, v[0:1], off
	s_waitcnt vmcnt(0)
	v_cvt_f32_f16_e32 v2, v2
	v_cvt_i32_f32_e32 v2, v2
.LBB190_1612:
	s_cbranch_execnz .LBB190_1631
.LBB190_1613:
	s_cmp_lt_i32 s16, 2
	s_cbranch_scc1 .LBB190_1617
; %bb.1614:
	s_cmp_lt_i32 s16, 3
	s_cbranch_scc1 .LBB190_1618
; %bb.1615:
	s_cmp_gt_i32 s16, 3
	s_cbranch_scc0 .LBB190_1619
; %bb.1616:
	global_load_dword v2, v[0:1], off
	s_mov_b64 s[0:1], 0
	s_branch .LBB190_1620
.LBB190_1617:
                                        ; implicit-def: $vgpr2
	s_branch .LBB190_1626
.LBB190_1618:
	s_mov_b64 s[0:1], -1
                                        ; implicit-def: $vgpr2
	s_branch .LBB190_1623
.LBB190_1619:
	s_mov_b64 s[0:1], -1
                                        ; implicit-def: $vgpr2
.LBB190_1620:
	s_andn2_b64 vcc, exec, s[0:1]
	s_cbranch_vccnz .LBB190_1622
; %bb.1621:
	global_load_dword v2, v[0:1], off
.LBB190_1622:
	s_mov_b64 s[0:1], 0
.LBB190_1623:
	s_andn2_b64 vcc, exec, s[0:1]
	s_cbranch_vccnz .LBB190_1625
; %bb.1624:
	global_load_sshort v2, v[0:1], off
.LBB190_1625:
	s_cbranch_execnz .LBB190_1631
.LBB190_1626:
	s_cmp_gt_i32 s16, 0
	s_cbranch_scc0 .LBB190_1628
; %bb.1627:
	global_load_sbyte v2, v[0:1], off
	s_mov_b64 s[0:1], 0
	s_branch .LBB190_1629
.LBB190_1628:
	s_mov_b64 s[0:1], -1
                                        ; implicit-def: $vgpr2
.LBB190_1629:
	s_andn2_b64 vcc, exec, s[0:1]
	s_cbranch_vccnz .LBB190_1631
; %bb.1630:
	global_load_ubyte v2, v[0:1], off
.LBB190_1631:
.LBB190_1632:
	v_mul_lo_u32 v6, s14, v4
	v_mov_b32_e32 v1, s3
	s_and_b32 s25, s15, 0xff
	s_cmp_lt_i32 s25, 11
	v_ashrrev_i32_e32 v3, 31, v6
	v_add_co_u32_e32 v0, vcc, s2, v6
	v_addc_co_u32_e32 v1, vcc, v1, v3, vcc
	s_cbranch_scc1 .LBB190_1639
; %bb.1633:
	s_and_b32 s15, 0xffff, s25
	s_cmp_gt_i32 s15, 25
	s_mov_b64 s[16:17], 0
	s_cbranch_scc0 .LBB190_1641
; %bb.1634:
	s_cmp_gt_i32 s15, 28
	s_cbranch_scc0 .LBB190_1642
; %bb.1635:
	s_cmp_gt_i32 s15, 43
	;; [unrolled: 3-line block ×3, first 2 shown]
	s_cbranch_scc0 .LBB190_1645
; %bb.1637:
	s_cmp_eq_u32 s15, 46
	s_mov_b64 s[22:23], 0
	s_cbranch_scc0 .LBB190_1648
; %bb.1638:
	global_load_dword v3, v[0:1], off
	s_mov_b64 s[0:1], 0
	s_mov_b64 s[20:21], -1
	s_waitcnt vmcnt(0)
	v_lshlrev_b32_e32 v3, 16, v3
	v_cvt_i32_f32_e32 v3, v3
	s_branch .LBB190_1649
.LBB190_1639:
	s_mov_b64 s[20:21], 0
                                        ; implicit-def: $vgpr3
	s_cbranch_execnz .LBB190_1710
.LBB190_1640:
	s_andn2_b64 vcc, exec, s[20:21]
	s_cbranch_vccnz .LBB190_2947
	s_branch .LBB190_1757
.LBB190_1641:
	s_mov_b64 s[20:21], 0
	s_mov_b64 s[0:1], 0
                                        ; implicit-def: $vgpr3
	s_cbranch_execnz .LBB190_1676
	s_branch .LBB190_1706
.LBB190_1642:
	s_mov_b64 s[22:23], -1
	s_mov_b64 s[20:21], 0
	s_mov_b64 s[0:1], 0
                                        ; implicit-def: $vgpr3
	s_branch .LBB190_1659
.LBB190_1643:
	s_mov_b64 s[22:23], -1
	s_mov_b64 s[20:21], 0
	s_mov_b64 s[0:1], 0
                                        ; implicit-def: $vgpr3
	s_branch .LBB190_1654
.LBB190_1644:
	s_or_b64 s[18:19], s[6:7], exec
	s_trap 2
	s_cbranch_execz .LBB190_1585
	s_branch .LBB190_1586
.LBB190_1645:
	s_mov_b64 s[22:23], -1
	s_mov_b64 s[20:21], 0
	s_mov_b64 s[0:1], 0
                                        ; implicit-def: $vgpr3
	s_branch .LBB190_1649
.LBB190_1646:
	s_andn2_saveexec_b64 s[28:29], s[28:29]
	s_cbranch_execz .LBB190_1437
.LBB190_1647:
	s_mov_b32 s34, 0x42800000
	v_add_f32_e64 v4, |v1|, s34
	v_and_b32_e32 v4, 0xff, v4
	v_cmp_ne_u32_e32 vcc, 0, v4
	s_andn2_b64 s[26:27], s[26:27], exec
	s_and_b64 s[34:35], vcc, exec
	s_or_b64 s[26:27], s[26:27], s[34:35]
	s_or_b64 exec, exec, s[28:29]
	v_mov_b32_e32 v5, 0
	s_and_saveexec_b64 s[28:29], s[26:27]
	s_cbranch_execnz .LBB190_1438
	s_branch .LBB190_1439
.LBB190_1648:
	s_mov_b64 s[0:1], -1
                                        ; implicit-def: $vgpr3
	s_mov_b64 s[20:21], 0
.LBB190_1649:
	s_and_b64 vcc, exec, s[22:23]
	s_cbranch_vccz .LBB190_1653
; %bb.1650:
	s_cmp_eq_u32 s15, 44
	s_cbranch_scc0 .LBB190_1652
; %bb.1651:
	global_load_ubyte v3, v[0:1], off
	s_mov_b64 s[0:1], 0
	s_mov_b64 s[20:21], -1
	s_waitcnt vmcnt(0)
	v_lshlrev_b32_e32 v7, 23, v3
	v_cvt_i32_f32_e32 v7, v7
	v_cmp_ne_u32_e32 vcc, 0, v3
	v_cndmask_b32_e32 v3, 0, v7, vcc
	s_branch .LBB190_1653
.LBB190_1652:
	s_mov_b64 s[0:1], -1
                                        ; implicit-def: $vgpr3
.LBB190_1653:
	s_mov_b64 s[22:23], 0
.LBB190_1654:
	s_and_b64 vcc, exec, s[22:23]
	s_cbranch_vccz .LBB190_1658
; %bb.1655:
	s_cmp_eq_u32 s15, 29
	s_cbranch_scc0 .LBB190_1657
; %bb.1656:
	global_load_dword v3, v[0:1], off
	s_mov_b64 s[0:1], 0
	s_mov_b64 s[20:21], -1
	s_branch .LBB190_1658
.LBB190_1657:
	s_mov_b64 s[0:1], -1
                                        ; implicit-def: $vgpr3
.LBB190_1658:
	s_mov_b64 s[22:23], 0
.LBB190_1659:
	s_and_b64 vcc, exec, s[22:23]
	s_cbranch_vccz .LBB190_1675
; %bb.1660:
	s_cmp_lt_i32 s15, 27
	s_cbranch_scc1 .LBB190_1663
; %bb.1661:
	s_cmp_gt_i32 s15, 27
	s_cbranch_scc0 .LBB190_1664
; %bb.1662:
	global_load_dword v3, v[0:1], off
	s_mov_b64 s[20:21], 0
	s_branch .LBB190_1665
.LBB190_1663:
	s_mov_b64 s[20:21], -1
                                        ; implicit-def: $vgpr3
	s_branch .LBB190_1668
.LBB190_1664:
	s_mov_b64 s[20:21], -1
                                        ; implicit-def: $vgpr3
.LBB190_1665:
	s_andn2_b64 vcc, exec, s[20:21]
	s_cbranch_vccnz .LBB190_1667
; %bb.1666:
	global_load_ushort v3, v[0:1], off
.LBB190_1667:
	s_mov_b64 s[20:21], 0
.LBB190_1668:
	s_andn2_b64 vcc, exec, s[20:21]
	s_cbranch_vccnz .LBB190_1674
; %bb.1669:
	global_load_ubyte v7, v[0:1], off
	s_movk_i32 s20, 0x7f
	s_mov_b64 s[22:23], 0
	s_waitcnt vmcnt(0)
	v_cmp_lt_i16_e32 vcc, s20, v7
	s_and_saveexec_b64 s[20:21], vcc
	s_xor_b64 s[20:21], exec, s[20:21]
	s_cbranch_execz .LBB190_1685
; %bb.1670:
	s_movk_i32 s22, 0x80
	v_cmp_ne_u16_e32 vcc, s22, v7
	s_and_b64 s[22:23], vcc, exec
	s_andn2_saveexec_b64 s[20:21], s[20:21]
	s_cbranch_execnz .LBB190_1686
.LBB190_1671:
	s_or_b64 exec, exec, s[20:21]
	v_mov_b32_e32 v3, 0
	s_and_saveexec_b64 s[20:21], s[22:23]
	s_cbranch_execz .LBB190_1673
.LBB190_1672:
	v_lshlrev_b32_e32 v3, 24, v7
	v_and_b32_e32 v7, 0xffff, v7
	v_and_b32_e32 v8, 7, v7
	v_ffbh_u32_e32 v10, v8
	v_min_u32_e32 v10, 32, v10
	v_subrev_u32_e32 v11, 28, v10
	v_bfe_u32 v9, v7, 3, 4
	v_lshlrev_b32_e32 v7, v11, v7
	v_sub_u32_e32 v10, 29, v10
	v_and_b32_e32 v7, 7, v7
	v_cmp_eq_u32_e32 vcc, 0, v9
	v_cndmask_b32_e32 v9, v9, v10, vcc
	v_cndmask_b32_e32 v7, v8, v7, vcc
	v_mov_b32_e32 v8, 0x3b800000
	v_lshlrev_b32_e32 v7, 20, v7
	v_and_b32_e32 v3, 0x80000000, v3
	v_lshl_add_u32 v8, v9, 23, v8
	v_or3_b32 v3, v3, v8, v7
	v_cvt_i32_f32_e32 v3, v3
.LBB190_1673:
	s_or_b64 exec, exec, s[20:21]
.LBB190_1674:
	s_mov_b64 s[20:21], -1
.LBB190_1675:
	s_branch .LBB190_1706
.LBB190_1676:
	s_cmp_gt_i32 s15, 22
	s_cbranch_scc0 .LBB190_1684
; %bb.1677:
	s_cmp_lt_i32 s15, 24
	s_cbranch_scc1 .LBB190_1687
; %bb.1678:
	s_cmp_gt_i32 s15, 24
	s_cbranch_scc0 .LBB190_1688
; %bb.1679:
	global_load_ubyte v7, v[0:1], off
	s_movk_i32 s16, 0x7f
	s_mov_b64 s[20:21], 0
	s_waitcnt vmcnt(0)
	v_cmp_lt_i16_e32 vcc, s16, v7
	s_and_saveexec_b64 s[16:17], vcc
	s_xor_b64 s[16:17], exec, s[16:17]
	s_cbranch_execz .LBB190_1700
; %bb.1680:
	s_movk_i32 s20, 0x80
	v_cmp_ne_u16_e32 vcc, s20, v7
	s_and_b64 s[20:21], vcc, exec
	s_andn2_saveexec_b64 s[16:17], s[16:17]
	s_cbranch_execnz .LBB190_1701
.LBB190_1681:
	s_or_b64 exec, exec, s[16:17]
	v_mov_b32_e32 v3, 0
	s_and_saveexec_b64 s[16:17], s[20:21]
	s_cbranch_execz .LBB190_1683
.LBB190_1682:
	v_lshlrev_b32_e32 v3, 24, v7
	v_and_b32_e32 v7, 0xffff, v7
	v_and_b32_e32 v8, 3, v7
	v_ffbh_u32_e32 v10, v8
	v_min_u32_e32 v10, 32, v10
	v_subrev_u32_e32 v11, 29, v10
	v_bfe_u32 v9, v7, 2, 5
	v_lshlrev_b32_e32 v7, v11, v7
	v_sub_u32_e32 v10, 30, v10
	v_and_b32_e32 v7, 3, v7
	v_cmp_eq_u32_e32 vcc, 0, v9
	v_cndmask_b32_e32 v9, v9, v10, vcc
	v_cndmask_b32_e32 v7, v8, v7, vcc
	v_mov_b32_e32 v8, 0x37800000
	v_lshlrev_b32_e32 v7, 21, v7
	v_and_b32_e32 v3, 0x80000000, v3
	v_lshl_add_u32 v8, v9, 23, v8
	v_or3_b32 v3, v3, v8, v7
	v_cvt_i32_f32_e32 v3, v3
.LBB190_1683:
	s_or_b64 exec, exec, s[16:17]
	s_mov_b64 s[16:17], 0
	s_branch .LBB190_1689
.LBB190_1684:
	s_mov_b64 s[16:17], -1
                                        ; implicit-def: $vgpr3
	s_branch .LBB190_1695
.LBB190_1685:
	s_andn2_saveexec_b64 s[20:21], s[20:21]
	s_cbranch_execz .LBB190_1671
.LBB190_1686:
	v_cmp_ne_u16_e32 vcc, 0, v7
	s_andn2_b64 s[22:23], s[22:23], exec
	s_and_b64 s[26:27], vcc, exec
	s_or_b64 s[22:23], s[22:23], s[26:27]
	s_or_b64 exec, exec, s[20:21]
	v_mov_b32_e32 v3, 0
	s_and_saveexec_b64 s[20:21], s[22:23]
	s_cbranch_execnz .LBB190_1672
	s_branch .LBB190_1673
.LBB190_1687:
	s_mov_b64 s[16:17], -1
                                        ; implicit-def: $vgpr3
	s_branch .LBB190_1692
.LBB190_1688:
	s_mov_b64 s[16:17], -1
                                        ; implicit-def: $vgpr3
.LBB190_1689:
	s_and_b64 vcc, exec, s[16:17]
	s_cbranch_vccz .LBB190_1691
; %bb.1690:
	global_load_ubyte v3, v[0:1], off
	s_mov_b32 s16, 0x7f800000
	s_waitcnt vmcnt(0)
	v_lshlrev_b32_e32 v3, 24, v3
	v_and_b32_e32 v7, 0x7f000000, v3
	v_ffbh_u32_e32 v8, v7
	v_min_u32_e32 v8, 32, v8
	v_sub_u32_e64 v8, v8, 4 clamp
	v_lshlrev_b32_e32 v10, v8, v7
	v_lshlrev_b32_e32 v8, 23, v8
	v_lshrrev_b32_e32 v10, 4, v10
	v_add_u32_e32 v9, 0x1000000, v7
	v_sub_u32_e32 v8, v10, v8
	v_ashrrev_i32_e32 v9, 8, v9
	v_add_u32_e32 v8, 0x3c000000, v8
	v_and_or_b32 v8, v9, s16, v8
	v_cmp_ne_u32_e32 vcc, 0, v7
	v_cndmask_b32_e32 v7, 0, v8, vcc
	s_brev_b32 s16, 1
	v_and_or_b32 v3, v3, s16, v7
	v_cvt_i32_f32_e32 v3, v3
.LBB190_1691:
	s_mov_b64 s[16:17], 0
.LBB190_1692:
	s_andn2_b64 vcc, exec, s[16:17]
	s_cbranch_vccnz .LBB190_1694
; %bb.1693:
	global_load_ubyte v3, v[0:1], off
	s_movk_i32 s16, 0x7f00
	s_brev_b32 s17, 16
	s_waitcnt vmcnt(0)
	v_lshlrev_b16_e32 v7, 8, v3
	v_lshlrev_b32_e32 v3, 25, v3
	v_lshrrev_b32_e32 v8, 4, v3
	v_and_or_b32 v9, v7, s16, 0.5
	v_or_b32_e32 v8, 0x70000000, v8
	v_add_f32_e32 v9, -0.5, v9
	v_mul_f32_e32 v8, 0x7800000, v8
	v_cmp_gt_u32_e32 vcc, s17, v3
	v_bfe_i32 v7, v7, 0, 16
	v_cndmask_b32_e32 v3, v8, v9, vcc
	s_brev_b32 s16, 1
	v_and_or_b32 v3, v7, s16, v3
	v_cvt_i32_f32_e32 v3, v3
.LBB190_1694:
	s_mov_b64 s[16:17], 0
	s_mov_b64 s[20:21], -1
.LBB190_1695:
	s_andn2_b64 vcc, exec, s[16:17]
	s_mov_b64 s[16:17], 0
	s_cbranch_vccnz .LBB190_1706
; %bb.1696:
	s_cmp_gt_i32 s15, 14
	s_cbranch_scc0 .LBB190_1699
; %bb.1697:
	s_cmp_eq_u32 s15, 15
	s_cbranch_scc0 .LBB190_1702
; %bb.1698:
	global_load_ushort v3, v[0:1], off
	s_mov_b64 s[0:1], 0
	s_mov_b64 s[20:21], -1
	s_waitcnt vmcnt(0)
	v_lshlrev_b32_e32 v3, 16, v3
	v_cvt_i32_f32_e32 v3, v3
	s_branch .LBB190_1703
.LBB190_1699:
	s_mov_b64 s[22:23], -1
                                        ; implicit-def: $vgpr3
	s_branch .LBB190_1704
.LBB190_1700:
	s_andn2_saveexec_b64 s[16:17], s[16:17]
	s_cbranch_execz .LBB190_1681
.LBB190_1701:
	v_cmp_ne_u16_e32 vcc, 0, v7
	s_andn2_b64 s[20:21], s[20:21], exec
	s_and_b64 s[22:23], vcc, exec
	s_or_b64 s[20:21], s[20:21], s[22:23]
	s_or_b64 exec, exec, s[16:17]
	v_mov_b32_e32 v3, 0
	s_and_saveexec_b64 s[16:17], s[20:21]
	s_cbranch_execnz .LBB190_1682
	s_branch .LBB190_1683
.LBB190_1702:
	s_mov_b64 s[0:1], -1
                                        ; implicit-def: $vgpr3
.LBB190_1703:
	s_mov_b64 s[22:23], 0
.LBB190_1704:
	s_and_b64 vcc, exec, s[22:23]
	s_cbranch_vccz .LBB190_1706
; %bb.1705:
	s_cmp_lg_u32 s15, 11
	s_mov_b64 s[16:17], -1
	s_cselect_b64 s[0:1], -1, 0
.LBB190_1706:
	s_and_b64 vcc, exec, s[0:1]
	s_cbranch_vccnz .LBB190_1769
; %bb.1707:
	s_andn2_b64 vcc, exec, s[16:17]
	s_cbranch_vccnz .LBB190_1709
.LBB190_1708:
	global_load_ubyte v3, v[0:1], off
	s_mov_b64 s[20:21], -1
	s_waitcnt vmcnt(0)
	v_cmp_ne_u16_e32 vcc, 0, v3
	v_cndmask_b32_e64 v3, 0, 1, vcc
.LBB190_1709:
	s_branch .LBB190_1640
.LBB190_1710:
	s_and_b32 s15, 0xffff, s25
	s_cmp_lt_i32 s15, 5
	s_cbranch_scc1 .LBB190_1715
; %bb.1711:
	s_cmp_lt_i32 s15, 8
	s_cbranch_scc1 .LBB190_1716
; %bb.1712:
	;; [unrolled: 3-line block ×3, first 2 shown]
	s_cmp_gt_i32 s15, 9
	s_cbranch_scc0 .LBB190_1718
; %bb.1714:
	global_load_dwordx2 v[7:8], v[0:1], off
	s_mov_b64 s[0:1], 0
	s_waitcnt vmcnt(0)
	v_cvt_i32_f64_e32 v3, v[7:8]
	s_branch .LBB190_1719
.LBB190_1715:
                                        ; implicit-def: $vgpr3
	s_branch .LBB190_1737
.LBB190_1716:
	s_mov_b64 s[0:1], -1
                                        ; implicit-def: $vgpr3
	s_branch .LBB190_1725
.LBB190_1717:
	s_mov_b64 s[0:1], -1
                                        ; implicit-def: $vgpr3
	s_branch .LBB190_1722
.LBB190_1718:
	s_mov_b64 s[0:1], -1
                                        ; implicit-def: $vgpr3
.LBB190_1719:
	s_andn2_b64 vcc, exec, s[0:1]
	s_cbranch_vccnz .LBB190_1721
; %bb.1720:
	global_load_dword v3, v[0:1], off
	s_waitcnt vmcnt(0)
	v_cvt_i32_f32_e32 v3, v3
.LBB190_1721:
	s_mov_b64 s[0:1], 0
.LBB190_1722:
	s_andn2_b64 vcc, exec, s[0:1]
	s_cbranch_vccnz .LBB190_1724
; %bb.1723:
	global_load_dword v3, v[0:1], off
	s_waitcnt vmcnt(0)
	v_cvt_f32_f16_e32 v3, v3
	v_cvt_i32_f32_e32 v3, v3
.LBB190_1724:
	s_mov_b64 s[0:1], 0
.LBB190_1725:
	s_andn2_b64 vcc, exec, s[0:1]
	s_cbranch_vccnz .LBB190_1736
; %bb.1726:
	s_cmp_lt_i32 s15, 6
	s_cbranch_scc1 .LBB190_1729
; %bb.1727:
	s_cmp_gt_i32 s15, 6
	s_cbranch_scc0 .LBB190_1730
; %bb.1728:
	global_load_dwordx2 v[7:8], v[0:1], off
	s_mov_b64 s[0:1], 0
	s_waitcnt vmcnt(0)
	v_cvt_i32_f64_e32 v3, v[7:8]
	s_branch .LBB190_1731
.LBB190_1729:
	s_mov_b64 s[0:1], -1
                                        ; implicit-def: $vgpr3
	s_branch .LBB190_1734
.LBB190_1730:
	s_mov_b64 s[0:1], -1
                                        ; implicit-def: $vgpr3
.LBB190_1731:
	s_andn2_b64 vcc, exec, s[0:1]
	s_cbranch_vccnz .LBB190_1733
; %bb.1732:
	global_load_dword v3, v[0:1], off
	s_waitcnt vmcnt(0)
	v_cvt_i32_f32_e32 v3, v3
.LBB190_1733:
	s_mov_b64 s[0:1], 0
.LBB190_1734:
	s_andn2_b64 vcc, exec, s[0:1]
	s_cbranch_vccnz .LBB190_1736
; %bb.1735:
	global_load_ushort v3, v[0:1], off
	s_waitcnt vmcnt(0)
	v_cvt_f32_f16_e32 v3, v3
	v_cvt_i32_f32_e32 v3, v3
.LBB190_1736:
	s_cbranch_execnz .LBB190_1756
.LBB190_1737:
	s_cmp_lt_i32 s15, 2
	s_cbranch_scc1 .LBB190_1741
; %bb.1738:
	s_cmp_lt_i32 s15, 3
	s_cbranch_scc1 .LBB190_1742
; %bb.1739:
	s_cmp_gt_i32 s15, 3
	s_cbranch_scc0 .LBB190_1743
; %bb.1740:
	global_load_dword v3, v[0:1], off
	s_mov_b64 s[0:1], 0
	s_branch .LBB190_1744
.LBB190_1741:
	s_mov_b64 s[0:1], -1
                                        ; implicit-def: $vgpr3
	s_branch .LBB190_1750
.LBB190_1742:
	s_mov_b64 s[0:1], -1
                                        ; implicit-def: $vgpr3
	s_branch .LBB190_1747
.LBB190_1743:
	s_mov_b64 s[0:1], -1
                                        ; implicit-def: $vgpr3
.LBB190_1744:
	s_andn2_b64 vcc, exec, s[0:1]
	s_cbranch_vccnz .LBB190_1746
; %bb.1745:
	global_load_dword v3, v[0:1], off
.LBB190_1746:
	s_mov_b64 s[0:1], 0
.LBB190_1747:
	s_andn2_b64 vcc, exec, s[0:1]
	s_cbranch_vccnz .LBB190_1749
; %bb.1748:
	global_load_sshort v3, v[0:1], off
.LBB190_1749:
	s_mov_b64 s[0:1], 0
.LBB190_1750:
	s_andn2_b64 vcc, exec, s[0:1]
	s_cbranch_vccnz .LBB190_1756
; %bb.1751:
	s_cmp_gt_i32 s15, 0
	s_cbranch_scc0 .LBB190_1753
; %bb.1752:
	global_load_sbyte v3, v[0:1], off
	s_mov_b64 s[0:1], 0
	s_branch .LBB190_1754
.LBB190_1753:
	s_mov_b64 s[0:1], -1
                                        ; implicit-def: $vgpr3
.LBB190_1754:
	s_andn2_b64 vcc, exec, s[0:1]
	s_cbranch_vccnz .LBB190_1756
; %bb.1755:
	global_load_ubyte v3, v[0:1], off
.LBB190_1756:
.LBB190_1757:
	s_lshl_b32 s13, s13, 7
	v_add_u32_e32 v8, s13, v5
	v_ashrrev_i32_e32 v1, 31, v8
	v_mov_b32_e32 v5, s11
	v_add_co_u32_e32 v0, vcc, s10, v8
	s_cmp_lt_i32 s24, 11
	v_addc_co_u32_e32 v1, vcc, v5, v1, vcc
	s_cbranch_scc1 .LBB190_1764
; %bb.1758:
	s_and_b32 s15, 0xffff, s24
	s_cmp_gt_i32 s15, 25
	s_mov_b64 s[16:17], 0
	s_cbranch_scc0 .LBB190_1766
; %bb.1759:
	s_cmp_gt_i32 s15, 28
	s_cbranch_scc0 .LBB190_1767
; %bb.1760:
	s_cmp_gt_i32 s15, 43
	;; [unrolled: 3-line block ×3, first 2 shown]
	s_cbranch_scc0 .LBB190_1770
; %bb.1762:
	s_cmp_eq_u32 s15, 46
	s_mov_b64 s[22:23], 0
	s_cbranch_scc0 .LBB190_1771
; %bb.1763:
	global_load_dword v5, v[0:1], off
	s_mov_b64 s[0:1], 0
	s_mov_b64 s[20:21], -1
	s_waitcnt vmcnt(0)
	v_lshlrev_b32_e32 v5, 16, v5
	v_cvt_i32_f32_e32 v5, v5
	s_branch .LBB190_1772
.LBB190_1764:
	s_mov_b64 s[20:21], 0
                                        ; implicit-def: $vgpr5
	s_cbranch_execnz .LBB190_1834
.LBB190_1765:
	s_andn2_b64 vcc, exec, s[20:21]
	s_cbranch_vccnz .LBB190_2947
	s_branch .LBB190_1882
.LBB190_1766:
	s_mov_b64 s[22:23], -1
	s_mov_b64 s[20:21], 0
	s_mov_b64 s[0:1], 0
                                        ; implicit-def: $vgpr5
	s_branch .LBB190_1799
.LBB190_1767:
	s_mov_b64 s[22:23], -1
	s_mov_b64 s[20:21], 0
	s_mov_b64 s[0:1], 0
                                        ; implicit-def: $vgpr5
	s_branch .LBB190_1782
.LBB190_1768:
	s_mov_b64 s[22:23], -1
	s_mov_b64 s[20:21], 0
	s_mov_b64 s[0:1], 0
                                        ; implicit-def: $vgpr5
	s_branch .LBB190_1777
.LBB190_1769:
	s_trap 2
	s_or_b64 s[18:19], s[18:19], exec
	s_cbranch_execz .LBB190_1708
	s_branch .LBB190_1709
.LBB190_1770:
	s_mov_b64 s[22:23], -1
	s_mov_b64 s[20:21], 0
	s_mov_b64 s[0:1], 0
                                        ; implicit-def: $vgpr5
	s_branch .LBB190_1772
.LBB190_1771:
	s_mov_b64 s[0:1], -1
                                        ; implicit-def: $vgpr5
	s_mov_b64 s[20:21], 0
.LBB190_1772:
	s_and_b64 vcc, exec, s[22:23]
	s_cbranch_vccz .LBB190_1776
; %bb.1773:
	s_cmp_eq_u32 s15, 44
	s_cbranch_scc0 .LBB190_1775
; %bb.1774:
	global_load_ubyte v5, v[0:1], off
	s_mov_b64 s[0:1], 0
	s_mov_b64 s[20:21], -1
	s_waitcnt vmcnt(0)
	v_lshlrev_b32_e32 v7, 23, v5
	v_cvt_i32_f32_e32 v7, v7
	v_cmp_ne_u32_e32 vcc, 0, v5
	v_cndmask_b32_e32 v5, 0, v7, vcc
	s_branch .LBB190_1776
.LBB190_1775:
	s_mov_b64 s[0:1], -1
                                        ; implicit-def: $vgpr5
.LBB190_1776:
	s_mov_b64 s[22:23], 0
.LBB190_1777:
	s_and_b64 vcc, exec, s[22:23]
	s_cbranch_vccz .LBB190_1781
; %bb.1778:
	s_cmp_eq_u32 s15, 29
	s_cbranch_scc0 .LBB190_1780
; %bb.1779:
	global_load_dword v5, v[0:1], off
	s_mov_b64 s[0:1], 0
	s_mov_b64 s[20:21], -1
	s_branch .LBB190_1781
.LBB190_1780:
	s_mov_b64 s[0:1], -1
                                        ; implicit-def: $vgpr5
.LBB190_1781:
	s_mov_b64 s[22:23], 0
.LBB190_1782:
	s_and_b64 vcc, exec, s[22:23]
	s_cbranch_vccz .LBB190_1798
; %bb.1783:
	s_cmp_lt_i32 s15, 27
	s_cbranch_scc1 .LBB190_1786
; %bb.1784:
	s_cmp_gt_i32 s15, 27
	s_cbranch_scc0 .LBB190_1787
; %bb.1785:
	global_load_dword v5, v[0:1], off
	s_mov_b64 s[20:21], 0
	s_branch .LBB190_1788
.LBB190_1786:
	s_mov_b64 s[20:21], -1
                                        ; implicit-def: $vgpr5
	s_branch .LBB190_1791
.LBB190_1787:
	s_mov_b64 s[20:21], -1
                                        ; implicit-def: $vgpr5
.LBB190_1788:
	s_andn2_b64 vcc, exec, s[20:21]
	s_cbranch_vccnz .LBB190_1790
; %bb.1789:
	global_load_ushort v5, v[0:1], off
.LBB190_1790:
	s_mov_b64 s[20:21], 0
.LBB190_1791:
	s_andn2_b64 vcc, exec, s[20:21]
	s_cbranch_vccnz .LBB190_1797
; %bb.1792:
	global_load_ubyte v7, v[0:1], off
	s_movk_i32 s20, 0x7f
	s_mov_b64 s[22:23], 0
	s_waitcnt vmcnt(0)
	v_cmp_lt_i16_e32 vcc, s20, v7
	s_and_saveexec_b64 s[20:21], vcc
	s_xor_b64 s[20:21], exec, s[20:21]
	s_cbranch_execz .LBB190_1809
; %bb.1793:
	s_movk_i32 s22, 0x80
	v_cmp_ne_u16_e32 vcc, s22, v7
	s_and_b64 s[22:23], vcc, exec
	s_andn2_saveexec_b64 s[20:21], s[20:21]
	s_cbranch_execnz .LBB190_1810
.LBB190_1794:
	s_or_b64 exec, exec, s[20:21]
	v_mov_b32_e32 v5, 0
	s_and_saveexec_b64 s[20:21], s[22:23]
	s_cbranch_execz .LBB190_1796
.LBB190_1795:
	v_lshlrev_b32_e32 v5, 24, v7
	v_and_b32_e32 v7, 0xffff, v7
	v_and_b32_e32 v9, 7, v7
	v_ffbh_u32_e32 v11, v9
	v_min_u32_e32 v11, 32, v11
	v_subrev_u32_e32 v12, 28, v11
	v_bfe_u32 v10, v7, 3, 4
	v_lshlrev_b32_e32 v7, v12, v7
	v_sub_u32_e32 v11, 29, v11
	v_and_b32_e32 v7, 7, v7
	v_cmp_eq_u32_e32 vcc, 0, v10
	v_cndmask_b32_e32 v10, v10, v11, vcc
	v_cndmask_b32_e32 v7, v9, v7, vcc
	v_mov_b32_e32 v9, 0x3b800000
	v_lshlrev_b32_e32 v7, 20, v7
	v_and_b32_e32 v5, 0x80000000, v5
	v_lshl_add_u32 v9, v10, 23, v9
	v_or3_b32 v5, v5, v9, v7
	v_cvt_i32_f32_e32 v5, v5
.LBB190_1796:
	s_or_b64 exec, exec, s[20:21]
.LBB190_1797:
	s_mov_b64 s[20:21], -1
.LBB190_1798:
	s_mov_b64 s[22:23], 0
.LBB190_1799:
	s_and_b64 vcc, exec, s[22:23]
	s_cbranch_vccz .LBB190_1830
; %bb.1800:
	s_cmp_gt_i32 s15, 22
	s_cbranch_scc0 .LBB190_1808
; %bb.1801:
	s_cmp_lt_i32 s15, 24
	s_cbranch_scc1 .LBB190_1811
; %bb.1802:
	s_cmp_gt_i32 s15, 24
	s_cbranch_scc0 .LBB190_1812
; %bb.1803:
	global_load_ubyte v7, v[0:1], off
	s_movk_i32 s16, 0x7f
	s_mov_b64 s[20:21], 0
	s_waitcnt vmcnt(0)
	v_cmp_lt_i16_e32 vcc, s16, v7
	s_and_saveexec_b64 s[16:17], vcc
	s_xor_b64 s[16:17], exec, s[16:17]
	s_cbranch_execz .LBB190_1824
; %bb.1804:
	s_movk_i32 s20, 0x80
	v_cmp_ne_u16_e32 vcc, s20, v7
	s_and_b64 s[20:21], vcc, exec
	s_andn2_saveexec_b64 s[16:17], s[16:17]
	s_cbranch_execnz .LBB190_1825
.LBB190_1805:
	s_or_b64 exec, exec, s[16:17]
	v_mov_b32_e32 v5, 0
	s_and_saveexec_b64 s[16:17], s[20:21]
	s_cbranch_execz .LBB190_1807
.LBB190_1806:
	v_lshlrev_b32_e32 v5, 24, v7
	v_and_b32_e32 v7, 0xffff, v7
	v_and_b32_e32 v9, 3, v7
	v_ffbh_u32_e32 v11, v9
	v_min_u32_e32 v11, 32, v11
	v_subrev_u32_e32 v12, 29, v11
	v_bfe_u32 v10, v7, 2, 5
	v_lshlrev_b32_e32 v7, v12, v7
	v_sub_u32_e32 v11, 30, v11
	v_and_b32_e32 v7, 3, v7
	v_cmp_eq_u32_e32 vcc, 0, v10
	v_cndmask_b32_e32 v10, v10, v11, vcc
	v_cndmask_b32_e32 v7, v9, v7, vcc
	v_mov_b32_e32 v9, 0x37800000
	v_lshlrev_b32_e32 v7, 21, v7
	v_and_b32_e32 v5, 0x80000000, v5
	v_lshl_add_u32 v9, v10, 23, v9
	v_or3_b32 v5, v5, v9, v7
	v_cvt_i32_f32_e32 v5, v5
.LBB190_1807:
	s_or_b64 exec, exec, s[16:17]
	s_mov_b64 s[16:17], 0
	s_branch .LBB190_1813
.LBB190_1808:
	s_mov_b64 s[16:17], -1
                                        ; implicit-def: $vgpr5
	s_branch .LBB190_1819
.LBB190_1809:
	s_andn2_saveexec_b64 s[20:21], s[20:21]
	s_cbranch_execz .LBB190_1794
.LBB190_1810:
	v_cmp_ne_u16_e32 vcc, 0, v7
	s_andn2_b64 s[22:23], s[22:23], exec
	s_and_b64 s[26:27], vcc, exec
	s_or_b64 s[22:23], s[22:23], s[26:27]
	s_or_b64 exec, exec, s[20:21]
	v_mov_b32_e32 v5, 0
	s_and_saveexec_b64 s[20:21], s[22:23]
	s_cbranch_execnz .LBB190_1795
	s_branch .LBB190_1796
.LBB190_1811:
	s_mov_b64 s[16:17], -1
                                        ; implicit-def: $vgpr5
	s_branch .LBB190_1816
.LBB190_1812:
	s_mov_b64 s[16:17], -1
                                        ; implicit-def: $vgpr5
.LBB190_1813:
	s_and_b64 vcc, exec, s[16:17]
	s_cbranch_vccz .LBB190_1815
; %bb.1814:
	global_load_ubyte v5, v[0:1], off
	s_mov_b32 s16, 0x7f800000
	s_waitcnt vmcnt(0)
	v_lshlrev_b32_e32 v5, 24, v5
	v_and_b32_e32 v7, 0x7f000000, v5
	v_ffbh_u32_e32 v9, v7
	v_min_u32_e32 v9, 32, v9
	v_sub_u32_e64 v9, v9, 4 clamp
	v_lshlrev_b32_e32 v11, v9, v7
	v_lshlrev_b32_e32 v9, 23, v9
	v_lshrrev_b32_e32 v11, 4, v11
	v_add_u32_e32 v10, 0x1000000, v7
	v_sub_u32_e32 v9, v11, v9
	v_ashrrev_i32_e32 v10, 8, v10
	v_add_u32_e32 v9, 0x3c000000, v9
	v_and_or_b32 v9, v10, s16, v9
	v_cmp_ne_u32_e32 vcc, 0, v7
	v_cndmask_b32_e32 v7, 0, v9, vcc
	s_brev_b32 s16, 1
	v_and_or_b32 v5, v5, s16, v7
	v_cvt_i32_f32_e32 v5, v5
.LBB190_1815:
	s_mov_b64 s[16:17], 0
.LBB190_1816:
	s_andn2_b64 vcc, exec, s[16:17]
	s_cbranch_vccnz .LBB190_1818
; %bb.1817:
	global_load_ubyte v5, v[0:1], off
	s_movk_i32 s16, 0x7f00
	s_brev_b32 s17, 16
	s_waitcnt vmcnt(0)
	v_lshlrev_b16_e32 v7, 8, v5
	v_lshlrev_b32_e32 v5, 25, v5
	v_lshrrev_b32_e32 v9, 4, v5
	v_and_or_b32 v10, v7, s16, 0.5
	v_or_b32_e32 v9, 0x70000000, v9
	v_add_f32_e32 v10, -0.5, v10
	v_mul_f32_e32 v9, 0x7800000, v9
	v_cmp_gt_u32_e32 vcc, s17, v5
	v_bfe_i32 v7, v7, 0, 16
	v_cndmask_b32_e32 v5, v9, v10, vcc
	s_brev_b32 s16, 1
	v_and_or_b32 v5, v7, s16, v5
	v_cvt_i32_f32_e32 v5, v5
.LBB190_1818:
	s_mov_b64 s[16:17], 0
	s_mov_b64 s[20:21], -1
.LBB190_1819:
	s_andn2_b64 vcc, exec, s[16:17]
	s_mov_b64 s[16:17], 0
	s_cbranch_vccnz .LBB190_1830
; %bb.1820:
	s_cmp_gt_i32 s15, 14
	s_cbranch_scc0 .LBB190_1823
; %bb.1821:
	s_cmp_eq_u32 s15, 15
	s_cbranch_scc0 .LBB190_1826
; %bb.1822:
	global_load_ushort v5, v[0:1], off
	s_mov_b64 s[0:1], 0
	s_mov_b64 s[20:21], -1
	s_waitcnt vmcnt(0)
	v_lshlrev_b32_e32 v5, 16, v5
	v_cvt_i32_f32_e32 v5, v5
	s_branch .LBB190_1827
.LBB190_1823:
	s_mov_b64 s[22:23], -1
                                        ; implicit-def: $vgpr5
	s_branch .LBB190_1828
.LBB190_1824:
	s_andn2_saveexec_b64 s[16:17], s[16:17]
	s_cbranch_execz .LBB190_1805
.LBB190_1825:
	v_cmp_ne_u16_e32 vcc, 0, v7
	s_andn2_b64 s[20:21], s[20:21], exec
	s_and_b64 s[22:23], vcc, exec
	s_or_b64 s[20:21], s[20:21], s[22:23]
	s_or_b64 exec, exec, s[16:17]
	v_mov_b32_e32 v5, 0
	s_and_saveexec_b64 s[16:17], s[20:21]
	s_cbranch_execnz .LBB190_1806
	s_branch .LBB190_1807
.LBB190_1826:
	s_mov_b64 s[0:1], -1
                                        ; implicit-def: $vgpr5
.LBB190_1827:
	s_mov_b64 s[22:23], 0
.LBB190_1828:
	s_and_b64 vcc, exec, s[22:23]
	s_cbranch_vccz .LBB190_1830
; %bb.1829:
	s_cmp_lg_u32 s15, 11
	s_mov_b64 s[16:17], -1
	s_cselect_b64 s[0:1], -1, 0
.LBB190_1830:
	s_and_b64 vcc, exec, s[0:1]
	s_cbranch_vccnz .LBB190_1893
; %bb.1831:
	s_andn2_b64 vcc, exec, s[16:17]
	s_cbranch_vccnz .LBB190_1833
.LBB190_1832:
	global_load_ubyte v5, v[0:1], off
	s_mov_b64 s[20:21], -1
	s_waitcnt vmcnt(0)
	v_cmp_ne_u16_e32 vcc, 0, v5
	v_cndmask_b32_e64 v5, 0, 1, vcc
.LBB190_1833:
	s_branch .LBB190_1765
.LBB190_1834:
	s_and_b32 s15, 0xffff, s24
	s_cmp_lt_i32 s15, 5
	s_cbranch_scc1 .LBB190_1839
; %bb.1835:
	s_cmp_lt_i32 s15, 8
	s_cbranch_scc1 .LBB190_1840
; %bb.1836:
	;; [unrolled: 3-line block ×3, first 2 shown]
	s_cmp_gt_i32 s15, 9
	s_cbranch_scc0 .LBB190_1842
; %bb.1838:
	global_load_dwordx2 v[9:10], v[0:1], off
	s_mov_b64 s[0:1], 0
	s_waitcnt vmcnt(0)
	v_cvt_i32_f64_e32 v5, v[9:10]
	s_branch .LBB190_1843
.LBB190_1839:
	s_mov_b64 s[0:1], -1
                                        ; implicit-def: $vgpr5
	s_branch .LBB190_1861
.LBB190_1840:
	s_mov_b64 s[0:1], -1
                                        ; implicit-def: $vgpr5
	s_branch .LBB190_1849
.LBB190_1841:
	s_mov_b64 s[0:1], -1
                                        ; implicit-def: $vgpr5
	s_branch .LBB190_1846
.LBB190_1842:
	s_mov_b64 s[0:1], -1
                                        ; implicit-def: $vgpr5
.LBB190_1843:
	s_andn2_b64 vcc, exec, s[0:1]
	s_cbranch_vccnz .LBB190_1845
; %bb.1844:
	global_load_dword v5, v[0:1], off
	s_waitcnt vmcnt(0)
	v_cvt_i32_f32_e32 v5, v5
.LBB190_1845:
	s_mov_b64 s[0:1], 0
.LBB190_1846:
	s_andn2_b64 vcc, exec, s[0:1]
	s_cbranch_vccnz .LBB190_1848
; %bb.1847:
	global_load_dword v5, v[0:1], off
	s_waitcnt vmcnt(0)
	v_cvt_f32_f16_e32 v5, v5
	v_cvt_i32_f32_e32 v5, v5
.LBB190_1848:
	s_mov_b64 s[0:1], 0
.LBB190_1849:
	s_andn2_b64 vcc, exec, s[0:1]
	s_cbranch_vccnz .LBB190_1860
; %bb.1850:
	s_cmp_lt_i32 s15, 6
	s_cbranch_scc1 .LBB190_1853
; %bb.1851:
	s_cmp_gt_i32 s15, 6
	s_cbranch_scc0 .LBB190_1854
; %bb.1852:
	global_load_dwordx2 v[9:10], v[0:1], off
	s_mov_b64 s[0:1], 0
	s_waitcnt vmcnt(0)
	v_cvt_i32_f64_e32 v5, v[9:10]
	s_branch .LBB190_1855
.LBB190_1853:
	s_mov_b64 s[0:1], -1
                                        ; implicit-def: $vgpr5
	s_branch .LBB190_1858
.LBB190_1854:
	s_mov_b64 s[0:1], -1
                                        ; implicit-def: $vgpr5
.LBB190_1855:
	s_andn2_b64 vcc, exec, s[0:1]
	s_cbranch_vccnz .LBB190_1857
; %bb.1856:
	global_load_dword v5, v[0:1], off
	s_waitcnt vmcnt(0)
	v_cvt_i32_f32_e32 v5, v5
.LBB190_1857:
	s_mov_b64 s[0:1], 0
.LBB190_1858:
	s_andn2_b64 vcc, exec, s[0:1]
	s_cbranch_vccnz .LBB190_1860
; %bb.1859:
	global_load_ushort v5, v[0:1], off
	s_waitcnt vmcnt(0)
	v_cvt_f32_f16_e32 v5, v5
	v_cvt_i32_f32_e32 v5, v5
.LBB190_1860:
	s_mov_b64 s[0:1], 0
.LBB190_1861:
	s_andn2_b64 vcc, exec, s[0:1]
	s_cbranch_vccnz .LBB190_1881
; %bb.1862:
	s_cmp_lt_i32 s15, 2
	s_cbranch_scc1 .LBB190_1866
; %bb.1863:
	s_cmp_lt_i32 s15, 3
	s_cbranch_scc1 .LBB190_1867
; %bb.1864:
	s_cmp_gt_i32 s15, 3
	s_cbranch_scc0 .LBB190_1868
; %bb.1865:
	global_load_dword v5, v[0:1], off
	s_mov_b64 s[0:1], 0
	s_branch .LBB190_1869
.LBB190_1866:
	s_mov_b64 s[0:1], -1
                                        ; implicit-def: $vgpr5
	s_branch .LBB190_1875
.LBB190_1867:
	s_mov_b64 s[0:1], -1
                                        ; implicit-def: $vgpr5
	s_branch .LBB190_1872
.LBB190_1868:
	s_mov_b64 s[0:1], -1
                                        ; implicit-def: $vgpr5
.LBB190_1869:
	s_andn2_b64 vcc, exec, s[0:1]
	s_cbranch_vccnz .LBB190_1871
; %bb.1870:
	global_load_dword v5, v[0:1], off
.LBB190_1871:
	s_mov_b64 s[0:1], 0
.LBB190_1872:
	s_andn2_b64 vcc, exec, s[0:1]
	s_cbranch_vccnz .LBB190_1874
; %bb.1873:
	global_load_sshort v5, v[0:1], off
.LBB190_1874:
	s_mov_b64 s[0:1], 0
.LBB190_1875:
	s_andn2_b64 vcc, exec, s[0:1]
	s_cbranch_vccnz .LBB190_1881
; %bb.1876:
	s_cmp_gt_i32 s15, 0
	s_cbranch_scc0 .LBB190_1878
; %bb.1877:
	global_load_sbyte v5, v[0:1], off
	s_mov_b64 s[0:1], 0
	s_branch .LBB190_1879
.LBB190_1878:
	s_mov_b64 s[0:1], -1
                                        ; implicit-def: $vgpr5
.LBB190_1879:
	s_andn2_b64 vcc, exec, s[0:1]
	s_cbranch_vccnz .LBB190_1881
; %bb.1880:
	global_load_ubyte v5, v[0:1], off
.LBB190_1881:
.LBB190_1882:
	s_lshl_b32 s22, s14, 7
	v_add_u32_e32 v9, s22, v6
	v_ashrrev_i32_e32 v1, 31, v9
	v_mov_b32_e32 v6, s3
	v_add_co_u32_e32 v0, vcc, s2, v9
	s_cmp_lt_i32 s25, 11
	v_addc_co_u32_e32 v1, vcc, v6, v1, vcc
	s_cbranch_scc1 .LBB190_1889
; %bb.1883:
	s_and_b32 s23, 0xffff, s25
	s_cmp_gt_i32 s23, 25
	s_mov_b64 s[14:15], 0
	s_cbranch_scc0 .LBB190_1890
; %bb.1884:
	s_cmp_gt_i32 s23, 28
	s_cbranch_scc0 .LBB190_1891
; %bb.1885:
	s_cmp_gt_i32 s23, 43
	;; [unrolled: 3-line block ×3, first 2 shown]
	s_cbranch_scc0 .LBB190_1894
; %bb.1887:
	s_cmp_eq_u32 s23, 46
	s_mov_b64 s[20:21], 0
	s_cbranch_scc0 .LBB190_1895
; %bb.1888:
	global_load_dword v6, v[0:1], off
	s_mov_b64 s[0:1], 0
	s_mov_b64 s[16:17], -1
	s_waitcnt vmcnt(0)
	v_lshlrev_b32_e32 v6, 16, v6
	v_cvt_i32_f32_e32 v7, v6
	s_branch .LBB190_1896
.LBB190_1889:
	s_mov_b64 s[0:1], -1
	s_mov_b64 s[16:17], 0
                                        ; implicit-def: $vgpr7
	s_branch .LBB190_1958
.LBB190_1890:
	s_mov_b64 s[20:21], -1
	s_mov_b64 s[16:17], 0
	s_mov_b64 s[0:1], 0
                                        ; implicit-def: $vgpr7
	s_branch .LBB190_1923
.LBB190_1891:
	s_mov_b64 s[20:21], -1
	s_mov_b64 s[16:17], 0
	s_mov_b64 s[0:1], 0
                                        ; implicit-def: $vgpr7
	s_branch .LBB190_1906
.LBB190_1892:
	s_mov_b64 s[20:21], -1
	s_mov_b64 s[16:17], 0
	s_mov_b64 s[0:1], 0
                                        ; implicit-def: $vgpr7
	s_branch .LBB190_1901
.LBB190_1893:
	s_trap 2
	s_or_b64 s[18:19], s[18:19], exec
	s_cbranch_execz .LBB190_1832
	s_branch .LBB190_1833
.LBB190_1894:
	s_mov_b64 s[20:21], -1
	s_mov_b64 s[16:17], 0
	s_mov_b64 s[0:1], 0
                                        ; implicit-def: $vgpr7
	s_branch .LBB190_1896
.LBB190_1895:
	s_mov_b64 s[0:1], -1
                                        ; implicit-def: $vgpr7
	s_mov_b64 s[16:17], 0
.LBB190_1896:
	s_and_b64 vcc, exec, s[20:21]
	s_cbranch_vccz .LBB190_1900
; %bb.1897:
	s_cmp_eq_u32 s23, 44
	s_cbranch_scc0 .LBB190_1899
; %bb.1898:
	global_load_ubyte v6, v[0:1], off
	s_mov_b64 s[0:1], 0
	s_mov_b64 s[16:17], -1
	s_waitcnt vmcnt(0)
	v_lshlrev_b32_e32 v7, 23, v6
	v_cvt_i32_f32_e32 v7, v7
	v_cmp_ne_u32_e32 vcc, 0, v6
	v_cndmask_b32_e32 v7, 0, v7, vcc
	s_branch .LBB190_1900
.LBB190_1899:
	s_mov_b64 s[0:1], -1
                                        ; implicit-def: $vgpr7
.LBB190_1900:
	s_mov_b64 s[20:21], 0
.LBB190_1901:
	s_and_b64 vcc, exec, s[20:21]
	s_cbranch_vccz .LBB190_1905
; %bb.1902:
	s_cmp_eq_u32 s23, 29
	s_cbranch_scc0 .LBB190_1904
; %bb.1903:
	global_load_dword v7, v[0:1], off
	s_mov_b64 s[0:1], 0
	s_mov_b64 s[16:17], -1
	s_branch .LBB190_1905
.LBB190_1904:
	s_mov_b64 s[0:1], -1
                                        ; implicit-def: $vgpr7
.LBB190_1905:
	s_mov_b64 s[20:21], 0
.LBB190_1906:
	s_and_b64 vcc, exec, s[20:21]
	s_cbranch_vccz .LBB190_1922
; %bb.1907:
	s_cmp_lt_i32 s23, 27
	s_cbranch_scc1 .LBB190_1910
; %bb.1908:
	s_cmp_gt_i32 s23, 27
	s_cbranch_scc0 .LBB190_1911
; %bb.1909:
	global_load_dword v7, v[0:1], off
	s_mov_b64 s[16:17], 0
	s_branch .LBB190_1912
.LBB190_1910:
	s_mov_b64 s[16:17], -1
                                        ; implicit-def: $vgpr7
	s_branch .LBB190_1915
.LBB190_1911:
	s_mov_b64 s[16:17], -1
                                        ; implicit-def: $vgpr7
.LBB190_1912:
	s_andn2_b64 vcc, exec, s[16:17]
	s_cbranch_vccnz .LBB190_1914
; %bb.1913:
	global_load_ushort v7, v[0:1], off
.LBB190_1914:
	s_mov_b64 s[16:17], 0
.LBB190_1915:
	s_andn2_b64 vcc, exec, s[16:17]
	s_cbranch_vccnz .LBB190_1921
; %bb.1916:
	global_load_ubyte v6, v[0:1], off
	s_movk_i32 s16, 0x7f
	s_mov_b64 s[20:21], 0
	s_waitcnt vmcnt(0)
	v_cmp_lt_i16_e32 vcc, s16, v6
	s_and_saveexec_b64 s[16:17], vcc
	s_xor_b64 s[16:17], exec, s[16:17]
	s_cbranch_execz .LBB190_1933
; %bb.1917:
	s_movk_i32 s20, 0x80
	v_cmp_ne_u16_e32 vcc, s20, v6
	s_and_b64 s[20:21], vcc, exec
	s_andn2_saveexec_b64 s[16:17], s[16:17]
	s_cbranch_execnz .LBB190_1934
.LBB190_1918:
	s_or_b64 exec, exec, s[16:17]
	v_mov_b32_e32 v7, 0
	s_and_saveexec_b64 s[16:17], s[20:21]
	s_cbranch_execz .LBB190_1920
.LBB190_1919:
	v_lshlrev_b32_e32 v7, 24, v6
	v_and_b32_e32 v6, 0xffff, v6
	v_and_b32_e32 v10, 7, v6
	v_ffbh_u32_e32 v12, v10
	v_min_u32_e32 v12, 32, v12
	v_subrev_u32_e32 v13, 28, v12
	v_bfe_u32 v11, v6, 3, 4
	v_lshlrev_b32_e32 v6, v13, v6
	v_sub_u32_e32 v12, 29, v12
	v_and_b32_e32 v6, 7, v6
	v_cmp_eq_u32_e32 vcc, 0, v11
	v_cndmask_b32_e32 v11, v11, v12, vcc
	v_cndmask_b32_e32 v6, v10, v6, vcc
	v_mov_b32_e32 v10, 0x3b800000
	v_lshlrev_b32_e32 v6, 20, v6
	v_and_b32_e32 v7, 0x80000000, v7
	v_lshl_add_u32 v10, v11, 23, v10
	v_or3_b32 v6, v7, v10, v6
	v_cvt_i32_f32_e32 v7, v6
.LBB190_1920:
	s_or_b64 exec, exec, s[16:17]
.LBB190_1921:
	s_mov_b64 s[16:17], -1
.LBB190_1922:
	s_mov_b64 s[20:21], 0
.LBB190_1923:
	s_and_b64 vcc, exec, s[20:21]
	s_cbranch_vccz .LBB190_1954
; %bb.1924:
	s_cmp_gt_i32 s23, 22
	s_cbranch_scc0 .LBB190_1932
; %bb.1925:
	s_cmp_lt_i32 s23, 24
	s_cbranch_scc1 .LBB190_1935
; %bb.1926:
	s_cmp_gt_i32 s23, 24
	s_cbranch_scc0 .LBB190_1936
; %bb.1927:
	global_load_ubyte v6, v[0:1], off
	s_movk_i32 s14, 0x7f
	s_mov_b64 s[16:17], 0
	s_waitcnt vmcnt(0)
	v_cmp_lt_i16_e32 vcc, s14, v6
	s_and_saveexec_b64 s[14:15], vcc
	s_xor_b64 s[14:15], exec, s[14:15]
	s_cbranch_execz .LBB190_1948
; %bb.1928:
	s_movk_i32 s16, 0x80
	v_cmp_ne_u16_e32 vcc, s16, v6
	s_and_b64 s[16:17], vcc, exec
	s_andn2_saveexec_b64 s[14:15], s[14:15]
	s_cbranch_execnz .LBB190_1949
.LBB190_1929:
	s_or_b64 exec, exec, s[14:15]
	v_mov_b32_e32 v7, 0
	s_and_saveexec_b64 s[14:15], s[16:17]
	s_cbranch_execz .LBB190_1931
.LBB190_1930:
	v_lshlrev_b32_e32 v7, 24, v6
	v_and_b32_e32 v6, 0xffff, v6
	v_and_b32_e32 v10, 3, v6
	v_ffbh_u32_e32 v12, v10
	v_min_u32_e32 v12, 32, v12
	v_subrev_u32_e32 v13, 29, v12
	v_bfe_u32 v11, v6, 2, 5
	v_lshlrev_b32_e32 v6, v13, v6
	v_sub_u32_e32 v12, 30, v12
	v_and_b32_e32 v6, 3, v6
	v_cmp_eq_u32_e32 vcc, 0, v11
	v_cndmask_b32_e32 v11, v11, v12, vcc
	v_cndmask_b32_e32 v6, v10, v6, vcc
	v_mov_b32_e32 v10, 0x37800000
	v_lshlrev_b32_e32 v6, 21, v6
	v_and_b32_e32 v7, 0x80000000, v7
	v_lshl_add_u32 v10, v11, 23, v10
	v_or3_b32 v6, v7, v10, v6
	v_cvt_i32_f32_e32 v7, v6
.LBB190_1931:
	s_or_b64 exec, exec, s[14:15]
	s_mov_b64 s[14:15], 0
	s_branch .LBB190_1937
.LBB190_1932:
	s_mov_b64 s[14:15], -1
                                        ; implicit-def: $vgpr7
	s_branch .LBB190_1943
.LBB190_1933:
	s_andn2_saveexec_b64 s[16:17], s[16:17]
	s_cbranch_execz .LBB190_1918
.LBB190_1934:
	v_cmp_ne_u16_e32 vcc, 0, v6
	s_andn2_b64 s[20:21], s[20:21], exec
	s_and_b64 s[26:27], vcc, exec
	s_or_b64 s[20:21], s[20:21], s[26:27]
	s_or_b64 exec, exec, s[16:17]
	v_mov_b32_e32 v7, 0
	s_and_saveexec_b64 s[16:17], s[20:21]
	s_cbranch_execnz .LBB190_1919
	s_branch .LBB190_1920
.LBB190_1935:
	s_mov_b64 s[14:15], -1
                                        ; implicit-def: $vgpr7
	s_branch .LBB190_1940
.LBB190_1936:
	s_mov_b64 s[14:15], -1
                                        ; implicit-def: $vgpr7
.LBB190_1937:
	s_and_b64 vcc, exec, s[14:15]
	s_cbranch_vccz .LBB190_1939
; %bb.1938:
	global_load_ubyte v6, v[0:1], off
	s_mov_b32 s14, 0x7f800000
	s_waitcnt vmcnt(0)
	v_lshlrev_b32_e32 v6, 24, v6
	v_and_b32_e32 v7, 0x7f000000, v6
	v_ffbh_u32_e32 v10, v7
	v_min_u32_e32 v10, 32, v10
	v_sub_u32_e64 v10, v10, 4 clamp
	v_lshlrev_b32_e32 v12, v10, v7
	v_lshlrev_b32_e32 v10, 23, v10
	v_lshrrev_b32_e32 v12, 4, v12
	v_add_u32_e32 v11, 0x1000000, v7
	v_sub_u32_e32 v10, v12, v10
	v_ashrrev_i32_e32 v11, 8, v11
	v_add_u32_e32 v10, 0x3c000000, v10
	v_and_or_b32 v10, v11, s14, v10
	v_cmp_ne_u32_e32 vcc, 0, v7
	v_cndmask_b32_e32 v7, 0, v10, vcc
	s_brev_b32 s14, 1
	v_and_or_b32 v6, v6, s14, v7
	v_cvt_i32_f32_e32 v7, v6
.LBB190_1939:
	s_mov_b64 s[14:15], 0
.LBB190_1940:
	s_andn2_b64 vcc, exec, s[14:15]
	s_cbranch_vccnz .LBB190_1942
; %bb.1941:
	global_load_ubyte v6, v[0:1], off
	s_movk_i32 s14, 0x7f00
	s_brev_b32 s15, 16
	s_waitcnt vmcnt(0)
	v_lshlrev_b16_e32 v7, 8, v6
	v_lshlrev_b32_e32 v6, 25, v6
	v_lshrrev_b32_e32 v10, 4, v6
	v_and_or_b32 v11, v7, s14, 0.5
	v_or_b32_e32 v10, 0x70000000, v10
	v_add_f32_e32 v11, -0.5, v11
	v_mul_f32_e32 v10, 0x7800000, v10
	v_cmp_gt_u32_e32 vcc, s15, v6
	v_bfe_i32 v7, v7, 0, 16
	v_cndmask_b32_e32 v6, v10, v11, vcc
	s_brev_b32 s14, 1
	v_and_or_b32 v6, v7, s14, v6
	v_cvt_i32_f32_e32 v7, v6
.LBB190_1942:
	s_mov_b64 s[14:15], 0
	s_mov_b64 s[16:17], -1
.LBB190_1943:
	s_andn2_b64 vcc, exec, s[14:15]
	s_mov_b64 s[14:15], 0
	s_cbranch_vccnz .LBB190_1954
; %bb.1944:
	s_cmp_gt_i32 s23, 14
	s_cbranch_scc0 .LBB190_1947
; %bb.1945:
	s_cmp_eq_u32 s23, 15
	s_cbranch_scc0 .LBB190_1950
; %bb.1946:
	global_load_ushort v6, v[0:1], off
	s_mov_b64 s[0:1], 0
	s_mov_b64 s[16:17], -1
	s_waitcnt vmcnt(0)
	v_lshlrev_b32_e32 v6, 16, v6
	v_cvt_i32_f32_e32 v7, v6
	s_branch .LBB190_1951
.LBB190_1947:
	s_mov_b64 s[20:21], -1
                                        ; implicit-def: $vgpr7
	s_branch .LBB190_1952
.LBB190_1948:
	s_andn2_saveexec_b64 s[14:15], s[14:15]
	s_cbranch_execz .LBB190_1929
.LBB190_1949:
	v_cmp_ne_u16_e32 vcc, 0, v6
	s_andn2_b64 s[16:17], s[16:17], exec
	s_and_b64 s[20:21], vcc, exec
	s_or_b64 s[16:17], s[16:17], s[20:21]
	s_or_b64 exec, exec, s[14:15]
	v_mov_b32_e32 v7, 0
	s_and_saveexec_b64 s[14:15], s[16:17]
	s_cbranch_execnz .LBB190_1930
	s_branch .LBB190_1931
.LBB190_1950:
	s_mov_b64 s[0:1], -1
                                        ; implicit-def: $vgpr7
.LBB190_1951:
	s_mov_b64 s[20:21], 0
.LBB190_1952:
	s_and_b64 vcc, exec, s[20:21]
	s_cbranch_vccz .LBB190_1954
; %bb.1953:
	s_cmp_lg_u32 s23, 11
	s_mov_b64 s[14:15], -1
	s_cselect_b64 s[0:1], -1, 0
.LBB190_1954:
	s_and_b64 vcc, exec, s[0:1]
	s_cbranch_vccnz .LBB190_2019
; %bb.1955:
	s_andn2_b64 vcc, exec, s[14:15]
	s_cbranch_vccnz .LBB190_1957
.LBB190_1956:
	global_load_ubyte v6, v[0:1], off
	s_mov_b64 s[16:17], -1
	s_waitcnt vmcnt(0)
	v_cmp_ne_u16_e32 vcc, 0, v6
	v_cndmask_b32_e64 v7, 0, 1, vcc
.LBB190_1957:
	s_mov_b64 s[0:1], 0
.LBB190_1958:
	s_and_b64 vcc, exec, s[0:1]
	s_cbranch_vccz .LBB190_2007
; %bb.1959:
	s_and_b32 s14, 0xffff, s25
	s_cmp_lt_i32 s14, 5
	s_cbranch_scc1 .LBB190_1964
; %bb.1960:
	s_cmp_lt_i32 s14, 8
	s_cbranch_scc1 .LBB190_1965
; %bb.1961:
	;; [unrolled: 3-line block ×3, first 2 shown]
	s_cmp_gt_i32 s14, 9
	s_cbranch_scc0 .LBB190_1967
; %bb.1963:
	global_load_dwordx2 v[6:7], v[0:1], off
	s_mov_b64 s[0:1], 0
	s_waitcnt vmcnt(0)
	v_cvt_i32_f64_e32 v7, v[6:7]
	s_branch .LBB190_1968
.LBB190_1964:
	s_mov_b64 s[0:1], -1
                                        ; implicit-def: $vgpr7
	s_branch .LBB190_1986
.LBB190_1965:
	s_mov_b64 s[0:1], -1
                                        ; implicit-def: $vgpr7
	s_branch .LBB190_1974
.LBB190_1966:
	s_mov_b64 s[0:1], -1
                                        ; implicit-def: $vgpr7
	s_branch .LBB190_1971
.LBB190_1967:
	s_mov_b64 s[0:1], -1
                                        ; implicit-def: $vgpr7
.LBB190_1968:
	s_andn2_b64 vcc, exec, s[0:1]
	s_cbranch_vccnz .LBB190_1970
; %bb.1969:
	global_load_dword v6, v[0:1], off
	s_waitcnt vmcnt(0)
	v_cvt_i32_f32_e32 v7, v6
.LBB190_1970:
	s_mov_b64 s[0:1], 0
.LBB190_1971:
	s_andn2_b64 vcc, exec, s[0:1]
	s_cbranch_vccnz .LBB190_1973
; %bb.1972:
	global_load_dword v6, v[0:1], off
	s_waitcnt vmcnt(0)
	v_cvt_f32_f16_e32 v6, v6
	v_cvt_i32_f32_e32 v7, v6
.LBB190_1973:
	s_mov_b64 s[0:1], 0
.LBB190_1974:
	s_andn2_b64 vcc, exec, s[0:1]
	s_cbranch_vccnz .LBB190_1985
; %bb.1975:
	s_cmp_lt_i32 s14, 6
	s_cbranch_scc1 .LBB190_1978
; %bb.1976:
	s_cmp_gt_i32 s14, 6
	s_cbranch_scc0 .LBB190_1979
; %bb.1977:
	global_load_dwordx2 v[6:7], v[0:1], off
	s_mov_b64 s[0:1], 0
	s_waitcnt vmcnt(0)
	v_cvt_i32_f64_e32 v7, v[6:7]
	s_branch .LBB190_1980
.LBB190_1978:
	s_mov_b64 s[0:1], -1
                                        ; implicit-def: $vgpr7
	s_branch .LBB190_1983
.LBB190_1979:
	s_mov_b64 s[0:1], -1
                                        ; implicit-def: $vgpr7
.LBB190_1980:
	s_andn2_b64 vcc, exec, s[0:1]
	s_cbranch_vccnz .LBB190_1982
; %bb.1981:
	global_load_dword v6, v[0:1], off
	s_waitcnt vmcnt(0)
	v_cvt_i32_f32_e32 v7, v6
.LBB190_1982:
	s_mov_b64 s[0:1], 0
.LBB190_1983:
	s_andn2_b64 vcc, exec, s[0:1]
	s_cbranch_vccnz .LBB190_1985
; %bb.1984:
	global_load_ushort v6, v[0:1], off
	s_waitcnt vmcnt(0)
	v_cvt_f32_f16_e32 v6, v6
	v_cvt_i32_f32_e32 v7, v6
.LBB190_1985:
	s_mov_b64 s[0:1], 0
.LBB190_1986:
	s_andn2_b64 vcc, exec, s[0:1]
	s_cbranch_vccnz .LBB190_2006
; %bb.1987:
	s_cmp_lt_i32 s14, 2
	s_cbranch_scc1 .LBB190_1991
; %bb.1988:
	s_cmp_lt_i32 s14, 3
	s_cbranch_scc1 .LBB190_1992
; %bb.1989:
	s_cmp_gt_i32 s14, 3
	s_cbranch_scc0 .LBB190_1993
; %bb.1990:
	global_load_dword v7, v[0:1], off
	s_mov_b64 s[0:1], 0
	s_branch .LBB190_1994
.LBB190_1991:
	s_mov_b64 s[0:1], -1
                                        ; implicit-def: $vgpr7
	s_branch .LBB190_2000
.LBB190_1992:
	s_mov_b64 s[0:1], -1
                                        ; implicit-def: $vgpr7
	s_branch .LBB190_1997
.LBB190_1993:
	s_mov_b64 s[0:1], -1
                                        ; implicit-def: $vgpr7
.LBB190_1994:
	s_andn2_b64 vcc, exec, s[0:1]
	s_cbranch_vccnz .LBB190_1996
; %bb.1995:
	global_load_dword v7, v[0:1], off
.LBB190_1996:
	s_mov_b64 s[0:1], 0
.LBB190_1997:
	s_andn2_b64 vcc, exec, s[0:1]
	s_cbranch_vccnz .LBB190_1999
; %bb.1998:
	global_load_sshort v7, v[0:1], off
.LBB190_1999:
	s_mov_b64 s[0:1], 0
.LBB190_2000:
	s_andn2_b64 vcc, exec, s[0:1]
	s_cbranch_vccnz .LBB190_2006
; %bb.2001:
	s_cmp_gt_i32 s14, 0
	s_cbranch_scc0 .LBB190_2003
; %bb.2002:
	global_load_sbyte v7, v[0:1], off
	s_mov_b64 s[0:1], 0
	s_branch .LBB190_2004
.LBB190_2003:
	s_mov_b64 s[0:1], -1
                                        ; implicit-def: $vgpr7
.LBB190_2004:
	s_andn2_b64 vcc, exec, s[0:1]
	s_cbranch_vccnz .LBB190_2006
; %bb.2005:
	global_load_ubyte v7, v[0:1], off
.LBB190_2006:
	s_mov_b64 s[16:17], -1
.LBB190_2007:
	s_andn2_b64 vcc, exec, s[16:17]
	s_cbranch_vccnz .LBB190_2947
; %bb.2008:
	v_add_u32_e32 v8, s13, v8
	v_ashrrev_i32_e32 v1, 31, v8
	v_mov_b32_e32 v6, s11
	v_add_co_u32_e32 v0, vcc, s10, v8
	s_cmp_lt_i32 s24, 11
	v_addc_co_u32_e32 v1, vcc, v6, v1, vcc
	s_cbranch_scc1 .LBB190_2015
; %bb.2009:
	s_and_b32 s23, 0xffff, s24
	s_cmp_gt_i32 s23, 25
	s_mov_b64 s[14:15], 0
	s_cbranch_scc0 .LBB190_2016
; %bb.2010:
	s_cmp_gt_i32 s23, 28
	s_cbranch_scc0 .LBB190_2017
; %bb.2011:
	s_cmp_gt_i32 s23, 43
	;; [unrolled: 3-line block ×3, first 2 shown]
	s_cbranch_scc0 .LBB190_2020
; %bb.2013:
	s_cmp_eq_u32 s23, 46
	s_mov_b64 s[20:21], 0
	s_cbranch_scc0 .LBB190_2021
; %bb.2014:
	global_load_dword v6, v[0:1], off
	s_mov_b64 s[0:1], 0
	s_mov_b64 s[16:17], -1
	s_waitcnt vmcnt(0)
	v_lshlrev_b32_e32 v6, 16, v6
	v_cvt_i32_f32_e32 v6, v6
	s_branch .LBB190_2022
.LBB190_2015:
	s_mov_b64 s[0:1], -1
	s_mov_b64 s[16:17], 0
                                        ; implicit-def: $vgpr6
	s_branch .LBB190_2084
.LBB190_2016:
	s_mov_b64 s[20:21], -1
	s_mov_b64 s[16:17], 0
	s_mov_b64 s[0:1], 0
                                        ; implicit-def: $vgpr6
	s_branch .LBB190_2049
.LBB190_2017:
	s_mov_b64 s[20:21], -1
	s_mov_b64 s[16:17], 0
	s_mov_b64 s[0:1], 0
                                        ; implicit-def: $vgpr6
	s_branch .LBB190_2032
.LBB190_2018:
	s_mov_b64 s[20:21], -1
	s_mov_b64 s[16:17], 0
	s_mov_b64 s[0:1], 0
                                        ; implicit-def: $vgpr6
	s_branch .LBB190_2027
.LBB190_2019:
	s_trap 2
	s_or_b64 s[18:19], s[18:19], exec
	s_cbranch_execz .LBB190_1956
	s_branch .LBB190_1957
.LBB190_2020:
	s_mov_b64 s[20:21], -1
	s_mov_b64 s[16:17], 0
	s_mov_b64 s[0:1], 0
                                        ; implicit-def: $vgpr6
	s_branch .LBB190_2022
.LBB190_2021:
	s_mov_b64 s[0:1], -1
                                        ; implicit-def: $vgpr6
	s_mov_b64 s[16:17], 0
.LBB190_2022:
	s_and_b64 vcc, exec, s[20:21]
	s_cbranch_vccz .LBB190_2026
; %bb.2023:
	s_cmp_eq_u32 s23, 44
	s_cbranch_scc0 .LBB190_2025
; %bb.2024:
	global_load_ubyte v6, v[0:1], off
	s_mov_b64 s[0:1], 0
	s_mov_b64 s[16:17], -1
	s_waitcnt vmcnt(0)
	v_lshlrev_b32_e32 v10, 23, v6
	v_cvt_i32_f32_e32 v10, v10
	v_cmp_ne_u32_e32 vcc, 0, v6
	v_cndmask_b32_e32 v6, 0, v10, vcc
	s_branch .LBB190_2026
.LBB190_2025:
	s_mov_b64 s[0:1], -1
                                        ; implicit-def: $vgpr6
.LBB190_2026:
	s_mov_b64 s[20:21], 0
.LBB190_2027:
	s_and_b64 vcc, exec, s[20:21]
	s_cbranch_vccz .LBB190_2031
; %bb.2028:
	s_cmp_eq_u32 s23, 29
	s_cbranch_scc0 .LBB190_2030
; %bb.2029:
	global_load_dword v6, v[0:1], off
	s_mov_b64 s[0:1], 0
	s_mov_b64 s[16:17], -1
	s_branch .LBB190_2031
.LBB190_2030:
	s_mov_b64 s[0:1], -1
                                        ; implicit-def: $vgpr6
.LBB190_2031:
	s_mov_b64 s[20:21], 0
.LBB190_2032:
	s_and_b64 vcc, exec, s[20:21]
	s_cbranch_vccz .LBB190_2048
; %bb.2033:
	s_cmp_lt_i32 s23, 27
	s_cbranch_scc1 .LBB190_2036
; %bb.2034:
	s_cmp_gt_i32 s23, 27
	s_cbranch_scc0 .LBB190_2037
; %bb.2035:
	global_load_dword v6, v[0:1], off
	s_mov_b64 s[16:17], 0
	s_branch .LBB190_2038
.LBB190_2036:
	s_mov_b64 s[16:17], -1
                                        ; implicit-def: $vgpr6
	s_branch .LBB190_2041
.LBB190_2037:
	s_mov_b64 s[16:17], -1
                                        ; implicit-def: $vgpr6
.LBB190_2038:
	s_andn2_b64 vcc, exec, s[16:17]
	s_cbranch_vccnz .LBB190_2040
; %bb.2039:
	global_load_ushort v6, v[0:1], off
.LBB190_2040:
	s_mov_b64 s[16:17], 0
.LBB190_2041:
	s_andn2_b64 vcc, exec, s[16:17]
	s_cbranch_vccnz .LBB190_2047
; %bb.2042:
	global_load_ubyte v10, v[0:1], off
	s_movk_i32 s16, 0x7f
	s_mov_b64 s[20:21], 0
	s_waitcnt vmcnt(0)
	v_cmp_lt_i16_e32 vcc, s16, v10
	s_and_saveexec_b64 s[16:17], vcc
	s_xor_b64 s[16:17], exec, s[16:17]
	s_cbranch_execz .LBB190_2059
; %bb.2043:
	s_movk_i32 s20, 0x80
	v_cmp_ne_u16_e32 vcc, s20, v10
	s_and_b64 s[20:21], vcc, exec
	s_andn2_saveexec_b64 s[16:17], s[16:17]
	s_cbranch_execnz .LBB190_2060
.LBB190_2044:
	s_or_b64 exec, exec, s[16:17]
	v_mov_b32_e32 v6, 0
	s_and_saveexec_b64 s[16:17], s[20:21]
	s_cbranch_execz .LBB190_2046
.LBB190_2045:
	v_lshlrev_b32_e32 v6, 24, v10
	v_and_b32_e32 v10, 0xffff, v10
	v_and_b32_e32 v11, 7, v10
	v_ffbh_u32_e32 v13, v11
	v_min_u32_e32 v13, 32, v13
	v_subrev_u32_e32 v14, 28, v13
	v_bfe_u32 v12, v10, 3, 4
	v_lshlrev_b32_e32 v10, v14, v10
	v_sub_u32_e32 v13, 29, v13
	v_and_b32_e32 v10, 7, v10
	v_cmp_eq_u32_e32 vcc, 0, v12
	v_cndmask_b32_e32 v12, v12, v13, vcc
	v_cndmask_b32_e32 v10, v11, v10, vcc
	v_mov_b32_e32 v11, 0x3b800000
	v_lshlrev_b32_e32 v10, 20, v10
	v_and_b32_e32 v6, 0x80000000, v6
	v_lshl_add_u32 v11, v12, 23, v11
	v_or3_b32 v6, v6, v11, v10
	v_cvt_i32_f32_e32 v6, v6
.LBB190_2046:
	s_or_b64 exec, exec, s[16:17]
.LBB190_2047:
	s_mov_b64 s[16:17], -1
.LBB190_2048:
	s_mov_b64 s[20:21], 0
.LBB190_2049:
	s_and_b64 vcc, exec, s[20:21]
	s_cbranch_vccz .LBB190_2080
; %bb.2050:
	s_cmp_gt_i32 s23, 22
	s_cbranch_scc0 .LBB190_2058
; %bb.2051:
	s_cmp_lt_i32 s23, 24
	s_cbranch_scc1 .LBB190_2061
; %bb.2052:
	s_cmp_gt_i32 s23, 24
	s_cbranch_scc0 .LBB190_2062
; %bb.2053:
	global_load_ubyte v10, v[0:1], off
	s_movk_i32 s14, 0x7f
	s_mov_b64 s[16:17], 0
	s_waitcnt vmcnt(0)
	v_cmp_lt_i16_e32 vcc, s14, v10
	s_and_saveexec_b64 s[14:15], vcc
	s_xor_b64 s[14:15], exec, s[14:15]
	s_cbranch_execz .LBB190_2074
; %bb.2054:
	s_movk_i32 s16, 0x80
	v_cmp_ne_u16_e32 vcc, s16, v10
	s_and_b64 s[16:17], vcc, exec
	s_andn2_saveexec_b64 s[14:15], s[14:15]
	s_cbranch_execnz .LBB190_2075
.LBB190_2055:
	s_or_b64 exec, exec, s[14:15]
	v_mov_b32_e32 v6, 0
	s_and_saveexec_b64 s[14:15], s[16:17]
	s_cbranch_execz .LBB190_2057
.LBB190_2056:
	v_lshlrev_b32_e32 v6, 24, v10
	v_and_b32_e32 v10, 0xffff, v10
	v_and_b32_e32 v11, 3, v10
	v_ffbh_u32_e32 v13, v11
	v_min_u32_e32 v13, 32, v13
	v_subrev_u32_e32 v14, 29, v13
	v_bfe_u32 v12, v10, 2, 5
	v_lshlrev_b32_e32 v10, v14, v10
	v_sub_u32_e32 v13, 30, v13
	v_and_b32_e32 v10, 3, v10
	v_cmp_eq_u32_e32 vcc, 0, v12
	v_cndmask_b32_e32 v12, v12, v13, vcc
	v_cndmask_b32_e32 v10, v11, v10, vcc
	v_mov_b32_e32 v11, 0x37800000
	v_lshlrev_b32_e32 v10, 21, v10
	v_and_b32_e32 v6, 0x80000000, v6
	v_lshl_add_u32 v11, v12, 23, v11
	v_or3_b32 v6, v6, v11, v10
	v_cvt_i32_f32_e32 v6, v6
.LBB190_2057:
	s_or_b64 exec, exec, s[14:15]
	s_mov_b64 s[14:15], 0
	s_branch .LBB190_2063
.LBB190_2058:
	s_mov_b64 s[14:15], -1
                                        ; implicit-def: $vgpr6
	s_branch .LBB190_2069
.LBB190_2059:
	s_andn2_saveexec_b64 s[16:17], s[16:17]
	s_cbranch_execz .LBB190_2044
.LBB190_2060:
	v_cmp_ne_u16_e32 vcc, 0, v10
	s_andn2_b64 s[20:21], s[20:21], exec
	s_and_b64 s[26:27], vcc, exec
	s_or_b64 s[20:21], s[20:21], s[26:27]
	s_or_b64 exec, exec, s[16:17]
	v_mov_b32_e32 v6, 0
	s_and_saveexec_b64 s[16:17], s[20:21]
	s_cbranch_execnz .LBB190_2045
	s_branch .LBB190_2046
.LBB190_2061:
	s_mov_b64 s[14:15], -1
                                        ; implicit-def: $vgpr6
	s_branch .LBB190_2066
.LBB190_2062:
	s_mov_b64 s[14:15], -1
                                        ; implicit-def: $vgpr6
.LBB190_2063:
	s_and_b64 vcc, exec, s[14:15]
	s_cbranch_vccz .LBB190_2065
; %bb.2064:
	global_load_ubyte v6, v[0:1], off
	s_mov_b32 s14, 0x7f800000
	s_waitcnt vmcnt(0)
	v_lshlrev_b32_e32 v6, 24, v6
	v_and_b32_e32 v10, 0x7f000000, v6
	v_ffbh_u32_e32 v11, v10
	v_min_u32_e32 v11, 32, v11
	v_sub_u32_e64 v11, v11, 4 clamp
	v_lshlrev_b32_e32 v13, v11, v10
	v_lshlrev_b32_e32 v11, 23, v11
	v_lshrrev_b32_e32 v13, 4, v13
	v_add_u32_e32 v12, 0x1000000, v10
	v_sub_u32_e32 v11, v13, v11
	v_ashrrev_i32_e32 v12, 8, v12
	v_add_u32_e32 v11, 0x3c000000, v11
	v_and_or_b32 v11, v12, s14, v11
	v_cmp_ne_u32_e32 vcc, 0, v10
	v_cndmask_b32_e32 v10, 0, v11, vcc
	s_brev_b32 s14, 1
	v_and_or_b32 v6, v6, s14, v10
	v_cvt_i32_f32_e32 v6, v6
.LBB190_2065:
	s_mov_b64 s[14:15], 0
.LBB190_2066:
	s_andn2_b64 vcc, exec, s[14:15]
	s_cbranch_vccnz .LBB190_2068
; %bb.2067:
	global_load_ubyte v6, v[0:1], off
	s_movk_i32 s14, 0x7f00
	s_brev_b32 s15, 16
	s_waitcnt vmcnt(0)
	v_lshlrev_b16_e32 v10, 8, v6
	v_lshlrev_b32_e32 v6, 25, v6
	v_lshrrev_b32_e32 v11, 4, v6
	v_and_or_b32 v12, v10, s14, 0.5
	v_or_b32_e32 v11, 0x70000000, v11
	v_add_f32_e32 v12, -0.5, v12
	v_mul_f32_e32 v11, 0x7800000, v11
	v_cmp_gt_u32_e32 vcc, s15, v6
	v_bfe_i32 v10, v10, 0, 16
	v_cndmask_b32_e32 v6, v11, v12, vcc
	s_brev_b32 s14, 1
	v_and_or_b32 v6, v10, s14, v6
	v_cvt_i32_f32_e32 v6, v6
.LBB190_2068:
	s_mov_b64 s[14:15], 0
	s_mov_b64 s[16:17], -1
.LBB190_2069:
	s_andn2_b64 vcc, exec, s[14:15]
	s_mov_b64 s[14:15], 0
	s_cbranch_vccnz .LBB190_2080
; %bb.2070:
	s_cmp_gt_i32 s23, 14
	s_cbranch_scc0 .LBB190_2073
; %bb.2071:
	s_cmp_eq_u32 s23, 15
	s_cbranch_scc0 .LBB190_2076
; %bb.2072:
	global_load_ushort v6, v[0:1], off
	s_mov_b64 s[0:1], 0
	s_mov_b64 s[16:17], -1
	s_waitcnt vmcnt(0)
	v_lshlrev_b32_e32 v6, 16, v6
	v_cvt_i32_f32_e32 v6, v6
	s_branch .LBB190_2077
.LBB190_2073:
	s_mov_b64 s[20:21], -1
                                        ; implicit-def: $vgpr6
	s_branch .LBB190_2078
.LBB190_2074:
	s_andn2_saveexec_b64 s[14:15], s[14:15]
	s_cbranch_execz .LBB190_2055
.LBB190_2075:
	v_cmp_ne_u16_e32 vcc, 0, v10
	s_andn2_b64 s[16:17], s[16:17], exec
	s_and_b64 s[20:21], vcc, exec
	s_or_b64 s[16:17], s[16:17], s[20:21]
	s_or_b64 exec, exec, s[14:15]
	v_mov_b32_e32 v6, 0
	s_and_saveexec_b64 s[14:15], s[16:17]
	s_cbranch_execnz .LBB190_2056
	s_branch .LBB190_2057
.LBB190_2076:
	s_mov_b64 s[0:1], -1
                                        ; implicit-def: $vgpr6
.LBB190_2077:
	s_mov_b64 s[20:21], 0
.LBB190_2078:
	s_and_b64 vcc, exec, s[20:21]
	s_cbranch_vccz .LBB190_2080
; %bb.2079:
	s_cmp_lg_u32 s23, 11
	s_mov_b64 s[14:15], -1
	s_cselect_b64 s[0:1], -1, 0
.LBB190_2080:
	s_and_b64 vcc, exec, s[0:1]
	s_cbranch_vccnz .LBB190_2145
; %bb.2081:
	s_andn2_b64 vcc, exec, s[14:15]
	s_cbranch_vccnz .LBB190_2083
.LBB190_2082:
	global_load_ubyte v6, v[0:1], off
	s_mov_b64 s[16:17], -1
	s_waitcnt vmcnt(0)
	v_cmp_ne_u16_e32 vcc, 0, v6
	v_cndmask_b32_e64 v6, 0, 1, vcc
.LBB190_2083:
	s_mov_b64 s[0:1], 0
.LBB190_2084:
	s_and_b64 vcc, exec, s[0:1]
	s_cbranch_vccz .LBB190_2133
; %bb.2085:
	s_and_b32 s14, 0xffff, s24
	s_cmp_lt_i32 s14, 5
	s_cbranch_scc1 .LBB190_2090
; %bb.2086:
	s_cmp_lt_i32 s14, 8
	s_cbranch_scc1 .LBB190_2091
; %bb.2087:
	;; [unrolled: 3-line block ×3, first 2 shown]
	s_cmp_gt_i32 s14, 9
	s_cbranch_scc0 .LBB190_2093
; %bb.2089:
	global_load_dwordx2 v[10:11], v[0:1], off
	s_mov_b64 s[0:1], 0
	s_waitcnt vmcnt(0)
	v_cvt_i32_f64_e32 v6, v[10:11]
	s_branch .LBB190_2094
.LBB190_2090:
	s_mov_b64 s[0:1], -1
                                        ; implicit-def: $vgpr6
	s_branch .LBB190_2112
.LBB190_2091:
	s_mov_b64 s[0:1], -1
                                        ; implicit-def: $vgpr6
	s_branch .LBB190_2100
.LBB190_2092:
	s_mov_b64 s[0:1], -1
                                        ; implicit-def: $vgpr6
	s_branch .LBB190_2097
.LBB190_2093:
	s_mov_b64 s[0:1], -1
                                        ; implicit-def: $vgpr6
.LBB190_2094:
	s_andn2_b64 vcc, exec, s[0:1]
	s_cbranch_vccnz .LBB190_2096
; %bb.2095:
	global_load_dword v6, v[0:1], off
	s_waitcnt vmcnt(0)
	v_cvt_i32_f32_e32 v6, v6
.LBB190_2096:
	s_mov_b64 s[0:1], 0
.LBB190_2097:
	s_andn2_b64 vcc, exec, s[0:1]
	s_cbranch_vccnz .LBB190_2099
; %bb.2098:
	global_load_dword v6, v[0:1], off
	s_waitcnt vmcnt(0)
	v_cvt_f32_f16_e32 v6, v6
	v_cvt_i32_f32_e32 v6, v6
.LBB190_2099:
	s_mov_b64 s[0:1], 0
.LBB190_2100:
	s_andn2_b64 vcc, exec, s[0:1]
	s_cbranch_vccnz .LBB190_2111
; %bb.2101:
	s_cmp_lt_i32 s14, 6
	s_cbranch_scc1 .LBB190_2104
; %bb.2102:
	s_cmp_gt_i32 s14, 6
	s_cbranch_scc0 .LBB190_2105
; %bb.2103:
	global_load_dwordx2 v[10:11], v[0:1], off
	s_mov_b64 s[0:1], 0
	s_waitcnt vmcnt(0)
	v_cvt_i32_f64_e32 v6, v[10:11]
	s_branch .LBB190_2106
.LBB190_2104:
	s_mov_b64 s[0:1], -1
                                        ; implicit-def: $vgpr6
	s_branch .LBB190_2109
.LBB190_2105:
	s_mov_b64 s[0:1], -1
                                        ; implicit-def: $vgpr6
.LBB190_2106:
	s_andn2_b64 vcc, exec, s[0:1]
	s_cbranch_vccnz .LBB190_2108
; %bb.2107:
	global_load_dword v6, v[0:1], off
	s_waitcnt vmcnt(0)
	v_cvt_i32_f32_e32 v6, v6
.LBB190_2108:
	s_mov_b64 s[0:1], 0
.LBB190_2109:
	s_andn2_b64 vcc, exec, s[0:1]
	s_cbranch_vccnz .LBB190_2111
; %bb.2110:
	global_load_ushort v6, v[0:1], off
	s_waitcnt vmcnt(0)
	v_cvt_f32_f16_e32 v6, v6
	v_cvt_i32_f32_e32 v6, v6
.LBB190_2111:
	s_mov_b64 s[0:1], 0
.LBB190_2112:
	s_andn2_b64 vcc, exec, s[0:1]
	s_cbranch_vccnz .LBB190_2132
; %bb.2113:
	s_cmp_lt_i32 s14, 2
	s_cbranch_scc1 .LBB190_2117
; %bb.2114:
	s_cmp_lt_i32 s14, 3
	s_cbranch_scc1 .LBB190_2118
; %bb.2115:
	s_cmp_gt_i32 s14, 3
	s_cbranch_scc0 .LBB190_2119
; %bb.2116:
	global_load_dword v6, v[0:1], off
	s_mov_b64 s[0:1], 0
	s_branch .LBB190_2120
.LBB190_2117:
	s_mov_b64 s[0:1], -1
                                        ; implicit-def: $vgpr6
	s_branch .LBB190_2126
.LBB190_2118:
	s_mov_b64 s[0:1], -1
                                        ; implicit-def: $vgpr6
	s_branch .LBB190_2123
.LBB190_2119:
	s_mov_b64 s[0:1], -1
                                        ; implicit-def: $vgpr6
.LBB190_2120:
	s_andn2_b64 vcc, exec, s[0:1]
	s_cbranch_vccnz .LBB190_2122
; %bb.2121:
	global_load_dword v6, v[0:1], off
.LBB190_2122:
	s_mov_b64 s[0:1], 0
.LBB190_2123:
	s_andn2_b64 vcc, exec, s[0:1]
	s_cbranch_vccnz .LBB190_2125
; %bb.2124:
	global_load_sshort v6, v[0:1], off
.LBB190_2125:
	s_mov_b64 s[0:1], 0
.LBB190_2126:
	s_andn2_b64 vcc, exec, s[0:1]
	s_cbranch_vccnz .LBB190_2132
; %bb.2127:
	s_cmp_gt_i32 s14, 0
	s_cbranch_scc0 .LBB190_2129
; %bb.2128:
	global_load_sbyte v6, v[0:1], off
	s_mov_b64 s[0:1], 0
	s_branch .LBB190_2130
.LBB190_2129:
	s_mov_b64 s[0:1], -1
                                        ; implicit-def: $vgpr6
.LBB190_2130:
	s_andn2_b64 vcc, exec, s[0:1]
	s_cbranch_vccnz .LBB190_2132
; %bb.2131:
	global_load_ubyte v6, v[0:1], off
.LBB190_2132:
	s_mov_b64 s[16:17], -1
.LBB190_2133:
	s_andn2_b64 vcc, exec, s[16:17]
	s_cbranch_vccnz .LBB190_2947
; %bb.2134:
	v_add_u32_e32 v10, s22, v9
	v_ashrrev_i32_e32 v1, 31, v10
	v_mov_b32_e32 v9, s3
	v_add_co_u32_e32 v0, vcc, s2, v10
	s_cmp_lt_i32 s25, 11
	v_addc_co_u32_e32 v1, vcc, v9, v1, vcc
	s_cbranch_scc1 .LBB190_2141
; %bb.2135:
	s_and_b32 s23, 0xffff, s25
	s_cmp_gt_i32 s23, 25
	s_mov_b64 s[14:15], 0
	s_cbranch_scc0 .LBB190_2142
; %bb.2136:
	s_cmp_gt_i32 s23, 28
	s_cbranch_scc0 .LBB190_2143
; %bb.2137:
	s_cmp_gt_i32 s23, 43
	;; [unrolled: 3-line block ×3, first 2 shown]
	s_cbranch_scc0 .LBB190_2146
; %bb.2139:
	s_cmp_eq_u32 s23, 46
	s_mov_b64 s[20:21], 0
	s_cbranch_scc0 .LBB190_2149
; %bb.2140:
	global_load_dword v9, v[0:1], off
	s_mov_b64 s[0:1], 0
	s_mov_b64 s[16:17], -1
	s_waitcnt vmcnt(0)
	v_lshlrev_b32_e32 v9, 16, v9
	v_cvt_i32_f32_e32 v9, v9
	s_branch .LBB190_2150
.LBB190_2141:
	s_mov_b64 s[0:1], -1
	s_mov_b64 s[16:17], 0
                                        ; implicit-def: $vgpr9
	s_branch .LBB190_2212
.LBB190_2142:
	s_mov_b64 s[20:21], -1
	s_mov_b64 s[16:17], 0
	s_mov_b64 s[0:1], 0
                                        ; implicit-def: $vgpr9
	s_branch .LBB190_2177
.LBB190_2143:
	s_mov_b64 s[20:21], -1
	s_mov_b64 s[16:17], 0
	s_mov_b64 s[0:1], 0
                                        ; implicit-def: $vgpr9
	s_branch .LBB190_2160
.LBB190_2144:
	s_mov_b64 s[20:21], -1
	s_mov_b64 s[16:17], 0
	s_mov_b64 s[0:1], 0
                                        ; implicit-def: $vgpr9
	s_branch .LBB190_2155
.LBB190_2145:
	s_trap 2
	s_or_b64 s[18:19], s[18:19], exec
	s_cbranch_execz .LBB190_2082
	s_branch .LBB190_2083
.LBB190_2146:
	s_mov_b64 s[20:21], -1
	s_mov_b64 s[16:17], 0
	s_mov_b64 s[0:1], 0
                                        ; implicit-def: $vgpr9
	s_branch .LBB190_2150
.LBB190_2147:
	s_andn2_saveexec_b64 s[44:45], s[44:45]
	s_cbranch_execz .LBB190_1061
.LBB190_2148:
	s_mov_b32 s49, 0x42800000
	v_add_f32_e64 v5, |v1|, s49
	v_and_b32_e32 v5, 0xff, v5
	v_cmp_ne_u32_e32 vcc, 0, v5
	s_andn2_b64 s[42:43], s[42:43], exec
	s_and_b64 s[50:51], vcc, exec
	s_or_b64 s[42:43], s[42:43], s[50:51]
	s_or_b64 exec, exec, s[44:45]
	v_mov_b32_e32 v6, 0
	s_and_saveexec_b64 s[44:45], s[42:43]
	s_cbranch_execnz .LBB190_1062
	s_branch .LBB190_1063
.LBB190_2149:
	s_mov_b64 s[0:1], -1
                                        ; implicit-def: $vgpr9
	s_mov_b64 s[16:17], 0
.LBB190_2150:
	s_and_b64 vcc, exec, s[20:21]
	s_cbranch_vccz .LBB190_2154
; %bb.2151:
	s_cmp_eq_u32 s23, 44
	s_cbranch_scc0 .LBB190_2153
; %bb.2152:
	global_load_ubyte v9, v[0:1], off
	s_mov_b64 s[0:1], 0
	s_mov_b64 s[16:17], -1
	s_waitcnt vmcnt(0)
	v_lshlrev_b32_e32 v11, 23, v9
	v_cvt_i32_f32_e32 v11, v11
	v_cmp_ne_u32_e32 vcc, 0, v9
	v_cndmask_b32_e32 v9, 0, v11, vcc
	s_branch .LBB190_2154
.LBB190_2153:
	s_mov_b64 s[0:1], -1
                                        ; implicit-def: $vgpr9
.LBB190_2154:
	s_mov_b64 s[20:21], 0
.LBB190_2155:
	s_and_b64 vcc, exec, s[20:21]
	s_cbranch_vccz .LBB190_2159
; %bb.2156:
	s_cmp_eq_u32 s23, 29
	s_cbranch_scc0 .LBB190_2158
; %bb.2157:
	global_load_dword v9, v[0:1], off
	s_mov_b64 s[0:1], 0
	s_mov_b64 s[16:17], -1
	s_branch .LBB190_2159
.LBB190_2158:
	s_mov_b64 s[0:1], -1
                                        ; implicit-def: $vgpr9
.LBB190_2159:
	s_mov_b64 s[20:21], 0
.LBB190_2160:
	s_and_b64 vcc, exec, s[20:21]
	s_cbranch_vccz .LBB190_2176
; %bb.2161:
	s_cmp_lt_i32 s23, 27
	s_cbranch_scc1 .LBB190_2164
; %bb.2162:
	s_cmp_gt_i32 s23, 27
	s_cbranch_scc0 .LBB190_2165
; %bb.2163:
	global_load_dword v9, v[0:1], off
	s_mov_b64 s[16:17], 0
	s_branch .LBB190_2166
.LBB190_2164:
	s_mov_b64 s[16:17], -1
                                        ; implicit-def: $vgpr9
	s_branch .LBB190_2169
.LBB190_2165:
	s_mov_b64 s[16:17], -1
                                        ; implicit-def: $vgpr9
.LBB190_2166:
	s_andn2_b64 vcc, exec, s[16:17]
	s_cbranch_vccnz .LBB190_2168
; %bb.2167:
	global_load_ushort v9, v[0:1], off
.LBB190_2168:
	s_mov_b64 s[16:17], 0
.LBB190_2169:
	s_andn2_b64 vcc, exec, s[16:17]
	s_cbranch_vccnz .LBB190_2175
; %bb.2170:
	global_load_ubyte v11, v[0:1], off
	s_movk_i32 s16, 0x7f
	s_mov_b64 s[20:21], 0
	s_waitcnt vmcnt(0)
	v_cmp_lt_i16_e32 vcc, s16, v11
	s_and_saveexec_b64 s[16:17], vcc
	s_xor_b64 s[16:17], exec, s[16:17]
	s_cbranch_execz .LBB190_2187
; %bb.2171:
	s_movk_i32 s20, 0x80
	v_cmp_ne_u16_e32 vcc, s20, v11
	s_and_b64 s[20:21], vcc, exec
	s_andn2_saveexec_b64 s[16:17], s[16:17]
	s_cbranch_execnz .LBB190_2188
.LBB190_2172:
	s_or_b64 exec, exec, s[16:17]
	v_mov_b32_e32 v9, 0
	s_and_saveexec_b64 s[16:17], s[20:21]
	s_cbranch_execz .LBB190_2174
.LBB190_2173:
	v_lshlrev_b32_e32 v9, 24, v11
	v_and_b32_e32 v11, 0xffff, v11
	v_and_b32_e32 v12, 7, v11
	v_ffbh_u32_e32 v14, v12
	v_min_u32_e32 v14, 32, v14
	v_subrev_u32_e32 v15, 28, v14
	v_bfe_u32 v13, v11, 3, 4
	v_lshlrev_b32_e32 v11, v15, v11
	v_sub_u32_e32 v14, 29, v14
	v_and_b32_e32 v11, 7, v11
	v_cmp_eq_u32_e32 vcc, 0, v13
	v_cndmask_b32_e32 v13, v13, v14, vcc
	v_cndmask_b32_e32 v11, v12, v11, vcc
	v_mov_b32_e32 v12, 0x3b800000
	v_lshlrev_b32_e32 v11, 20, v11
	v_and_b32_e32 v9, 0x80000000, v9
	v_lshl_add_u32 v12, v13, 23, v12
	v_or3_b32 v9, v9, v12, v11
	v_cvt_i32_f32_e32 v9, v9
.LBB190_2174:
	s_or_b64 exec, exec, s[16:17]
.LBB190_2175:
	s_mov_b64 s[16:17], -1
.LBB190_2176:
	s_mov_b64 s[20:21], 0
.LBB190_2177:
	s_and_b64 vcc, exec, s[20:21]
	s_cbranch_vccz .LBB190_2208
; %bb.2178:
	s_cmp_gt_i32 s23, 22
	s_cbranch_scc0 .LBB190_2186
; %bb.2179:
	s_cmp_lt_i32 s23, 24
	s_cbranch_scc1 .LBB190_2189
; %bb.2180:
	s_cmp_gt_i32 s23, 24
	s_cbranch_scc0 .LBB190_2190
; %bb.2181:
	global_load_ubyte v11, v[0:1], off
	s_movk_i32 s14, 0x7f
	s_mov_b64 s[16:17], 0
	s_waitcnt vmcnt(0)
	v_cmp_lt_i16_e32 vcc, s14, v11
	s_and_saveexec_b64 s[14:15], vcc
	s_xor_b64 s[14:15], exec, s[14:15]
	s_cbranch_execz .LBB190_2202
; %bb.2182:
	s_movk_i32 s16, 0x80
	v_cmp_ne_u16_e32 vcc, s16, v11
	s_and_b64 s[16:17], vcc, exec
	s_andn2_saveexec_b64 s[14:15], s[14:15]
	s_cbranch_execnz .LBB190_2203
.LBB190_2183:
	s_or_b64 exec, exec, s[14:15]
	v_mov_b32_e32 v9, 0
	s_and_saveexec_b64 s[14:15], s[16:17]
	s_cbranch_execz .LBB190_2185
.LBB190_2184:
	v_lshlrev_b32_e32 v9, 24, v11
	v_and_b32_e32 v11, 0xffff, v11
	v_and_b32_e32 v12, 3, v11
	v_ffbh_u32_e32 v14, v12
	v_min_u32_e32 v14, 32, v14
	v_subrev_u32_e32 v15, 29, v14
	v_bfe_u32 v13, v11, 2, 5
	v_lshlrev_b32_e32 v11, v15, v11
	v_sub_u32_e32 v14, 30, v14
	v_and_b32_e32 v11, 3, v11
	v_cmp_eq_u32_e32 vcc, 0, v13
	v_cndmask_b32_e32 v13, v13, v14, vcc
	v_cndmask_b32_e32 v11, v12, v11, vcc
	v_mov_b32_e32 v12, 0x37800000
	v_lshlrev_b32_e32 v11, 21, v11
	v_and_b32_e32 v9, 0x80000000, v9
	v_lshl_add_u32 v12, v13, 23, v12
	v_or3_b32 v9, v9, v12, v11
	v_cvt_i32_f32_e32 v9, v9
.LBB190_2185:
	s_or_b64 exec, exec, s[14:15]
	s_mov_b64 s[14:15], 0
	s_branch .LBB190_2191
.LBB190_2186:
	s_mov_b64 s[14:15], -1
                                        ; implicit-def: $vgpr9
	s_branch .LBB190_2197
.LBB190_2187:
	s_andn2_saveexec_b64 s[16:17], s[16:17]
	s_cbranch_execz .LBB190_2172
.LBB190_2188:
	v_cmp_ne_u16_e32 vcc, 0, v11
	s_andn2_b64 s[20:21], s[20:21], exec
	s_and_b64 s[26:27], vcc, exec
	s_or_b64 s[20:21], s[20:21], s[26:27]
	s_or_b64 exec, exec, s[16:17]
	v_mov_b32_e32 v9, 0
	s_and_saveexec_b64 s[16:17], s[20:21]
	s_cbranch_execnz .LBB190_2173
	s_branch .LBB190_2174
.LBB190_2189:
	s_mov_b64 s[14:15], -1
                                        ; implicit-def: $vgpr9
	s_branch .LBB190_2194
.LBB190_2190:
	s_mov_b64 s[14:15], -1
                                        ; implicit-def: $vgpr9
.LBB190_2191:
	s_and_b64 vcc, exec, s[14:15]
	s_cbranch_vccz .LBB190_2193
; %bb.2192:
	global_load_ubyte v9, v[0:1], off
	s_mov_b32 s14, 0x7f800000
	s_waitcnt vmcnt(0)
	v_lshlrev_b32_e32 v9, 24, v9
	v_and_b32_e32 v11, 0x7f000000, v9
	v_ffbh_u32_e32 v12, v11
	v_min_u32_e32 v12, 32, v12
	v_sub_u32_e64 v12, v12, 4 clamp
	v_lshlrev_b32_e32 v14, v12, v11
	v_lshlrev_b32_e32 v12, 23, v12
	v_lshrrev_b32_e32 v14, 4, v14
	v_add_u32_e32 v13, 0x1000000, v11
	v_sub_u32_e32 v12, v14, v12
	v_ashrrev_i32_e32 v13, 8, v13
	v_add_u32_e32 v12, 0x3c000000, v12
	v_and_or_b32 v12, v13, s14, v12
	v_cmp_ne_u32_e32 vcc, 0, v11
	v_cndmask_b32_e32 v11, 0, v12, vcc
	s_brev_b32 s14, 1
	v_and_or_b32 v9, v9, s14, v11
	v_cvt_i32_f32_e32 v9, v9
.LBB190_2193:
	s_mov_b64 s[14:15], 0
.LBB190_2194:
	s_andn2_b64 vcc, exec, s[14:15]
	s_cbranch_vccnz .LBB190_2196
; %bb.2195:
	global_load_ubyte v9, v[0:1], off
	s_movk_i32 s14, 0x7f00
	s_brev_b32 s15, 16
	s_waitcnt vmcnt(0)
	v_lshlrev_b16_e32 v11, 8, v9
	v_lshlrev_b32_e32 v9, 25, v9
	v_lshrrev_b32_e32 v12, 4, v9
	v_and_or_b32 v13, v11, s14, 0.5
	v_or_b32_e32 v12, 0x70000000, v12
	v_add_f32_e32 v13, -0.5, v13
	v_mul_f32_e32 v12, 0x7800000, v12
	v_cmp_gt_u32_e32 vcc, s15, v9
	v_bfe_i32 v11, v11, 0, 16
	v_cndmask_b32_e32 v9, v12, v13, vcc
	s_brev_b32 s14, 1
	v_and_or_b32 v9, v11, s14, v9
	v_cvt_i32_f32_e32 v9, v9
.LBB190_2196:
	s_mov_b64 s[14:15], 0
	s_mov_b64 s[16:17], -1
.LBB190_2197:
	s_andn2_b64 vcc, exec, s[14:15]
	s_mov_b64 s[14:15], 0
	s_cbranch_vccnz .LBB190_2208
; %bb.2198:
	s_cmp_gt_i32 s23, 14
	s_cbranch_scc0 .LBB190_2201
; %bb.2199:
	s_cmp_eq_u32 s23, 15
	s_cbranch_scc0 .LBB190_2204
; %bb.2200:
	global_load_ushort v9, v[0:1], off
	s_mov_b64 s[0:1], 0
	s_mov_b64 s[16:17], -1
	s_waitcnt vmcnt(0)
	v_lshlrev_b32_e32 v9, 16, v9
	v_cvt_i32_f32_e32 v9, v9
	s_branch .LBB190_2205
.LBB190_2201:
	s_mov_b64 s[20:21], -1
                                        ; implicit-def: $vgpr9
	s_branch .LBB190_2206
.LBB190_2202:
	s_andn2_saveexec_b64 s[14:15], s[14:15]
	s_cbranch_execz .LBB190_2183
.LBB190_2203:
	v_cmp_ne_u16_e32 vcc, 0, v11
	s_andn2_b64 s[16:17], s[16:17], exec
	s_and_b64 s[20:21], vcc, exec
	s_or_b64 s[16:17], s[16:17], s[20:21]
	s_or_b64 exec, exec, s[14:15]
	v_mov_b32_e32 v9, 0
	s_and_saveexec_b64 s[14:15], s[16:17]
	s_cbranch_execnz .LBB190_2184
	s_branch .LBB190_2185
.LBB190_2204:
	s_mov_b64 s[0:1], -1
                                        ; implicit-def: $vgpr9
.LBB190_2205:
	s_mov_b64 s[20:21], 0
.LBB190_2206:
	s_and_b64 vcc, exec, s[20:21]
	s_cbranch_vccz .LBB190_2208
; %bb.2207:
	s_cmp_lg_u32 s23, 11
	s_mov_b64 s[14:15], -1
	s_cselect_b64 s[0:1], -1, 0
.LBB190_2208:
	s_and_b64 vcc, exec, s[0:1]
	s_cbranch_vccnz .LBB190_2273
; %bb.2209:
	s_andn2_b64 vcc, exec, s[14:15]
	s_cbranch_vccnz .LBB190_2211
.LBB190_2210:
	global_load_ubyte v9, v[0:1], off
	s_mov_b64 s[16:17], -1
	s_waitcnt vmcnt(0)
	v_cmp_ne_u16_e32 vcc, 0, v9
	v_cndmask_b32_e64 v9, 0, 1, vcc
.LBB190_2211:
	s_mov_b64 s[0:1], 0
.LBB190_2212:
	s_and_b64 vcc, exec, s[0:1]
	s_cbranch_vccz .LBB190_2261
; %bb.2213:
	s_and_b32 s14, 0xffff, s25
	s_cmp_lt_i32 s14, 5
	s_cbranch_scc1 .LBB190_2218
; %bb.2214:
	s_cmp_lt_i32 s14, 8
	s_cbranch_scc1 .LBB190_2219
; %bb.2215:
	;; [unrolled: 3-line block ×3, first 2 shown]
	s_cmp_gt_i32 s14, 9
	s_cbranch_scc0 .LBB190_2221
; %bb.2217:
	global_load_dwordx2 v[11:12], v[0:1], off
	s_mov_b64 s[0:1], 0
	s_waitcnt vmcnt(0)
	v_cvt_i32_f64_e32 v9, v[11:12]
	s_branch .LBB190_2222
.LBB190_2218:
	s_mov_b64 s[0:1], -1
                                        ; implicit-def: $vgpr9
	s_branch .LBB190_2240
.LBB190_2219:
	s_mov_b64 s[0:1], -1
                                        ; implicit-def: $vgpr9
	s_branch .LBB190_2228
.LBB190_2220:
	s_mov_b64 s[0:1], -1
                                        ; implicit-def: $vgpr9
	s_branch .LBB190_2225
.LBB190_2221:
	s_mov_b64 s[0:1], -1
                                        ; implicit-def: $vgpr9
.LBB190_2222:
	s_andn2_b64 vcc, exec, s[0:1]
	s_cbranch_vccnz .LBB190_2224
; %bb.2223:
	global_load_dword v9, v[0:1], off
	s_waitcnt vmcnt(0)
	v_cvt_i32_f32_e32 v9, v9
.LBB190_2224:
	s_mov_b64 s[0:1], 0
.LBB190_2225:
	s_andn2_b64 vcc, exec, s[0:1]
	s_cbranch_vccnz .LBB190_2227
; %bb.2226:
	global_load_dword v9, v[0:1], off
	s_waitcnt vmcnt(0)
	v_cvt_f32_f16_e32 v9, v9
	v_cvt_i32_f32_e32 v9, v9
.LBB190_2227:
	s_mov_b64 s[0:1], 0
.LBB190_2228:
	s_andn2_b64 vcc, exec, s[0:1]
	s_cbranch_vccnz .LBB190_2239
; %bb.2229:
	s_cmp_lt_i32 s14, 6
	s_cbranch_scc1 .LBB190_2232
; %bb.2230:
	s_cmp_gt_i32 s14, 6
	s_cbranch_scc0 .LBB190_2233
; %bb.2231:
	global_load_dwordx2 v[11:12], v[0:1], off
	s_mov_b64 s[0:1], 0
	s_waitcnt vmcnt(0)
	v_cvt_i32_f64_e32 v9, v[11:12]
	s_branch .LBB190_2234
.LBB190_2232:
	s_mov_b64 s[0:1], -1
                                        ; implicit-def: $vgpr9
	s_branch .LBB190_2237
.LBB190_2233:
	s_mov_b64 s[0:1], -1
                                        ; implicit-def: $vgpr9
.LBB190_2234:
	s_andn2_b64 vcc, exec, s[0:1]
	s_cbranch_vccnz .LBB190_2236
; %bb.2235:
	global_load_dword v9, v[0:1], off
	s_waitcnt vmcnt(0)
	v_cvt_i32_f32_e32 v9, v9
.LBB190_2236:
	s_mov_b64 s[0:1], 0
.LBB190_2237:
	s_andn2_b64 vcc, exec, s[0:1]
	s_cbranch_vccnz .LBB190_2239
; %bb.2238:
	global_load_ushort v9, v[0:1], off
	s_waitcnt vmcnt(0)
	v_cvt_f32_f16_e32 v9, v9
	v_cvt_i32_f32_e32 v9, v9
.LBB190_2239:
	s_mov_b64 s[0:1], 0
.LBB190_2240:
	s_andn2_b64 vcc, exec, s[0:1]
	s_cbranch_vccnz .LBB190_2260
; %bb.2241:
	s_cmp_lt_i32 s14, 2
	s_cbranch_scc1 .LBB190_2245
; %bb.2242:
	s_cmp_lt_i32 s14, 3
	s_cbranch_scc1 .LBB190_2246
; %bb.2243:
	s_cmp_gt_i32 s14, 3
	s_cbranch_scc0 .LBB190_2247
; %bb.2244:
	global_load_dword v9, v[0:1], off
	s_mov_b64 s[0:1], 0
	s_branch .LBB190_2248
.LBB190_2245:
	s_mov_b64 s[0:1], -1
                                        ; implicit-def: $vgpr9
	s_branch .LBB190_2254
.LBB190_2246:
	s_mov_b64 s[0:1], -1
                                        ; implicit-def: $vgpr9
	s_branch .LBB190_2251
.LBB190_2247:
	s_mov_b64 s[0:1], -1
                                        ; implicit-def: $vgpr9
.LBB190_2248:
	s_andn2_b64 vcc, exec, s[0:1]
	s_cbranch_vccnz .LBB190_2250
; %bb.2249:
	global_load_dword v9, v[0:1], off
.LBB190_2250:
	s_mov_b64 s[0:1], 0
.LBB190_2251:
	s_andn2_b64 vcc, exec, s[0:1]
	s_cbranch_vccnz .LBB190_2253
; %bb.2252:
	global_load_sshort v9, v[0:1], off
.LBB190_2253:
	s_mov_b64 s[0:1], 0
.LBB190_2254:
	s_andn2_b64 vcc, exec, s[0:1]
	s_cbranch_vccnz .LBB190_2260
; %bb.2255:
	s_cmp_gt_i32 s14, 0
	s_cbranch_scc0 .LBB190_2257
; %bb.2256:
	global_load_sbyte v9, v[0:1], off
	s_mov_b64 s[0:1], 0
	s_branch .LBB190_2258
.LBB190_2257:
	s_mov_b64 s[0:1], -1
                                        ; implicit-def: $vgpr9
.LBB190_2258:
	s_andn2_b64 vcc, exec, s[0:1]
	s_cbranch_vccnz .LBB190_2260
; %bb.2259:
	global_load_ubyte v9, v[0:1], off
.LBB190_2260:
	s_mov_b64 s[16:17], -1
.LBB190_2261:
	s_andn2_b64 vcc, exec, s[16:17]
	s_cbranch_vccnz .LBB190_2947
; %bb.2262:
	v_add_u32_e32 v0, s13, v8
	v_ashrrev_i32_e32 v1, 31, v0
	v_mov_b32_e32 v8, s11
	v_add_co_u32_e32 v0, vcc, s10, v0
	s_cmp_lt_i32 s24, 11
	v_addc_co_u32_e32 v1, vcc, v8, v1, vcc
	s_cbranch_scc1 .LBB190_2269
; %bb.2263:
	s_and_b32 s13, 0xffff, s24
	s_cmp_gt_i32 s13, 25
	s_mov_b64 s[10:11], 0
	s_cbranch_scc0 .LBB190_2270
; %bb.2264:
	s_cmp_gt_i32 s13, 28
	s_cbranch_scc0 .LBB190_2271
; %bb.2265:
	s_cmp_gt_i32 s13, 43
	;; [unrolled: 3-line block ×3, first 2 shown]
	s_cbranch_scc0 .LBB190_2274
; %bb.2267:
	s_cmp_eq_u32 s13, 46
	s_mov_b64 s[16:17], 0
	s_cbranch_scc0 .LBB190_2275
; %bb.2268:
	global_load_dword v8, v[0:1], off
	s_mov_b64 s[0:1], 0
	s_mov_b64 s[14:15], -1
	s_waitcnt vmcnt(0)
	v_lshlrev_b32_e32 v8, 16, v8
	v_cvt_i32_f32_e32 v8, v8
	s_branch .LBB190_2276
.LBB190_2269:
	s_mov_b64 s[0:1], -1
	s_mov_b64 s[14:15], 0
                                        ; implicit-def: $vgpr8
	s_branch .LBB190_2338
.LBB190_2270:
	s_mov_b64 s[16:17], -1
	s_mov_b64 s[14:15], 0
	s_mov_b64 s[0:1], 0
                                        ; implicit-def: $vgpr8
	s_branch .LBB190_2303
.LBB190_2271:
	s_mov_b64 s[16:17], -1
	s_mov_b64 s[14:15], 0
	s_mov_b64 s[0:1], 0
                                        ; implicit-def: $vgpr8
	s_branch .LBB190_2286
.LBB190_2272:
	s_mov_b64 s[16:17], -1
	s_mov_b64 s[14:15], 0
	s_mov_b64 s[0:1], 0
                                        ; implicit-def: $vgpr8
	s_branch .LBB190_2281
.LBB190_2273:
	s_trap 2
	s_or_b64 s[18:19], s[18:19], exec
	s_cbranch_execz .LBB190_2210
	s_branch .LBB190_2211
.LBB190_2274:
	s_mov_b64 s[16:17], -1
	s_mov_b64 s[14:15], 0
	s_mov_b64 s[0:1], 0
                                        ; implicit-def: $vgpr8
	s_branch .LBB190_2276
.LBB190_2275:
	s_mov_b64 s[0:1], -1
                                        ; implicit-def: $vgpr8
	s_mov_b64 s[14:15], 0
.LBB190_2276:
	s_and_b64 vcc, exec, s[16:17]
	s_cbranch_vccz .LBB190_2280
; %bb.2277:
	s_cmp_eq_u32 s13, 44
	s_cbranch_scc0 .LBB190_2279
; %bb.2278:
	global_load_ubyte v8, v[0:1], off
	s_mov_b64 s[0:1], 0
	s_mov_b64 s[14:15], -1
	s_waitcnt vmcnt(0)
	v_lshlrev_b32_e32 v11, 23, v8
	v_cvt_i32_f32_e32 v11, v11
	v_cmp_ne_u32_e32 vcc, 0, v8
	v_cndmask_b32_e32 v8, 0, v11, vcc
	s_branch .LBB190_2280
.LBB190_2279:
	s_mov_b64 s[0:1], -1
                                        ; implicit-def: $vgpr8
.LBB190_2280:
	s_mov_b64 s[16:17], 0
.LBB190_2281:
	s_and_b64 vcc, exec, s[16:17]
	s_cbranch_vccz .LBB190_2285
; %bb.2282:
	s_cmp_eq_u32 s13, 29
	s_cbranch_scc0 .LBB190_2284
; %bb.2283:
	global_load_dword v8, v[0:1], off
	s_mov_b64 s[0:1], 0
	s_mov_b64 s[14:15], -1
	s_branch .LBB190_2285
.LBB190_2284:
	s_mov_b64 s[0:1], -1
                                        ; implicit-def: $vgpr8
.LBB190_2285:
	s_mov_b64 s[16:17], 0
.LBB190_2286:
	s_and_b64 vcc, exec, s[16:17]
	s_cbranch_vccz .LBB190_2302
; %bb.2287:
	s_cmp_lt_i32 s13, 27
	s_cbranch_scc1 .LBB190_2290
; %bb.2288:
	s_cmp_gt_i32 s13, 27
	s_cbranch_scc0 .LBB190_2291
; %bb.2289:
	global_load_dword v8, v[0:1], off
	s_mov_b64 s[14:15], 0
	s_branch .LBB190_2292
.LBB190_2290:
	s_mov_b64 s[14:15], -1
                                        ; implicit-def: $vgpr8
	s_branch .LBB190_2295
.LBB190_2291:
	s_mov_b64 s[14:15], -1
                                        ; implicit-def: $vgpr8
.LBB190_2292:
	s_andn2_b64 vcc, exec, s[14:15]
	s_cbranch_vccnz .LBB190_2294
; %bb.2293:
	global_load_ushort v8, v[0:1], off
.LBB190_2294:
	s_mov_b64 s[14:15], 0
.LBB190_2295:
	s_andn2_b64 vcc, exec, s[14:15]
	s_cbranch_vccnz .LBB190_2301
; %bb.2296:
	global_load_ubyte v11, v[0:1], off
	s_movk_i32 s14, 0x7f
	s_mov_b64 s[16:17], 0
	s_waitcnt vmcnt(0)
	v_cmp_lt_i16_e32 vcc, s14, v11
	s_and_saveexec_b64 s[14:15], vcc
	s_xor_b64 s[14:15], exec, s[14:15]
	s_cbranch_execz .LBB190_2313
; %bb.2297:
	s_movk_i32 s16, 0x80
	v_cmp_ne_u16_e32 vcc, s16, v11
	s_and_b64 s[16:17], vcc, exec
	s_andn2_saveexec_b64 s[14:15], s[14:15]
	s_cbranch_execnz .LBB190_2314
.LBB190_2298:
	s_or_b64 exec, exec, s[14:15]
	v_mov_b32_e32 v8, 0
	s_and_saveexec_b64 s[14:15], s[16:17]
	s_cbranch_execz .LBB190_2300
.LBB190_2299:
	v_lshlrev_b32_e32 v8, 24, v11
	v_and_b32_e32 v11, 0xffff, v11
	v_and_b32_e32 v12, 7, v11
	v_ffbh_u32_e32 v14, v12
	v_min_u32_e32 v14, 32, v14
	v_subrev_u32_e32 v15, 28, v14
	v_bfe_u32 v13, v11, 3, 4
	v_lshlrev_b32_e32 v11, v15, v11
	v_sub_u32_e32 v14, 29, v14
	v_and_b32_e32 v11, 7, v11
	v_cmp_eq_u32_e32 vcc, 0, v13
	v_cndmask_b32_e32 v13, v13, v14, vcc
	v_cndmask_b32_e32 v11, v12, v11, vcc
	v_mov_b32_e32 v12, 0x3b800000
	v_lshlrev_b32_e32 v11, 20, v11
	v_and_b32_e32 v8, 0x80000000, v8
	v_lshl_add_u32 v12, v13, 23, v12
	v_or3_b32 v8, v8, v12, v11
	v_cvt_i32_f32_e32 v8, v8
.LBB190_2300:
	s_or_b64 exec, exec, s[14:15]
.LBB190_2301:
	s_mov_b64 s[14:15], -1
.LBB190_2302:
	s_mov_b64 s[16:17], 0
.LBB190_2303:
	s_and_b64 vcc, exec, s[16:17]
	s_cbranch_vccz .LBB190_2334
; %bb.2304:
	s_cmp_gt_i32 s13, 22
	s_cbranch_scc0 .LBB190_2312
; %bb.2305:
	s_cmp_lt_i32 s13, 24
	s_cbranch_scc1 .LBB190_2315
; %bb.2306:
	s_cmp_gt_i32 s13, 24
	s_cbranch_scc0 .LBB190_2316
; %bb.2307:
	global_load_ubyte v11, v[0:1], off
	s_movk_i32 s10, 0x7f
	s_mov_b64 s[14:15], 0
	s_waitcnt vmcnt(0)
	v_cmp_lt_i16_e32 vcc, s10, v11
	s_and_saveexec_b64 s[10:11], vcc
	s_xor_b64 s[10:11], exec, s[10:11]
	s_cbranch_execz .LBB190_2328
; %bb.2308:
	s_movk_i32 s14, 0x80
	v_cmp_ne_u16_e32 vcc, s14, v11
	s_and_b64 s[14:15], vcc, exec
	s_andn2_saveexec_b64 s[10:11], s[10:11]
	s_cbranch_execnz .LBB190_2329
.LBB190_2309:
	s_or_b64 exec, exec, s[10:11]
	v_mov_b32_e32 v8, 0
	s_and_saveexec_b64 s[10:11], s[14:15]
	s_cbranch_execz .LBB190_2311
.LBB190_2310:
	v_lshlrev_b32_e32 v8, 24, v11
	v_and_b32_e32 v11, 0xffff, v11
	v_and_b32_e32 v12, 3, v11
	v_ffbh_u32_e32 v14, v12
	v_min_u32_e32 v14, 32, v14
	v_subrev_u32_e32 v15, 29, v14
	v_bfe_u32 v13, v11, 2, 5
	v_lshlrev_b32_e32 v11, v15, v11
	v_sub_u32_e32 v14, 30, v14
	v_and_b32_e32 v11, 3, v11
	v_cmp_eq_u32_e32 vcc, 0, v13
	v_cndmask_b32_e32 v13, v13, v14, vcc
	v_cndmask_b32_e32 v11, v12, v11, vcc
	v_mov_b32_e32 v12, 0x37800000
	v_lshlrev_b32_e32 v11, 21, v11
	v_and_b32_e32 v8, 0x80000000, v8
	v_lshl_add_u32 v12, v13, 23, v12
	v_or3_b32 v8, v8, v12, v11
	v_cvt_i32_f32_e32 v8, v8
.LBB190_2311:
	s_or_b64 exec, exec, s[10:11]
	s_mov_b64 s[10:11], 0
	s_branch .LBB190_2317
.LBB190_2312:
	s_mov_b64 s[10:11], -1
                                        ; implicit-def: $vgpr8
	s_branch .LBB190_2323
.LBB190_2313:
	s_andn2_saveexec_b64 s[14:15], s[14:15]
	s_cbranch_execz .LBB190_2298
.LBB190_2314:
	v_cmp_ne_u16_e32 vcc, 0, v11
	s_andn2_b64 s[16:17], s[16:17], exec
	s_and_b64 s[20:21], vcc, exec
	s_or_b64 s[16:17], s[16:17], s[20:21]
	s_or_b64 exec, exec, s[14:15]
	v_mov_b32_e32 v8, 0
	s_and_saveexec_b64 s[14:15], s[16:17]
	s_cbranch_execnz .LBB190_2299
	s_branch .LBB190_2300
.LBB190_2315:
	s_mov_b64 s[10:11], -1
                                        ; implicit-def: $vgpr8
	s_branch .LBB190_2320
.LBB190_2316:
	s_mov_b64 s[10:11], -1
                                        ; implicit-def: $vgpr8
.LBB190_2317:
	s_and_b64 vcc, exec, s[10:11]
	s_cbranch_vccz .LBB190_2319
; %bb.2318:
	global_load_ubyte v8, v[0:1], off
	s_mov_b32 s10, 0x7f800000
	s_waitcnt vmcnt(0)
	v_lshlrev_b32_e32 v8, 24, v8
	v_and_b32_e32 v11, 0x7f000000, v8
	v_ffbh_u32_e32 v12, v11
	v_min_u32_e32 v12, 32, v12
	v_sub_u32_e64 v12, v12, 4 clamp
	v_lshlrev_b32_e32 v14, v12, v11
	v_lshlrev_b32_e32 v12, 23, v12
	v_lshrrev_b32_e32 v14, 4, v14
	v_add_u32_e32 v13, 0x1000000, v11
	v_sub_u32_e32 v12, v14, v12
	v_ashrrev_i32_e32 v13, 8, v13
	v_add_u32_e32 v12, 0x3c000000, v12
	v_and_or_b32 v12, v13, s10, v12
	v_cmp_ne_u32_e32 vcc, 0, v11
	v_cndmask_b32_e32 v11, 0, v12, vcc
	s_brev_b32 s10, 1
	v_and_or_b32 v8, v8, s10, v11
	v_cvt_i32_f32_e32 v8, v8
.LBB190_2319:
	s_mov_b64 s[10:11], 0
.LBB190_2320:
	s_andn2_b64 vcc, exec, s[10:11]
	s_cbranch_vccnz .LBB190_2322
; %bb.2321:
	global_load_ubyte v8, v[0:1], off
	s_movk_i32 s10, 0x7f00
	s_brev_b32 s11, 16
	s_waitcnt vmcnt(0)
	v_lshlrev_b16_e32 v11, 8, v8
	v_lshlrev_b32_e32 v8, 25, v8
	v_lshrrev_b32_e32 v12, 4, v8
	v_and_or_b32 v13, v11, s10, 0.5
	v_or_b32_e32 v12, 0x70000000, v12
	v_add_f32_e32 v13, -0.5, v13
	v_mul_f32_e32 v12, 0x7800000, v12
	v_cmp_gt_u32_e32 vcc, s11, v8
	v_bfe_i32 v11, v11, 0, 16
	v_cndmask_b32_e32 v8, v12, v13, vcc
	s_brev_b32 s10, 1
	v_and_or_b32 v8, v11, s10, v8
	v_cvt_i32_f32_e32 v8, v8
.LBB190_2322:
	s_mov_b64 s[10:11], 0
	s_mov_b64 s[14:15], -1
.LBB190_2323:
	s_andn2_b64 vcc, exec, s[10:11]
	s_mov_b64 s[10:11], 0
	s_cbranch_vccnz .LBB190_2334
; %bb.2324:
	s_cmp_gt_i32 s13, 14
	s_cbranch_scc0 .LBB190_2327
; %bb.2325:
	s_cmp_eq_u32 s13, 15
	s_cbranch_scc0 .LBB190_2330
; %bb.2326:
	global_load_ushort v8, v[0:1], off
	s_mov_b64 s[0:1], 0
	s_mov_b64 s[14:15], -1
	s_waitcnt vmcnt(0)
	v_lshlrev_b32_e32 v8, 16, v8
	v_cvt_i32_f32_e32 v8, v8
	s_branch .LBB190_2331
.LBB190_2327:
	s_mov_b64 s[16:17], -1
                                        ; implicit-def: $vgpr8
	s_branch .LBB190_2332
.LBB190_2328:
	s_andn2_saveexec_b64 s[10:11], s[10:11]
	s_cbranch_execz .LBB190_2309
.LBB190_2329:
	v_cmp_ne_u16_e32 vcc, 0, v11
	s_andn2_b64 s[14:15], s[14:15], exec
	s_and_b64 s[16:17], vcc, exec
	s_or_b64 s[14:15], s[14:15], s[16:17]
	s_or_b64 exec, exec, s[10:11]
	v_mov_b32_e32 v8, 0
	s_and_saveexec_b64 s[10:11], s[14:15]
	s_cbranch_execnz .LBB190_2310
	s_branch .LBB190_2311
.LBB190_2330:
	s_mov_b64 s[0:1], -1
                                        ; implicit-def: $vgpr8
.LBB190_2331:
	s_mov_b64 s[16:17], 0
.LBB190_2332:
	s_and_b64 vcc, exec, s[16:17]
	s_cbranch_vccz .LBB190_2334
; %bb.2333:
	s_cmp_lg_u32 s13, 11
	s_mov_b64 s[10:11], -1
	s_cselect_b64 s[0:1], -1, 0
.LBB190_2334:
	s_and_b64 vcc, exec, s[0:1]
	s_cbranch_vccnz .LBB190_2399
; %bb.2335:
	s_andn2_b64 vcc, exec, s[10:11]
	s_cbranch_vccnz .LBB190_2337
.LBB190_2336:
	global_load_ubyte v8, v[0:1], off
	s_mov_b64 s[14:15], -1
	s_waitcnt vmcnt(0)
	v_cmp_ne_u16_e32 vcc, 0, v8
	v_cndmask_b32_e64 v8, 0, 1, vcc
.LBB190_2337:
	s_mov_b64 s[0:1], 0
.LBB190_2338:
	s_and_b64 vcc, exec, s[0:1]
	s_cbranch_vccz .LBB190_2387
; %bb.2339:
	s_and_b32 s10, 0xffff, s24
	s_cmp_lt_i32 s10, 5
	s_cbranch_scc1 .LBB190_2344
; %bb.2340:
	s_cmp_lt_i32 s10, 8
	s_cbranch_scc1 .LBB190_2345
; %bb.2341:
	;; [unrolled: 3-line block ×3, first 2 shown]
	s_cmp_gt_i32 s10, 9
	s_cbranch_scc0 .LBB190_2347
; %bb.2343:
	global_load_dwordx2 v[11:12], v[0:1], off
	s_mov_b64 s[0:1], 0
	s_waitcnt vmcnt(0)
	v_cvt_i32_f64_e32 v8, v[11:12]
	s_branch .LBB190_2348
.LBB190_2344:
	s_mov_b64 s[0:1], -1
                                        ; implicit-def: $vgpr8
	s_branch .LBB190_2366
.LBB190_2345:
	s_mov_b64 s[0:1], -1
                                        ; implicit-def: $vgpr8
	s_branch .LBB190_2354
.LBB190_2346:
	s_mov_b64 s[0:1], -1
                                        ; implicit-def: $vgpr8
	s_branch .LBB190_2351
.LBB190_2347:
	s_mov_b64 s[0:1], -1
                                        ; implicit-def: $vgpr8
.LBB190_2348:
	s_andn2_b64 vcc, exec, s[0:1]
	s_cbranch_vccnz .LBB190_2350
; %bb.2349:
	global_load_dword v8, v[0:1], off
	s_waitcnt vmcnt(0)
	v_cvt_i32_f32_e32 v8, v8
.LBB190_2350:
	s_mov_b64 s[0:1], 0
.LBB190_2351:
	s_andn2_b64 vcc, exec, s[0:1]
	s_cbranch_vccnz .LBB190_2353
; %bb.2352:
	global_load_dword v8, v[0:1], off
	s_waitcnt vmcnt(0)
	v_cvt_f32_f16_e32 v8, v8
	v_cvt_i32_f32_e32 v8, v8
.LBB190_2353:
	s_mov_b64 s[0:1], 0
.LBB190_2354:
	s_andn2_b64 vcc, exec, s[0:1]
	s_cbranch_vccnz .LBB190_2365
; %bb.2355:
	s_cmp_lt_i32 s10, 6
	s_cbranch_scc1 .LBB190_2358
; %bb.2356:
	s_cmp_gt_i32 s10, 6
	s_cbranch_scc0 .LBB190_2359
; %bb.2357:
	global_load_dwordx2 v[11:12], v[0:1], off
	s_mov_b64 s[0:1], 0
	s_waitcnt vmcnt(0)
	v_cvt_i32_f64_e32 v8, v[11:12]
	s_branch .LBB190_2360
.LBB190_2358:
	s_mov_b64 s[0:1], -1
                                        ; implicit-def: $vgpr8
	s_branch .LBB190_2363
.LBB190_2359:
	s_mov_b64 s[0:1], -1
                                        ; implicit-def: $vgpr8
.LBB190_2360:
	s_andn2_b64 vcc, exec, s[0:1]
	s_cbranch_vccnz .LBB190_2362
; %bb.2361:
	global_load_dword v8, v[0:1], off
	s_waitcnt vmcnt(0)
	v_cvt_i32_f32_e32 v8, v8
.LBB190_2362:
	s_mov_b64 s[0:1], 0
.LBB190_2363:
	s_andn2_b64 vcc, exec, s[0:1]
	s_cbranch_vccnz .LBB190_2365
; %bb.2364:
	global_load_ushort v8, v[0:1], off
	s_waitcnt vmcnt(0)
	v_cvt_f32_f16_e32 v8, v8
	v_cvt_i32_f32_e32 v8, v8
.LBB190_2365:
	s_mov_b64 s[0:1], 0
.LBB190_2366:
	s_andn2_b64 vcc, exec, s[0:1]
	s_cbranch_vccnz .LBB190_2386
; %bb.2367:
	s_cmp_lt_i32 s10, 2
	s_cbranch_scc1 .LBB190_2371
; %bb.2368:
	s_cmp_lt_i32 s10, 3
	s_cbranch_scc1 .LBB190_2372
; %bb.2369:
	s_cmp_gt_i32 s10, 3
	s_cbranch_scc0 .LBB190_2373
; %bb.2370:
	global_load_dword v8, v[0:1], off
	s_mov_b64 s[0:1], 0
	s_branch .LBB190_2374
.LBB190_2371:
	s_mov_b64 s[0:1], -1
                                        ; implicit-def: $vgpr8
	s_branch .LBB190_2380
.LBB190_2372:
	s_mov_b64 s[0:1], -1
                                        ; implicit-def: $vgpr8
	s_branch .LBB190_2377
.LBB190_2373:
	s_mov_b64 s[0:1], -1
                                        ; implicit-def: $vgpr8
.LBB190_2374:
	s_andn2_b64 vcc, exec, s[0:1]
	s_cbranch_vccnz .LBB190_2376
; %bb.2375:
	global_load_dword v8, v[0:1], off
.LBB190_2376:
	s_mov_b64 s[0:1], 0
.LBB190_2377:
	s_andn2_b64 vcc, exec, s[0:1]
	s_cbranch_vccnz .LBB190_2379
; %bb.2378:
	global_load_sshort v8, v[0:1], off
.LBB190_2379:
	s_mov_b64 s[0:1], 0
.LBB190_2380:
	s_andn2_b64 vcc, exec, s[0:1]
	s_cbranch_vccnz .LBB190_2386
; %bb.2381:
	s_cmp_gt_i32 s10, 0
	s_cbranch_scc0 .LBB190_2383
; %bb.2382:
	global_load_sbyte v8, v[0:1], off
	s_mov_b64 s[0:1], 0
	s_branch .LBB190_2384
.LBB190_2383:
	s_mov_b64 s[0:1], -1
                                        ; implicit-def: $vgpr8
.LBB190_2384:
	s_andn2_b64 vcc, exec, s[0:1]
	s_cbranch_vccnz .LBB190_2386
; %bb.2385:
	global_load_ubyte v8, v[0:1], off
.LBB190_2386:
	s_mov_b64 s[14:15], -1
.LBB190_2387:
	s_andn2_b64 vcc, exec, s[14:15]
	s_cbranch_vccnz .LBB190_2947
; %bb.2388:
	v_add_u32_e32 v0, s22, v10
	v_ashrrev_i32_e32 v1, 31, v0
	v_mov_b32_e32 v10, s3
	v_add_co_u32_e32 v0, vcc, s2, v0
	s_cmp_lt_i32 s25, 11
	v_addc_co_u32_e32 v1, vcc, v10, v1, vcc
	s_cbranch_scc1 .LBB190_2395
; %bb.2389:
	s_and_b32 s13, 0xffff, s25
	s_cmp_gt_i32 s13, 25
	s_mov_b64 s[2:3], 0
	s_cbranch_scc0 .LBB190_2396
; %bb.2390:
	s_cmp_gt_i32 s13, 28
	s_cbranch_scc0 .LBB190_2397
; %bb.2391:
	s_cmp_gt_i32 s13, 43
	;; [unrolled: 3-line block ×3, first 2 shown]
	s_cbranch_scc0 .LBB190_2400
; %bb.2393:
	s_cmp_eq_u32 s13, 46
	s_mov_b64 s[14:15], 0
	s_cbranch_scc0 .LBB190_2401
; %bb.2394:
	global_load_dword v10, v[0:1], off
	s_mov_b64 s[0:1], 0
	s_mov_b64 s[10:11], -1
	s_waitcnt vmcnt(0)
	v_lshlrev_b32_e32 v10, 16, v10
	v_cvt_i32_f32_e32 v10, v10
	s_branch .LBB190_2402
.LBB190_2395:
	s_mov_b64 s[0:1], -1
	s_mov_b64 s[10:11], 0
                                        ; implicit-def: $vgpr10
	s_branch .LBB190_2464
.LBB190_2396:
	s_mov_b64 s[14:15], -1
	s_mov_b64 s[10:11], 0
	s_mov_b64 s[0:1], 0
                                        ; implicit-def: $vgpr10
	s_branch .LBB190_2429
.LBB190_2397:
	s_mov_b64 s[14:15], -1
	s_mov_b64 s[10:11], 0
	s_mov_b64 s[0:1], 0
                                        ; implicit-def: $vgpr10
	s_branch .LBB190_2412
.LBB190_2398:
	s_mov_b64 s[14:15], -1
	s_mov_b64 s[10:11], 0
	s_mov_b64 s[0:1], 0
                                        ; implicit-def: $vgpr10
	s_branch .LBB190_2407
.LBB190_2399:
	s_trap 2
	s_or_b64 s[18:19], s[18:19], exec
	s_cbranch_execz .LBB190_2336
	s_branch .LBB190_2337
.LBB190_2400:
	s_mov_b64 s[14:15], -1
	s_mov_b64 s[10:11], 0
	s_mov_b64 s[0:1], 0
                                        ; implicit-def: $vgpr10
	s_branch .LBB190_2402
.LBB190_2401:
	s_mov_b64 s[0:1], -1
                                        ; implicit-def: $vgpr10
	s_mov_b64 s[10:11], 0
.LBB190_2402:
	s_and_b64 vcc, exec, s[14:15]
	s_cbranch_vccz .LBB190_2406
; %bb.2403:
	s_cmp_eq_u32 s13, 44
	s_cbranch_scc0 .LBB190_2405
; %bb.2404:
	global_load_ubyte v10, v[0:1], off
	s_mov_b64 s[0:1], 0
	s_mov_b64 s[10:11], -1
	s_waitcnt vmcnt(0)
	v_lshlrev_b32_e32 v11, 23, v10
	v_cvt_i32_f32_e32 v11, v11
	v_cmp_ne_u32_e32 vcc, 0, v10
	v_cndmask_b32_e32 v10, 0, v11, vcc
	s_branch .LBB190_2406
.LBB190_2405:
	s_mov_b64 s[0:1], -1
                                        ; implicit-def: $vgpr10
.LBB190_2406:
	s_mov_b64 s[14:15], 0
.LBB190_2407:
	s_and_b64 vcc, exec, s[14:15]
	s_cbranch_vccz .LBB190_2411
; %bb.2408:
	s_cmp_eq_u32 s13, 29
	s_cbranch_scc0 .LBB190_2410
; %bb.2409:
	global_load_dword v10, v[0:1], off
	s_mov_b64 s[0:1], 0
	s_mov_b64 s[10:11], -1
	s_branch .LBB190_2411
.LBB190_2410:
	s_mov_b64 s[0:1], -1
                                        ; implicit-def: $vgpr10
.LBB190_2411:
	s_mov_b64 s[14:15], 0
.LBB190_2412:
	s_and_b64 vcc, exec, s[14:15]
	s_cbranch_vccz .LBB190_2428
; %bb.2413:
	s_cmp_lt_i32 s13, 27
	s_cbranch_scc1 .LBB190_2416
; %bb.2414:
	s_cmp_gt_i32 s13, 27
	s_cbranch_scc0 .LBB190_2417
; %bb.2415:
	global_load_dword v10, v[0:1], off
	s_mov_b64 s[10:11], 0
	s_branch .LBB190_2418
.LBB190_2416:
	s_mov_b64 s[10:11], -1
                                        ; implicit-def: $vgpr10
	s_branch .LBB190_2421
.LBB190_2417:
	s_mov_b64 s[10:11], -1
                                        ; implicit-def: $vgpr10
.LBB190_2418:
	s_andn2_b64 vcc, exec, s[10:11]
	s_cbranch_vccnz .LBB190_2420
; %bb.2419:
	global_load_ushort v10, v[0:1], off
.LBB190_2420:
	s_mov_b64 s[10:11], 0
.LBB190_2421:
	s_andn2_b64 vcc, exec, s[10:11]
	s_cbranch_vccnz .LBB190_2427
; %bb.2422:
	global_load_ubyte v11, v[0:1], off
	s_movk_i32 s10, 0x7f
	s_mov_b64 s[14:15], 0
	s_waitcnt vmcnt(0)
	v_cmp_lt_i16_e32 vcc, s10, v11
	s_and_saveexec_b64 s[10:11], vcc
	s_xor_b64 s[10:11], exec, s[10:11]
	s_cbranch_execz .LBB190_2439
; %bb.2423:
	s_movk_i32 s14, 0x80
	v_cmp_ne_u16_e32 vcc, s14, v11
	s_and_b64 s[14:15], vcc, exec
	s_andn2_saveexec_b64 s[10:11], s[10:11]
	s_cbranch_execnz .LBB190_2440
.LBB190_2424:
	s_or_b64 exec, exec, s[10:11]
	v_mov_b32_e32 v10, 0
	s_and_saveexec_b64 s[10:11], s[14:15]
	s_cbranch_execz .LBB190_2426
.LBB190_2425:
	v_lshlrev_b32_e32 v10, 24, v11
	v_and_b32_e32 v11, 0xffff, v11
	v_and_b32_e32 v12, 7, v11
	v_ffbh_u32_e32 v14, v12
	v_min_u32_e32 v14, 32, v14
	v_subrev_u32_e32 v15, 28, v14
	v_bfe_u32 v13, v11, 3, 4
	v_lshlrev_b32_e32 v11, v15, v11
	v_sub_u32_e32 v14, 29, v14
	v_and_b32_e32 v11, 7, v11
	v_cmp_eq_u32_e32 vcc, 0, v13
	v_cndmask_b32_e32 v13, v13, v14, vcc
	v_cndmask_b32_e32 v11, v12, v11, vcc
	v_mov_b32_e32 v12, 0x3b800000
	v_lshlrev_b32_e32 v11, 20, v11
	v_and_b32_e32 v10, 0x80000000, v10
	v_lshl_add_u32 v12, v13, 23, v12
	v_or3_b32 v10, v10, v12, v11
	v_cvt_i32_f32_e32 v10, v10
.LBB190_2426:
	s_or_b64 exec, exec, s[10:11]
.LBB190_2427:
	s_mov_b64 s[10:11], -1
.LBB190_2428:
	s_mov_b64 s[14:15], 0
.LBB190_2429:
	s_and_b64 vcc, exec, s[14:15]
	s_cbranch_vccz .LBB190_2460
; %bb.2430:
	s_cmp_gt_i32 s13, 22
	s_cbranch_scc0 .LBB190_2438
; %bb.2431:
	s_cmp_lt_i32 s13, 24
	s_cbranch_scc1 .LBB190_2441
; %bb.2432:
	s_cmp_gt_i32 s13, 24
	s_cbranch_scc0 .LBB190_2442
; %bb.2433:
	global_load_ubyte v11, v[0:1], off
	s_movk_i32 s2, 0x7f
	s_mov_b64 s[10:11], 0
	s_waitcnt vmcnt(0)
	v_cmp_lt_i16_e32 vcc, s2, v11
	s_and_saveexec_b64 s[2:3], vcc
	s_xor_b64 s[2:3], exec, s[2:3]
	s_cbranch_execz .LBB190_2454
; %bb.2434:
	s_movk_i32 s10, 0x80
	v_cmp_ne_u16_e32 vcc, s10, v11
	s_and_b64 s[10:11], vcc, exec
	s_andn2_saveexec_b64 s[2:3], s[2:3]
	s_cbranch_execnz .LBB190_2455
.LBB190_2435:
	s_or_b64 exec, exec, s[2:3]
	v_mov_b32_e32 v10, 0
	s_and_saveexec_b64 s[2:3], s[10:11]
	s_cbranch_execz .LBB190_2437
.LBB190_2436:
	v_lshlrev_b32_e32 v10, 24, v11
	v_and_b32_e32 v11, 0xffff, v11
	v_and_b32_e32 v12, 3, v11
	v_ffbh_u32_e32 v14, v12
	v_min_u32_e32 v14, 32, v14
	v_subrev_u32_e32 v15, 29, v14
	v_bfe_u32 v13, v11, 2, 5
	v_lshlrev_b32_e32 v11, v15, v11
	v_sub_u32_e32 v14, 30, v14
	v_and_b32_e32 v11, 3, v11
	v_cmp_eq_u32_e32 vcc, 0, v13
	v_cndmask_b32_e32 v13, v13, v14, vcc
	v_cndmask_b32_e32 v11, v12, v11, vcc
	v_mov_b32_e32 v12, 0x37800000
	v_lshlrev_b32_e32 v11, 21, v11
	v_and_b32_e32 v10, 0x80000000, v10
	v_lshl_add_u32 v12, v13, 23, v12
	v_or3_b32 v10, v10, v12, v11
	v_cvt_i32_f32_e32 v10, v10
.LBB190_2437:
	s_or_b64 exec, exec, s[2:3]
	s_mov_b64 s[2:3], 0
	s_branch .LBB190_2443
.LBB190_2438:
	s_mov_b64 s[2:3], -1
                                        ; implicit-def: $vgpr10
	s_branch .LBB190_2449
.LBB190_2439:
	s_andn2_saveexec_b64 s[10:11], s[10:11]
	s_cbranch_execz .LBB190_2424
.LBB190_2440:
	v_cmp_ne_u16_e32 vcc, 0, v11
	s_andn2_b64 s[14:15], s[14:15], exec
	s_and_b64 s[16:17], vcc, exec
	s_or_b64 s[14:15], s[14:15], s[16:17]
	s_or_b64 exec, exec, s[10:11]
	v_mov_b32_e32 v10, 0
	s_and_saveexec_b64 s[10:11], s[14:15]
	s_cbranch_execnz .LBB190_2425
	s_branch .LBB190_2426
.LBB190_2441:
	s_mov_b64 s[2:3], -1
                                        ; implicit-def: $vgpr10
	s_branch .LBB190_2446
.LBB190_2442:
	s_mov_b64 s[2:3], -1
                                        ; implicit-def: $vgpr10
.LBB190_2443:
	s_and_b64 vcc, exec, s[2:3]
	s_cbranch_vccz .LBB190_2445
; %bb.2444:
	global_load_ubyte v10, v[0:1], off
	s_mov_b32 s2, 0x7f800000
	s_waitcnt vmcnt(0)
	v_lshlrev_b32_e32 v10, 24, v10
	v_and_b32_e32 v11, 0x7f000000, v10
	v_ffbh_u32_e32 v12, v11
	v_min_u32_e32 v12, 32, v12
	v_sub_u32_e64 v12, v12, 4 clamp
	v_lshlrev_b32_e32 v14, v12, v11
	v_lshlrev_b32_e32 v12, 23, v12
	v_lshrrev_b32_e32 v14, 4, v14
	v_add_u32_e32 v13, 0x1000000, v11
	v_sub_u32_e32 v12, v14, v12
	v_ashrrev_i32_e32 v13, 8, v13
	v_add_u32_e32 v12, 0x3c000000, v12
	v_and_or_b32 v12, v13, s2, v12
	v_cmp_ne_u32_e32 vcc, 0, v11
	v_cndmask_b32_e32 v11, 0, v12, vcc
	s_brev_b32 s2, 1
	v_and_or_b32 v10, v10, s2, v11
	v_cvt_i32_f32_e32 v10, v10
.LBB190_2445:
	s_mov_b64 s[2:3], 0
.LBB190_2446:
	s_andn2_b64 vcc, exec, s[2:3]
	s_cbranch_vccnz .LBB190_2448
; %bb.2447:
	global_load_ubyte v10, v[0:1], off
	s_movk_i32 s2, 0x7f00
	s_brev_b32 s3, 16
	s_waitcnt vmcnt(0)
	v_lshlrev_b16_e32 v11, 8, v10
	v_lshlrev_b32_e32 v10, 25, v10
	v_lshrrev_b32_e32 v12, 4, v10
	v_and_or_b32 v13, v11, s2, 0.5
	v_or_b32_e32 v12, 0x70000000, v12
	v_add_f32_e32 v13, -0.5, v13
	v_mul_f32_e32 v12, 0x7800000, v12
	v_cmp_gt_u32_e32 vcc, s3, v10
	v_bfe_i32 v11, v11, 0, 16
	v_cndmask_b32_e32 v10, v12, v13, vcc
	s_brev_b32 s2, 1
	v_and_or_b32 v10, v11, s2, v10
	v_cvt_i32_f32_e32 v10, v10
.LBB190_2448:
	s_mov_b64 s[2:3], 0
	s_mov_b64 s[10:11], -1
.LBB190_2449:
	s_andn2_b64 vcc, exec, s[2:3]
	s_mov_b64 s[2:3], 0
	s_cbranch_vccnz .LBB190_2460
; %bb.2450:
	s_cmp_gt_i32 s13, 14
	s_cbranch_scc0 .LBB190_2453
; %bb.2451:
	s_cmp_eq_u32 s13, 15
	s_cbranch_scc0 .LBB190_2456
; %bb.2452:
	global_load_ushort v10, v[0:1], off
	s_mov_b64 s[0:1], 0
	s_mov_b64 s[10:11], -1
	s_waitcnt vmcnt(0)
	v_lshlrev_b32_e32 v10, 16, v10
	v_cvt_i32_f32_e32 v10, v10
	s_branch .LBB190_2457
.LBB190_2453:
	s_mov_b64 s[14:15], -1
                                        ; implicit-def: $vgpr10
	s_branch .LBB190_2458
.LBB190_2454:
	s_andn2_saveexec_b64 s[2:3], s[2:3]
	s_cbranch_execz .LBB190_2435
.LBB190_2455:
	v_cmp_ne_u16_e32 vcc, 0, v11
	s_andn2_b64 s[10:11], s[10:11], exec
	s_and_b64 s[14:15], vcc, exec
	s_or_b64 s[10:11], s[10:11], s[14:15]
	s_or_b64 exec, exec, s[2:3]
	v_mov_b32_e32 v10, 0
	s_and_saveexec_b64 s[2:3], s[10:11]
	s_cbranch_execnz .LBB190_2436
	s_branch .LBB190_2437
.LBB190_2456:
	s_mov_b64 s[0:1], -1
                                        ; implicit-def: $vgpr10
.LBB190_2457:
	s_mov_b64 s[14:15], 0
.LBB190_2458:
	s_and_b64 vcc, exec, s[14:15]
	s_cbranch_vccz .LBB190_2460
; %bb.2459:
	s_cmp_lg_u32 s13, 11
	s_mov_b64 s[2:3], -1
	s_cselect_b64 s[0:1], -1, 0
.LBB190_2460:
	s_and_b64 vcc, exec, s[0:1]
	s_cbranch_vccnz .LBB190_2993
; %bb.2461:
	s_andn2_b64 vcc, exec, s[2:3]
	s_cbranch_vccnz .LBB190_2463
.LBB190_2462:
	global_load_ubyte v10, v[0:1], off
	s_mov_b64 s[10:11], -1
	s_waitcnt vmcnt(0)
	v_cmp_ne_u16_e32 vcc, 0, v10
	v_cndmask_b32_e64 v10, 0, 1, vcc
.LBB190_2463:
	s_mov_b64 s[0:1], 0
.LBB190_2464:
	s_and_b64 vcc, exec, s[0:1]
	s_cbranch_vccz .LBB190_2513
; %bb.2465:
	s_and_b32 s2, 0xffff, s25
	s_cmp_lt_i32 s2, 5
	s_cbranch_scc1 .LBB190_2470
; %bb.2466:
	s_cmp_lt_i32 s2, 8
	s_cbranch_scc1 .LBB190_2471
; %bb.2467:
	;; [unrolled: 3-line block ×3, first 2 shown]
	s_cmp_gt_i32 s2, 9
	s_cbranch_scc0 .LBB190_2473
; %bb.2469:
	global_load_dwordx2 v[10:11], v[0:1], off
	s_mov_b64 s[0:1], 0
	s_waitcnt vmcnt(0)
	v_cvt_i32_f64_e32 v10, v[10:11]
	s_branch .LBB190_2474
.LBB190_2470:
	s_mov_b64 s[0:1], -1
                                        ; implicit-def: $vgpr10
	s_branch .LBB190_2492
.LBB190_2471:
	s_mov_b64 s[0:1], -1
                                        ; implicit-def: $vgpr10
	s_branch .LBB190_2480
.LBB190_2472:
	s_mov_b64 s[0:1], -1
                                        ; implicit-def: $vgpr10
	s_branch .LBB190_2477
.LBB190_2473:
	s_mov_b64 s[0:1], -1
                                        ; implicit-def: $vgpr10
.LBB190_2474:
	s_andn2_b64 vcc, exec, s[0:1]
	s_cbranch_vccnz .LBB190_2476
; %bb.2475:
	global_load_dword v10, v[0:1], off
	s_waitcnt vmcnt(0)
	v_cvt_i32_f32_e32 v10, v10
.LBB190_2476:
	s_mov_b64 s[0:1], 0
.LBB190_2477:
	s_andn2_b64 vcc, exec, s[0:1]
	s_cbranch_vccnz .LBB190_2479
; %bb.2478:
	global_load_dword v10, v[0:1], off
	s_waitcnt vmcnt(0)
	v_cvt_f32_f16_e32 v10, v10
	v_cvt_i32_f32_e32 v10, v10
.LBB190_2479:
	s_mov_b64 s[0:1], 0
.LBB190_2480:
	s_andn2_b64 vcc, exec, s[0:1]
	s_cbranch_vccnz .LBB190_2491
; %bb.2481:
	s_cmp_lt_i32 s2, 6
	s_cbranch_scc1 .LBB190_2484
; %bb.2482:
	s_cmp_gt_i32 s2, 6
	s_cbranch_scc0 .LBB190_2485
; %bb.2483:
	global_load_dwordx2 v[10:11], v[0:1], off
	s_mov_b64 s[0:1], 0
	s_waitcnt vmcnt(0)
	v_cvt_i32_f64_e32 v10, v[10:11]
	s_branch .LBB190_2486
.LBB190_2484:
	s_mov_b64 s[0:1], -1
                                        ; implicit-def: $vgpr10
	s_branch .LBB190_2489
.LBB190_2485:
	s_mov_b64 s[0:1], -1
                                        ; implicit-def: $vgpr10
.LBB190_2486:
	s_andn2_b64 vcc, exec, s[0:1]
	s_cbranch_vccnz .LBB190_2488
; %bb.2487:
	global_load_dword v10, v[0:1], off
	s_waitcnt vmcnt(0)
	v_cvt_i32_f32_e32 v10, v10
.LBB190_2488:
	s_mov_b64 s[0:1], 0
.LBB190_2489:
	s_andn2_b64 vcc, exec, s[0:1]
	s_cbranch_vccnz .LBB190_2491
; %bb.2490:
	global_load_ushort v10, v[0:1], off
	s_waitcnt vmcnt(0)
	v_cvt_f32_f16_e32 v10, v10
	v_cvt_i32_f32_e32 v10, v10
.LBB190_2491:
	s_mov_b64 s[0:1], 0
.LBB190_2492:
	s_andn2_b64 vcc, exec, s[0:1]
	s_cbranch_vccnz .LBB190_2512
; %bb.2493:
	s_cmp_lt_i32 s2, 2
	s_cbranch_scc1 .LBB190_2497
; %bb.2494:
	s_cmp_lt_i32 s2, 3
	s_cbranch_scc1 .LBB190_2498
; %bb.2495:
	s_cmp_gt_i32 s2, 3
	s_cbranch_scc0 .LBB190_2499
; %bb.2496:
	global_load_dword v10, v[0:1], off
	s_mov_b64 s[0:1], 0
	s_branch .LBB190_2500
.LBB190_2497:
	s_mov_b64 s[0:1], -1
                                        ; implicit-def: $vgpr10
	s_branch .LBB190_2506
.LBB190_2498:
	s_mov_b64 s[0:1], -1
                                        ; implicit-def: $vgpr10
	s_branch .LBB190_2503
.LBB190_2499:
	s_mov_b64 s[0:1], -1
                                        ; implicit-def: $vgpr10
.LBB190_2500:
	s_andn2_b64 vcc, exec, s[0:1]
	s_cbranch_vccnz .LBB190_2502
; %bb.2501:
	global_load_dword v10, v[0:1], off
.LBB190_2502:
	s_mov_b64 s[0:1], 0
.LBB190_2503:
	s_andn2_b64 vcc, exec, s[0:1]
	s_cbranch_vccnz .LBB190_2505
; %bb.2504:
	global_load_sshort v10, v[0:1], off
.LBB190_2505:
	s_mov_b64 s[0:1], 0
.LBB190_2506:
	s_andn2_b64 vcc, exec, s[0:1]
	s_cbranch_vccnz .LBB190_2512
; %bb.2507:
	s_cmp_gt_i32 s2, 0
	s_cbranch_scc0 .LBB190_2509
; %bb.2508:
	global_load_sbyte v10, v[0:1], off
	s_mov_b64 s[0:1], 0
	s_branch .LBB190_2510
.LBB190_2509:
	s_mov_b64 s[0:1], -1
                                        ; implicit-def: $vgpr10
.LBB190_2510:
	s_andn2_b64 vcc, exec, s[0:1]
	s_cbranch_vccnz .LBB190_2512
; %bb.2511:
	global_load_ubyte v10, v[0:1], off
.LBB190_2512:
	s_mov_b64 s[10:11], -1
.LBB190_2513:
	s_andn2_b64 vcc, exec, s[10:11]
	s_cbranch_vccnz .LBB190_2947
; %bb.2514:
	v_mul_lo_u32 v4, s12, v4
	s_waitcnt vmcnt(0)
	v_min_u32_e32 v0, 31, v3
	v_mov_b32_e32 v1, s9
	v_ashrrev_i32_e32 v0, v0, v2
	v_ashrrev_i32_e32 v3, 31, v4
	s_and_b32 s20, s33, 0xff
	v_add_co_u32_e32 v2, vcc, s8, v4
	s_cmp_lt_i32 s20, 11
	v_addc_co_u32_e32 v3, vcc, v1, v3, vcc
	s_cbranch_scc1 .LBB190_2592
; %bb.2515:
	s_and_b32 s13, 0xffff, s20
	s_mov_b64 s[14:15], -1
	s_mov_b64 s[2:3], 0
	s_cmp_gt_i32 s13, 25
	s_mov_b64 s[10:11], 0
	s_mov_b64 s[0:1], 0
	s_cbranch_scc0 .LBB190_2548
; %bb.2516:
	s_cmp_gt_i32 s13, 28
	s_cbranch_scc0 .LBB190_2531
; %bb.2517:
	s_cmp_gt_i32 s13, 43
	;; [unrolled: 3-line block ×3, first 2 shown]
	s_cbranch_scc0 .LBB190_2521
; %bb.2519:
	s_mov_b64 s[0:1], -1
	s_mov_b64 s[14:15], 0
	s_cmp_eq_u32 s13, 46
	s_cbranch_scc0 .LBB190_2521
; %bb.2520:
	v_cvt_f32_i32_e32 v1, v0
	s_movk_i32 s10, 0x7fff
	s_mov_b64 s[0:1], 0
	v_bfe_u32 v11, v1, 16, 1
	v_add3_u32 v1, v1, v11, s10
	v_lshrrev_b32_e32 v1, 16, v1
	global_store_dword v[2:3], v1, off
	s_mov_b64 s[10:11], -1
.LBB190_2521:
	s_and_b64 vcc, exec, s[14:15]
	s_cbranch_vccz .LBB190_2526
; %bb.2522:
	s_cmp_eq_u32 s13, 44
	s_mov_b64 s[0:1], -1
	s_cbranch_scc0 .LBB190_2526
; %bb.2523:
	v_cvt_f32_i32_e32 v1, v0
	s_movk_i32 s0, 0xff
	v_mov_b32_e32 v12, 0xff
	v_bfe_u32 v11, v1, 23, 8
	v_cmp_ne_u32_e32 vcc, s0, v11
	s_and_saveexec_b64 s[10:11], vcc
; %bb.2524:
	s_mov_b32 s0, 0x3fffff
	v_lshrrev_b32_e32 v12, 23, v1
	v_and_b32_e32 v13, 0x400000, v1
	v_and_or_b32 v1, v1, s0, v11
	v_cmp_ne_u32_e32 vcc, 0, v13
	v_cmp_ne_u32_e64 s[0:1], 0, v1
	s_and_b64 s[0:1], vcc, s[0:1]
	v_cndmask_b32_e64 v1, 0, 1, s[0:1]
	v_add_u32_e32 v12, v12, v1
; %bb.2525:
	s_or_b64 exec, exec, s[10:11]
	s_mov_b64 s[0:1], 0
	s_mov_b64 s[10:11], -1
	global_store_byte v[2:3], v12, off
.LBB190_2526:
	s_mov_b64 s[14:15], 0
.LBB190_2527:
	s_and_b64 vcc, exec, s[14:15]
	s_cbranch_vccz .LBB190_2530
; %bb.2528:
	s_cmp_eq_u32 s13, 29
	s_mov_b64 s[0:1], -1
	s_cbranch_scc0 .LBB190_2530
; %bb.2529:
	v_ashrrev_i32_e32 v1, 31, v0
	global_store_dwordx2 v[2:3], v[0:1], off
	s_mov_b64 s[0:1], 0
	s_mov_b64 s[10:11], -1
.LBB190_2530:
	s_mov_b64 s[14:15], 0
.LBB190_2531:
	s_and_b64 vcc, exec, s[14:15]
	s_cbranch_vccz .LBB190_2547
; %bb.2532:
	s_cmp_lt_i32 s13, 27
	s_mov_b64 s[10:11], -1
	s_cbranch_scc1 .LBB190_2538
; %bb.2533:
	s_cmp_gt_i32 s13, 27
	s_cbranch_scc0 .LBB190_2535
; %bb.2534:
	s_mov_b64 s[10:11], 0
	global_store_dword v[2:3], v0, off
.LBB190_2535:
	s_andn2_b64 vcc, exec, s[10:11]
	s_cbranch_vccnz .LBB190_2537
; %bb.2536:
	global_store_short v[2:3], v0, off
.LBB190_2537:
	s_mov_b64 s[10:11], 0
.LBB190_2538:
	s_andn2_b64 vcc, exec, s[10:11]
	s_cbranch_vccnz .LBB190_2546
; %bb.2539:
	v_cvt_f32_i32_e32 v1, v0
	s_mov_b32 s10, 0x43800000
	v_mov_b32_e32 v12, 0x80
	v_and_b32_e32 v11, 0x7fffffff, v1
	v_cmp_gt_u32_e32 vcc, s10, v11
	s_and_saveexec_b64 s[10:11], vcc
	s_cbranch_execz .LBB190_2545
; %bb.2540:
	s_mov_b32 s14, 0x3bffffff
	v_cmp_lt_u32_e32 vcc, s14, v11
	s_mov_b64 s[14:15], 0
                                        ; implicit-def: $vgpr11
	s_and_saveexec_b64 s[16:17], vcc
	s_xor_b64 s[16:17], exec, s[16:17]
	s_cbranch_execz .LBB190_2994
; %bb.2541:
	v_bfe_u32 v11, v1, 20, 1
	s_mov_b32 s21, 0x487ffff
	v_add3_u32 v11, v1, v11, s21
	s_mov_b64 s[14:15], exec
	v_lshrrev_b32_e32 v11, 20, v11
	s_andn2_saveexec_b64 s[16:17], s[16:17]
	s_cbranch_execnz .LBB190_2995
.LBB190_2542:
	s_or_b64 exec, exec, s[16:17]
	v_mov_b32_e32 v12, 0
	s_and_saveexec_b64 s[16:17], s[14:15]
.LBB190_2543:
	v_lshrrev_b32_e32 v1, 24, v1
	s_movk_i32 s14, 0x80
	v_and_or_b32 v12, v1, s14, v11
.LBB190_2544:
	s_or_b64 exec, exec, s[16:17]
.LBB190_2545:
	s_or_b64 exec, exec, s[10:11]
	global_store_byte v[2:3], v12, off
.LBB190_2546:
	s_mov_b64 s[10:11], -1
.LBB190_2547:
	s_mov_b64 s[14:15], 0
.LBB190_2548:
	s_and_b64 vcc, exec, s[14:15]
	s_cbranch_vccz .LBB190_2588
; %bb.2549:
	s_cmp_gt_i32 s13, 22
	s_mov_b64 s[2:3], -1
	s_cbranch_scc0 .LBB190_2581
; %bb.2550:
	s_cmp_lt_i32 s13, 24
	s_cbranch_scc1 .LBB190_2570
; %bb.2551:
	s_cmp_gt_i32 s13, 24
	s_cbranch_scc0 .LBB190_2559
; %bb.2552:
	v_cvt_f32_i32_e32 v1, v0
	s_mov_b32 s2, 0x47800000
	v_mov_b32_e32 v12, 0x80
	v_and_b32_e32 v11, 0x7fffffff, v1
	v_cmp_gt_u32_e32 vcc, s2, v11
	s_and_saveexec_b64 s[2:3], vcc
	s_cbranch_execz .LBB190_2558
; %bb.2553:
	s_mov_b32 s10, 0x37ffffff
	v_cmp_lt_u32_e32 vcc, s10, v11
	s_mov_b64 s[10:11], 0
                                        ; implicit-def: $vgpr11
	s_and_saveexec_b64 s[14:15], vcc
	s_xor_b64 s[14:15], exec, s[14:15]
	s_cbranch_execz .LBB190_2997
; %bb.2554:
	v_bfe_u32 v11, v1, 21, 1
	s_mov_b32 s16, 0x88fffff
	v_add3_u32 v11, v1, v11, s16
	s_mov_b64 s[10:11], exec
	v_lshrrev_b32_e32 v11, 21, v11
	s_andn2_saveexec_b64 s[14:15], s[14:15]
	s_cbranch_execnz .LBB190_2998
.LBB190_2555:
	s_or_b64 exec, exec, s[14:15]
	v_mov_b32_e32 v12, 0
	s_and_saveexec_b64 s[14:15], s[10:11]
.LBB190_2556:
	v_lshrrev_b32_e32 v1, 24, v1
	s_movk_i32 s10, 0x80
	v_and_or_b32 v12, v1, s10, v11
.LBB190_2557:
	s_or_b64 exec, exec, s[14:15]
.LBB190_2558:
	s_or_b64 exec, exec, s[2:3]
	s_mov_b64 s[2:3], 0
	global_store_byte v[2:3], v12, off
.LBB190_2559:
	s_and_b64 vcc, exec, s[2:3]
	s_cbranch_vccz .LBB190_2569
; %bb.2560:
	v_cvt_f32_i32_e32 v1, v0
	s_mov_b32 s2, 0x43f00000
                                        ; implicit-def: $vgpr11
	v_and_b32_e32 v12, 0x7fffffff, v1
	v_cmp_gt_u32_e32 vcc, s2, v12
	s_and_saveexec_b64 s[2:3], vcc
	s_xor_b64 s[2:3], exec, s[2:3]
	s_cbranch_execz .LBB190_2566
; %bb.2561:
	s_mov_b32 s10, 0x3c7fffff
	v_cmp_lt_u32_e32 vcc, s10, v12
                                        ; implicit-def: $vgpr11
	s_and_saveexec_b64 s[10:11], vcc
	s_xor_b64 s[10:11], exec, s[10:11]
; %bb.2562:
	v_bfe_u32 v11, v1, 20, 1
	s_mov_b32 s14, 0x407ffff
	v_add3_u32 v11, v1, v11, s14
	v_lshrrev_b32_e32 v12, 20, v11
	v_and_b32_e32 v11, 0xff00000, v11
	s_mov_b32 s14, 0x7f00000
	v_mov_b32_e32 v13, 0x7e
	v_cmp_ne_u32_e32 vcc, s14, v11
	v_cndmask_b32_e32 v11, v13, v12, vcc
; %bb.2563:
	s_andn2_saveexec_b64 s[10:11], s[10:11]
; %bb.2564:
	s_mov_b32 s14, 0x46800000
	v_add_f32_e64 v11, |v1|, s14
; %bb.2565:
	s_or_b64 exec, exec, s[10:11]
                                        ; implicit-def: $vgpr12
.LBB190_2566:
	s_andn2_saveexec_b64 s[2:3], s[2:3]
; %bb.2567:
	s_mov_b32 s10, 0x7f800000
	v_mov_b32_e32 v11, 0x7e
	v_mov_b32_e32 v13, 0x7f
	v_cmp_lt_u32_e32 vcc, s10, v12
	v_cndmask_b32_e32 v11, v11, v13, vcc
; %bb.2568:
	s_or_b64 exec, exec, s[2:3]
	v_lshrrev_b32_e32 v1, 24, v1
	s_movk_i32 s2, 0x80
	v_and_or_b32 v1, v1, s2, v11
	global_store_byte v[2:3], v1, off
.LBB190_2569:
	s_mov_b64 s[2:3], 0
.LBB190_2570:
	s_andn2_b64 vcc, exec, s[2:3]
	s_cbranch_vccnz .LBB190_2580
; %bb.2571:
	v_cvt_f32_i32_e32 v1, v0
	s_mov_b32 s2, 0x47800000
                                        ; implicit-def: $vgpr11
	v_and_b32_e32 v12, 0x7fffffff, v1
	v_cmp_gt_u32_e32 vcc, s2, v12
	s_and_saveexec_b64 s[2:3], vcc
	s_xor_b64 s[2:3], exec, s[2:3]
	s_cbranch_execz .LBB190_2577
; %bb.2572:
	s_mov_b32 s10, 0x387fffff
	v_cmp_lt_u32_e32 vcc, s10, v12
                                        ; implicit-def: $vgpr11
	s_and_saveexec_b64 s[10:11], vcc
	s_xor_b64 s[10:11], exec, s[10:11]
; %bb.2573:
	v_bfe_u32 v11, v1, 21, 1
	s_mov_b32 s14, 0x80fffff
	v_add3_u32 v11, v1, v11, s14
	v_lshrrev_b32_e32 v11, 21, v11
; %bb.2574:
	s_andn2_saveexec_b64 s[10:11], s[10:11]
; %bb.2575:
	s_mov_b32 s14, 0x43000000
	v_add_f32_e64 v11, |v1|, s14
; %bb.2576:
	s_or_b64 exec, exec, s[10:11]
                                        ; implicit-def: $vgpr12
.LBB190_2577:
	s_andn2_saveexec_b64 s[2:3], s[2:3]
; %bb.2578:
	s_mov_b32 s10, 0x7f800000
	v_mov_b32_e32 v11, 0x7c
	v_mov_b32_e32 v13, 0x7f
	v_cmp_lt_u32_e32 vcc, s10, v12
	v_cndmask_b32_e32 v11, v11, v13, vcc
; %bb.2579:
	s_or_b64 exec, exec, s[2:3]
	v_lshrrev_b32_e32 v1, 24, v1
	s_movk_i32 s2, 0x80
	v_and_or_b32 v1, v1, s2, v11
	global_store_byte v[2:3], v1, off
.LBB190_2580:
	s_mov_b64 s[2:3], 0
	s_mov_b64 s[10:11], -1
.LBB190_2581:
	s_andn2_b64 vcc, exec, s[2:3]
	s_mov_b64 s[2:3], 0
	s_cbranch_vccnz .LBB190_2588
; %bb.2582:
	s_cmp_gt_i32 s13, 14
	s_mov_b64 s[14:15], -1
	s_cbranch_scc0 .LBB190_2586
; %bb.2583:
	s_cmp_eq_u32 s13, 15
	s_mov_b64 s[0:1], -1
	s_cbranch_scc0 .LBB190_2585
; %bb.2584:
	v_cvt_f32_i32_e32 v1, v0
	s_movk_i32 s2, 0x7fff
	s_mov_b64 s[0:1], 0
	s_mov_b64 s[10:11], -1
	v_bfe_u32 v11, v1, 16, 1
	v_add3_u32 v1, v1, v11, s2
	global_store_short_d16_hi v[2:3], v1, off
.LBB190_2585:
	s_mov_b64 s[14:15], 0
.LBB190_2586:
	s_mov_b64 s[2:3], 0
	s_and_b64 vcc, exec, s[14:15]
	s_cbranch_vccz .LBB190_2588
; %bb.2587:
	s_cmp_lg_u32 s13, 11
	s_mov_b64 s[2:3], -1
	s_cselect_b64 s[0:1], -1, 0
.LBB190_2588:
	s_and_b64 vcc, exec, s[0:1]
	s_cbranch_vccnz .LBB190_2996
; %bb.2589:
	s_andn2_b64 vcc, exec, s[2:3]
	s_cbranch_vccnz .LBB190_2591
.LBB190_2590:
	v_cmp_ne_u32_e32 vcc, 0, v0
	v_cndmask_b32_e64 v1, 0, 1, vcc
	s_mov_b64 s[10:11], -1
	global_store_byte v[2:3], v1, off
.LBB190_2591:
	s_mov_b64 s[0:1], 0
	s_branch .LBB190_2593
.LBB190_2592:
	s_mov_b64 s[0:1], -1
	s_mov_b64 s[10:11], 0
.LBB190_2593:
	s_and_b64 vcc, exec, s[0:1]
	s_cbranch_vccz .LBB190_2632
; %bb.2594:
	s_and_b32 s2, 0xffff, s20
	s_cmp_lt_i32 s2, 5
	s_mov_b64 s[0:1], -1
	s_cbranch_scc1 .LBB190_2615
; %bb.2595:
	s_cmp_lt_i32 s2, 8
	s_cbranch_scc1 .LBB190_2605
; %bb.2596:
	s_cmp_lt_i32 s2, 9
	s_cbranch_scc1 .LBB190_2602
; %bb.2597:
	s_cmp_gt_i32 s2, 9
	s_cbranch_scc0 .LBB190_2599
; %bb.2598:
	v_cvt_f64_i32_e32 v[11:12], v0
	v_mov_b32_e32 v13, 0
	v_mov_b32_e32 v14, v13
	s_mov_b64 s[0:1], 0
	global_store_dwordx4 v[2:3], v[11:14], off
.LBB190_2599:
	s_andn2_b64 vcc, exec, s[0:1]
	s_cbranch_vccnz .LBB190_2601
; %bb.2600:
	v_cvt_f32_i32_e32 v11, v0
	v_mov_b32_e32 v12, 0
	global_store_dwordx2 v[2:3], v[11:12], off
.LBB190_2601:
	s_mov_b64 s[0:1], 0
.LBB190_2602:
	s_andn2_b64 vcc, exec, s[0:1]
	s_cbranch_vccnz .LBB190_2604
; %bb.2603:
	v_cvt_f32_i32_e32 v1, v0
	v_cvt_f16_f32_e32 v1, v1
	global_store_dword v[2:3], v1, off
.LBB190_2604:
	s_mov_b64 s[0:1], 0
.LBB190_2605:
	s_andn2_b64 vcc, exec, s[0:1]
	s_cbranch_vccnz .LBB190_2614
; %bb.2606:
	s_cmp_lt_i32 s2, 6
	s_mov_b64 s[0:1], -1
	s_cbranch_scc1 .LBB190_2612
; %bb.2607:
	s_cmp_gt_i32 s2, 6
	s_cbranch_scc0 .LBB190_2609
; %bb.2608:
	v_cvt_f64_i32_e32 v[11:12], v0
	s_mov_b64 s[0:1], 0
	global_store_dwordx2 v[2:3], v[11:12], off
.LBB190_2609:
	s_andn2_b64 vcc, exec, s[0:1]
	s_cbranch_vccnz .LBB190_2611
; %bb.2610:
	v_cvt_f32_i32_e32 v1, v0
	global_store_dword v[2:3], v1, off
.LBB190_2611:
	s_mov_b64 s[0:1], 0
.LBB190_2612:
	s_andn2_b64 vcc, exec, s[0:1]
	s_cbranch_vccnz .LBB190_2614
; %bb.2613:
	v_cvt_f32_i32_e32 v1, v0
	v_cvt_f16_f32_e32 v1, v1
	global_store_short v[2:3], v1, off
.LBB190_2614:
	s_mov_b64 s[0:1], 0
.LBB190_2615:
	s_andn2_b64 vcc, exec, s[0:1]
	s_cbranch_vccnz .LBB190_2631
; %bb.2616:
	s_cmp_lt_i32 s2, 2
	s_mov_b64 s[0:1], -1
	s_cbranch_scc1 .LBB190_2626
; %bb.2617:
	s_cmp_lt_i32 s2, 3
	s_cbranch_scc1 .LBB190_2623
; %bb.2618:
	s_cmp_gt_i32 s2, 3
	s_cbranch_scc0 .LBB190_2620
; %bb.2619:
	v_ashrrev_i32_e32 v1, 31, v0
	global_store_dwordx2 v[2:3], v[0:1], off
	s_mov_b64 s[0:1], 0
.LBB190_2620:
	s_andn2_b64 vcc, exec, s[0:1]
	s_cbranch_vccnz .LBB190_2622
; %bb.2621:
	global_store_dword v[2:3], v0, off
.LBB190_2622:
	s_mov_b64 s[0:1], 0
.LBB190_2623:
	s_andn2_b64 vcc, exec, s[0:1]
	s_cbranch_vccnz .LBB190_2625
; %bb.2624:
	global_store_short v[2:3], v0, off
.LBB190_2625:
	s_mov_b64 s[0:1], 0
.LBB190_2626:
	s_andn2_b64 vcc, exec, s[0:1]
	s_cbranch_vccnz .LBB190_2631
; %bb.2627:
	s_cmp_gt_i32 s2, 0
	s_mov_b64 s[0:1], -1
	s_cbranch_scc0 .LBB190_2629
; %bb.2628:
	global_store_byte v[2:3], v0, off
	s_mov_b64 s[0:1], 0
.LBB190_2629:
	s_andn2_b64 vcc, exec, s[0:1]
	s_cbranch_vccnz .LBB190_2631
; %bb.2630:
	global_store_byte v[2:3], v0, off
.LBB190_2631:
	s_mov_b64 s[10:11], -1
.LBB190_2632:
	s_andn2_b64 vcc, exec, s[10:11]
	s_cbranch_vccnz .LBB190_2947
; %bb.2633:
	s_lshl_b32 s16, s12, 7
	v_add_u32_e32 v4, s16, v4
	v_min_u32_e32 v0, 31, v7
	v_ashrrev_i32_e32 v1, 31, v4
	v_mov_b32_e32 v3, s9
	v_add_co_u32_e32 v2, vcc, s8, v4
	v_ashrrev_i32_e32 v0, v0, v5
	s_cmp_lt_i32 s20, 11
	v_addc_co_u32_e32 v3, vcc, v3, v1, vcc
	s_cbranch_scc1 .LBB190_2711
; %bb.2634:
	s_and_b32 s17, 0xffff, s20
	s_mov_b64 s[12:13], -1
	s_mov_b64 s[2:3], 0
	s_cmp_gt_i32 s17, 25
	s_mov_b64 s[10:11], 0
	s_mov_b64 s[0:1], 0
	s_cbranch_scc0 .LBB190_2667
; %bb.2635:
	s_cmp_gt_i32 s17, 28
	s_cbranch_scc0 .LBB190_2650
; %bb.2636:
	s_cmp_gt_i32 s17, 43
	;; [unrolled: 3-line block ×3, first 2 shown]
	s_cbranch_scc0 .LBB190_2640
; %bb.2638:
	s_mov_b64 s[0:1], -1
	s_mov_b64 s[12:13], 0
	s_cmp_eq_u32 s17, 46
	s_cbranch_scc0 .LBB190_2640
; %bb.2639:
	v_cvt_f32_i32_e32 v1, v0
	s_movk_i32 s10, 0x7fff
	s_mov_b64 s[0:1], 0
	v_bfe_u32 v5, v1, 16, 1
	v_add3_u32 v1, v1, v5, s10
	v_lshrrev_b32_e32 v1, 16, v1
	global_store_dword v[2:3], v1, off
	s_mov_b64 s[10:11], -1
.LBB190_2640:
	s_and_b64 vcc, exec, s[12:13]
	s_cbranch_vccz .LBB190_2645
; %bb.2641:
	s_cmp_eq_u32 s17, 44
	s_mov_b64 s[0:1], -1
	s_cbranch_scc0 .LBB190_2645
; %bb.2642:
	v_cvt_f32_i32_e32 v1, v0
	s_movk_i32 s0, 0xff
	v_mov_b32_e32 v7, 0xff
	v_bfe_u32 v5, v1, 23, 8
	v_cmp_ne_u32_e32 vcc, s0, v5
	s_and_saveexec_b64 s[10:11], vcc
; %bb.2643:
	s_mov_b32 s0, 0x3fffff
	v_lshrrev_b32_e32 v7, 23, v1
	v_and_b32_e32 v11, 0x400000, v1
	v_and_or_b32 v1, v1, s0, v5
	v_cmp_ne_u32_e32 vcc, 0, v11
	v_cmp_ne_u32_e64 s[0:1], 0, v1
	s_and_b64 s[0:1], vcc, s[0:1]
	v_cndmask_b32_e64 v1, 0, 1, s[0:1]
	v_add_u32_e32 v7, v7, v1
; %bb.2644:
	s_or_b64 exec, exec, s[10:11]
	s_mov_b64 s[0:1], 0
	s_mov_b64 s[10:11], -1
	global_store_byte v[2:3], v7, off
.LBB190_2645:
	s_mov_b64 s[12:13], 0
.LBB190_2646:
	s_and_b64 vcc, exec, s[12:13]
	s_cbranch_vccz .LBB190_2649
; %bb.2647:
	s_cmp_eq_u32 s17, 29
	s_mov_b64 s[0:1], -1
	s_cbranch_scc0 .LBB190_2649
; %bb.2648:
	v_ashrrev_i32_e32 v1, 31, v0
	global_store_dwordx2 v[2:3], v[0:1], off
	s_mov_b64 s[0:1], 0
	s_mov_b64 s[10:11], -1
.LBB190_2649:
	s_mov_b64 s[12:13], 0
.LBB190_2650:
	s_and_b64 vcc, exec, s[12:13]
	s_cbranch_vccz .LBB190_2666
; %bb.2651:
	s_cmp_lt_i32 s17, 27
	s_mov_b64 s[10:11], -1
	s_cbranch_scc1 .LBB190_2657
; %bb.2652:
	s_cmp_gt_i32 s17, 27
	s_cbranch_scc0 .LBB190_2654
; %bb.2653:
	s_mov_b64 s[10:11], 0
	global_store_dword v[2:3], v0, off
.LBB190_2654:
	s_andn2_b64 vcc, exec, s[10:11]
	s_cbranch_vccnz .LBB190_2656
; %bb.2655:
	global_store_short v[2:3], v0, off
.LBB190_2656:
	s_mov_b64 s[10:11], 0
.LBB190_2657:
	s_andn2_b64 vcc, exec, s[10:11]
	s_cbranch_vccnz .LBB190_2665
; %bb.2658:
	v_cvt_f32_i32_e32 v1, v0
	s_mov_b32 s10, 0x43800000
	v_mov_b32_e32 v7, 0x80
	v_and_b32_e32 v5, 0x7fffffff, v1
	v_cmp_gt_u32_e32 vcc, s10, v5
	s_and_saveexec_b64 s[10:11], vcc
	s_cbranch_execz .LBB190_2664
; %bb.2659:
	s_mov_b32 s12, 0x3bffffff
	v_cmp_lt_u32_e32 vcc, s12, v5
	s_mov_b64 s[12:13], 0
                                        ; implicit-def: $vgpr5
	s_and_saveexec_b64 s[14:15], vcc
	s_xor_b64 s[14:15], exec, s[14:15]
	s_cbranch_execz .LBB190_2999
; %bb.2660:
	v_bfe_u32 v5, v1, 20, 1
	s_mov_b32 s21, 0x487ffff
	v_add3_u32 v5, v1, v5, s21
	s_mov_b64 s[12:13], exec
	v_lshrrev_b32_e32 v5, 20, v5
	s_andn2_saveexec_b64 s[14:15], s[14:15]
	s_cbranch_execnz .LBB190_3000
.LBB190_2661:
	s_or_b64 exec, exec, s[14:15]
	v_mov_b32_e32 v7, 0
	s_and_saveexec_b64 s[14:15], s[12:13]
.LBB190_2662:
	v_lshrrev_b32_e32 v1, 24, v1
	s_movk_i32 s12, 0x80
	v_and_or_b32 v7, v1, s12, v5
.LBB190_2663:
	s_or_b64 exec, exec, s[14:15]
.LBB190_2664:
	s_or_b64 exec, exec, s[10:11]
	global_store_byte v[2:3], v7, off
.LBB190_2665:
	s_mov_b64 s[10:11], -1
.LBB190_2666:
	s_mov_b64 s[12:13], 0
.LBB190_2667:
	s_and_b64 vcc, exec, s[12:13]
	s_cbranch_vccz .LBB190_2707
; %bb.2668:
	s_cmp_gt_i32 s17, 22
	s_mov_b64 s[2:3], -1
	s_cbranch_scc0 .LBB190_2700
; %bb.2669:
	s_cmp_lt_i32 s17, 24
	s_cbranch_scc1 .LBB190_2689
; %bb.2670:
	s_cmp_gt_i32 s17, 24
	s_cbranch_scc0 .LBB190_2678
; %bb.2671:
	v_cvt_f32_i32_e32 v1, v0
	s_mov_b32 s2, 0x47800000
	v_mov_b32_e32 v7, 0x80
	v_and_b32_e32 v5, 0x7fffffff, v1
	v_cmp_gt_u32_e32 vcc, s2, v5
	s_and_saveexec_b64 s[2:3], vcc
	s_cbranch_execz .LBB190_2677
; %bb.2672:
	s_mov_b32 s10, 0x37ffffff
	v_cmp_lt_u32_e32 vcc, s10, v5
	s_mov_b64 s[10:11], 0
                                        ; implicit-def: $vgpr5
	s_and_saveexec_b64 s[12:13], vcc
	s_xor_b64 s[12:13], exec, s[12:13]
	s_cbranch_execz .LBB190_3002
; %bb.2673:
	v_bfe_u32 v5, v1, 21, 1
	s_mov_b32 s14, 0x88fffff
	v_add3_u32 v5, v1, v5, s14
	s_mov_b64 s[10:11], exec
	v_lshrrev_b32_e32 v5, 21, v5
	s_andn2_saveexec_b64 s[12:13], s[12:13]
	s_cbranch_execnz .LBB190_3003
.LBB190_2674:
	s_or_b64 exec, exec, s[12:13]
	v_mov_b32_e32 v7, 0
	s_and_saveexec_b64 s[12:13], s[10:11]
.LBB190_2675:
	v_lshrrev_b32_e32 v1, 24, v1
	s_movk_i32 s10, 0x80
	v_and_or_b32 v7, v1, s10, v5
.LBB190_2676:
	s_or_b64 exec, exec, s[12:13]
.LBB190_2677:
	s_or_b64 exec, exec, s[2:3]
	s_mov_b64 s[2:3], 0
	global_store_byte v[2:3], v7, off
.LBB190_2678:
	s_and_b64 vcc, exec, s[2:3]
	s_cbranch_vccz .LBB190_2688
; %bb.2679:
	v_cvt_f32_i32_e32 v1, v0
	s_mov_b32 s2, 0x43f00000
                                        ; implicit-def: $vgpr5
	v_and_b32_e32 v7, 0x7fffffff, v1
	v_cmp_gt_u32_e32 vcc, s2, v7
	s_and_saveexec_b64 s[2:3], vcc
	s_xor_b64 s[2:3], exec, s[2:3]
	s_cbranch_execz .LBB190_2685
; %bb.2680:
	s_mov_b32 s10, 0x3c7fffff
	v_cmp_lt_u32_e32 vcc, s10, v7
                                        ; implicit-def: $vgpr5
	s_and_saveexec_b64 s[10:11], vcc
	s_xor_b64 s[10:11], exec, s[10:11]
; %bb.2681:
	v_bfe_u32 v5, v1, 20, 1
	s_mov_b32 s12, 0x407ffff
	v_add3_u32 v5, v1, v5, s12
	v_lshrrev_b32_e32 v7, 20, v5
	v_and_b32_e32 v5, 0xff00000, v5
	s_mov_b32 s12, 0x7f00000
	v_mov_b32_e32 v11, 0x7e
	v_cmp_ne_u32_e32 vcc, s12, v5
	v_cndmask_b32_e32 v5, v11, v7, vcc
; %bb.2682:
	s_andn2_saveexec_b64 s[10:11], s[10:11]
; %bb.2683:
	s_mov_b32 s12, 0x46800000
	v_add_f32_e64 v5, |v1|, s12
; %bb.2684:
	s_or_b64 exec, exec, s[10:11]
                                        ; implicit-def: $vgpr7
.LBB190_2685:
	s_andn2_saveexec_b64 s[2:3], s[2:3]
; %bb.2686:
	s_mov_b32 s10, 0x7f800000
	v_mov_b32_e32 v5, 0x7e
	v_mov_b32_e32 v11, 0x7f
	v_cmp_lt_u32_e32 vcc, s10, v7
	v_cndmask_b32_e32 v5, v5, v11, vcc
; %bb.2687:
	s_or_b64 exec, exec, s[2:3]
	v_lshrrev_b32_e32 v1, 24, v1
	s_movk_i32 s2, 0x80
	v_and_or_b32 v1, v1, s2, v5
	global_store_byte v[2:3], v1, off
.LBB190_2688:
	s_mov_b64 s[2:3], 0
.LBB190_2689:
	s_andn2_b64 vcc, exec, s[2:3]
	s_cbranch_vccnz .LBB190_2699
; %bb.2690:
	v_cvt_f32_i32_e32 v1, v0
	s_mov_b32 s2, 0x47800000
                                        ; implicit-def: $vgpr5
	v_and_b32_e32 v7, 0x7fffffff, v1
	v_cmp_gt_u32_e32 vcc, s2, v7
	s_and_saveexec_b64 s[2:3], vcc
	s_xor_b64 s[2:3], exec, s[2:3]
	s_cbranch_execz .LBB190_2696
; %bb.2691:
	s_mov_b32 s10, 0x387fffff
	v_cmp_lt_u32_e32 vcc, s10, v7
                                        ; implicit-def: $vgpr5
	s_and_saveexec_b64 s[10:11], vcc
	s_xor_b64 s[10:11], exec, s[10:11]
; %bb.2692:
	v_bfe_u32 v5, v1, 21, 1
	s_mov_b32 s12, 0x80fffff
	v_add3_u32 v5, v1, v5, s12
	v_lshrrev_b32_e32 v5, 21, v5
; %bb.2693:
	s_andn2_saveexec_b64 s[10:11], s[10:11]
; %bb.2694:
	s_mov_b32 s12, 0x43000000
	v_add_f32_e64 v5, |v1|, s12
; %bb.2695:
	s_or_b64 exec, exec, s[10:11]
                                        ; implicit-def: $vgpr7
.LBB190_2696:
	s_andn2_saveexec_b64 s[2:3], s[2:3]
; %bb.2697:
	s_mov_b32 s10, 0x7f800000
	v_mov_b32_e32 v5, 0x7c
	v_mov_b32_e32 v11, 0x7f
	v_cmp_lt_u32_e32 vcc, s10, v7
	v_cndmask_b32_e32 v5, v5, v11, vcc
; %bb.2698:
	s_or_b64 exec, exec, s[2:3]
	v_lshrrev_b32_e32 v1, 24, v1
	s_movk_i32 s2, 0x80
	v_and_or_b32 v1, v1, s2, v5
	global_store_byte v[2:3], v1, off
.LBB190_2699:
	s_mov_b64 s[2:3], 0
	s_mov_b64 s[10:11], -1
.LBB190_2700:
	s_andn2_b64 vcc, exec, s[2:3]
	s_mov_b64 s[2:3], 0
	s_cbranch_vccnz .LBB190_2707
; %bb.2701:
	s_cmp_gt_i32 s17, 14
	s_mov_b64 s[12:13], -1
	s_cbranch_scc0 .LBB190_2705
; %bb.2702:
	s_cmp_eq_u32 s17, 15
	s_mov_b64 s[0:1], -1
	s_cbranch_scc0 .LBB190_2704
; %bb.2703:
	v_cvt_f32_i32_e32 v1, v0
	s_movk_i32 s2, 0x7fff
	s_mov_b64 s[0:1], 0
	s_mov_b64 s[10:11], -1
	v_bfe_u32 v5, v1, 16, 1
	v_add3_u32 v1, v1, v5, s2
	global_store_short_d16_hi v[2:3], v1, off
.LBB190_2704:
	s_mov_b64 s[12:13], 0
.LBB190_2705:
	s_mov_b64 s[2:3], 0
	s_and_b64 vcc, exec, s[12:13]
	s_cbranch_vccz .LBB190_2707
; %bb.2706:
	s_cmp_lg_u32 s17, 11
	s_mov_b64 s[2:3], -1
	s_cselect_b64 s[0:1], -1, 0
.LBB190_2707:
	s_and_b64 vcc, exec, s[0:1]
	s_cbranch_vccnz .LBB190_3001
; %bb.2708:
	s_andn2_b64 vcc, exec, s[2:3]
	s_cbranch_vccnz .LBB190_2710
.LBB190_2709:
	v_cmp_ne_u32_e32 vcc, 0, v0
	v_cndmask_b32_e64 v1, 0, 1, vcc
	s_mov_b64 s[10:11], -1
	global_store_byte v[2:3], v1, off
.LBB190_2710:
	s_mov_b64 s[0:1], 0
	s_branch .LBB190_2712
.LBB190_2711:
	s_mov_b64 s[0:1], -1
	s_mov_b64 s[10:11], 0
.LBB190_2712:
	s_and_b64 vcc, exec, s[0:1]
	s_cbranch_vccz .LBB190_2751
; %bb.2713:
	s_and_b32 s2, 0xffff, s20
	s_cmp_lt_i32 s2, 5
	s_mov_b64 s[0:1], -1
	s_cbranch_scc1 .LBB190_2734
; %bb.2714:
	s_cmp_lt_i32 s2, 8
	s_cbranch_scc1 .LBB190_2724
; %bb.2715:
	s_cmp_lt_i32 s2, 9
	s_cbranch_scc1 .LBB190_2721
; %bb.2716:
	s_cmp_gt_i32 s2, 9
	s_cbranch_scc0 .LBB190_2718
; %bb.2717:
	v_cvt_f64_i32_e32 v[11:12], v0
	v_mov_b32_e32 v13, 0
	v_mov_b32_e32 v14, v13
	s_mov_b64 s[0:1], 0
	global_store_dwordx4 v[2:3], v[11:14], off
.LBB190_2718:
	s_andn2_b64 vcc, exec, s[0:1]
	s_cbranch_vccnz .LBB190_2720
; %bb.2719:
	v_cvt_f32_i32_e32 v11, v0
	v_mov_b32_e32 v12, 0
	global_store_dwordx2 v[2:3], v[11:12], off
.LBB190_2720:
	s_mov_b64 s[0:1], 0
.LBB190_2721:
	s_andn2_b64 vcc, exec, s[0:1]
	s_cbranch_vccnz .LBB190_2723
; %bb.2722:
	v_cvt_f32_i32_e32 v1, v0
	v_cvt_f16_f32_e32 v1, v1
	global_store_dword v[2:3], v1, off
.LBB190_2723:
	s_mov_b64 s[0:1], 0
.LBB190_2724:
	s_andn2_b64 vcc, exec, s[0:1]
	s_cbranch_vccnz .LBB190_2733
; %bb.2725:
	s_cmp_lt_i32 s2, 6
	s_mov_b64 s[0:1], -1
	s_cbranch_scc1 .LBB190_2731
; %bb.2726:
	s_cmp_gt_i32 s2, 6
	s_cbranch_scc0 .LBB190_2728
; %bb.2727:
	v_cvt_f64_i32_e32 v[11:12], v0
	s_mov_b64 s[0:1], 0
	global_store_dwordx2 v[2:3], v[11:12], off
.LBB190_2728:
	s_andn2_b64 vcc, exec, s[0:1]
	s_cbranch_vccnz .LBB190_2730
; %bb.2729:
	v_cvt_f32_i32_e32 v1, v0
	global_store_dword v[2:3], v1, off
.LBB190_2730:
	s_mov_b64 s[0:1], 0
.LBB190_2731:
	s_andn2_b64 vcc, exec, s[0:1]
	s_cbranch_vccnz .LBB190_2733
; %bb.2732:
	v_cvt_f32_i32_e32 v1, v0
	v_cvt_f16_f32_e32 v1, v1
	global_store_short v[2:3], v1, off
.LBB190_2733:
	s_mov_b64 s[0:1], 0
.LBB190_2734:
	s_andn2_b64 vcc, exec, s[0:1]
	s_cbranch_vccnz .LBB190_2750
; %bb.2735:
	s_cmp_lt_i32 s2, 2
	s_mov_b64 s[0:1], -1
	s_cbranch_scc1 .LBB190_2745
; %bb.2736:
	s_cmp_lt_i32 s2, 3
	s_cbranch_scc1 .LBB190_2742
; %bb.2737:
	s_cmp_gt_i32 s2, 3
	s_cbranch_scc0 .LBB190_2739
; %bb.2738:
	v_ashrrev_i32_e32 v1, 31, v0
	global_store_dwordx2 v[2:3], v[0:1], off
	s_mov_b64 s[0:1], 0
.LBB190_2739:
	s_andn2_b64 vcc, exec, s[0:1]
	s_cbranch_vccnz .LBB190_2741
; %bb.2740:
	global_store_dword v[2:3], v0, off
.LBB190_2741:
	s_mov_b64 s[0:1], 0
.LBB190_2742:
	s_andn2_b64 vcc, exec, s[0:1]
	s_cbranch_vccnz .LBB190_2744
; %bb.2743:
	global_store_short v[2:3], v0, off
.LBB190_2744:
	s_mov_b64 s[0:1], 0
.LBB190_2745:
	s_andn2_b64 vcc, exec, s[0:1]
	s_cbranch_vccnz .LBB190_2750
; %bb.2746:
	s_cmp_gt_i32 s2, 0
	s_mov_b64 s[0:1], -1
	s_cbranch_scc0 .LBB190_2748
; %bb.2747:
	global_store_byte v[2:3], v0, off
	s_mov_b64 s[0:1], 0
.LBB190_2748:
	s_andn2_b64 vcc, exec, s[0:1]
	s_cbranch_vccnz .LBB190_2750
; %bb.2749:
	global_store_byte v[2:3], v0, off
.LBB190_2750:
	s_mov_b64 s[10:11], -1
.LBB190_2751:
	s_andn2_b64 vcc, exec, s[10:11]
	s_cbranch_vccnz .LBB190_2947
; %bb.2752:
	v_add_u32_e32 v4, s16, v4
	v_min_u32_e32 v0, 31, v9
	v_ashrrev_i32_e32 v1, 31, v4
	v_mov_b32_e32 v3, s9
	v_add_co_u32_e32 v2, vcc, s8, v4
	v_ashrrev_i32_e32 v0, v0, v6
	s_cmp_lt_i32 s20, 11
	v_addc_co_u32_e32 v3, vcc, v3, v1, vcc
	s_cbranch_scc1 .LBB190_2830
; %bb.2753:
	s_and_b32 s17, 0xffff, s20
	s_mov_b64 s[12:13], -1
	s_mov_b64 s[2:3], 0
	s_cmp_gt_i32 s17, 25
	s_mov_b64 s[10:11], 0
	s_mov_b64 s[0:1], 0
	s_cbranch_scc0 .LBB190_2786
; %bb.2754:
	s_cmp_gt_i32 s17, 28
	s_cbranch_scc0 .LBB190_2769
; %bb.2755:
	s_cmp_gt_i32 s17, 43
	;; [unrolled: 3-line block ×3, first 2 shown]
	s_cbranch_scc0 .LBB190_2759
; %bb.2757:
	s_mov_b64 s[0:1], -1
	s_mov_b64 s[12:13], 0
	s_cmp_eq_u32 s17, 46
	s_cbranch_scc0 .LBB190_2759
; %bb.2758:
	v_cvt_f32_i32_e32 v1, v0
	s_movk_i32 s10, 0x7fff
	s_mov_b64 s[0:1], 0
	v_bfe_u32 v5, v1, 16, 1
	v_add3_u32 v1, v1, v5, s10
	v_lshrrev_b32_e32 v1, 16, v1
	global_store_dword v[2:3], v1, off
	s_mov_b64 s[10:11], -1
.LBB190_2759:
	s_and_b64 vcc, exec, s[12:13]
	s_cbranch_vccz .LBB190_2764
; %bb.2760:
	s_cmp_eq_u32 s17, 44
	s_mov_b64 s[0:1], -1
	s_cbranch_scc0 .LBB190_2764
; %bb.2761:
	v_cvt_f32_i32_e32 v1, v0
	s_movk_i32 s0, 0xff
	v_mov_b32_e32 v6, 0xff
	v_bfe_u32 v5, v1, 23, 8
	v_cmp_ne_u32_e32 vcc, s0, v5
	s_and_saveexec_b64 s[10:11], vcc
; %bb.2762:
	s_mov_b32 s0, 0x3fffff
	v_lshrrev_b32_e32 v6, 23, v1
	v_and_b32_e32 v7, 0x400000, v1
	v_and_or_b32 v1, v1, s0, v5
	v_cmp_ne_u32_e32 vcc, 0, v7
	v_cmp_ne_u32_e64 s[0:1], 0, v1
	s_and_b64 s[0:1], vcc, s[0:1]
	v_cndmask_b32_e64 v1, 0, 1, s[0:1]
	v_add_u32_e32 v6, v6, v1
; %bb.2763:
	s_or_b64 exec, exec, s[10:11]
	s_mov_b64 s[0:1], 0
	s_mov_b64 s[10:11], -1
	global_store_byte v[2:3], v6, off
.LBB190_2764:
	s_mov_b64 s[12:13], 0
.LBB190_2765:
	s_and_b64 vcc, exec, s[12:13]
	s_cbranch_vccz .LBB190_2768
; %bb.2766:
	s_cmp_eq_u32 s17, 29
	s_mov_b64 s[0:1], -1
	s_cbranch_scc0 .LBB190_2768
; %bb.2767:
	v_ashrrev_i32_e32 v1, 31, v0
	global_store_dwordx2 v[2:3], v[0:1], off
	s_mov_b64 s[0:1], 0
	s_mov_b64 s[10:11], -1
.LBB190_2768:
	s_mov_b64 s[12:13], 0
.LBB190_2769:
	s_and_b64 vcc, exec, s[12:13]
	s_cbranch_vccz .LBB190_2785
; %bb.2770:
	s_cmp_lt_i32 s17, 27
	s_mov_b64 s[10:11], -1
	s_cbranch_scc1 .LBB190_2776
; %bb.2771:
	s_cmp_gt_i32 s17, 27
	s_cbranch_scc0 .LBB190_2773
; %bb.2772:
	s_mov_b64 s[10:11], 0
	global_store_dword v[2:3], v0, off
.LBB190_2773:
	s_andn2_b64 vcc, exec, s[10:11]
	s_cbranch_vccnz .LBB190_2775
; %bb.2774:
	global_store_short v[2:3], v0, off
.LBB190_2775:
	s_mov_b64 s[10:11], 0
.LBB190_2776:
	s_andn2_b64 vcc, exec, s[10:11]
	s_cbranch_vccnz .LBB190_2784
; %bb.2777:
	v_cvt_f32_i32_e32 v1, v0
	s_mov_b32 s10, 0x43800000
	v_mov_b32_e32 v6, 0x80
	v_and_b32_e32 v5, 0x7fffffff, v1
	v_cmp_gt_u32_e32 vcc, s10, v5
	s_and_saveexec_b64 s[10:11], vcc
	s_cbranch_execz .LBB190_2783
; %bb.2778:
	s_mov_b32 s12, 0x3bffffff
	v_cmp_lt_u32_e32 vcc, s12, v5
	s_mov_b64 s[12:13], 0
                                        ; implicit-def: $vgpr5
	s_and_saveexec_b64 s[14:15], vcc
	s_xor_b64 s[14:15], exec, s[14:15]
	s_cbranch_execz .LBB190_3004
; %bb.2779:
	v_bfe_u32 v5, v1, 20, 1
	s_mov_b32 s21, 0x487ffff
	v_add3_u32 v5, v1, v5, s21
	s_mov_b64 s[12:13], exec
	v_lshrrev_b32_e32 v5, 20, v5
	s_andn2_saveexec_b64 s[14:15], s[14:15]
	s_cbranch_execnz .LBB190_3005
.LBB190_2780:
	s_or_b64 exec, exec, s[14:15]
	v_mov_b32_e32 v6, 0
	s_and_saveexec_b64 s[14:15], s[12:13]
.LBB190_2781:
	v_lshrrev_b32_e32 v1, 24, v1
	s_movk_i32 s12, 0x80
	v_and_or_b32 v6, v1, s12, v5
.LBB190_2782:
	s_or_b64 exec, exec, s[14:15]
.LBB190_2783:
	s_or_b64 exec, exec, s[10:11]
	global_store_byte v[2:3], v6, off
.LBB190_2784:
	s_mov_b64 s[10:11], -1
.LBB190_2785:
	s_mov_b64 s[12:13], 0
.LBB190_2786:
	s_and_b64 vcc, exec, s[12:13]
	s_cbranch_vccz .LBB190_2826
; %bb.2787:
	s_cmp_gt_i32 s17, 22
	s_mov_b64 s[2:3], -1
	s_cbranch_scc0 .LBB190_2819
; %bb.2788:
	s_cmp_lt_i32 s17, 24
	s_cbranch_scc1 .LBB190_2808
; %bb.2789:
	s_cmp_gt_i32 s17, 24
	s_cbranch_scc0 .LBB190_2797
; %bb.2790:
	v_cvt_f32_i32_e32 v1, v0
	s_mov_b32 s2, 0x47800000
	v_mov_b32_e32 v6, 0x80
	v_and_b32_e32 v5, 0x7fffffff, v1
	v_cmp_gt_u32_e32 vcc, s2, v5
	s_and_saveexec_b64 s[2:3], vcc
	s_cbranch_execz .LBB190_2796
; %bb.2791:
	s_mov_b32 s10, 0x37ffffff
	v_cmp_lt_u32_e32 vcc, s10, v5
	s_mov_b64 s[10:11], 0
                                        ; implicit-def: $vgpr5
	s_and_saveexec_b64 s[12:13], vcc
	s_xor_b64 s[12:13], exec, s[12:13]
	s_cbranch_execz .LBB190_3007
; %bb.2792:
	v_bfe_u32 v5, v1, 21, 1
	s_mov_b32 s14, 0x88fffff
	v_add3_u32 v5, v1, v5, s14
	s_mov_b64 s[10:11], exec
	v_lshrrev_b32_e32 v5, 21, v5
	s_andn2_saveexec_b64 s[12:13], s[12:13]
	s_cbranch_execnz .LBB190_3008
.LBB190_2793:
	s_or_b64 exec, exec, s[12:13]
	v_mov_b32_e32 v6, 0
	s_and_saveexec_b64 s[12:13], s[10:11]
.LBB190_2794:
	v_lshrrev_b32_e32 v1, 24, v1
	s_movk_i32 s10, 0x80
	v_and_or_b32 v6, v1, s10, v5
.LBB190_2795:
	s_or_b64 exec, exec, s[12:13]
.LBB190_2796:
	s_or_b64 exec, exec, s[2:3]
	s_mov_b64 s[2:3], 0
	global_store_byte v[2:3], v6, off
.LBB190_2797:
	s_and_b64 vcc, exec, s[2:3]
	s_cbranch_vccz .LBB190_2807
; %bb.2798:
	v_cvt_f32_i32_e32 v1, v0
	s_mov_b32 s2, 0x43f00000
                                        ; implicit-def: $vgpr5
	v_and_b32_e32 v6, 0x7fffffff, v1
	v_cmp_gt_u32_e32 vcc, s2, v6
	s_and_saveexec_b64 s[2:3], vcc
	s_xor_b64 s[2:3], exec, s[2:3]
	s_cbranch_execz .LBB190_2804
; %bb.2799:
	s_mov_b32 s10, 0x3c7fffff
	v_cmp_lt_u32_e32 vcc, s10, v6
                                        ; implicit-def: $vgpr5
	s_and_saveexec_b64 s[10:11], vcc
	s_xor_b64 s[10:11], exec, s[10:11]
; %bb.2800:
	v_bfe_u32 v5, v1, 20, 1
	s_mov_b32 s12, 0x407ffff
	v_add3_u32 v5, v1, v5, s12
	v_lshrrev_b32_e32 v6, 20, v5
	v_and_b32_e32 v5, 0xff00000, v5
	s_mov_b32 s12, 0x7f00000
	v_mov_b32_e32 v7, 0x7e
	v_cmp_ne_u32_e32 vcc, s12, v5
	v_cndmask_b32_e32 v5, v7, v6, vcc
; %bb.2801:
	s_andn2_saveexec_b64 s[10:11], s[10:11]
; %bb.2802:
	s_mov_b32 s12, 0x46800000
	v_add_f32_e64 v5, |v1|, s12
; %bb.2803:
	s_or_b64 exec, exec, s[10:11]
                                        ; implicit-def: $vgpr6
.LBB190_2804:
	s_andn2_saveexec_b64 s[2:3], s[2:3]
; %bb.2805:
	s_mov_b32 s10, 0x7f800000
	v_mov_b32_e32 v5, 0x7e
	v_mov_b32_e32 v7, 0x7f
	v_cmp_lt_u32_e32 vcc, s10, v6
	v_cndmask_b32_e32 v5, v5, v7, vcc
; %bb.2806:
	s_or_b64 exec, exec, s[2:3]
	v_lshrrev_b32_e32 v1, 24, v1
	s_movk_i32 s2, 0x80
	v_and_or_b32 v1, v1, s2, v5
	global_store_byte v[2:3], v1, off
.LBB190_2807:
	s_mov_b64 s[2:3], 0
.LBB190_2808:
	s_andn2_b64 vcc, exec, s[2:3]
	s_cbranch_vccnz .LBB190_2818
; %bb.2809:
	v_cvt_f32_i32_e32 v1, v0
	s_mov_b32 s2, 0x47800000
                                        ; implicit-def: $vgpr5
	v_and_b32_e32 v6, 0x7fffffff, v1
	v_cmp_gt_u32_e32 vcc, s2, v6
	s_and_saveexec_b64 s[2:3], vcc
	s_xor_b64 s[2:3], exec, s[2:3]
	s_cbranch_execz .LBB190_2815
; %bb.2810:
	s_mov_b32 s10, 0x387fffff
	v_cmp_lt_u32_e32 vcc, s10, v6
                                        ; implicit-def: $vgpr5
	s_and_saveexec_b64 s[10:11], vcc
	s_xor_b64 s[10:11], exec, s[10:11]
; %bb.2811:
	v_bfe_u32 v5, v1, 21, 1
	s_mov_b32 s12, 0x80fffff
	v_add3_u32 v5, v1, v5, s12
	v_lshrrev_b32_e32 v5, 21, v5
; %bb.2812:
	s_andn2_saveexec_b64 s[10:11], s[10:11]
; %bb.2813:
	s_mov_b32 s12, 0x43000000
	v_add_f32_e64 v5, |v1|, s12
; %bb.2814:
	s_or_b64 exec, exec, s[10:11]
                                        ; implicit-def: $vgpr6
.LBB190_2815:
	s_andn2_saveexec_b64 s[2:3], s[2:3]
; %bb.2816:
	s_mov_b32 s10, 0x7f800000
	v_mov_b32_e32 v5, 0x7c
	v_mov_b32_e32 v7, 0x7f
	v_cmp_lt_u32_e32 vcc, s10, v6
	v_cndmask_b32_e32 v5, v5, v7, vcc
; %bb.2817:
	s_or_b64 exec, exec, s[2:3]
	v_lshrrev_b32_e32 v1, 24, v1
	s_movk_i32 s2, 0x80
	v_and_or_b32 v1, v1, s2, v5
	global_store_byte v[2:3], v1, off
.LBB190_2818:
	s_mov_b64 s[2:3], 0
	s_mov_b64 s[10:11], -1
.LBB190_2819:
	s_andn2_b64 vcc, exec, s[2:3]
	s_mov_b64 s[2:3], 0
	s_cbranch_vccnz .LBB190_2826
; %bb.2820:
	s_cmp_gt_i32 s17, 14
	s_mov_b64 s[12:13], -1
	s_cbranch_scc0 .LBB190_2824
; %bb.2821:
	s_cmp_eq_u32 s17, 15
	s_mov_b64 s[0:1], -1
	s_cbranch_scc0 .LBB190_2823
; %bb.2822:
	v_cvt_f32_i32_e32 v1, v0
	s_movk_i32 s2, 0x7fff
	s_mov_b64 s[0:1], 0
	s_mov_b64 s[10:11], -1
	v_bfe_u32 v5, v1, 16, 1
	v_add3_u32 v1, v1, v5, s2
	global_store_short_d16_hi v[2:3], v1, off
.LBB190_2823:
	s_mov_b64 s[12:13], 0
.LBB190_2824:
	s_mov_b64 s[2:3], 0
	s_and_b64 vcc, exec, s[12:13]
	s_cbranch_vccz .LBB190_2826
; %bb.2825:
	s_cmp_lg_u32 s17, 11
	s_mov_b64 s[2:3], -1
	s_cselect_b64 s[0:1], -1, 0
.LBB190_2826:
	s_and_b64 vcc, exec, s[0:1]
	s_cbranch_vccnz .LBB190_3006
; %bb.2827:
	s_andn2_b64 vcc, exec, s[2:3]
	s_cbranch_vccnz .LBB190_2829
.LBB190_2828:
	v_cmp_ne_u32_e32 vcc, 0, v0
	v_cndmask_b32_e64 v1, 0, 1, vcc
	s_mov_b64 s[10:11], -1
	global_store_byte v[2:3], v1, off
.LBB190_2829:
	s_mov_b64 s[0:1], 0
	s_branch .LBB190_2831
.LBB190_2830:
	s_mov_b64 s[0:1], -1
	s_mov_b64 s[10:11], 0
.LBB190_2831:
	s_and_b64 vcc, exec, s[0:1]
	s_cbranch_vccz .LBB190_2870
; %bb.2832:
	s_and_b32 s2, 0xffff, s20
	s_cmp_lt_i32 s2, 5
	s_mov_b64 s[0:1], -1
	s_cbranch_scc1 .LBB190_2853
; %bb.2833:
	s_cmp_lt_i32 s2, 8
	s_cbranch_scc1 .LBB190_2843
; %bb.2834:
	s_cmp_lt_i32 s2, 9
	s_cbranch_scc1 .LBB190_2840
; %bb.2835:
	s_cmp_gt_i32 s2, 9
	s_cbranch_scc0 .LBB190_2837
; %bb.2836:
	v_cvt_f64_i32_e32 v[11:12], v0
	v_mov_b32_e32 v13, 0
	v_mov_b32_e32 v14, v13
	s_mov_b64 s[0:1], 0
	global_store_dwordx4 v[2:3], v[11:14], off
.LBB190_2837:
	s_andn2_b64 vcc, exec, s[0:1]
	s_cbranch_vccnz .LBB190_2839
; %bb.2838:
	v_cvt_f32_i32_e32 v5, v0
	v_mov_b32_e32 v6, 0
	global_store_dwordx2 v[2:3], v[5:6], off
.LBB190_2839:
	s_mov_b64 s[0:1], 0
.LBB190_2840:
	s_andn2_b64 vcc, exec, s[0:1]
	s_cbranch_vccnz .LBB190_2842
; %bb.2841:
	v_cvt_f32_i32_e32 v1, v0
	v_cvt_f16_f32_e32 v1, v1
	global_store_dword v[2:3], v1, off
.LBB190_2842:
	s_mov_b64 s[0:1], 0
.LBB190_2843:
	s_andn2_b64 vcc, exec, s[0:1]
	s_cbranch_vccnz .LBB190_2852
; %bb.2844:
	s_cmp_lt_i32 s2, 6
	s_mov_b64 s[0:1], -1
	s_cbranch_scc1 .LBB190_2850
; %bb.2845:
	s_cmp_gt_i32 s2, 6
	s_cbranch_scc0 .LBB190_2847
; %bb.2846:
	v_cvt_f64_i32_e32 v[5:6], v0
	s_mov_b64 s[0:1], 0
	global_store_dwordx2 v[2:3], v[5:6], off
.LBB190_2847:
	s_andn2_b64 vcc, exec, s[0:1]
	s_cbranch_vccnz .LBB190_2849
; %bb.2848:
	v_cvt_f32_i32_e32 v1, v0
	global_store_dword v[2:3], v1, off
.LBB190_2849:
	s_mov_b64 s[0:1], 0
.LBB190_2850:
	s_andn2_b64 vcc, exec, s[0:1]
	s_cbranch_vccnz .LBB190_2852
; %bb.2851:
	v_cvt_f32_i32_e32 v1, v0
	v_cvt_f16_f32_e32 v1, v1
	global_store_short v[2:3], v1, off
.LBB190_2852:
	s_mov_b64 s[0:1], 0
.LBB190_2853:
	s_andn2_b64 vcc, exec, s[0:1]
	s_cbranch_vccnz .LBB190_2869
; %bb.2854:
	s_cmp_lt_i32 s2, 2
	s_mov_b64 s[0:1], -1
	s_cbranch_scc1 .LBB190_2864
; %bb.2855:
	s_cmp_lt_i32 s2, 3
	s_cbranch_scc1 .LBB190_2861
; %bb.2856:
	s_cmp_gt_i32 s2, 3
	s_cbranch_scc0 .LBB190_2858
; %bb.2857:
	v_ashrrev_i32_e32 v1, 31, v0
	global_store_dwordx2 v[2:3], v[0:1], off
	s_mov_b64 s[0:1], 0
.LBB190_2858:
	s_andn2_b64 vcc, exec, s[0:1]
	s_cbranch_vccnz .LBB190_2860
; %bb.2859:
	global_store_dword v[2:3], v0, off
.LBB190_2860:
	s_mov_b64 s[0:1], 0
.LBB190_2861:
	s_andn2_b64 vcc, exec, s[0:1]
	s_cbranch_vccnz .LBB190_2863
; %bb.2862:
	global_store_short v[2:3], v0, off
.LBB190_2863:
	s_mov_b64 s[0:1], 0
.LBB190_2864:
	s_andn2_b64 vcc, exec, s[0:1]
	s_cbranch_vccnz .LBB190_2869
; %bb.2865:
	s_cmp_gt_i32 s2, 0
	s_mov_b64 s[0:1], -1
	s_cbranch_scc0 .LBB190_2867
; %bb.2866:
	global_store_byte v[2:3], v0, off
	s_mov_b64 s[0:1], 0
.LBB190_2867:
	s_andn2_b64 vcc, exec, s[0:1]
	s_cbranch_vccnz .LBB190_2869
; %bb.2868:
	global_store_byte v[2:3], v0, off
.LBB190_2869:
	s_mov_b64 s[10:11], -1
.LBB190_2870:
	s_andn2_b64 vcc, exec, s[10:11]
	s_cbranch_vccnz .LBB190_2947
; %bb.2871:
	v_min_u32_e32 v0, 31, v10
	v_ashrrev_i32_e32 v2, v0, v8
	v_add_u32_e32 v0, s16, v4
	v_ashrrev_i32_e32 v1, 31, v0
	v_mov_b32_e32 v3, s9
	v_add_co_u32_e32 v0, vcc, s8, v0
	s_cmp_lt_i32 s20, 11
	v_addc_co_u32_e32 v1, vcc, v3, v1, vcc
	s_cbranch_scc1 .LBB190_2992
; %bb.2872:
	s_and_b32 s14, 0xffff, s20
	s_mov_b64 s[8:9], -1
	s_mov_b64 s[2:3], 0
	s_cmp_gt_i32 s14, 25
	s_mov_b64 s[0:1], 0
	s_cbranch_scc0 .LBB190_2905
; %bb.2873:
	s_cmp_gt_i32 s14, 28
	s_cbranch_scc0 .LBB190_2889
; %bb.2874:
	s_cmp_gt_i32 s14, 43
	;; [unrolled: 3-line block ×3, first 2 shown]
	s_cbranch_scc0 .LBB190_2879
; %bb.2876:
	s_cmp_eq_u32 s14, 46
	s_mov_b64 s[0:1], -1
	s_cbranch_scc0 .LBB190_2878
; %bb.2877:
	v_cvt_f32_i32_e32 v3, v2
	s_movk_i32 s0, 0x7fff
	v_bfe_u32 v4, v3, 16, 1
	v_add3_u32 v3, v3, v4, s0
	v_lshrrev_b32_e32 v3, 16, v3
	global_store_dword v[0:1], v3, off
	s_mov_b64 s[0:1], 0
.LBB190_2878:
	s_mov_b64 s[8:9], 0
.LBB190_2879:
	s_and_b64 vcc, exec, s[8:9]
	s_cbranch_vccz .LBB190_2884
; %bb.2880:
	s_cmp_eq_u32 s14, 44
	s_mov_b64 s[0:1], -1
	s_cbranch_scc0 .LBB190_2884
; %bb.2881:
	v_cvt_f32_i32_e32 v3, v2
	s_movk_i32 s0, 0xff
	v_mov_b32_e32 v5, 0xff
	v_bfe_u32 v4, v3, 23, 8
	v_cmp_ne_u32_e32 vcc, s0, v4
	s_and_saveexec_b64 s[8:9], vcc
; %bb.2882:
	s_mov_b32 s0, 0x3fffff
	v_lshrrev_b32_e32 v5, 23, v3
	v_and_b32_e32 v6, 0x400000, v3
	v_and_or_b32 v3, v3, s0, v4
	v_cmp_ne_u32_e32 vcc, 0, v6
	v_cmp_ne_u32_e64 s[0:1], 0, v3
	s_and_b64 s[0:1], vcc, s[0:1]
	v_cndmask_b32_e64 v3, 0, 1, s[0:1]
	v_add_u32_e32 v5, v5, v3
; %bb.2883:
	s_or_b64 exec, exec, s[8:9]
	s_mov_b64 s[0:1], 0
	global_store_byte v[0:1], v5, off
.LBB190_2884:
	s_mov_b64 s[8:9], 0
.LBB190_2885:
	s_and_b64 vcc, exec, s[8:9]
	s_cbranch_vccz .LBB190_2888
; %bb.2886:
	s_cmp_eq_u32 s14, 29
	s_mov_b64 s[0:1], -1
	s_cbranch_scc0 .LBB190_2888
; %bb.2887:
	v_ashrrev_i32_e32 v3, 31, v2
	global_store_dwordx2 v[0:1], v[2:3], off
	s_mov_b64 s[0:1], 0
.LBB190_2888:
	s_mov_b64 s[8:9], 0
.LBB190_2889:
	s_and_b64 vcc, exec, s[8:9]
	s_cbranch_vccz .LBB190_2904
; %bb.2890:
	s_cmp_lt_i32 s14, 27
	s_mov_b64 s[8:9], -1
	s_cbranch_scc1 .LBB190_2896
; %bb.2891:
	s_cmp_gt_i32 s14, 27
	s_cbranch_scc0 .LBB190_2893
; %bb.2892:
	global_store_dword v[0:1], v2, off
	s_mov_b64 s[8:9], 0
.LBB190_2893:
	s_andn2_b64 vcc, exec, s[8:9]
	s_cbranch_vccnz .LBB190_2895
; %bb.2894:
	global_store_short v[0:1], v2, off
.LBB190_2895:
	s_mov_b64 s[8:9], 0
.LBB190_2896:
	s_andn2_b64 vcc, exec, s[8:9]
	s_cbranch_vccnz .LBB190_2904
; %bb.2897:
	v_cvt_f32_i32_e32 v3, v2
	s_mov_b32 s8, 0x43800000
	v_mov_b32_e32 v5, 0x80
	v_and_b32_e32 v4, 0x7fffffff, v3
	v_cmp_gt_u32_e32 vcc, s8, v4
	s_and_saveexec_b64 s[8:9], vcc
	s_cbranch_execz .LBB190_2903
; %bb.2898:
	s_mov_b32 s10, 0x3bffffff
	v_cmp_lt_u32_e32 vcc, s10, v4
	s_mov_b64 s[10:11], 0
                                        ; implicit-def: $vgpr4
	s_and_saveexec_b64 s[12:13], vcc
	s_xor_b64 s[12:13], exec, s[12:13]
	s_cbranch_execz .LBB190_3009
; %bb.2899:
	v_bfe_u32 v4, v3, 20, 1
	s_mov_b32 s15, 0x487ffff
	v_add3_u32 v4, v3, v4, s15
	s_mov_b64 s[10:11], exec
	v_lshrrev_b32_e32 v4, 20, v4
	s_andn2_saveexec_b64 s[12:13], s[12:13]
	s_cbranch_execnz .LBB190_3010
.LBB190_2900:
	s_or_b64 exec, exec, s[12:13]
	v_mov_b32_e32 v5, 0
	s_and_saveexec_b64 s[12:13], s[10:11]
.LBB190_2901:
	v_lshrrev_b32_e32 v3, 24, v3
	s_movk_i32 s10, 0x80
	v_and_or_b32 v5, v3, s10, v4
.LBB190_2902:
	s_or_b64 exec, exec, s[12:13]
.LBB190_2903:
	s_or_b64 exec, exec, s[8:9]
	global_store_byte v[0:1], v5, off
.LBB190_2904:
	s_mov_b64 s[8:9], 0
.LBB190_2905:
	s_and_b64 vcc, exec, s[8:9]
	s_cbranch_vccz .LBB190_2945
; %bb.2906:
	s_cmp_gt_i32 s14, 22
	s_mov_b64 s[2:3], -1
	s_cbranch_scc0 .LBB190_2938
; %bb.2907:
	s_cmp_lt_i32 s14, 24
	s_cbranch_scc1 .LBB190_2927
; %bb.2908:
	s_cmp_gt_i32 s14, 24
	s_cbranch_scc0 .LBB190_2916
; %bb.2909:
	v_cvt_f32_i32_e32 v3, v2
	s_mov_b32 s2, 0x47800000
	v_mov_b32_e32 v5, 0x80
	v_and_b32_e32 v4, 0x7fffffff, v3
	v_cmp_gt_u32_e32 vcc, s2, v4
	s_and_saveexec_b64 s[2:3], vcc
	s_cbranch_execz .LBB190_2915
; %bb.2910:
	s_mov_b32 s8, 0x37ffffff
	v_cmp_lt_u32_e32 vcc, s8, v4
	s_mov_b64 s[8:9], 0
                                        ; implicit-def: $vgpr4
	s_and_saveexec_b64 s[10:11], vcc
	s_xor_b64 s[10:11], exec, s[10:11]
	s_cbranch_execz .LBB190_3012
; %bb.2911:
	v_bfe_u32 v4, v3, 21, 1
	s_mov_b32 s12, 0x88fffff
	v_add3_u32 v4, v3, v4, s12
	s_mov_b64 s[8:9], exec
	v_lshrrev_b32_e32 v4, 21, v4
	s_andn2_saveexec_b64 s[10:11], s[10:11]
	s_cbranch_execnz .LBB190_3013
.LBB190_2912:
	s_or_b64 exec, exec, s[10:11]
	v_mov_b32_e32 v5, 0
	s_and_saveexec_b64 s[10:11], s[8:9]
.LBB190_2913:
	v_lshrrev_b32_e32 v3, 24, v3
	s_movk_i32 s8, 0x80
	v_and_or_b32 v5, v3, s8, v4
.LBB190_2914:
	s_or_b64 exec, exec, s[10:11]
.LBB190_2915:
	s_or_b64 exec, exec, s[2:3]
	s_mov_b64 s[2:3], 0
	global_store_byte v[0:1], v5, off
.LBB190_2916:
	s_and_b64 vcc, exec, s[2:3]
	s_cbranch_vccz .LBB190_2926
; %bb.2917:
	v_cvt_f32_i32_e32 v3, v2
	s_mov_b32 s2, 0x43f00000
                                        ; implicit-def: $vgpr4
	v_and_b32_e32 v5, 0x7fffffff, v3
	v_cmp_gt_u32_e32 vcc, s2, v5
	s_and_saveexec_b64 s[2:3], vcc
	s_xor_b64 s[2:3], exec, s[2:3]
	s_cbranch_execz .LBB190_2923
; %bb.2918:
	s_mov_b32 s8, 0x3c7fffff
	v_cmp_lt_u32_e32 vcc, s8, v5
                                        ; implicit-def: $vgpr4
	s_and_saveexec_b64 s[8:9], vcc
	s_xor_b64 s[8:9], exec, s[8:9]
; %bb.2919:
	v_bfe_u32 v4, v3, 20, 1
	s_mov_b32 s10, 0x407ffff
	v_add3_u32 v4, v3, v4, s10
	v_lshrrev_b32_e32 v5, 20, v4
	v_and_b32_e32 v4, 0xff00000, v4
	s_mov_b32 s10, 0x7f00000
	v_mov_b32_e32 v6, 0x7e
	v_cmp_ne_u32_e32 vcc, s10, v4
	v_cndmask_b32_e32 v4, v6, v5, vcc
; %bb.2920:
	s_andn2_saveexec_b64 s[8:9], s[8:9]
; %bb.2921:
	s_mov_b32 s10, 0x46800000
	v_add_f32_e64 v4, |v3|, s10
; %bb.2922:
	s_or_b64 exec, exec, s[8:9]
                                        ; implicit-def: $vgpr5
.LBB190_2923:
	s_andn2_saveexec_b64 s[2:3], s[2:3]
; %bb.2924:
	s_mov_b32 s8, 0x7f800000
	v_mov_b32_e32 v4, 0x7e
	v_mov_b32_e32 v6, 0x7f
	v_cmp_lt_u32_e32 vcc, s8, v5
	v_cndmask_b32_e32 v4, v4, v6, vcc
; %bb.2925:
	s_or_b64 exec, exec, s[2:3]
	v_lshrrev_b32_e32 v3, 24, v3
	s_movk_i32 s2, 0x80
	v_and_or_b32 v3, v3, s2, v4
	global_store_byte v[0:1], v3, off
.LBB190_2926:
	s_mov_b64 s[2:3], 0
.LBB190_2927:
	s_andn2_b64 vcc, exec, s[2:3]
	s_cbranch_vccnz .LBB190_2937
; %bb.2928:
	v_cvt_f32_i32_e32 v3, v2
	s_mov_b32 s2, 0x47800000
                                        ; implicit-def: $vgpr4
	v_and_b32_e32 v5, 0x7fffffff, v3
	v_cmp_gt_u32_e32 vcc, s2, v5
	s_and_saveexec_b64 s[2:3], vcc
	s_xor_b64 s[2:3], exec, s[2:3]
	s_cbranch_execz .LBB190_2934
; %bb.2929:
	s_mov_b32 s8, 0x387fffff
	v_cmp_lt_u32_e32 vcc, s8, v5
                                        ; implicit-def: $vgpr4
	s_and_saveexec_b64 s[8:9], vcc
	s_xor_b64 s[8:9], exec, s[8:9]
; %bb.2930:
	v_bfe_u32 v4, v3, 21, 1
	s_mov_b32 s10, 0x80fffff
	v_add3_u32 v4, v3, v4, s10
	v_lshrrev_b32_e32 v4, 21, v4
; %bb.2931:
	s_andn2_saveexec_b64 s[8:9], s[8:9]
; %bb.2932:
	s_mov_b32 s10, 0x43000000
	v_add_f32_e64 v4, |v3|, s10
; %bb.2933:
	s_or_b64 exec, exec, s[8:9]
                                        ; implicit-def: $vgpr5
.LBB190_2934:
	s_andn2_saveexec_b64 s[2:3], s[2:3]
; %bb.2935:
	s_mov_b32 s8, 0x7f800000
	v_mov_b32_e32 v4, 0x7c
	v_mov_b32_e32 v6, 0x7f
	v_cmp_lt_u32_e32 vcc, s8, v5
	v_cndmask_b32_e32 v4, v4, v6, vcc
; %bb.2936:
	s_or_b64 exec, exec, s[2:3]
	v_lshrrev_b32_e32 v3, 24, v3
	s_movk_i32 s2, 0x80
	v_and_or_b32 v3, v3, s2, v4
	global_store_byte v[0:1], v3, off
.LBB190_2937:
	s_mov_b64 s[2:3], 0
.LBB190_2938:
	s_andn2_b64 vcc, exec, s[2:3]
	s_mov_b64 s[2:3], 0
	s_cbranch_vccnz .LBB190_2945
; %bb.2939:
	s_cmp_gt_i32 s14, 14
	s_mov_b64 s[8:9], -1
	s_cbranch_scc0 .LBB190_2943
; %bb.2940:
	s_cmp_eq_u32 s14, 15
	s_mov_b64 s[0:1], -1
	s_cbranch_scc0 .LBB190_2942
; %bb.2941:
	v_cvt_f32_i32_e32 v3, v2
	s_movk_i32 s0, 0x7fff
	v_bfe_u32 v4, v3, 16, 1
	v_add3_u32 v3, v3, v4, s0
	global_store_short_d16_hi v[0:1], v3, off
	s_mov_b64 s[0:1], 0
.LBB190_2942:
	s_mov_b64 s[8:9], 0
.LBB190_2943:
	s_and_b64 vcc, exec, s[8:9]
	s_cbranch_vccz .LBB190_2945
; %bb.2944:
	s_cmp_lg_u32 s14, 11
	s_mov_b64 s[2:3], -1
	s_cselect_b64 s[0:1], -1, 0
.LBB190_2945:
	s_and_b64 vcc, exec, s[0:1]
	s_cbranch_vccnz .LBB190_3011
.LBB190_2946:
	s_mov_b64 s[0:1], 0
	s_branch .LBB190_2948
.LBB190_2947:
	s_mov_b64 s[0:1], 0
	s_mov_b64 s[2:3], 0
                                        ; implicit-def: $sgpr20
                                        ; implicit-def: $vgpr0_vgpr1
                                        ; implicit-def: $vgpr2
.LBB190_2948:
	s_and_b64 s[16:17], s[2:3], exec
	s_andn2_b64 s[2:3], s[6:7], exec
	s_and_b64 s[6:7], s[18:19], exec
	s_and_b64 s[0:1], s[0:1], exec
	s_or_b64 s[6:7], s[2:3], s[6:7]
.LBB190_2949:
	s_or_b64 exec, exec, s[4:5]
	s_and_saveexec_b64 s[2:3], s[6:7]
	s_cbranch_execz .LBB190_2952
; %bb.2950:
	; divergent unreachable
	s_or_b64 exec, exec, s[2:3]
	s_and_saveexec_b64 s[2:3], s[16:17]
	s_xor_b64 s[2:3], exec, s[2:3]
	s_cbranch_execnz .LBB190_2953
.LBB190_2951:
	s_or_b64 exec, exec, s[2:3]
	s_and_saveexec_b64 s[2:3], s[0:1]
	s_cbranch_execnz .LBB190_2954
	s_branch .LBB190_2991
.LBB190_2952:
	s_or_b64 exec, exec, s[2:3]
	s_and_saveexec_b64 s[2:3], s[16:17]
	s_xor_b64 s[2:3], exec, s[2:3]
	s_cbranch_execz .LBB190_2951
.LBB190_2953:
	s_waitcnt vmcnt(0)
	v_cmp_ne_u32_e32 vcc, 0, v2
	v_cndmask_b32_e64 v3, 0, 1, vcc
	global_store_byte v[0:1], v3, off
	s_or_b64 exec, exec, s[2:3]
	s_and_saveexec_b64 s[2:3], s[0:1]
	s_cbranch_execz .LBB190_2991
.LBB190_2954:
	s_sext_i32_i16 s2, s20
	s_cmp_lt_i32 s2, 5
	s_mov_b64 s[0:1], -1
	s_cbranch_scc1 .LBB190_2975
; %bb.2955:
	s_cmp_lt_i32 s2, 8
	s_cbranch_scc1 .LBB190_2965
; %bb.2956:
	s_cmp_lt_i32 s2, 9
	s_cbranch_scc1 .LBB190_2962
; %bb.2957:
	s_cmp_gt_i32 s2, 9
	s_cbranch_scc0 .LBB190_2959
; %bb.2958:
	s_waitcnt vmcnt(0)
	v_cvt_f64_i32_e32 v[3:4], v2
	v_mov_b32_e32 v5, 0
	v_mov_b32_e32 v6, v5
	s_mov_b64 s[0:1], 0
	global_store_dwordx4 v[0:1], v[3:6], off
.LBB190_2959:
	s_andn2_b64 vcc, exec, s[0:1]
	s_cbranch_vccnz .LBB190_2961
; %bb.2960:
	s_waitcnt vmcnt(0)
	v_cvt_f32_i32_e32 v3, v2
	v_mov_b32_e32 v4, 0
	global_store_dwordx2 v[0:1], v[3:4], off
.LBB190_2961:
	s_mov_b64 s[0:1], 0
.LBB190_2962:
	s_andn2_b64 vcc, exec, s[0:1]
	s_cbranch_vccnz .LBB190_2964
; %bb.2963:
	s_waitcnt vmcnt(0)
	v_cvt_f32_i32_e32 v3, v2
	v_cvt_f16_f32_e32 v3, v3
	global_store_dword v[0:1], v3, off
.LBB190_2964:
	s_mov_b64 s[0:1], 0
.LBB190_2965:
	s_andn2_b64 vcc, exec, s[0:1]
	s_cbranch_vccnz .LBB190_2974
; %bb.2966:
	s_sext_i32_i16 s2, s20
	s_cmp_lt_i32 s2, 6
	s_mov_b64 s[0:1], -1
	s_cbranch_scc1 .LBB190_2972
; %bb.2967:
	s_cmp_gt_i32 s2, 6
	s_cbranch_scc0 .LBB190_2969
; %bb.2968:
	s_waitcnt vmcnt(0)
	v_cvt_f64_i32_e32 v[3:4], v2
	s_mov_b64 s[0:1], 0
	global_store_dwordx2 v[0:1], v[3:4], off
.LBB190_2969:
	s_andn2_b64 vcc, exec, s[0:1]
	s_cbranch_vccnz .LBB190_2971
; %bb.2970:
	s_waitcnt vmcnt(0)
	v_cvt_f32_i32_e32 v3, v2
	global_store_dword v[0:1], v3, off
.LBB190_2971:
	s_mov_b64 s[0:1], 0
.LBB190_2972:
	s_andn2_b64 vcc, exec, s[0:1]
	s_cbranch_vccnz .LBB190_2974
; %bb.2973:
	s_waitcnt vmcnt(0)
	v_cvt_f32_i32_e32 v3, v2
	v_cvt_f16_f32_e32 v3, v3
	global_store_short v[0:1], v3, off
.LBB190_2974:
	s_mov_b64 s[0:1], 0
.LBB190_2975:
	s_andn2_b64 vcc, exec, s[0:1]
	s_cbranch_vccnz .LBB190_2991
; %bb.2976:
	s_sext_i32_i16 s2, s20
	s_cmp_lt_i32 s2, 2
	s_mov_b64 s[0:1], -1
	s_cbranch_scc1 .LBB190_2986
; %bb.2977:
	s_cmp_lt_i32 s2, 3
	s_cbranch_scc1 .LBB190_2983
; %bb.2978:
	s_cmp_gt_i32 s2, 3
	s_cbranch_scc0 .LBB190_2980
; %bb.2979:
	s_waitcnt vmcnt(0)
	v_ashrrev_i32_e32 v3, 31, v2
	global_store_dwordx2 v[0:1], v[2:3], off
	s_mov_b64 s[0:1], 0
.LBB190_2980:
	s_andn2_b64 vcc, exec, s[0:1]
	s_cbranch_vccnz .LBB190_2982
; %bb.2981:
	s_waitcnt vmcnt(0)
	global_store_dword v[0:1], v2, off
.LBB190_2982:
	s_mov_b64 s[0:1], 0
.LBB190_2983:
	s_andn2_b64 vcc, exec, s[0:1]
	s_cbranch_vccnz .LBB190_2985
; %bb.2984:
	s_waitcnt vmcnt(0)
	global_store_short v[0:1], v2, off
.LBB190_2985:
	s_mov_b64 s[0:1], 0
.LBB190_2986:
	s_andn2_b64 vcc, exec, s[0:1]
	s_cbranch_vccnz .LBB190_2991
; %bb.2987:
	s_sext_i32_i16 s0, s20
	s_cmp_gt_i32 s0, 0
	s_mov_b64 s[0:1], -1
	s_cbranch_scc0 .LBB190_2989
; %bb.2988:
	s_waitcnt vmcnt(0)
	global_store_byte v[0:1], v2, off
	s_mov_b64 s[0:1], 0
.LBB190_2989:
	s_andn2_b64 vcc, exec, s[0:1]
	s_cbranch_vccnz .LBB190_2991
; %bb.2990:
	s_waitcnt vmcnt(0)
	global_store_byte v[0:1], v2, off
	s_endpgm
.LBB190_2991:
	s_endpgm
.LBB190_2992:
	s_mov_b64 s[2:3], 0
	s_mov_b64 s[0:1], -1
	s_branch .LBB190_2948
.LBB190_2993:
	s_trap 2
	s_or_b64 s[18:19], s[18:19], exec
	s_cbranch_execz .LBB190_2462
	s_branch .LBB190_2463
.LBB190_2994:
	s_andn2_saveexec_b64 s[16:17], s[16:17]
	s_cbranch_execz .LBB190_2542
.LBB190_2995:
	s_mov_b32 s21, 0x46000000
	v_add_f32_e64 v11, |v1|, s21
	v_and_b32_e32 v11, 0xff, v11
	v_cmp_ne_u32_e32 vcc, 0, v11
	s_andn2_b64 s[14:15], s[14:15], exec
	s_and_b64 s[22:23], vcc, exec
	s_or_b64 s[14:15], s[14:15], s[22:23]
	s_or_b64 exec, exec, s[16:17]
	v_mov_b32_e32 v12, 0
	s_and_saveexec_b64 s[16:17], s[14:15]
	s_cbranch_execnz .LBB190_2543
	s_branch .LBB190_2544
.LBB190_2996:
	s_trap 2
	s_or_b64 s[18:19], s[18:19], exec
	s_cbranch_execz .LBB190_2590
	s_branch .LBB190_2591
.LBB190_2997:
	s_andn2_saveexec_b64 s[14:15], s[14:15]
	s_cbranch_execz .LBB190_2555
.LBB190_2998:
	s_mov_b32 s16, 0x42800000
	v_add_f32_e64 v11, |v1|, s16
	v_and_b32_e32 v11, 0xff, v11
	v_cmp_ne_u32_e32 vcc, 0, v11
	s_andn2_b64 s[10:11], s[10:11], exec
	s_and_b64 s[16:17], vcc, exec
	s_or_b64 s[10:11], s[10:11], s[16:17]
	s_or_b64 exec, exec, s[14:15]
	v_mov_b32_e32 v12, 0
	s_and_saveexec_b64 s[14:15], s[10:11]
	s_cbranch_execnz .LBB190_2556
	s_branch .LBB190_2557
.LBB190_2999:
	s_andn2_saveexec_b64 s[14:15], s[14:15]
	s_cbranch_execz .LBB190_2661
.LBB190_3000:
	s_mov_b32 s21, 0x46000000
	v_add_f32_e64 v5, |v1|, s21
	v_and_b32_e32 v5, 0xff, v5
	v_cmp_ne_u32_e32 vcc, 0, v5
	s_andn2_b64 s[12:13], s[12:13], exec
	s_and_b64 s[22:23], vcc, exec
	s_or_b64 s[12:13], s[12:13], s[22:23]
	s_or_b64 exec, exec, s[14:15]
	v_mov_b32_e32 v7, 0
	s_and_saveexec_b64 s[14:15], s[12:13]
	s_cbranch_execnz .LBB190_2662
	s_branch .LBB190_2663
.LBB190_3001:
	s_trap 2
	s_or_b64 s[18:19], s[18:19], exec
	s_cbranch_execz .LBB190_2709
	s_branch .LBB190_2710
.LBB190_3002:
	s_andn2_saveexec_b64 s[12:13], s[12:13]
	s_cbranch_execz .LBB190_2674
.LBB190_3003:
	s_mov_b32 s14, 0x42800000
	v_add_f32_e64 v5, |v1|, s14
	v_and_b32_e32 v5, 0xff, v5
	v_cmp_ne_u32_e32 vcc, 0, v5
	s_andn2_b64 s[10:11], s[10:11], exec
	s_and_b64 s[14:15], vcc, exec
	s_or_b64 s[10:11], s[10:11], s[14:15]
	s_or_b64 exec, exec, s[12:13]
	v_mov_b32_e32 v7, 0
	s_and_saveexec_b64 s[12:13], s[10:11]
	s_cbranch_execnz .LBB190_2675
	s_branch .LBB190_2676
.LBB190_3004:
	s_andn2_saveexec_b64 s[14:15], s[14:15]
	s_cbranch_execz .LBB190_2780
.LBB190_3005:
	s_mov_b32 s21, 0x46000000
	v_add_f32_e64 v5, |v1|, s21
	v_and_b32_e32 v5, 0xff, v5
	v_cmp_ne_u32_e32 vcc, 0, v5
	s_andn2_b64 s[12:13], s[12:13], exec
	s_and_b64 s[22:23], vcc, exec
	s_or_b64 s[12:13], s[12:13], s[22:23]
	s_or_b64 exec, exec, s[14:15]
	v_mov_b32_e32 v6, 0
	s_and_saveexec_b64 s[14:15], s[12:13]
	s_cbranch_execnz .LBB190_2781
	s_branch .LBB190_2782
.LBB190_3006:
	s_trap 2
	s_or_b64 s[18:19], s[18:19], exec
	s_cbranch_execz .LBB190_2828
	s_branch .LBB190_2829
.LBB190_3007:
	s_andn2_saveexec_b64 s[12:13], s[12:13]
	s_cbranch_execz .LBB190_2793
.LBB190_3008:
	s_mov_b32 s14, 0x42800000
	v_add_f32_e64 v5, |v1|, s14
	v_and_b32_e32 v5, 0xff, v5
	v_cmp_ne_u32_e32 vcc, 0, v5
	s_andn2_b64 s[10:11], s[10:11], exec
	s_and_b64 s[14:15], vcc, exec
	s_or_b64 s[10:11], s[10:11], s[14:15]
	s_or_b64 exec, exec, s[12:13]
	v_mov_b32_e32 v6, 0
	s_and_saveexec_b64 s[12:13], s[10:11]
	s_cbranch_execnz .LBB190_2794
	s_branch .LBB190_2795
.LBB190_3009:
	s_andn2_saveexec_b64 s[12:13], s[12:13]
	s_cbranch_execz .LBB190_2900
.LBB190_3010:
	s_mov_b32 s15, 0x46000000
	v_add_f32_e64 v4, |v3|, s15
	v_and_b32_e32 v4, 0xff, v4
	v_cmp_ne_u32_e32 vcc, 0, v4
	s_andn2_b64 s[10:11], s[10:11], exec
	s_and_b64 s[16:17], vcc, exec
	s_or_b64 s[10:11], s[10:11], s[16:17]
	s_or_b64 exec, exec, s[12:13]
	v_mov_b32_e32 v5, 0
	s_and_saveexec_b64 s[12:13], s[10:11]
	s_cbranch_execnz .LBB190_2901
	s_branch .LBB190_2902
.LBB190_3011:
	s_mov_b64 s[2:3], 0
	s_or_b64 s[18:19], s[18:19], exec
	s_trap 2
	s_branch .LBB190_2946
.LBB190_3012:
	s_andn2_saveexec_b64 s[10:11], s[10:11]
	s_cbranch_execz .LBB190_2912
.LBB190_3013:
	s_mov_b32 s12, 0x42800000
	v_add_f32_e64 v4, |v3|, s12
	v_and_b32_e32 v4, 0xff, v4
	v_cmp_ne_u32_e32 vcc, 0, v4
	s_andn2_b64 s[8:9], s[8:9], exec
	s_and_b64 s[12:13], vcc, exec
	s_or_b64 s[8:9], s[8:9], s[12:13]
	s_or_b64 exec, exec, s[10:11]
	v_mov_b32_e32 v5, 0
	s_and_saveexec_b64 s[10:11], s[8:9]
	s_cbranch_execnz .LBB190_2913
	s_branch .LBB190_2914
	.section	.rodata,"a",@progbits
	.p2align	6, 0x0
	.amdhsa_kernel _ZN2at6native32elementwise_kernel_manual_unrollILi128ELi4EZNS0_15gpu_kernel_implINS0_13BinaryFunctorIiiiZZZNS0_18rshift_kernel_cudaERNS_18TensorIteratorBaseEENKUlvE_clEvENKUlvE1_clEvEUliiE_EEEEvS5_RKT_EUlibE_EEviT1_
		.amdhsa_group_segment_fixed_size 0
		.amdhsa_private_segment_fixed_size 0
		.amdhsa_kernarg_size 48
		.amdhsa_user_sgpr_count 6
		.amdhsa_user_sgpr_private_segment_buffer 1
		.amdhsa_user_sgpr_dispatch_ptr 0
		.amdhsa_user_sgpr_queue_ptr 0
		.amdhsa_user_sgpr_kernarg_segment_ptr 1
		.amdhsa_user_sgpr_dispatch_id 0
		.amdhsa_user_sgpr_flat_scratch_init 0
		.amdhsa_user_sgpr_private_segment_size 0
		.amdhsa_uses_dynamic_stack 0
		.amdhsa_system_sgpr_private_segment_wavefront_offset 0
		.amdhsa_system_sgpr_workgroup_id_x 1
		.amdhsa_system_sgpr_workgroup_id_y 0
		.amdhsa_system_sgpr_workgroup_id_z 0
		.amdhsa_system_sgpr_workgroup_info 0
		.amdhsa_system_vgpr_workitem_id 0
		.amdhsa_next_free_vgpr 16
		.amdhsa_next_free_sgpr 56
		.amdhsa_reserve_vcc 1
		.amdhsa_reserve_flat_scratch 0
		.amdhsa_float_round_mode_32 0
		.amdhsa_float_round_mode_16_64 0
		.amdhsa_float_denorm_mode_32 3
		.amdhsa_float_denorm_mode_16_64 3
		.amdhsa_dx10_clamp 1
		.amdhsa_ieee_mode 1
		.amdhsa_fp16_overflow 0
		.amdhsa_exception_fp_ieee_invalid_op 0
		.amdhsa_exception_fp_denorm_src 0
		.amdhsa_exception_fp_ieee_div_zero 0
		.amdhsa_exception_fp_ieee_overflow 0
		.amdhsa_exception_fp_ieee_underflow 0
		.amdhsa_exception_fp_ieee_inexact 0
		.amdhsa_exception_int_div_zero 0
	.end_amdhsa_kernel
	.section	.text._ZN2at6native32elementwise_kernel_manual_unrollILi128ELi4EZNS0_15gpu_kernel_implINS0_13BinaryFunctorIiiiZZZNS0_18rshift_kernel_cudaERNS_18TensorIteratorBaseEENKUlvE_clEvENKUlvE1_clEvEUliiE_EEEEvS5_RKT_EUlibE_EEviT1_,"axG",@progbits,_ZN2at6native32elementwise_kernel_manual_unrollILi128ELi4EZNS0_15gpu_kernel_implINS0_13BinaryFunctorIiiiZZZNS0_18rshift_kernel_cudaERNS_18TensorIteratorBaseEENKUlvE_clEvENKUlvE1_clEvEUliiE_EEEEvS5_RKT_EUlibE_EEviT1_,comdat
.Lfunc_end190:
	.size	_ZN2at6native32elementwise_kernel_manual_unrollILi128ELi4EZNS0_15gpu_kernel_implINS0_13BinaryFunctorIiiiZZZNS0_18rshift_kernel_cudaERNS_18TensorIteratorBaseEENKUlvE_clEvENKUlvE1_clEvEUliiE_EEEEvS5_RKT_EUlibE_EEviT1_, .Lfunc_end190-_ZN2at6native32elementwise_kernel_manual_unrollILi128ELi4EZNS0_15gpu_kernel_implINS0_13BinaryFunctorIiiiZZZNS0_18rshift_kernel_cudaERNS_18TensorIteratorBaseEENKUlvE_clEvENKUlvE1_clEvEUliiE_EEEEvS5_RKT_EUlibE_EEviT1_
                                        ; -- End function
	.set _ZN2at6native32elementwise_kernel_manual_unrollILi128ELi4EZNS0_15gpu_kernel_implINS0_13BinaryFunctorIiiiZZZNS0_18rshift_kernel_cudaERNS_18TensorIteratorBaseEENKUlvE_clEvENKUlvE1_clEvEUliiE_EEEEvS5_RKT_EUlibE_EEviT1_.num_vgpr, 16
	.set _ZN2at6native32elementwise_kernel_manual_unrollILi128ELi4EZNS0_15gpu_kernel_implINS0_13BinaryFunctorIiiiZZZNS0_18rshift_kernel_cudaERNS_18TensorIteratorBaseEENKUlvE_clEvENKUlvE1_clEvEUliiE_EEEEvS5_RKT_EUlibE_EEviT1_.num_agpr, 0
	.set _ZN2at6native32elementwise_kernel_manual_unrollILi128ELi4EZNS0_15gpu_kernel_implINS0_13BinaryFunctorIiiiZZZNS0_18rshift_kernel_cudaERNS_18TensorIteratorBaseEENKUlvE_clEvENKUlvE1_clEvEUliiE_EEEEvS5_RKT_EUlibE_EEviT1_.numbered_sgpr, 56
	.set _ZN2at6native32elementwise_kernel_manual_unrollILi128ELi4EZNS0_15gpu_kernel_implINS0_13BinaryFunctorIiiiZZZNS0_18rshift_kernel_cudaERNS_18TensorIteratorBaseEENKUlvE_clEvENKUlvE1_clEvEUliiE_EEEEvS5_RKT_EUlibE_EEviT1_.num_named_barrier, 0
	.set _ZN2at6native32elementwise_kernel_manual_unrollILi128ELi4EZNS0_15gpu_kernel_implINS0_13BinaryFunctorIiiiZZZNS0_18rshift_kernel_cudaERNS_18TensorIteratorBaseEENKUlvE_clEvENKUlvE1_clEvEUliiE_EEEEvS5_RKT_EUlibE_EEviT1_.private_seg_size, 0
	.set _ZN2at6native32elementwise_kernel_manual_unrollILi128ELi4EZNS0_15gpu_kernel_implINS0_13BinaryFunctorIiiiZZZNS0_18rshift_kernel_cudaERNS_18TensorIteratorBaseEENKUlvE_clEvENKUlvE1_clEvEUliiE_EEEEvS5_RKT_EUlibE_EEviT1_.uses_vcc, 1
	.set _ZN2at6native32elementwise_kernel_manual_unrollILi128ELi4EZNS0_15gpu_kernel_implINS0_13BinaryFunctorIiiiZZZNS0_18rshift_kernel_cudaERNS_18TensorIteratorBaseEENKUlvE_clEvENKUlvE1_clEvEUliiE_EEEEvS5_RKT_EUlibE_EEviT1_.uses_flat_scratch, 0
	.set _ZN2at6native32elementwise_kernel_manual_unrollILi128ELi4EZNS0_15gpu_kernel_implINS0_13BinaryFunctorIiiiZZZNS0_18rshift_kernel_cudaERNS_18TensorIteratorBaseEENKUlvE_clEvENKUlvE1_clEvEUliiE_EEEEvS5_RKT_EUlibE_EEviT1_.has_dyn_sized_stack, 0
	.set _ZN2at6native32elementwise_kernel_manual_unrollILi128ELi4EZNS0_15gpu_kernel_implINS0_13BinaryFunctorIiiiZZZNS0_18rshift_kernel_cudaERNS_18TensorIteratorBaseEENKUlvE_clEvENKUlvE1_clEvEUliiE_EEEEvS5_RKT_EUlibE_EEviT1_.has_recursion, 0
	.set _ZN2at6native32elementwise_kernel_manual_unrollILi128ELi4EZNS0_15gpu_kernel_implINS0_13BinaryFunctorIiiiZZZNS0_18rshift_kernel_cudaERNS_18TensorIteratorBaseEENKUlvE_clEvENKUlvE1_clEvEUliiE_EEEEvS5_RKT_EUlibE_EEviT1_.has_indirect_call, 0
	.section	.AMDGPU.csdata,"",@progbits
; Kernel info:
; codeLenInByte = 43576
; TotalNumSgprs: 60
; NumVgprs: 16
; ScratchSize: 0
; MemoryBound: 1
; FloatMode: 240
; IeeeMode: 1
; LDSByteSize: 0 bytes/workgroup (compile time only)
; SGPRBlocks: 7
; VGPRBlocks: 3
; NumSGPRsForWavesPerEU: 60
; NumVGPRsForWavesPerEU: 16
; Occupancy: 10
; WaveLimiterHint : 0
; COMPUTE_PGM_RSRC2:SCRATCH_EN: 0
; COMPUTE_PGM_RSRC2:USER_SGPR: 6
; COMPUTE_PGM_RSRC2:TRAP_HANDLER: 0
; COMPUTE_PGM_RSRC2:TGID_X_EN: 1
; COMPUTE_PGM_RSRC2:TGID_Y_EN: 0
; COMPUTE_PGM_RSRC2:TGID_Z_EN: 0
; COMPUTE_PGM_RSRC2:TIDIG_COMP_CNT: 0
	.section	.text._ZN2at6native32elementwise_kernel_manual_unrollILi128ELi4EZNS0_15gpu_kernel_implINS0_13BinaryFunctorIiiiZZZNS0_18rshift_kernel_cudaERNS_18TensorIteratorBaseEENKUlvE_clEvENKUlvE1_clEvEUliiE_EEEEvS5_RKT_EUlibE0_EEviT1_,"axG",@progbits,_ZN2at6native32elementwise_kernel_manual_unrollILi128ELi4EZNS0_15gpu_kernel_implINS0_13BinaryFunctorIiiiZZZNS0_18rshift_kernel_cudaERNS_18TensorIteratorBaseEENKUlvE_clEvENKUlvE1_clEvEUliiE_EEEEvS5_RKT_EUlibE0_EEviT1_,comdat
	.globl	_ZN2at6native32elementwise_kernel_manual_unrollILi128ELi4EZNS0_15gpu_kernel_implINS0_13BinaryFunctorIiiiZZZNS0_18rshift_kernel_cudaERNS_18TensorIteratorBaseEENKUlvE_clEvENKUlvE1_clEvEUliiE_EEEEvS5_RKT_EUlibE0_EEviT1_ ; -- Begin function _ZN2at6native32elementwise_kernel_manual_unrollILi128ELi4EZNS0_15gpu_kernel_implINS0_13BinaryFunctorIiiiZZZNS0_18rshift_kernel_cudaERNS_18TensorIteratorBaseEENKUlvE_clEvENKUlvE1_clEvEUliiE_EEEEvS5_RKT_EUlibE0_EEviT1_
	.p2align	8
	.type	_ZN2at6native32elementwise_kernel_manual_unrollILi128ELi4EZNS0_15gpu_kernel_implINS0_13BinaryFunctorIiiiZZZNS0_18rshift_kernel_cudaERNS_18TensorIteratorBaseEENKUlvE_clEvENKUlvE1_clEvEUliiE_EEEEvS5_RKT_EUlibE0_EEviT1_,@function
_ZN2at6native32elementwise_kernel_manual_unrollILi128ELi4EZNS0_15gpu_kernel_implINS0_13BinaryFunctorIiiiZZZNS0_18rshift_kernel_cudaERNS_18TensorIteratorBaseEENKUlvE_clEvENKUlvE1_clEvEUliiE_EEEEvS5_RKT_EUlibE0_EEviT1_: ; @_ZN2at6native32elementwise_kernel_manual_unrollILi128ELi4EZNS0_15gpu_kernel_implINS0_13BinaryFunctorIiiiZZZNS0_18rshift_kernel_cudaERNS_18TensorIteratorBaseEENKUlvE_clEvENKUlvE1_clEvEUliiE_EEEEvS5_RKT_EUlibE0_EEviT1_
; %bb.0:
	s_load_dword s66, s[4:5], 0x0
	s_load_dword s33, s[4:5], 0x8
	s_add_u32 s2, s4, 8
	s_addc_u32 s3, s5, 0
	v_lshl_or_b32 v8, s6, 9, v0
	v_or_b32_e32 v23, 0x180, v8
	s_waitcnt lgkmcnt(0)
	s_add_i32 s68, s33, -1
	s_cmp_gt_u32 s68, 1
	v_cmp_le_i32_e32 vcc, s66, v23
	s_cselect_b64 s[20:21], -1, 0
	s_mov_b64 s[6:7], 0
	s_mov_b64 s[12:13], 0
	s_and_saveexec_b64 s[0:1], vcc
	s_xor_b64 s[22:23], exec, s[0:1]
	s_cbranch_execz .LBB191_1557
; %bb.1:
	v_mov_b32_e32 v0, 0
	global_load_ushort v1, v0, s[2:3] offset:417
	global_load_sbyte v2, v0, s[2:3] offset:419
	s_load_dwordx4 s[16:19], s[2:3], 0x4
	s_load_dwordx2 s[28:29], s[2:3], 0x14
	s_load_dwordx4 s[12:15], s[2:3], 0xc4
	s_load_dwordx2 s[26:27], s[2:3], 0xd4
	s_load_dwordx2 s[24:25], s[2:3], 0x198
	s_load_dwordx4 s[8:11], s[2:3], 0x188
	s_cmp_lg_u32 s33, 0
	s_cselect_b64 s[34:35], -1, 0
	s_min_u32 s72, s68, 15
	s_cmp_gt_u32 s33, 1
	v_cmp_gt_i32_e32 vcc, s66, v8
	s_mov_b64 s[0:1], -1
	s_mov_b64 s[46:47], 0
	s_mov_b64 s[40:41], 0
	;; [unrolled: 1-line block ×3, first 2 shown]
	s_cselect_b64 s[30:31], -1, 0
	s_mov_b64 s[36:37], 0
	s_waitcnt vmcnt(1)
	v_readfirstlane_b32 s69, v1
	s_waitcnt vmcnt(0)
	v_readfirstlane_b32 s70, v2
	s_lshr_b32 s71, s69, 8
	s_and_saveexec_b64 s[42:43], vcc
	s_cbranch_execz .LBB191_386
; %bb.2:
	s_andn2_b64 vcc, exec, s[20:21]
	s_cbranch_vccnz .LBB191_8
; %bb.3:
	s_andn2_b64 vcc, exec, s[34:35]
	s_cbranch_vccnz .LBB191_9
; %bb.4:
	s_add_i32 s0, s72, 1
	s_and_b32 s36, s0, 30
	s_add_u32 s0, s2, 0xffffffe8
	s_addc_u32 s1, s3, -1
	v_mov_b32_e32 v2, 0
	v_mov_b32_e32 v4, 0
	;; [unrolled: 1-line block ×4, first 2 shown]
.LBB191_5:                              ; =>This Inner Loop Header: Depth=1
	s_load_dwordx4 s[48:51], s[0:1], 0x1c
	s_load_dwordx2 s[38:39], s[0:1], 0x2c
	s_load_dwordx2 s[40:41], s[0:1], 0xec
	s_load_dwordx4 s[52:55], s[0:1], 0xdc
	s_add_u32 s0, s0, 24
	s_waitcnt lgkmcnt(0)
	v_mul_hi_u32 v3, s49, v1
	s_addc_u32 s1, s1, 0
	s_add_i32 s36, s36, -2
	s_cmp_lg_u32 s36, 0
	v_add_u32_e32 v3, v1, v3
	v_lshrrev_b32_e32 v3, s50, v3
	v_mul_lo_u32 v5, v3, s48
	v_mul_hi_u32 v6, s38, v3
	v_sub_u32_e32 v5, v1, v5
	v_add_u32_e32 v1, v3, v6
	v_lshrrev_b32_e32 v1, s39, v1
	v_mul_lo_u32 v9, v1, s51
	v_mul_lo_u32 v6, v5, s52
	;; [unrolled: 1-line block ×4, first 2 shown]
	v_sub_u32_e32 v3, v3, v9
	v_mul_lo_u32 v9, v3, s55
	v_mul_lo_u32 v10, v3, s40
	v_mul_lo_u32 v3, v3, s41
	v_add3_u32 v0, v6, v0, v9
	v_add3_u32 v4, v7, v4, v10
	;; [unrolled: 1-line block ×3, first 2 shown]
	s_cbranch_scc1 .LBB191_5
; %bb.6:
	s_bitcmp1_b32 s72, 0
	s_cselect_b64 s[36:37], -1, 0
	s_and_b64 vcc, exec, s[36:37]
	s_cbranch_vccnz .LBB191_10
; %bb.7:
	s_load_dwordx2 s[36:37], s[0:1], 0x1c
	s_load_dword s40, s[0:1], 0x24
	s_load_dwordx2 s[38:39], s[0:1], 0xdc
	s_waitcnt lgkmcnt(0)
	v_mul_hi_u32 v3, s37, v1
	v_add_u32_e32 v3, v1, v3
	v_lshrrev_b32_e32 v3, s40, v3
	v_mul_lo_u32 v3, v3, s36
	s_load_dword s36, s[0:1], 0xe4
	v_sub_u32_e32 v3, v1, v3
	v_mad_u64_u32 v[0:1], s[0:1], v3, s38, v[0:1]
	v_mad_u64_u32 v[4:5], s[0:1], v3, s39, v[4:5]
	s_waitcnt lgkmcnt(0)
	v_mad_u64_u32 v[2:3], s[0:1], v3, s36, v[2:3]
	s_cbranch_execz .LBB191_11
	s_branch .LBB191_13
.LBB191_8:
                                        ; implicit-def: $vgpr0
                                        ; implicit-def: $vgpr4
                                        ; implicit-def: $vgpr2
	s_andn2_b64 vcc, exec, s[0:1]
	s_cbranch_vccz .LBB191_11
	s_branch .LBB191_13
.LBB191_9:
	v_mov_b32_e32 v0, 0
	v_mov_b32_e32 v4, 0
	;; [unrolled: 1-line block ×3, first 2 shown]
.LBB191_10:
	s_cbranch_execnz .LBB191_13
.LBB191_11:
	s_waitcnt lgkmcnt(0)
	v_mul_hi_u32 v0, s17, v8
	s_andn2_b64 vcc, exec, s[30:31]
	v_add_u32_e32 v0, v8, v0
	v_lshrrev_b32_e32 v1, s18, v0
	v_mul_lo_u32 v0, v1, s16
	v_sub_u32_e32 v2, v8, v0
	v_mul_lo_u32 v0, v2, s12
	v_mul_lo_u32 v4, v2, s13
	;; [unrolled: 1-line block ×3, first 2 shown]
	s_cbranch_vccnz .LBB191_13
; %bb.12:
	v_mul_hi_u32 v3, s28, v1
	v_add_u32_e32 v3, v1, v3
	v_lshrrev_b32_e32 v3, s29, v3
	v_mul_lo_u32 v3, v3, s19
	v_sub_u32_e32 v3, v1, v3
	v_mad_u64_u32 v[0:1], s[0:1], v3, s15, v[0:1]
	v_mad_u64_u32 v[4:5], s[0:1], v3, s26, v[4:5]
	;; [unrolled: 1-line block ×3, first 2 shown]
.LBB191_13:
	s_waitcnt lgkmcnt(0)
	v_mov_b32_e32 v1, s11
	s_and_b32 s38, s71, 0xff
	v_add_co_u32_e32 v3, vcc, s10, v4
	s_cmp_lt_i32 s38, 11
	v_addc_co_u32_e32 v4, vcc, 0, v1, vcc
	s_cbranch_scc1 .LBB191_20
; %bb.14:
	s_and_b32 s39, 0xffff, s38
	s_cmp_gt_i32 s39, 25
	s_cbranch_scc0 .LBB191_29
; %bb.15:
	s_cmp_gt_i32 s39, 28
	s_cbranch_scc0 .LBB191_39
; %bb.16:
	;; [unrolled: 3-line block ×4, first 2 shown]
	s_cmp_eq_u32 s39, 46
	s_mov_b64 s[36:37], 0
	s_cbranch_scc0 .LBB191_48
; %bb.19:
	global_load_dword v1, v[3:4], off
	s_mov_b64 s[0:1], -1
	s_mov_b64 s[40:41], 0
	s_waitcnt vmcnt(0)
	v_lshlrev_b32_e32 v1, 16, v1
	v_cvt_i32_f32_e32 v5, v1
	s_branch .LBB191_50
.LBB191_20:
	s_mov_b64 s[40:41], 0
                                        ; implicit-def: $vgpr5
	s_mov_b64 s[0:1], 0
	s_cbranch_execnz .LBB191_112
.LBB191_21:
	s_andn2_b64 vcc, exec, s[0:1]
	s_cbranch_vccnz .LBB191_159
.LBB191_22:
	v_mov_b32_e32 v3, s25
	s_and_b32 s44, s70, 0xff
	v_add_co_u32_e32 v1, vcc, s24, v2
	s_cmp_lt_i32 s44, 11
	v_addc_co_u32_e32 v2, vcc, 0, v3, vcc
	s_cbranch_scc1 .LBB191_30
; %bb.23:
	s_and_b32 s45, 0xffff, s44
	s_cmp_gt_i32 s45, 25
	s_cbranch_scc0 .LBB191_40
; %bb.24:
	s_cmp_gt_i32 s45, 28
	s_cbranch_scc0 .LBB191_43
; %bb.25:
	;; [unrolled: 3-line block ×4, first 2 shown]
	s_cmp_eq_u32 s45, 46
	s_mov_b64 s[36:37], 0
	s_cbranch_scc0 .LBB191_160
; %bb.28:
	global_load_dword v3, v[1:2], off
	s_mov_b64 s[0:1], -1
	s_mov_b64 s[38:39], 0
	s_waitcnt vmcnt(0)
	v_lshlrev_b32_e32 v3, 16, v3
	v_cvt_i32_f32_e32 v3, v3
	s_branch .LBB191_162
.LBB191_29:
	s_mov_b64 s[40:41], 0
	s_mov_b64 s[0:1], 0
                                        ; implicit-def: $vgpr5
	s_cbranch_execnz .LBB191_79
	s_branch .LBB191_111
.LBB191_30:
	s_mov_b64 s[38:39], 0
                                        ; implicit-def: $vgpr3
	s_mov_b64 s[0:1], 0
	s_cbranch_execnz .LBB191_335
.LBB191_31:
	s_andn2_b64 vcc, exec, s[0:1]
	s_cbranch_vccnz .LBB191_383
.LBB191_32:
	s_waitcnt vmcnt(0)
	v_min_u32_e32 v1, 31, v3
	v_mov_b32_e32 v2, s9
	s_and_b32 s50, s69, 0xff
	v_add_co_u32_e32 v3, vcc, s8, v0
	v_ashrrev_i32_e32 v1, v1, v5
	s_cmp_lt_i32 s50, 11
	v_addc_co_u32_e32 v4, vcc, 0, v2, vcc
	s_cbranch_scc1 .LBB191_41
; %bb.33:
	s_and_b32 s51, 0xffff, s50
	s_cmp_gt_i32 s51, 25
	s_cbranch_scc0 .LBB191_44
; %bb.34:
	s_cmp_gt_i32 s51, 28
	s_cbranch_scc0 .LBB191_47
; %bb.35:
	;; [unrolled: 3-line block ×4, first 2 shown]
	s_mov_b64 s[44:45], 0
	s_mov_b64 s[0:1], -1
	s_cmp_eq_u32 s51, 46
	s_mov_b64 s[36:37], 0
	s_cbranch_scc0 .LBB191_166
; %bb.38:
	v_cvt_f32_i32_e32 v0, v1
	s_movk_i32 s0, 0x7fff
	s_mov_b64 s[36:37], -1
	v_bfe_u32 v2, v0, 16, 1
	v_add3_u32 v0, v0, v2, s0
	v_lshrrev_b32_e32 v0, 16, v0
	global_store_dword v[3:4], v0, off
	s_mov_b64 s[0:1], 0
	s_branch .LBB191_166
.LBB191_39:
	s_mov_b64 s[36:37], -1
	s_mov_b64 s[40:41], 0
	s_mov_b64 s[0:1], 0
                                        ; implicit-def: $vgpr5
	s_branch .LBB191_62
.LBB191_40:
	s_mov_b64 s[36:37], -1
	s_mov_b64 s[38:39], 0
	s_mov_b64 s[0:1], 0
                                        ; implicit-def: $vgpr3
	s_branch .LBB191_301
.LBB191_41:
	s_mov_b64 s[44:45], -1
	s_mov_b64 s[0:1], 0
	s_mov_b64 s[36:37], 0
	s_branch .LBB191_235
.LBB191_42:
	s_mov_b64 s[36:37], -1
	s_mov_b64 s[40:41], 0
	s_mov_b64 s[0:1], 0
                                        ; implicit-def: $vgpr5
	s_branch .LBB191_57
.LBB191_43:
	s_mov_b64 s[36:37], -1
	s_mov_b64 s[38:39], 0
	s_mov_b64 s[0:1], 0
                                        ; implicit-def: $vgpr3
	s_branch .LBB191_284
.LBB191_44:
	s_mov_b64 s[44:45], -1
	s_mov_b64 s[0:1], 0
	s_mov_b64 s[36:37], 0
	s_branch .LBB191_193
.LBB191_45:
	s_mov_b64 s[36:37], -1
	s_mov_b64 s[40:41], 0
	s_branch .LBB191_49
.LBB191_46:
	s_mov_b64 s[36:37], -1
	s_mov_b64 s[38:39], 0
	s_mov_b64 s[0:1], 0
                                        ; implicit-def: $vgpr3
	s_branch .LBB191_279
.LBB191_47:
	s_mov_b64 s[44:45], -1
	s_mov_b64 s[0:1], 0
	s_mov_b64 s[36:37], 0
	s_branch .LBB191_176
.LBB191_48:
	s_mov_b64 s[40:41], -1
.LBB191_49:
	s_mov_b64 s[0:1], 0
                                        ; implicit-def: $vgpr5
.LBB191_50:
	s_and_b64 vcc, exec, s[36:37]
	s_cbranch_vccz .LBB191_56
; %bb.51:
	s_cmp_eq_u32 s39, 44
	s_cbranch_scc0 .LBB191_55
; %bb.52:
	global_load_ubyte v1, v[3:4], off
	s_mov_b64 s[0:1], -1
	s_mov_b64 s[40:41], 0
	s_waitcnt vmcnt(0)
	v_lshlrev_b32_e32 v5, 23, v1
	v_cvt_i32_f32_e32 v5, v5
	v_cmp_ne_u32_e32 vcc, 0, v1
	v_cndmask_b32_e32 v5, 0, v5, vcc
	s_branch .LBB191_56
.LBB191_53:
	s_mov_b64 s[36:37], -1
	s_mov_b64 s[38:39], 0
	s_branch .LBB191_161
.LBB191_54:
	s_mov_b64 s[44:45], -1
	s_mov_b64 s[0:1], 0
	s_mov_b64 s[36:37], 0
	s_branch .LBB191_172
.LBB191_55:
	s_mov_b64 s[40:41], -1
                                        ; implicit-def: $vgpr5
.LBB191_56:
	s_mov_b64 s[36:37], 0
.LBB191_57:
	s_and_b64 vcc, exec, s[36:37]
	s_cbranch_vccz .LBB191_61
; %bb.58:
	s_cmp_eq_u32 s39, 29
	s_cbranch_scc0 .LBB191_60
; %bb.59:
	global_load_dword v5, v[3:4], off
	s_mov_b64 s[0:1], -1
	s_mov_b64 s[40:41], 0
	s_branch .LBB191_61
.LBB191_60:
	s_mov_b64 s[40:41], -1
                                        ; implicit-def: $vgpr5
.LBB191_61:
	s_mov_b64 s[36:37], 0
.LBB191_62:
	s_and_b64 vcc, exec, s[36:37]
	s_cbranch_vccz .LBB191_78
; %bb.63:
	s_cmp_lt_i32 s39, 27
	s_cbranch_scc1 .LBB191_66
; %bb.64:
	s_cmp_gt_i32 s39, 27
	s_cbranch_scc0 .LBB191_67
; %bb.65:
	global_load_dword v5, v[3:4], off
	s_mov_b64 s[0:1], 0
	s_branch .LBB191_68
.LBB191_66:
	s_mov_b64 s[0:1], -1
                                        ; implicit-def: $vgpr5
	s_branch .LBB191_71
.LBB191_67:
	s_mov_b64 s[0:1], -1
                                        ; implicit-def: $vgpr5
.LBB191_68:
	s_andn2_b64 vcc, exec, s[0:1]
	s_cbranch_vccnz .LBB191_70
; %bb.69:
	global_load_ushort v5, v[3:4], off
.LBB191_70:
	s_mov_b64 s[0:1], 0
.LBB191_71:
	s_andn2_b64 vcc, exec, s[0:1]
	s_cbranch_vccnz .LBB191_77
; %bb.72:
	global_load_ubyte v1, v[3:4], off
	s_movk_i32 s0, 0x7f
	s_mov_b64 s[36:37], 0
	s_waitcnt vmcnt(0)
	v_cmp_lt_i16_e32 vcc, s0, v1
	s_and_saveexec_b64 s[0:1], vcc
	s_xor_b64 s[0:1], exec, s[0:1]
	s_cbranch_execz .LBB191_88
; %bb.73:
	s_movk_i32 s36, 0x80
	v_cmp_ne_u16_e32 vcc, s36, v1
	s_and_b64 s[36:37], vcc, exec
	s_andn2_saveexec_b64 s[0:1], s[0:1]
	s_cbranch_execnz .LBB191_89
.LBB191_74:
	s_or_b64 exec, exec, s[0:1]
	v_mov_b32_e32 v5, 0
	s_and_saveexec_b64 s[0:1], s[36:37]
	s_cbranch_execz .LBB191_76
.LBB191_75:
	v_lshlrev_b32_e32 v5, 24, v1
	v_and_b32_e32 v1, 0xffff, v1
	v_and_b32_e32 v6, 7, v1
	v_ffbh_u32_e32 v9, v6
	v_min_u32_e32 v9, 32, v9
	v_subrev_u32_e32 v10, 28, v9
	v_bfe_u32 v7, v1, 3, 4
	v_lshlrev_b32_e32 v1, v10, v1
	v_sub_u32_e32 v9, 29, v9
	v_and_b32_e32 v1, 7, v1
	v_cmp_eq_u32_e32 vcc, 0, v7
	v_cndmask_b32_e32 v7, v7, v9, vcc
	v_cndmask_b32_e32 v1, v6, v1, vcc
	v_mov_b32_e32 v6, 0x3b800000
	v_lshlrev_b32_e32 v1, 20, v1
	v_and_b32_e32 v5, 0x80000000, v5
	v_lshl_add_u32 v6, v7, 23, v6
	v_or3_b32 v1, v5, v6, v1
	v_cvt_i32_f32_e32 v5, v1
.LBB191_76:
	s_or_b64 exec, exec, s[0:1]
.LBB191_77:
	s_mov_b64 s[0:1], -1
.LBB191_78:
	s_branch .LBB191_111
.LBB191_79:
	s_cmp_gt_i32 s39, 22
	s_cbranch_scc0 .LBB191_87
; %bb.80:
	s_cmp_lt_i32 s39, 24
	s_cbranch_scc1 .LBB191_90
; %bb.81:
	s_cmp_gt_i32 s39, 24
	s_cbranch_scc0 .LBB191_91
; %bb.82:
	global_load_ubyte v1, v[3:4], off
	s_movk_i32 s0, 0x7f
	s_mov_b64 s[36:37], 0
	s_waitcnt vmcnt(0)
	v_cmp_lt_i16_e32 vcc, s0, v1
	s_and_saveexec_b64 s[0:1], vcc
	s_xor_b64 s[0:1], exec, s[0:1]
	s_cbranch_execz .LBB191_103
; %bb.83:
	s_movk_i32 s36, 0x80
	v_cmp_ne_u16_e32 vcc, s36, v1
	s_and_b64 s[36:37], vcc, exec
	s_andn2_saveexec_b64 s[0:1], s[0:1]
	s_cbranch_execnz .LBB191_104
.LBB191_84:
	s_or_b64 exec, exec, s[0:1]
	v_mov_b32_e32 v5, 0
	s_and_saveexec_b64 s[0:1], s[36:37]
	s_cbranch_execz .LBB191_86
.LBB191_85:
	v_lshlrev_b32_e32 v5, 24, v1
	v_and_b32_e32 v1, 0xffff, v1
	v_and_b32_e32 v6, 3, v1
	v_ffbh_u32_e32 v9, v6
	v_min_u32_e32 v9, 32, v9
	v_subrev_u32_e32 v10, 29, v9
	v_bfe_u32 v7, v1, 2, 5
	v_lshlrev_b32_e32 v1, v10, v1
	v_sub_u32_e32 v9, 30, v9
	v_and_b32_e32 v1, 3, v1
	v_cmp_eq_u32_e32 vcc, 0, v7
	v_cndmask_b32_e32 v7, v7, v9, vcc
	v_cndmask_b32_e32 v1, v6, v1, vcc
	v_mov_b32_e32 v6, 0x37800000
	v_lshlrev_b32_e32 v1, 21, v1
	v_and_b32_e32 v5, 0x80000000, v5
	v_lshl_add_u32 v6, v7, 23, v6
	v_or3_b32 v1, v5, v6, v1
	v_cvt_i32_f32_e32 v5, v1
.LBB191_86:
	s_or_b64 exec, exec, s[0:1]
	s_mov_b64 s[0:1], 0
	s_branch .LBB191_92
.LBB191_87:
	s_mov_b64 s[36:37], -1
                                        ; implicit-def: $vgpr5
	s_branch .LBB191_98
.LBB191_88:
	s_andn2_saveexec_b64 s[0:1], s[0:1]
	s_cbranch_execz .LBB191_74
.LBB191_89:
	v_cmp_ne_u16_e32 vcc, 0, v1
	s_andn2_b64 s[36:37], s[36:37], exec
	s_and_b64 s[44:45], vcc, exec
	s_or_b64 s[36:37], s[36:37], s[44:45]
	s_or_b64 exec, exec, s[0:1]
	v_mov_b32_e32 v5, 0
	s_and_saveexec_b64 s[0:1], s[36:37]
	s_cbranch_execnz .LBB191_75
	s_branch .LBB191_76
.LBB191_90:
	s_mov_b64 s[0:1], -1
                                        ; implicit-def: $vgpr5
	s_branch .LBB191_95
.LBB191_91:
	s_mov_b64 s[0:1], -1
                                        ; implicit-def: $vgpr5
.LBB191_92:
	s_and_b64 vcc, exec, s[0:1]
	s_cbranch_vccz .LBB191_94
; %bb.93:
	global_load_ubyte v1, v[3:4], off
	s_mov_b32 s0, 0x7f800000
	s_waitcnt vmcnt(0)
	v_lshlrev_b32_e32 v1, 24, v1
	v_and_b32_e32 v5, 0x7f000000, v1
	v_ffbh_u32_e32 v6, v5
	v_min_u32_e32 v6, 32, v6
	v_sub_u32_e64 v6, v6, 4 clamp
	v_lshlrev_b32_e32 v9, v6, v5
	v_lshlrev_b32_e32 v6, 23, v6
	v_lshrrev_b32_e32 v9, 4, v9
	v_add_u32_e32 v7, 0x1000000, v5
	v_sub_u32_e32 v6, v9, v6
	v_ashrrev_i32_e32 v7, 8, v7
	v_add_u32_e32 v6, 0x3c000000, v6
	v_and_or_b32 v6, v7, s0, v6
	v_cmp_ne_u32_e32 vcc, 0, v5
	v_cndmask_b32_e32 v5, 0, v6, vcc
	s_brev_b32 s0, 1
	v_and_or_b32 v1, v1, s0, v5
	v_cvt_i32_f32_e32 v5, v1
.LBB191_94:
	s_mov_b64 s[0:1], 0
.LBB191_95:
	s_andn2_b64 vcc, exec, s[0:1]
	s_cbranch_vccnz .LBB191_97
; %bb.96:
	global_load_ubyte v1, v[3:4], off
	s_movk_i32 s0, 0x7f00
	s_brev_b32 s1, 16
	s_waitcnt vmcnt(0)
	v_lshlrev_b16_e32 v5, 8, v1
	v_lshlrev_b32_e32 v1, 25, v1
	v_lshrrev_b32_e32 v6, 4, v1
	v_and_or_b32 v7, v5, s0, 0.5
	v_or_b32_e32 v6, 0x70000000, v6
	v_add_f32_e32 v7, -0.5, v7
	v_mul_f32_e32 v6, 0x7800000, v6
	v_cmp_gt_u32_e32 vcc, s1, v1
	v_bfe_i32 v5, v5, 0, 16
	v_cndmask_b32_e32 v1, v6, v7, vcc
	s_brev_b32 s0, 1
	v_and_or_b32 v1, v5, s0, v1
	v_cvt_i32_f32_e32 v5, v1
.LBB191_97:
	s_mov_b64 s[36:37], 0
	s_mov_b64 s[0:1], -1
.LBB191_98:
	s_andn2_b64 vcc, exec, s[36:37]
	s_cbranch_vccnz .LBB191_111
; %bb.99:
	s_cmp_gt_i32 s39, 14
	s_cbranch_scc0 .LBB191_102
; %bb.100:
	s_cmp_eq_u32 s39, 15
	s_cbranch_scc0 .LBB191_105
; %bb.101:
	global_load_ushort v1, v[3:4], off
	s_mov_b64 s[0:1], -1
	s_mov_b64 s[40:41], 0
	s_waitcnt vmcnt(0)
	v_lshlrev_b32_e32 v1, 16, v1
	v_cvt_i32_f32_e32 v5, v1
	s_branch .LBB191_106
.LBB191_102:
	s_mov_b64 s[36:37], -1
                                        ; implicit-def: $vgpr5
	s_branch .LBB191_107
.LBB191_103:
	s_andn2_saveexec_b64 s[0:1], s[0:1]
	s_cbranch_execz .LBB191_84
.LBB191_104:
	v_cmp_ne_u16_e32 vcc, 0, v1
	s_andn2_b64 s[36:37], s[36:37], exec
	s_and_b64 s[44:45], vcc, exec
	s_or_b64 s[36:37], s[36:37], s[44:45]
	s_or_b64 exec, exec, s[0:1]
	v_mov_b32_e32 v5, 0
	s_and_saveexec_b64 s[0:1], s[36:37]
	s_cbranch_execnz .LBB191_85
	s_branch .LBB191_86
.LBB191_105:
	s_mov_b64 s[40:41], -1
                                        ; implicit-def: $vgpr5
.LBB191_106:
	s_mov_b64 s[36:37], 0
.LBB191_107:
	s_and_b64 vcc, exec, s[36:37]
	s_cbranch_vccz .LBB191_111
; %bb.108:
	s_cmp_eq_u32 s39, 11
	s_cbranch_scc0 .LBB191_110
; %bb.109:
	global_load_ubyte v1, v[3:4], off
	s_mov_b64 s[0:1], -1
	s_mov_b64 s[40:41], 0
	s_waitcnt vmcnt(0)
	v_cmp_ne_u16_e32 vcc, 0, v1
	v_cndmask_b32_e64 v5, 0, 1, vcc
	s_branch .LBB191_111
.LBB191_110:
	s_mov_b64 s[40:41], -1
                                        ; implicit-def: $vgpr5
.LBB191_111:
	s_branch .LBB191_21
.LBB191_112:
	s_and_b32 s36, 0xffff, s38
	s_cmp_lt_i32 s36, 5
	s_cbranch_scc1 .LBB191_117
; %bb.113:
	s_cmp_lt_i32 s36, 8
	s_cbranch_scc1 .LBB191_118
; %bb.114:
	;; [unrolled: 3-line block ×3, first 2 shown]
	s_cmp_gt_i32 s36, 9
	s_cbranch_scc0 .LBB191_120
; %bb.116:
	global_load_dwordx2 v[5:6], v[3:4], off
	s_mov_b64 s[0:1], 0
	s_waitcnt vmcnt(0)
	v_cvt_i32_f64_e32 v5, v[5:6]
	s_branch .LBB191_121
.LBB191_117:
                                        ; implicit-def: $vgpr5
	s_branch .LBB191_139
.LBB191_118:
	s_mov_b64 s[0:1], -1
                                        ; implicit-def: $vgpr5
	s_branch .LBB191_127
.LBB191_119:
	s_mov_b64 s[0:1], -1
                                        ; implicit-def: $vgpr5
	s_branch .LBB191_124
.LBB191_120:
	s_mov_b64 s[0:1], -1
                                        ; implicit-def: $vgpr5
.LBB191_121:
	s_andn2_b64 vcc, exec, s[0:1]
	s_cbranch_vccnz .LBB191_123
; %bb.122:
	global_load_dword v1, v[3:4], off
	s_waitcnt vmcnt(0)
	v_cvt_i32_f32_e32 v5, v1
.LBB191_123:
	s_mov_b64 s[0:1], 0
.LBB191_124:
	s_andn2_b64 vcc, exec, s[0:1]
	s_cbranch_vccnz .LBB191_126
; %bb.125:
	global_load_dword v1, v[3:4], off
	s_waitcnt vmcnt(0)
	v_cvt_f32_f16_e32 v1, v1
	v_cvt_i32_f32_e32 v5, v1
.LBB191_126:
	s_mov_b64 s[0:1], 0
.LBB191_127:
	s_andn2_b64 vcc, exec, s[0:1]
	s_cbranch_vccnz .LBB191_138
; %bb.128:
	s_cmp_lt_i32 s36, 6
	s_cbranch_scc1 .LBB191_131
; %bb.129:
	s_cmp_gt_i32 s36, 6
	s_cbranch_scc0 .LBB191_132
; %bb.130:
	global_load_dwordx2 v[5:6], v[3:4], off
	s_mov_b64 s[0:1], 0
	s_waitcnt vmcnt(0)
	v_cvt_i32_f64_e32 v5, v[5:6]
	s_branch .LBB191_133
.LBB191_131:
	s_mov_b64 s[0:1], -1
                                        ; implicit-def: $vgpr5
	s_branch .LBB191_136
.LBB191_132:
	s_mov_b64 s[0:1], -1
                                        ; implicit-def: $vgpr5
.LBB191_133:
	s_andn2_b64 vcc, exec, s[0:1]
	s_cbranch_vccnz .LBB191_135
; %bb.134:
	global_load_dword v1, v[3:4], off
	s_waitcnt vmcnt(0)
	v_cvt_i32_f32_e32 v5, v1
.LBB191_135:
	s_mov_b64 s[0:1], 0
.LBB191_136:
	s_andn2_b64 vcc, exec, s[0:1]
	s_cbranch_vccnz .LBB191_138
; %bb.137:
	global_load_ushort v1, v[3:4], off
	s_waitcnt vmcnt(0)
	v_cvt_f32_f16_e32 v1, v1
	v_cvt_i32_f32_e32 v5, v1
.LBB191_138:
	s_cbranch_execnz .LBB191_158
.LBB191_139:
	s_cmp_lt_i32 s36, 2
	s_cbranch_scc1 .LBB191_143
; %bb.140:
	s_cmp_lt_i32 s36, 3
	s_cbranch_scc1 .LBB191_144
; %bb.141:
	s_cmp_gt_i32 s36, 3
	s_cbranch_scc0 .LBB191_145
; %bb.142:
	global_load_dword v5, v[3:4], off
	s_mov_b64 s[0:1], 0
	s_branch .LBB191_146
.LBB191_143:
	s_mov_b64 s[0:1], -1
                                        ; implicit-def: $vgpr5
	s_branch .LBB191_152
.LBB191_144:
	s_mov_b64 s[0:1], -1
                                        ; implicit-def: $vgpr5
	s_branch .LBB191_149
.LBB191_145:
	s_mov_b64 s[0:1], -1
                                        ; implicit-def: $vgpr5
.LBB191_146:
	s_andn2_b64 vcc, exec, s[0:1]
	s_cbranch_vccnz .LBB191_148
; %bb.147:
	global_load_dword v5, v[3:4], off
.LBB191_148:
	s_mov_b64 s[0:1], 0
.LBB191_149:
	s_andn2_b64 vcc, exec, s[0:1]
	s_cbranch_vccnz .LBB191_151
; %bb.150:
	global_load_sshort v5, v[3:4], off
.LBB191_151:
	s_mov_b64 s[0:1], 0
.LBB191_152:
	s_andn2_b64 vcc, exec, s[0:1]
	s_cbranch_vccnz .LBB191_158
; %bb.153:
	s_cmp_gt_i32 s36, 0
	s_cbranch_scc0 .LBB191_155
; %bb.154:
	global_load_sbyte v5, v[3:4], off
	s_mov_b64 s[0:1], 0
	s_branch .LBB191_156
.LBB191_155:
	s_mov_b64 s[0:1], -1
                                        ; implicit-def: $vgpr5
.LBB191_156:
	s_andn2_b64 vcc, exec, s[0:1]
	s_cbranch_vccnz .LBB191_158
; %bb.157:
	global_load_ubyte v5, v[3:4], off
.LBB191_158:
	s_branch .LBB191_22
.LBB191_159:
	s_mov_b64 s[0:1], 0
	s_mov_b64 s[38:39], 0
	s_branch .LBB191_384
.LBB191_160:
	s_mov_b64 s[38:39], -1
.LBB191_161:
	s_mov_b64 s[0:1], 0
                                        ; implicit-def: $vgpr3
.LBB191_162:
	s_and_b64 vcc, exec, s[36:37]
	s_cbranch_vccz .LBB191_278
; %bb.163:
	s_cmp_eq_u32 s45, 44
	s_cbranch_scc0 .LBB191_277
; %bb.164:
	global_load_ubyte v3, v[1:2], off
	s_mov_b64 s[0:1], -1
	s_mov_b64 s[38:39], 0
	s_waitcnt vmcnt(0)
	v_lshlrev_b32_e32 v4, 23, v3
	v_cvt_i32_f32_e32 v4, v4
	v_cmp_ne_u32_e32 vcc, 0, v3
	v_cndmask_b32_e32 v3, 0, v4, vcc
	s_branch .LBB191_278
.LBB191_165:
	s_mov_b64 s[44:45], -1
	s_mov_b64 s[0:1], 0
	s_mov_b64 s[36:37], 0
.LBB191_166:
	s_and_b64 vcc, exec, s[44:45]
	s_cbranch_vccz .LBB191_171
; %bb.167:
	s_cmp_eq_u32 s51, 44
	s_mov_b64 s[0:1], -1
	s_cbranch_scc0 .LBB191_171
; %bb.168:
	v_cvt_f32_i32_e32 v0, v1
	s_movk_i32 s0, 0xff
	v_mov_b32_e32 v5, 0xff
	v_bfe_u32 v2, v0, 23, 8
	v_cmp_ne_u32_e32 vcc, s0, v2
	s_and_saveexec_b64 s[36:37], vcc
; %bb.169:
	s_mov_b32 s0, 0x3fffff
	v_lshrrev_b32_e32 v5, 23, v0
	v_and_b32_e32 v6, 0x400000, v0
	v_and_or_b32 v0, v0, s0, v2
	v_cmp_ne_u32_e32 vcc, 0, v6
	v_cmp_ne_u32_e64 s[0:1], 0, v0
	s_and_b64 s[0:1], vcc, s[0:1]
	v_cndmask_b32_e64 v0, 0, 1, s[0:1]
	v_add_u32_e32 v5, v5, v0
; %bb.170:
	s_or_b64 exec, exec, s[36:37]
	s_mov_b64 s[36:37], -1
	s_mov_b64 s[0:1], 0
	global_store_byte v[3:4], v5, off
.LBB191_171:
	s_mov_b64 s[44:45], 0
.LBB191_172:
	s_and_b64 vcc, exec, s[44:45]
	s_cbranch_vccz .LBB191_175
; %bb.173:
	s_cmp_eq_u32 s51, 29
	s_mov_b64 s[0:1], -1
	s_cbranch_scc0 .LBB191_175
; %bb.174:
	v_ashrrev_i32_e32 v2, 31, v1
	global_store_dwordx2 v[3:4], v[1:2], off
	s_mov_b64 s[36:37], -1
	s_mov_b64 s[0:1], 0
.LBB191_175:
	s_mov_b64 s[44:45], 0
.LBB191_176:
	s_and_b64 vcc, exec, s[44:45]
	s_cbranch_vccz .LBB191_192
; %bb.177:
	s_cmp_lt_i32 s51, 27
	s_mov_b64 s[36:37], -1
	s_cbranch_scc1 .LBB191_183
; %bb.178:
	s_cmp_gt_i32 s51, 27
	s_cbranch_scc0 .LBB191_180
; %bb.179:
	s_mov_b64 s[36:37], 0
	global_store_dword v[3:4], v1, off
.LBB191_180:
	s_andn2_b64 vcc, exec, s[36:37]
	s_cbranch_vccnz .LBB191_182
; %bb.181:
	global_store_short v[3:4], v1, off
.LBB191_182:
	s_mov_b64 s[36:37], 0
.LBB191_183:
	s_andn2_b64 vcc, exec, s[36:37]
	s_cbranch_vccnz .LBB191_191
; %bb.184:
	v_cvt_f32_i32_e32 v0, v1
	s_mov_b32 s36, 0x43800000
	v_mov_b32_e32 v5, 0x80
	v_and_b32_e32 v2, 0x7fffffff, v0
	v_cmp_gt_u32_e32 vcc, s36, v2
	s_and_saveexec_b64 s[36:37], vcc
	s_cbranch_execz .LBB191_190
; %bb.185:
	s_mov_b32 s44, 0x3bffffff
	v_cmp_lt_u32_e32 vcc, s44, v2
	s_mov_b64 s[44:45], 0
                                        ; implicit-def: $vgpr2
	s_and_saveexec_b64 s[48:49], vcc
	s_xor_b64 s[48:49], exec, s[48:49]
	s_cbranch_execz .LBB191_426
; %bb.186:
	v_bfe_u32 v2, v0, 20, 1
	s_mov_b32 s52, 0x487ffff
	v_add3_u32 v2, v0, v2, s52
	s_mov_b64 s[44:45], exec
	v_lshrrev_b32_e32 v2, 20, v2
	s_andn2_saveexec_b64 s[48:49], s[48:49]
	s_cbranch_execnz .LBB191_427
.LBB191_187:
	s_or_b64 exec, exec, s[48:49]
	v_mov_b32_e32 v5, 0
	s_and_saveexec_b64 s[48:49], s[44:45]
.LBB191_188:
	v_lshrrev_b32_e32 v0, 24, v0
	s_movk_i32 s44, 0x80
	v_and_or_b32 v5, v0, s44, v2
.LBB191_189:
	s_or_b64 exec, exec, s[48:49]
.LBB191_190:
	s_or_b64 exec, exec, s[36:37]
	global_store_byte v[3:4], v5, off
.LBB191_191:
	s_mov_b64 s[36:37], -1
.LBB191_192:
	s_mov_b64 s[44:45], 0
.LBB191_193:
	s_and_b64 vcc, exec, s[44:45]
	s_cbranch_vccz .LBB191_234
; %bb.194:
	s_cmp_gt_i32 s51, 22
	s_mov_b64 s[44:45], -1
	s_cbranch_scc0 .LBB191_226
; %bb.195:
	s_cmp_lt_i32 s51, 24
	s_mov_b64 s[36:37], -1
	s_cbranch_scc1 .LBB191_215
; %bb.196:
	s_cmp_gt_i32 s51, 24
	s_cbranch_scc0 .LBB191_204
; %bb.197:
	v_cvt_f32_i32_e32 v0, v1
	s_mov_b32 s36, 0x47800000
	v_mov_b32_e32 v5, 0x80
	v_and_b32_e32 v2, 0x7fffffff, v0
	v_cmp_gt_u32_e32 vcc, s36, v2
	s_and_saveexec_b64 s[36:37], vcc
	s_cbranch_execz .LBB191_203
; %bb.198:
	s_mov_b32 s44, 0x37ffffff
	v_cmp_lt_u32_e32 vcc, s44, v2
	s_mov_b64 s[44:45], 0
                                        ; implicit-def: $vgpr2
	s_and_saveexec_b64 s[48:49], vcc
	s_xor_b64 s[48:49], exec, s[48:49]
	s_cbranch_execz .LBB191_541
; %bb.199:
	v_bfe_u32 v2, v0, 21, 1
	s_mov_b32 s52, 0x88fffff
	v_add3_u32 v2, v0, v2, s52
	s_mov_b64 s[44:45], exec
	v_lshrrev_b32_e32 v2, 21, v2
	s_andn2_saveexec_b64 s[48:49], s[48:49]
	s_cbranch_execnz .LBB191_542
.LBB191_200:
	s_or_b64 exec, exec, s[48:49]
	v_mov_b32_e32 v5, 0
	s_and_saveexec_b64 s[48:49], s[44:45]
.LBB191_201:
	v_lshrrev_b32_e32 v0, 24, v0
	s_movk_i32 s44, 0x80
	v_and_or_b32 v5, v0, s44, v2
.LBB191_202:
	s_or_b64 exec, exec, s[48:49]
.LBB191_203:
	s_or_b64 exec, exec, s[36:37]
	s_mov_b64 s[36:37], 0
	global_store_byte v[3:4], v5, off
.LBB191_204:
	s_and_b64 vcc, exec, s[36:37]
	s_cbranch_vccz .LBB191_214
; %bb.205:
	v_cvt_f32_i32_e32 v0, v1
	s_mov_b32 s36, 0x43f00000
                                        ; implicit-def: $vgpr2
	v_and_b32_e32 v5, 0x7fffffff, v0
	v_cmp_gt_u32_e32 vcc, s36, v5
	s_and_saveexec_b64 s[36:37], vcc
	s_xor_b64 s[36:37], exec, s[36:37]
	s_cbranch_execz .LBB191_211
; %bb.206:
	s_mov_b32 s44, 0x3c7fffff
	v_cmp_lt_u32_e32 vcc, s44, v5
                                        ; implicit-def: $vgpr2
	s_and_saveexec_b64 s[44:45], vcc
	s_xor_b64 s[44:45], exec, s[44:45]
; %bb.207:
	v_bfe_u32 v2, v0, 20, 1
	s_mov_b32 s48, 0x407ffff
	v_add3_u32 v2, v0, v2, s48
	v_lshrrev_b32_e32 v5, 20, v2
	v_and_b32_e32 v2, 0xff00000, v2
	s_mov_b32 s48, 0x7f00000
	v_mov_b32_e32 v6, 0x7e
	v_cmp_ne_u32_e32 vcc, s48, v2
	v_cndmask_b32_e32 v2, v6, v5, vcc
; %bb.208:
	s_andn2_saveexec_b64 s[44:45], s[44:45]
; %bb.209:
	s_mov_b32 s48, 0x46800000
	v_add_f32_e64 v2, |v0|, s48
; %bb.210:
	s_or_b64 exec, exec, s[44:45]
                                        ; implicit-def: $vgpr5
.LBB191_211:
	s_andn2_saveexec_b64 s[36:37], s[36:37]
; %bb.212:
	s_mov_b32 s44, 0x7f800000
	v_mov_b32_e32 v2, 0x7e
	v_mov_b32_e32 v6, 0x7f
	v_cmp_lt_u32_e32 vcc, s44, v5
	v_cndmask_b32_e32 v2, v2, v6, vcc
; %bb.213:
	s_or_b64 exec, exec, s[36:37]
	v_lshrrev_b32_e32 v0, 24, v0
	s_movk_i32 s36, 0x80
	v_and_or_b32 v0, v0, s36, v2
	global_store_byte v[3:4], v0, off
.LBB191_214:
	s_mov_b64 s[36:37], 0
.LBB191_215:
	s_andn2_b64 vcc, exec, s[36:37]
	s_cbranch_vccnz .LBB191_225
; %bb.216:
	v_cvt_f32_i32_e32 v0, v1
	s_mov_b32 s36, 0x47800000
                                        ; implicit-def: $vgpr2
	v_and_b32_e32 v5, 0x7fffffff, v0
	v_cmp_gt_u32_e32 vcc, s36, v5
	s_and_saveexec_b64 s[36:37], vcc
	s_xor_b64 s[36:37], exec, s[36:37]
	s_cbranch_execz .LBB191_222
; %bb.217:
	s_mov_b32 s44, 0x387fffff
	v_cmp_lt_u32_e32 vcc, s44, v5
                                        ; implicit-def: $vgpr2
	s_and_saveexec_b64 s[44:45], vcc
	s_xor_b64 s[44:45], exec, s[44:45]
; %bb.218:
	v_bfe_u32 v2, v0, 21, 1
	s_mov_b32 s48, 0x80fffff
	v_add3_u32 v2, v0, v2, s48
	v_lshrrev_b32_e32 v2, 21, v2
; %bb.219:
	s_andn2_saveexec_b64 s[44:45], s[44:45]
; %bb.220:
	s_mov_b32 s48, 0x43000000
	v_add_f32_e64 v2, |v0|, s48
; %bb.221:
	s_or_b64 exec, exec, s[44:45]
                                        ; implicit-def: $vgpr5
.LBB191_222:
	s_andn2_saveexec_b64 s[36:37], s[36:37]
; %bb.223:
	s_mov_b32 s44, 0x7f800000
	v_mov_b32_e32 v2, 0x7c
	v_mov_b32_e32 v6, 0x7f
	v_cmp_lt_u32_e32 vcc, s44, v5
	v_cndmask_b32_e32 v2, v2, v6, vcc
; %bb.224:
	s_or_b64 exec, exec, s[36:37]
	v_lshrrev_b32_e32 v0, 24, v0
	s_movk_i32 s36, 0x80
	v_and_or_b32 v0, v0, s36, v2
	global_store_byte v[3:4], v0, off
.LBB191_225:
	s_mov_b64 s[44:45], 0
	s_mov_b64 s[36:37], -1
.LBB191_226:
	s_andn2_b64 vcc, exec, s[44:45]
	s_cbranch_vccnz .LBB191_234
; %bb.227:
	s_cmp_gt_i32 s51, 14
	s_mov_b64 s[44:45], -1
	s_cbranch_scc0 .LBB191_231
; %bb.228:
	s_cmp_eq_u32 s51, 15
	s_mov_b64 s[0:1], -1
	s_cbranch_scc0 .LBB191_230
; %bb.229:
	v_cvt_f32_i32_e32 v0, v1
	s_movk_i32 s0, 0x7fff
	s_mov_b64 s[36:37], -1
	v_bfe_u32 v2, v0, 16, 1
	v_add3_u32 v0, v0, v2, s0
	global_store_short_d16_hi v[3:4], v0, off
	s_mov_b64 s[0:1], 0
.LBB191_230:
	s_mov_b64 s[44:45], 0
.LBB191_231:
	s_and_b64 vcc, exec, s[44:45]
	s_cbranch_vccz .LBB191_234
; %bb.232:
	s_cmp_eq_u32 s51, 11
	s_mov_b64 s[0:1], -1
	s_cbranch_scc0 .LBB191_234
; %bb.233:
	v_cmp_ne_u32_e32 vcc, 0, v1
	v_cndmask_b32_e64 v0, 0, 1, vcc
	s_mov_b64 s[36:37], -1
	s_mov_b64 s[0:1], 0
	global_store_byte v[3:4], v0, off
.LBB191_234:
	s_mov_b64 s[44:45], 0
.LBB191_235:
	s_and_b64 vcc, exec, s[44:45]
	s_cbranch_vccz .LBB191_274
; %bb.236:
	s_and_b32 s44, 0xffff, s50
	s_cmp_lt_i32 s44, 5
	s_mov_b64 s[36:37], -1
	s_cbranch_scc1 .LBB191_257
; %bb.237:
	s_cmp_lt_i32 s44, 8
	s_cbranch_scc1 .LBB191_247
; %bb.238:
	s_cmp_lt_i32 s44, 9
	s_cbranch_scc1 .LBB191_244
; %bb.239:
	s_cmp_gt_i32 s44, 9
	s_cbranch_scc0 .LBB191_241
; %bb.240:
	v_cvt_f64_i32_e32 v[9:10], v1
	v_mov_b32_e32 v11, 0
	v_mov_b32_e32 v12, v11
	s_mov_b64 s[36:37], 0
	global_store_dwordx4 v[3:4], v[9:12], off
.LBB191_241:
	s_andn2_b64 vcc, exec, s[36:37]
	s_cbranch_vccnz .LBB191_243
; %bb.242:
	v_cvt_f32_i32_e32 v5, v1
	v_mov_b32_e32 v6, 0
	global_store_dwordx2 v[3:4], v[5:6], off
.LBB191_243:
	s_mov_b64 s[36:37], 0
.LBB191_244:
	s_andn2_b64 vcc, exec, s[36:37]
	s_cbranch_vccnz .LBB191_246
; %bb.245:
	v_cvt_f32_i32_e32 v0, v1
	v_cvt_f16_f32_e32 v0, v0
	global_store_dword v[3:4], v0, off
.LBB191_246:
	s_mov_b64 s[36:37], 0
.LBB191_247:
	s_andn2_b64 vcc, exec, s[36:37]
	s_cbranch_vccnz .LBB191_256
; %bb.248:
	s_cmp_lt_i32 s44, 6
	s_mov_b64 s[36:37], -1
	s_cbranch_scc1 .LBB191_254
; %bb.249:
	s_cmp_gt_i32 s44, 6
	s_cbranch_scc0 .LBB191_251
; %bb.250:
	v_cvt_f64_i32_e32 v[5:6], v1
	s_mov_b64 s[36:37], 0
	global_store_dwordx2 v[3:4], v[5:6], off
.LBB191_251:
	s_andn2_b64 vcc, exec, s[36:37]
	s_cbranch_vccnz .LBB191_253
; %bb.252:
	v_cvt_f32_i32_e32 v0, v1
	global_store_dword v[3:4], v0, off
.LBB191_253:
	s_mov_b64 s[36:37], 0
.LBB191_254:
	s_andn2_b64 vcc, exec, s[36:37]
	s_cbranch_vccnz .LBB191_256
; %bb.255:
	v_cvt_f32_i32_e32 v0, v1
	v_cvt_f16_f32_e32 v0, v0
	global_store_short v[3:4], v0, off
.LBB191_256:
	s_mov_b64 s[36:37], 0
.LBB191_257:
	s_andn2_b64 vcc, exec, s[36:37]
	s_cbranch_vccnz .LBB191_273
; %bb.258:
	s_cmp_lt_i32 s44, 2
	s_mov_b64 s[36:37], -1
	s_cbranch_scc1 .LBB191_268
; %bb.259:
	s_cmp_lt_i32 s44, 3
	s_cbranch_scc1 .LBB191_265
; %bb.260:
	s_cmp_gt_i32 s44, 3
	s_cbranch_scc0 .LBB191_262
; %bb.261:
	v_ashrrev_i32_e32 v2, 31, v1
	global_store_dwordx2 v[3:4], v[1:2], off
	s_mov_b64 s[36:37], 0
.LBB191_262:
	s_andn2_b64 vcc, exec, s[36:37]
	s_cbranch_vccnz .LBB191_264
; %bb.263:
	global_store_dword v[3:4], v1, off
.LBB191_264:
	s_mov_b64 s[36:37], 0
.LBB191_265:
	s_andn2_b64 vcc, exec, s[36:37]
	s_cbranch_vccnz .LBB191_267
; %bb.266:
	global_store_short v[3:4], v1, off
.LBB191_267:
	s_mov_b64 s[36:37], 0
.LBB191_268:
	s_andn2_b64 vcc, exec, s[36:37]
	s_cbranch_vccnz .LBB191_273
; %bb.269:
	s_cmp_gt_i32 s44, 0
	s_mov_b64 s[36:37], -1
	s_cbranch_scc0 .LBB191_271
; %bb.270:
	global_store_byte v[3:4], v1, off
	s_mov_b64 s[36:37], 0
.LBB191_271:
	s_andn2_b64 vcc, exec, s[36:37]
	s_cbranch_vccnz .LBB191_273
; %bb.272:
	global_store_byte v[3:4], v1, off
.LBB191_273:
	s_mov_b64 s[36:37], -1
.LBB191_274:
	s_andn2_b64 vcc, exec, s[36:37]
	s_cbranch_vccnz .LBB191_276
; %bb.275:
	v_add_u32_e32 v8, 0x80, v8
	s_mov_b64 s[44:45], -1
	s_branch .LBB191_385
.LBB191_276:
	s_mov_b64 s[44:45], 0
                                        ; implicit-def: $vgpr8
	s_branch .LBB191_385
.LBB191_277:
	s_mov_b64 s[38:39], -1
                                        ; implicit-def: $vgpr3
.LBB191_278:
	s_mov_b64 s[36:37], 0
.LBB191_279:
	s_and_b64 vcc, exec, s[36:37]
	s_cbranch_vccz .LBB191_283
; %bb.280:
	s_cmp_eq_u32 s45, 29
	s_cbranch_scc0 .LBB191_282
; %bb.281:
	global_load_dword v3, v[1:2], off
	s_mov_b64 s[0:1], -1
	s_mov_b64 s[38:39], 0
	s_branch .LBB191_283
.LBB191_282:
	s_mov_b64 s[38:39], -1
                                        ; implicit-def: $vgpr3
.LBB191_283:
	s_mov_b64 s[36:37], 0
.LBB191_284:
	s_and_b64 vcc, exec, s[36:37]
	s_cbranch_vccz .LBB191_300
; %bb.285:
	s_cmp_lt_i32 s45, 27
	s_cbranch_scc1 .LBB191_288
; %bb.286:
	s_cmp_gt_i32 s45, 27
	s_cbranch_scc0 .LBB191_289
; %bb.287:
	global_load_dword v3, v[1:2], off
	s_mov_b64 s[0:1], 0
	s_branch .LBB191_290
.LBB191_288:
	s_mov_b64 s[0:1], -1
                                        ; implicit-def: $vgpr3
	s_branch .LBB191_293
.LBB191_289:
	s_mov_b64 s[0:1], -1
                                        ; implicit-def: $vgpr3
.LBB191_290:
	s_andn2_b64 vcc, exec, s[0:1]
	s_cbranch_vccnz .LBB191_292
; %bb.291:
	global_load_ushort v3, v[1:2], off
.LBB191_292:
	s_mov_b64 s[0:1], 0
.LBB191_293:
	s_andn2_b64 vcc, exec, s[0:1]
	s_cbranch_vccnz .LBB191_299
; %bb.294:
	global_load_ubyte v4, v[1:2], off
	s_movk_i32 s0, 0x7f
	s_mov_b64 s[36:37], 0
	s_waitcnt vmcnt(0)
	v_cmp_lt_i16_e32 vcc, s0, v4
	s_and_saveexec_b64 s[0:1], vcc
	s_xor_b64 s[0:1], exec, s[0:1]
	s_cbranch_execz .LBB191_311
; %bb.295:
	s_movk_i32 s36, 0x80
	v_cmp_ne_u16_e32 vcc, s36, v4
	s_and_b64 s[36:37], vcc, exec
	s_andn2_saveexec_b64 s[0:1], s[0:1]
	s_cbranch_execnz .LBB191_312
.LBB191_296:
	s_or_b64 exec, exec, s[0:1]
	v_mov_b32_e32 v3, 0
	s_and_saveexec_b64 s[0:1], s[36:37]
	s_cbranch_execz .LBB191_298
.LBB191_297:
	v_lshlrev_b32_e32 v3, 24, v4
	v_and_b32_e32 v4, 0xffff, v4
	v_and_b32_e32 v6, 7, v4
	v_ffbh_u32_e32 v9, v6
	v_min_u32_e32 v9, 32, v9
	v_subrev_u32_e32 v10, 28, v9
	v_bfe_u32 v7, v4, 3, 4
	v_lshlrev_b32_e32 v4, v10, v4
	v_sub_u32_e32 v9, 29, v9
	v_and_b32_e32 v4, 7, v4
	v_cmp_eq_u32_e32 vcc, 0, v7
	v_cndmask_b32_e32 v7, v7, v9, vcc
	v_cndmask_b32_e32 v4, v6, v4, vcc
	v_mov_b32_e32 v6, 0x3b800000
	v_lshlrev_b32_e32 v4, 20, v4
	v_and_b32_e32 v3, 0x80000000, v3
	v_lshl_add_u32 v6, v7, 23, v6
	v_or3_b32 v3, v3, v6, v4
	v_cvt_i32_f32_e32 v3, v3
.LBB191_298:
	s_or_b64 exec, exec, s[0:1]
.LBB191_299:
	s_mov_b64 s[0:1], -1
.LBB191_300:
	s_mov_b64 s[36:37], 0
.LBB191_301:
	s_and_b64 vcc, exec, s[36:37]
	s_cbranch_vccz .LBB191_334
; %bb.302:
	s_cmp_gt_i32 s45, 22
	s_cbranch_scc0 .LBB191_310
; %bb.303:
	s_cmp_lt_i32 s45, 24
	s_cbranch_scc1 .LBB191_313
; %bb.304:
	s_cmp_gt_i32 s45, 24
	s_cbranch_scc0 .LBB191_314
; %bb.305:
	global_load_ubyte v4, v[1:2], off
	s_movk_i32 s0, 0x7f
	s_mov_b64 s[36:37], 0
	s_waitcnt vmcnt(0)
	v_cmp_lt_i16_e32 vcc, s0, v4
	s_and_saveexec_b64 s[0:1], vcc
	s_xor_b64 s[0:1], exec, s[0:1]
	s_cbranch_execz .LBB191_326
; %bb.306:
	s_movk_i32 s36, 0x80
	v_cmp_ne_u16_e32 vcc, s36, v4
	s_and_b64 s[36:37], vcc, exec
	s_andn2_saveexec_b64 s[0:1], s[0:1]
	s_cbranch_execnz .LBB191_327
.LBB191_307:
	s_or_b64 exec, exec, s[0:1]
	v_mov_b32_e32 v3, 0
	s_and_saveexec_b64 s[0:1], s[36:37]
	s_cbranch_execz .LBB191_309
.LBB191_308:
	v_lshlrev_b32_e32 v3, 24, v4
	v_and_b32_e32 v4, 0xffff, v4
	v_and_b32_e32 v6, 3, v4
	v_ffbh_u32_e32 v9, v6
	v_min_u32_e32 v9, 32, v9
	v_subrev_u32_e32 v10, 29, v9
	v_bfe_u32 v7, v4, 2, 5
	v_lshlrev_b32_e32 v4, v10, v4
	v_sub_u32_e32 v9, 30, v9
	v_and_b32_e32 v4, 3, v4
	v_cmp_eq_u32_e32 vcc, 0, v7
	v_cndmask_b32_e32 v7, v7, v9, vcc
	v_cndmask_b32_e32 v4, v6, v4, vcc
	v_mov_b32_e32 v6, 0x37800000
	v_lshlrev_b32_e32 v4, 21, v4
	v_and_b32_e32 v3, 0x80000000, v3
	v_lshl_add_u32 v6, v7, 23, v6
	v_or3_b32 v3, v3, v6, v4
	v_cvt_i32_f32_e32 v3, v3
.LBB191_309:
	s_or_b64 exec, exec, s[0:1]
	s_mov_b64 s[0:1], 0
	s_branch .LBB191_315
.LBB191_310:
	s_mov_b64 s[36:37], -1
                                        ; implicit-def: $vgpr3
	s_branch .LBB191_321
.LBB191_311:
	s_andn2_saveexec_b64 s[0:1], s[0:1]
	s_cbranch_execz .LBB191_296
.LBB191_312:
	v_cmp_ne_u16_e32 vcc, 0, v4
	s_andn2_b64 s[36:37], s[36:37], exec
	s_and_b64 s[48:49], vcc, exec
	s_or_b64 s[36:37], s[36:37], s[48:49]
	s_or_b64 exec, exec, s[0:1]
	v_mov_b32_e32 v3, 0
	s_and_saveexec_b64 s[0:1], s[36:37]
	s_cbranch_execnz .LBB191_297
	s_branch .LBB191_298
.LBB191_313:
	s_mov_b64 s[0:1], -1
                                        ; implicit-def: $vgpr3
	s_branch .LBB191_318
.LBB191_314:
	s_mov_b64 s[0:1], -1
                                        ; implicit-def: $vgpr3
.LBB191_315:
	s_and_b64 vcc, exec, s[0:1]
	s_cbranch_vccz .LBB191_317
; %bb.316:
	global_load_ubyte v3, v[1:2], off
	s_mov_b32 s0, 0x7f800000
	s_waitcnt vmcnt(0)
	v_lshlrev_b32_e32 v3, 24, v3
	v_and_b32_e32 v4, 0x7f000000, v3
	v_ffbh_u32_e32 v6, v4
	v_min_u32_e32 v6, 32, v6
	v_sub_u32_e64 v6, v6, 4 clamp
	v_lshlrev_b32_e32 v9, v6, v4
	v_lshlrev_b32_e32 v6, 23, v6
	v_lshrrev_b32_e32 v9, 4, v9
	v_add_u32_e32 v7, 0x1000000, v4
	v_sub_u32_e32 v6, v9, v6
	v_ashrrev_i32_e32 v7, 8, v7
	v_add_u32_e32 v6, 0x3c000000, v6
	v_and_or_b32 v6, v7, s0, v6
	v_cmp_ne_u32_e32 vcc, 0, v4
	v_cndmask_b32_e32 v4, 0, v6, vcc
	s_brev_b32 s0, 1
	v_and_or_b32 v3, v3, s0, v4
	v_cvt_i32_f32_e32 v3, v3
.LBB191_317:
	s_mov_b64 s[0:1], 0
.LBB191_318:
	s_andn2_b64 vcc, exec, s[0:1]
	s_cbranch_vccnz .LBB191_320
; %bb.319:
	global_load_ubyte v3, v[1:2], off
	s_movk_i32 s0, 0x7f00
	s_brev_b32 s1, 16
	s_waitcnt vmcnt(0)
	v_lshlrev_b16_e32 v4, 8, v3
	v_lshlrev_b32_e32 v3, 25, v3
	v_lshrrev_b32_e32 v6, 4, v3
	v_and_or_b32 v7, v4, s0, 0.5
	v_or_b32_e32 v6, 0x70000000, v6
	v_add_f32_e32 v7, -0.5, v7
	v_mul_f32_e32 v6, 0x7800000, v6
	v_cmp_gt_u32_e32 vcc, s1, v3
	v_bfe_i32 v4, v4, 0, 16
	v_cndmask_b32_e32 v3, v6, v7, vcc
	s_brev_b32 s0, 1
	v_and_or_b32 v3, v4, s0, v3
	v_cvt_i32_f32_e32 v3, v3
.LBB191_320:
	s_mov_b64 s[36:37], 0
	s_mov_b64 s[0:1], -1
.LBB191_321:
	s_andn2_b64 vcc, exec, s[36:37]
	s_cbranch_vccnz .LBB191_334
; %bb.322:
	s_cmp_gt_i32 s45, 14
	s_cbranch_scc0 .LBB191_325
; %bb.323:
	s_cmp_eq_u32 s45, 15
	s_cbranch_scc0 .LBB191_328
; %bb.324:
	global_load_ushort v3, v[1:2], off
	s_mov_b64 s[0:1], -1
	s_mov_b64 s[38:39], 0
	s_waitcnt vmcnt(0)
	v_lshlrev_b32_e32 v3, 16, v3
	v_cvt_i32_f32_e32 v3, v3
	s_branch .LBB191_329
.LBB191_325:
	s_mov_b64 s[36:37], -1
                                        ; implicit-def: $vgpr3
	s_branch .LBB191_330
.LBB191_326:
	s_andn2_saveexec_b64 s[0:1], s[0:1]
	s_cbranch_execz .LBB191_307
.LBB191_327:
	v_cmp_ne_u16_e32 vcc, 0, v4
	s_andn2_b64 s[36:37], s[36:37], exec
	s_and_b64 s[48:49], vcc, exec
	s_or_b64 s[36:37], s[36:37], s[48:49]
	s_or_b64 exec, exec, s[0:1]
	v_mov_b32_e32 v3, 0
	s_and_saveexec_b64 s[0:1], s[36:37]
	s_cbranch_execnz .LBB191_308
	s_branch .LBB191_309
.LBB191_328:
	s_mov_b64 s[38:39], -1
                                        ; implicit-def: $vgpr3
.LBB191_329:
	s_mov_b64 s[36:37], 0
.LBB191_330:
	s_and_b64 vcc, exec, s[36:37]
	s_cbranch_vccz .LBB191_334
; %bb.331:
	s_cmp_eq_u32 s45, 11
	s_cbranch_scc0 .LBB191_333
; %bb.332:
	global_load_ubyte v3, v[1:2], off
	s_mov_b64 s[0:1], -1
	s_mov_b64 s[38:39], 0
	s_waitcnt vmcnt(0)
	v_cmp_ne_u16_e32 vcc, 0, v3
	v_cndmask_b32_e64 v3, 0, 1, vcc
	s_branch .LBB191_334
.LBB191_333:
	s_mov_b64 s[38:39], -1
                                        ; implicit-def: $vgpr3
.LBB191_334:
	s_branch .LBB191_31
.LBB191_335:
	s_and_b32 s36, 0xffff, s44
	s_cmp_lt_i32 s36, 5
	s_cbranch_scc1 .LBB191_340
; %bb.336:
	s_cmp_lt_i32 s36, 8
	s_cbranch_scc1 .LBB191_341
; %bb.337:
	;; [unrolled: 3-line block ×3, first 2 shown]
	s_cmp_gt_i32 s36, 9
	s_cbranch_scc0 .LBB191_343
; %bb.339:
	global_load_dwordx2 v[3:4], v[1:2], off
	s_mov_b64 s[0:1], 0
	s_waitcnt vmcnt(0)
	v_cvt_i32_f64_e32 v3, v[3:4]
	s_branch .LBB191_344
.LBB191_340:
	s_mov_b64 s[0:1], -1
                                        ; implicit-def: $vgpr3
	s_branch .LBB191_362
.LBB191_341:
	s_mov_b64 s[0:1], -1
                                        ; implicit-def: $vgpr3
	s_branch .LBB191_350
.LBB191_342:
	s_mov_b64 s[0:1], -1
                                        ; implicit-def: $vgpr3
	s_branch .LBB191_347
.LBB191_343:
	s_mov_b64 s[0:1], -1
                                        ; implicit-def: $vgpr3
.LBB191_344:
	s_andn2_b64 vcc, exec, s[0:1]
	s_cbranch_vccnz .LBB191_346
; %bb.345:
	global_load_dword v3, v[1:2], off
	s_waitcnt vmcnt(0)
	v_cvt_i32_f32_e32 v3, v3
.LBB191_346:
	s_mov_b64 s[0:1], 0
.LBB191_347:
	s_andn2_b64 vcc, exec, s[0:1]
	s_cbranch_vccnz .LBB191_349
; %bb.348:
	global_load_dword v3, v[1:2], off
	s_waitcnt vmcnt(0)
	v_cvt_f32_f16_e32 v3, v3
	v_cvt_i32_f32_e32 v3, v3
.LBB191_349:
	s_mov_b64 s[0:1], 0
.LBB191_350:
	s_andn2_b64 vcc, exec, s[0:1]
	s_cbranch_vccnz .LBB191_361
; %bb.351:
	s_cmp_lt_i32 s36, 6
	s_cbranch_scc1 .LBB191_354
; %bb.352:
	s_cmp_gt_i32 s36, 6
	s_cbranch_scc0 .LBB191_355
; %bb.353:
	global_load_dwordx2 v[3:4], v[1:2], off
	s_mov_b64 s[0:1], 0
	s_waitcnt vmcnt(0)
	v_cvt_i32_f64_e32 v3, v[3:4]
	s_branch .LBB191_356
.LBB191_354:
	s_mov_b64 s[0:1], -1
                                        ; implicit-def: $vgpr3
	s_branch .LBB191_359
.LBB191_355:
	s_mov_b64 s[0:1], -1
                                        ; implicit-def: $vgpr3
.LBB191_356:
	s_andn2_b64 vcc, exec, s[0:1]
	s_cbranch_vccnz .LBB191_358
; %bb.357:
	global_load_dword v3, v[1:2], off
	s_waitcnt vmcnt(0)
	v_cvt_i32_f32_e32 v3, v3
.LBB191_358:
	s_mov_b64 s[0:1], 0
.LBB191_359:
	s_andn2_b64 vcc, exec, s[0:1]
	s_cbranch_vccnz .LBB191_361
; %bb.360:
	global_load_ushort v3, v[1:2], off
	s_waitcnt vmcnt(0)
	v_cvt_f32_f16_e32 v3, v3
	v_cvt_i32_f32_e32 v3, v3
.LBB191_361:
	s_mov_b64 s[0:1], 0
.LBB191_362:
	s_andn2_b64 vcc, exec, s[0:1]
	s_cbranch_vccnz .LBB191_382
; %bb.363:
	s_cmp_lt_i32 s36, 2
	s_cbranch_scc1 .LBB191_367
; %bb.364:
	s_cmp_lt_i32 s36, 3
	s_cbranch_scc1 .LBB191_368
; %bb.365:
	s_cmp_gt_i32 s36, 3
	s_cbranch_scc0 .LBB191_369
; %bb.366:
	global_load_dword v3, v[1:2], off
	s_mov_b64 s[0:1], 0
	s_branch .LBB191_370
.LBB191_367:
	s_mov_b64 s[0:1], -1
                                        ; implicit-def: $vgpr3
	s_branch .LBB191_376
.LBB191_368:
	s_mov_b64 s[0:1], -1
                                        ; implicit-def: $vgpr3
	s_branch .LBB191_373
.LBB191_369:
	s_mov_b64 s[0:1], -1
                                        ; implicit-def: $vgpr3
.LBB191_370:
	s_andn2_b64 vcc, exec, s[0:1]
	s_cbranch_vccnz .LBB191_372
; %bb.371:
	global_load_dword v3, v[1:2], off
.LBB191_372:
	s_mov_b64 s[0:1], 0
.LBB191_373:
	s_andn2_b64 vcc, exec, s[0:1]
	s_cbranch_vccnz .LBB191_375
; %bb.374:
	global_load_sshort v3, v[1:2], off
.LBB191_375:
	s_mov_b64 s[0:1], 0
.LBB191_376:
	s_andn2_b64 vcc, exec, s[0:1]
	s_cbranch_vccnz .LBB191_382
; %bb.377:
	s_cmp_gt_i32 s36, 0
	s_cbranch_scc0 .LBB191_379
; %bb.378:
	global_load_sbyte v3, v[1:2], off
	s_mov_b64 s[0:1], 0
	s_branch .LBB191_380
.LBB191_379:
	s_mov_b64 s[0:1], -1
                                        ; implicit-def: $vgpr3
.LBB191_380:
	s_andn2_b64 vcc, exec, s[0:1]
	s_cbranch_vccnz .LBB191_382
; %bb.381:
	global_load_ubyte v3, v[1:2], off
.LBB191_382:
	s_branch .LBB191_32
.LBB191_383:
	s_mov_b64 s[0:1], 0
.LBB191_384:
                                        ; implicit-def: $vgpr8
	s_mov_b64 s[44:45], 0
.LBB191_385:
	s_and_b64 s[36:37], s[0:1], exec
	s_and_b64 s[38:39], s[38:39], exec
	;; [unrolled: 1-line block ×3, first 2 shown]
	s_orn2_b64 s[0:1], s[44:45], exec
.LBB191_386:
	s_or_b64 exec, exec, s[42:43]
	s_mov_b64 s[50:51], 0
	s_mov_b64 s[48:49], 0
                                        ; implicit-def: $sgpr73
                                        ; implicit-def: $vgpr3_vgpr4
                                        ; implicit-def: $vgpr0
                                        ; implicit-def: $vgpr2
                                        ; implicit-def: $vgpr5
	s_and_saveexec_b64 s[42:43], s[0:1]
	s_cbranch_execz .LBB191_394
; %bb.387:
	v_cmp_gt_i32_e32 vcc, s66, v8
	s_mov_b64 s[0:1], -1
	s_mov_b64 s[44:45], s[40:41]
	s_mov_b64 s[46:47], s[38:39]
	;; [unrolled: 1-line block ×3, first 2 shown]
	s_and_saveexec_b64 s[50:51], vcc
	s_cbranch_execz .LBB191_779
; %bb.388:
	s_andn2_b64 vcc, exec, s[20:21]
	s_cbranch_vccnz .LBB191_397
; %bb.389:
	s_andn2_b64 vcc, exec, s[34:35]
	s_cbranch_vccnz .LBB191_398
; %bb.390:
	s_add_i32 s0, s72, 1
	s_and_b32 s44, s0, 30
	s_add_u32 s0, s2, 0xffffffe8
	s_addc_u32 s1, s3, -1
	v_mov_b32_e32 v2, 0
	v_mov_b32_e32 v4, 0
	;; [unrolled: 1-line block ×4, first 2 shown]
.LBB191_391:                            ; =>This Inner Loop Header: Depth=1
	s_load_dwordx4 s[52:55], s[0:1], 0x1c
	s_load_dwordx2 s[46:47], s[0:1], 0x2c
	s_load_dwordx2 s[48:49], s[0:1], 0xec
	s_load_dwordx4 s[56:59], s[0:1], 0xdc
	s_add_u32 s0, s0, 24
	s_waitcnt vmcnt(0) lgkmcnt(0)
	v_mul_hi_u32 v3, s53, v1
	s_addc_u32 s1, s1, 0
	s_add_i32 s44, s44, -2
	s_cmp_eq_u32 s44, 0
	v_add_u32_e32 v3, v1, v3
	v_lshrrev_b32_e32 v3, s54, v3
	v_mul_lo_u32 v5, v3, s52
	v_mul_hi_u32 v6, s46, v3
	v_sub_u32_e32 v5, v1, v5
	v_add_u32_e32 v1, v3, v6
	v_lshrrev_b32_e32 v1, s47, v1
	v_mul_lo_u32 v9, v1, s55
	v_mul_lo_u32 v6, v5, s56
	;; [unrolled: 1-line block ×4, first 2 shown]
	v_sub_u32_e32 v3, v3, v9
	v_mul_lo_u32 v9, v3, s59
	v_mul_lo_u32 v10, v3, s48
	;; [unrolled: 1-line block ×3, first 2 shown]
	v_add3_u32 v0, v6, v0, v9
	v_add3_u32 v4, v7, v4, v10
	;; [unrolled: 1-line block ×3, first 2 shown]
	s_cbranch_scc0 .LBB191_391
; %bb.392:
	s_bitcmp1_b32 s72, 0
	s_cselect_b64 s[44:45], -1, 0
	s_and_b64 vcc, exec, s[44:45]
	s_cbranch_vccnz .LBB191_399
; %bb.393:
	s_load_dwordx2 s[44:45], s[0:1], 0x1c
	s_load_dword s48, s[0:1], 0x24
	s_load_dwordx2 s[46:47], s[0:1], 0xdc
	s_waitcnt lgkmcnt(0)
	v_mul_hi_u32 v3, s45, v1
	v_add_u32_e32 v3, v1, v3
	v_lshrrev_b32_e32 v3, s48, v3
	v_mul_lo_u32 v3, v3, s44
	s_load_dword s44, s[0:1], 0xe4
	v_sub_u32_e32 v3, v1, v3
	v_mad_u64_u32 v[0:1], s[0:1], v3, s46, v[0:1]
	v_mad_u64_u32 v[4:5], s[0:1], v3, s47, v[4:5]
	s_waitcnt lgkmcnt(0)
	v_mad_u64_u32 v[2:3], s[0:1], v3, s44, v[2:3]
	s_branch .LBB191_399
.LBB191_394:
	s_or_b64 exec, exec, s[42:43]
	s_waitcnt lgkmcnt(0)
	s_mov_b64 s[10:11], 0
	s_and_saveexec_b64 s[0:1], s[40:41]
	s_cbranch_execnz .LBB191_1265
.LBB191_395:
	s_or_b64 exec, exec, s[0:1]
	s_and_saveexec_b64 s[0:1], s[46:47]
	s_xor_b64 s[0:1], exec, s[0:1]
	s_cbranch_execz .LBB191_1266
.LBB191_396:
	s_waitcnt vmcnt(0)
	global_load_ubyte v1, v[3:4], off
	s_or_b64 s[48:49], s[48:49], exec
	s_waitcnt vmcnt(0)
	v_cmp_ne_u16_e32 vcc, 0, v1
	v_cndmask_b32_e64 v5, 0, 1, vcc
	s_or_b64 exec, exec, s[0:1]
	s_and_saveexec_b64 s[0:1], s[50:51]
	s_cbranch_execz .LBB191_1312
	s_branch .LBB191_1267
.LBB191_397:
                                        ; implicit-def: $vgpr0
                                        ; implicit-def: $vgpr4
                                        ; implicit-def: $vgpr2
	s_andn2_b64 vcc, exec, s[0:1]
	s_cbranch_vccz .LBB191_400
	s_branch .LBB191_402
.LBB191_398:
	v_mov_b32_e32 v0, 0
	v_mov_b32_e32 v4, 0
	;; [unrolled: 1-line block ×3, first 2 shown]
.LBB191_399:
	s_cbranch_execnz .LBB191_402
.LBB191_400:
	s_waitcnt lgkmcnt(0)
	v_mul_hi_u32 v0, s17, v8
	s_andn2_b64 vcc, exec, s[30:31]
	v_add_u32_e32 v0, v8, v0
	v_lshrrev_b32_e32 v1, s18, v0
	v_mul_lo_u32 v0, v1, s16
	v_sub_u32_e32 v2, v8, v0
	v_mul_lo_u32 v0, v2, s12
	v_mul_lo_u32 v4, v2, s13
	;; [unrolled: 1-line block ×3, first 2 shown]
	s_cbranch_vccnz .LBB191_402
; %bb.401:
	s_waitcnt vmcnt(0)
	v_mul_hi_u32 v3, s28, v1
	v_add_u32_e32 v3, v1, v3
	v_lshrrev_b32_e32 v3, s29, v3
	v_mul_lo_u32 v3, v3, s19
	v_sub_u32_e32 v3, v1, v3
	v_mad_u64_u32 v[0:1], s[0:1], v3, s15, v[0:1]
	v_mad_u64_u32 v[4:5], s[0:1], v3, s26, v[4:5]
	;; [unrolled: 1-line block ×3, first 2 shown]
.LBB191_402:
	s_waitcnt lgkmcnt(0)
	v_mov_b32_e32 v1, s11
	s_and_b32 s48, s71, 0xff
	s_waitcnt vmcnt(0)
	v_add_co_u32_e32 v3, vcc, s10, v4
	s_cmp_lt_i32 s48, 11
	v_addc_co_u32_e32 v4, vcc, 0, v1, vcc
	s_cbranch_scc1 .LBB191_409
; %bb.403:
	s_and_b32 s49, 0xffff, s48
	s_cmp_gt_i32 s49, 25
	s_cbranch_scc0 .LBB191_418
; %bb.404:
	s_cmp_gt_i32 s49, 28
	s_cbranch_scc0 .LBB191_420
; %bb.405:
	;; [unrolled: 3-line block ×4, first 2 shown]
	s_cmp_eq_u32 s49, 46
	s_mov_b64 s[46:47], 0
	s_cbranch_scc0 .LBB191_428
; %bb.408:
	global_load_dword v1, v[3:4], off
	s_mov_b64 s[0:1], -1
	s_mov_b64 s[44:45], 0
	s_waitcnt vmcnt(0)
	v_lshlrev_b32_e32 v1, 16, v1
	v_cvt_i32_f32_e32 v5, v1
	s_branch .LBB191_429
.LBB191_409:
	s_mov_b64 s[0:1], 0
                                        ; implicit-def: $vgpr5
	s_mov_b64 s[44:45], s[40:41]
	s_cbranch_execnz .LBB191_491
.LBB191_410:
	s_andn2_b64 vcc, exec, s[0:1]
	s_cbranch_vccnz .LBB191_539
.LBB191_411:
	v_mov_b32_e32 v3, s25
	s_and_b32 s52, s70, 0xff
	v_add_co_u32_e32 v1, vcc, s24, v2
	s_cmp_lt_i32 s52, 11
	v_addc_co_u32_e32 v2, vcc, 0, v3, vcc
	s_cbranch_scc1 .LBB191_419
; %bb.412:
	s_and_b32 s53, 0xffff, s52
	s_cmp_gt_i32 s53, 25
	s_cbranch_scc0 .LBB191_421
; %bb.413:
	s_cmp_gt_i32 s53, 28
	s_cbranch_scc0 .LBB191_423
; %bb.414:
	;; [unrolled: 3-line block ×4, first 2 shown]
	s_cmp_eq_u32 s53, 46
	s_mov_b64 s[48:49], 0
	s_cbranch_scc0 .LBB191_543
; %bb.417:
	global_load_dword v3, v[1:2], off
	s_mov_b64 s[0:1], -1
	s_mov_b64 s[46:47], 0
	s_waitcnt vmcnt(0)
	v_lshlrev_b32_e32 v3, 16, v3
	v_cvt_i32_f32_e32 v3, v3
	s_branch .LBB191_544
.LBB191_418:
	s_mov_b64 s[46:47], -1
	s_mov_b64 s[0:1], 0
	s_mov_b64 s[44:45], s[40:41]
                                        ; implicit-def: $vgpr5
	s_branch .LBB191_457
.LBB191_419:
	s_mov_b64 s[48:49], -1
	s_mov_b64 s[0:1], 0
                                        ; implicit-def: $vgpr3
	s_mov_b64 s[46:47], s[38:39]
	s_branch .LBB191_605
.LBB191_420:
	s_mov_b64 s[46:47], -1
	s_mov_b64 s[0:1], 0
	s_mov_b64 s[44:45], s[40:41]
                                        ; implicit-def: $vgpr5
	s_branch .LBB191_440
.LBB191_421:
	s_mov_b64 s[48:49], -1
	s_mov_b64 s[0:1], 0
	s_mov_b64 s[46:47], s[38:39]
                                        ; implicit-def: $vgpr3
	s_branch .LBB191_571
.LBB191_422:
	s_mov_b64 s[46:47], -1
	s_mov_b64 s[0:1], 0
	s_mov_b64 s[44:45], s[40:41]
                                        ; implicit-def: $vgpr5
	s_branch .LBB191_435
.LBB191_423:
	s_mov_b64 s[48:49], -1
	s_mov_b64 s[0:1], 0
	s_mov_b64 s[46:47], s[38:39]
                                        ; implicit-def: $vgpr3
	s_branch .LBB191_554
.LBB191_424:
	s_mov_b64 s[46:47], -1
	s_mov_b64 s[0:1], 0
	s_mov_b64 s[44:45], s[40:41]
                                        ; implicit-def: $vgpr5
	s_branch .LBB191_429
.LBB191_425:
	s_mov_b64 s[48:49], -1
	s_mov_b64 s[0:1], 0
	s_mov_b64 s[46:47], s[38:39]
                                        ; implicit-def: $vgpr3
	s_branch .LBB191_549
.LBB191_426:
	s_andn2_saveexec_b64 s[48:49], s[48:49]
	s_cbranch_execz .LBB191_187
.LBB191_427:
	s_mov_b32 s52, 0x46000000
	v_add_f32_e64 v2, |v0|, s52
	v_and_b32_e32 v2, 0xff, v2
	v_cmp_ne_u32_e32 vcc, 0, v2
	s_andn2_b64 s[44:45], s[44:45], exec
	s_and_b64 s[52:53], vcc, exec
	s_or_b64 s[44:45], s[44:45], s[52:53]
	s_or_b64 exec, exec, s[48:49]
	v_mov_b32_e32 v5, 0
	s_and_saveexec_b64 s[48:49], s[44:45]
	s_cbranch_execnz .LBB191_188
	s_branch .LBB191_189
.LBB191_428:
	s_mov_b64 s[44:45], -1
                                        ; implicit-def: $vgpr5
	s_mov_b64 s[0:1], 0
.LBB191_429:
	s_and_b64 vcc, exec, s[46:47]
	s_cbranch_vccz .LBB191_434
; %bb.430:
	s_cmp_eq_u32 s49, 44
	s_cbranch_scc0 .LBB191_433
; %bb.431:
	global_load_ubyte v1, v[3:4], off
	s_mov_b64 s[0:1], -1
	s_mov_b64 s[44:45], 0
	s_waitcnt vmcnt(0)
	v_lshlrev_b32_e32 v5, 23, v1
	v_cvt_i32_f32_e32 v5, v5
	v_cmp_ne_u32_e32 vcc, 0, v1
	v_cndmask_b32_e32 v5, 0, v5, vcc
	s_branch .LBB191_434
.LBB191_432:
	s_mov_b64 s[48:49], -1
	s_mov_b64 s[0:1], 0
	s_mov_b64 s[46:47], s[38:39]
                                        ; implicit-def: $vgpr3
	s_branch .LBB191_544
.LBB191_433:
	s_mov_b64 s[44:45], -1
                                        ; implicit-def: $vgpr5
.LBB191_434:
	s_mov_b64 s[46:47], 0
.LBB191_435:
	s_and_b64 vcc, exec, s[46:47]
	s_cbranch_vccz .LBB191_439
; %bb.436:
	s_cmp_eq_u32 s49, 29
	s_cbranch_scc0 .LBB191_438
; %bb.437:
	global_load_dword v5, v[3:4], off
	s_mov_b64 s[0:1], -1
	s_mov_b64 s[44:45], 0
	s_branch .LBB191_439
.LBB191_438:
	s_mov_b64 s[44:45], -1
                                        ; implicit-def: $vgpr5
.LBB191_439:
	s_mov_b64 s[46:47], 0
.LBB191_440:
	s_and_b64 vcc, exec, s[46:47]
	s_cbranch_vccz .LBB191_456
; %bb.441:
	s_cmp_lt_i32 s49, 27
	s_cbranch_scc1 .LBB191_444
; %bb.442:
	s_cmp_gt_i32 s49, 27
	s_cbranch_scc0 .LBB191_445
; %bb.443:
	global_load_dword v5, v[3:4], off
	s_mov_b64 s[0:1], 0
	s_branch .LBB191_446
.LBB191_444:
	s_mov_b64 s[0:1], -1
                                        ; implicit-def: $vgpr5
	s_branch .LBB191_449
.LBB191_445:
	s_mov_b64 s[0:1], -1
                                        ; implicit-def: $vgpr5
.LBB191_446:
	s_andn2_b64 vcc, exec, s[0:1]
	s_cbranch_vccnz .LBB191_448
; %bb.447:
	global_load_ushort v5, v[3:4], off
.LBB191_448:
	s_mov_b64 s[0:1], 0
.LBB191_449:
	s_andn2_b64 vcc, exec, s[0:1]
	s_cbranch_vccnz .LBB191_455
; %bb.450:
	global_load_ubyte v1, v[3:4], off
	s_movk_i32 s0, 0x7f
	s_mov_b64 s[46:47], 0
	s_waitcnt vmcnt(0)
	v_cmp_lt_i16_e32 vcc, s0, v1
	s_and_saveexec_b64 s[0:1], vcc
	s_xor_b64 s[0:1], exec, s[0:1]
	s_cbranch_execz .LBB191_467
; %bb.451:
	s_movk_i32 s46, 0x80
	v_cmp_ne_u16_e32 vcc, s46, v1
	s_and_b64 s[46:47], vcc, exec
	s_andn2_saveexec_b64 s[0:1], s[0:1]
	s_cbranch_execnz .LBB191_468
.LBB191_452:
	s_or_b64 exec, exec, s[0:1]
	v_mov_b32_e32 v5, 0
	s_and_saveexec_b64 s[0:1], s[46:47]
	s_cbranch_execz .LBB191_454
.LBB191_453:
	v_lshlrev_b32_e32 v5, 24, v1
	v_and_b32_e32 v1, 0xffff, v1
	v_and_b32_e32 v6, 7, v1
	v_ffbh_u32_e32 v9, v6
	v_min_u32_e32 v9, 32, v9
	v_subrev_u32_e32 v10, 28, v9
	v_bfe_u32 v7, v1, 3, 4
	v_lshlrev_b32_e32 v1, v10, v1
	v_sub_u32_e32 v9, 29, v9
	v_and_b32_e32 v1, 7, v1
	v_cmp_eq_u32_e32 vcc, 0, v7
	v_cndmask_b32_e32 v7, v7, v9, vcc
	v_cndmask_b32_e32 v1, v6, v1, vcc
	v_mov_b32_e32 v6, 0x3b800000
	v_lshlrev_b32_e32 v1, 20, v1
	v_and_b32_e32 v5, 0x80000000, v5
	v_lshl_add_u32 v6, v7, 23, v6
	v_or3_b32 v1, v5, v6, v1
	v_cvt_i32_f32_e32 v5, v1
.LBB191_454:
	s_or_b64 exec, exec, s[0:1]
.LBB191_455:
	s_mov_b64 s[0:1], -1
.LBB191_456:
	s_mov_b64 s[46:47], 0
.LBB191_457:
	s_and_b64 vcc, exec, s[46:47]
	s_cbranch_vccz .LBB191_490
; %bb.458:
	s_cmp_gt_i32 s49, 22
	s_cbranch_scc0 .LBB191_466
; %bb.459:
	s_cmp_lt_i32 s49, 24
	s_cbranch_scc1 .LBB191_469
; %bb.460:
	s_cmp_gt_i32 s49, 24
	s_cbranch_scc0 .LBB191_470
; %bb.461:
	global_load_ubyte v1, v[3:4], off
	s_movk_i32 s0, 0x7f
	s_mov_b64 s[46:47], 0
	s_waitcnt vmcnt(0)
	v_cmp_lt_i16_e32 vcc, s0, v1
	s_and_saveexec_b64 s[0:1], vcc
	s_xor_b64 s[0:1], exec, s[0:1]
	s_cbranch_execz .LBB191_482
; %bb.462:
	s_movk_i32 s46, 0x80
	v_cmp_ne_u16_e32 vcc, s46, v1
	s_and_b64 s[46:47], vcc, exec
	s_andn2_saveexec_b64 s[0:1], s[0:1]
	s_cbranch_execnz .LBB191_483
.LBB191_463:
	s_or_b64 exec, exec, s[0:1]
	v_mov_b32_e32 v5, 0
	s_and_saveexec_b64 s[0:1], s[46:47]
	s_cbranch_execz .LBB191_465
.LBB191_464:
	v_lshlrev_b32_e32 v5, 24, v1
	v_and_b32_e32 v1, 0xffff, v1
	v_and_b32_e32 v6, 3, v1
	v_ffbh_u32_e32 v9, v6
	v_min_u32_e32 v9, 32, v9
	v_subrev_u32_e32 v10, 29, v9
	v_bfe_u32 v7, v1, 2, 5
	v_lshlrev_b32_e32 v1, v10, v1
	v_sub_u32_e32 v9, 30, v9
	v_and_b32_e32 v1, 3, v1
	v_cmp_eq_u32_e32 vcc, 0, v7
	v_cndmask_b32_e32 v7, v7, v9, vcc
	v_cndmask_b32_e32 v1, v6, v1, vcc
	v_mov_b32_e32 v6, 0x37800000
	v_lshlrev_b32_e32 v1, 21, v1
	v_and_b32_e32 v5, 0x80000000, v5
	v_lshl_add_u32 v6, v7, 23, v6
	v_or3_b32 v1, v5, v6, v1
	v_cvt_i32_f32_e32 v5, v1
.LBB191_465:
	s_or_b64 exec, exec, s[0:1]
	s_mov_b64 s[0:1], 0
	s_branch .LBB191_471
.LBB191_466:
	s_mov_b64 s[46:47], -1
                                        ; implicit-def: $vgpr5
	s_branch .LBB191_477
.LBB191_467:
	s_andn2_saveexec_b64 s[0:1], s[0:1]
	s_cbranch_execz .LBB191_452
.LBB191_468:
	v_cmp_ne_u16_e32 vcc, 0, v1
	s_andn2_b64 s[46:47], s[46:47], exec
	s_and_b64 s[52:53], vcc, exec
	s_or_b64 s[46:47], s[46:47], s[52:53]
	s_or_b64 exec, exec, s[0:1]
	v_mov_b32_e32 v5, 0
	s_and_saveexec_b64 s[0:1], s[46:47]
	s_cbranch_execnz .LBB191_453
	s_branch .LBB191_454
.LBB191_469:
	s_mov_b64 s[0:1], -1
                                        ; implicit-def: $vgpr5
	s_branch .LBB191_474
.LBB191_470:
	s_mov_b64 s[0:1], -1
                                        ; implicit-def: $vgpr5
.LBB191_471:
	s_and_b64 vcc, exec, s[0:1]
	s_cbranch_vccz .LBB191_473
; %bb.472:
	global_load_ubyte v1, v[3:4], off
	s_mov_b32 s0, 0x7f800000
	s_waitcnt vmcnt(0)
	v_lshlrev_b32_e32 v1, 24, v1
	v_and_b32_e32 v5, 0x7f000000, v1
	v_ffbh_u32_e32 v6, v5
	v_min_u32_e32 v6, 32, v6
	v_sub_u32_e64 v6, v6, 4 clamp
	v_lshlrev_b32_e32 v9, v6, v5
	v_lshlrev_b32_e32 v6, 23, v6
	v_lshrrev_b32_e32 v9, 4, v9
	v_add_u32_e32 v7, 0x1000000, v5
	v_sub_u32_e32 v6, v9, v6
	v_ashrrev_i32_e32 v7, 8, v7
	v_add_u32_e32 v6, 0x3c000000, v6
	v_and_or_b32 v6, v7, s0, v6
	v_cmp_ne_u32_e32 vcc, 0, v5
	v_cndmask_b32_e32 v5, 0, v6, vcc
	s_brev_b32 s0, 1
	v_and_or_b32 v1, v1, s0, v5
	v_cvt_i32_f32_e32 v5, v1
.LBB191_473:
	s_mov_b64 s[0:1], 0
.LBB191_474:
	s_andn2_b64 vcc, exec, s[0:1]
	s_cbranch_vccnz .LBB191_476
; %bb.475:
	global_load_ubyte v1, v[3:4], off
	s_movk_i32 s0, 0x7f00
	s_brev_b32 s1, 16
	s_waitcnt vmcnt(0)
	v_lshlrev_b16_e32 v5, 8, v1
	v_lshlrev_b32_e32 v1, 25, v1
	v_lshrrev_b32_e32 v6, 4, v1
	v_and_or_b32 v7, v5, s0, 0.5
	v_or_b32_e32 v6, 0x70000000, v6
	v_add_f32_e32 v7, -0.5, v7
	v_mul_f32_e32 v6, 0x7800000, v6
	v_cmp_gt_u32_e32 vcc, s1, v1
	v_bfe_i32 v5, v5, 0, 16
	v_cndmask_b32_e32 v1, v6, v7, vcc
	s_brev_b32 s0, 1
	v_and_or_b32 v1, v5, s0, v1
	v_cvt_i32_f32_e32 v5, v1
.LBB191_476:
	s_mov_b64 s[46:47], 0
	s_mov_b64 s[0:1], -1
.LBB191_477:
	s_andn2_b64 vcc, exec, s[46:47]
	s_cbranch_vccnz .LBB191_490
; %bb.478:
	s_cmp_gt_i32 s49, 14
	s_cbranch_scc0 .LBB191_481
; %bb.479:
	s_cmp_eq_u32 s49, 15
	s_cbranch_scc0 .LBB191_484
; %bb.480:
	global_load_ushort v1, v[3:4], off
	s_mov_b64 s[0:1], -1
	s_mov_b64 s[44:45], 0
	s_waitcnt vmcnt(0)
	v_lshlrev_b32_e32 v1, 16, v1
	v_cvt_i32_f32_e32 v5, v1
	s_branch .LBB191_485
.LBB191_481:
	s_mov_b64 s[46:47], -1
                                        ; implicit-def: $vgpr5
	s_branch .LBB191_486
.LBB191_482:
	s_andn2_saveexec_b64 s[0:1], s[0:1]
	s_cbranch_execz .LBB191_463
.LBB191_483:
	v_cmp_ne_u16_e32 vcc, 0, v1
	s_andn2_b64 s[46:47], s[46:47], exec
	s_and_b64 s[52:53], vcc, exec
	s_or_b64 s[46:47], s[46:47], s[52:53]
	s_or_b64 exec, exec, s[0:1]
	v_mov_b32_e32 v5, 0
	s_and_saveexec_b64 s[0:1], s[46:47]
	s_cbranch_execnz .LBB191_464
	s_branch .LBB191_465
.LBB191_484:
	s_mov_b64 s[44:45], -1
                                        ; implicit-def: $vgpr5
.LBB191_485:
	s_mov_b64 s[46:47], 0
.LBB191_486:
	s_and_b64 vcc, exec, s[46:47]
	s_cbranch_vccz .LBB191_490
; %bb.487:
	s_cmp_eq_u32 s49, 11
	s_cbranch_scc0 .LBB191_489
; %bb.488:
	global_load_ubyte v1, v[3:4], off
	s_mov_b64 s[0:1], -1
	s_mov_b64 s[44:45], 0
	s_waitcnt vmcnt(0)
	v_cmp_ne_u16_e32 vcc, 0, v1
	v_cndmask_b32_e64 v5, 0, 1, vcc
	s_branch .LBB191_490
.LBB191_489:
	s_mov_b64 s[44:45], -1
                                        ; implicit-def: $vgpr5
.LBB191_490:
	s_branch .LBB191_410
.LBB191_491:
	s_and_b32 s46, 0xffff, s48
	s_cmp_lt_i32 s46, 5
	s_cbranch_scc1 .LBB191_496
; %bb.492:
	s_cmp_lt_i32 s46, 8
	s_cbranch_scc1 .LBB191_497
; %bb.493:
	;; [unrolled: 3-line block ×3, first 2 shown]
	s_cmp_gt_i32 s46, 9
	s_cbranch_scc0 .LBB191_499
; %bb.495:
	global_load_dwordx2 v[5:6], v[3:4], off
	s_mov_b64 s[0:1], 0
	s_waitcnt vmcnt(0)
	v_cvt_i32_f64_e32 v5, v[5:6]
	s_branch .LBB191_500
.LBB191_496:
	s_mov_b64 s[0:1], -1
                                        ; implicit-def: $vgpr5
	s_branch .LBB191_518
.LBB191_497:
	s_mov_b64 s[0:1], -1
                                        ; implicit-def: $vgpr5
	s_branch .LBB191_506
.LBB191_498:
	s_mov_b64 s[0:1], -1
                                        ; implicit-def: $vgpr5
	s_branch .LBB191_503
.LBB191_499:
	s_mov_b64 s[0:1], -1
                                        ; implicit-def: $vgpr5
.LBB191_500:
	s_andn2_b64 vcc, exec, s[0:1]
	s_cbranch_vccnz .LBB191_502
; %bb.501:
	global_load_dword v1, v[3:4], off
	s_waitcnt vmcnt(0)
	v_cvt_i32_f32_e32 v5, v1
.LBB191_502:
	s_mov_b64 s[0:1], 0
.LBB191_503:
	s_andn2_b64 vcc, exec, s[0:1]
	s_cbranch_vccnz .LBB191_505
; %bb.504:
	global_load_dword v1, v[3:4], off
	s_waitcnt vmcnt(0)
	v_cvt_f32_f16_e32 v1, v1
	v_cvt_i32_f32_e32 v5, v1
.LBB191_505:
	s_mov_b64 s[0:1], 0
.LBB191_506:
	s_andn2_b64 vcc, exec, s[0:1]
	s_cbranch_vccnz .LBB191_517
; %bb.507:
	s_cmp_lt_i32 s46, 6
	s_cbranch_scc1 .LBB191_510
; %bb.508:
	s_cmp_gt_i32 s46, 6
	s_cbranch_scc0 .LBB191_511
; %bb.509:
	global_load_dwordx2 v[5:6], v[3:4], off
	s_mov_b64 s[0:1], 0
	s_waitcnt vmcnt(0)
	v_cvt_i32_f64_e32 v5, v[5:6]
	s_branch .LBB191_512
.LBB191_510:
	s_mov_b64 s[0:1], -1
                                        ; implicit-def: $vgpr5
	s_branch .LBB191_515
.LBB191_511:
	s_mov_b64 s[0:1], -1
                                        ; implicit-def: $vgpr5
.LBB191_512:
	s_andn2_b64 vcc, exec, s[0:1]
	s_cbranch_vccnz .LBB191_514
; %bb.513:
	global_load_dword v1, v[3:4], off
	s_waitcnt vmcnt(0)
	v_cvt_i32_f32_e32 v5, v1
.LBB191_514:
	s_mov_b64 s[0:1], 0
.LBB191_515:
	s_andn2_b64 vcc, exec, s[0:1]
	s_cbranch_vccnz .LBB191_517
; %bb.516:
	global_load_ushort v1, v[3:4], off
	s_waitcnt vmcnt(0)
	v_cvt_f32_f16_e32 v1, v1
	v_cvt_i32_f32_e32 v5, v1
.LBB191_517:
	s_mov_b64 s[0:1], 0
.LBB191_518:
	s_andn2_b64 vcc, exec, s[0:1]
	s_cbranch_vccnz .LBB191_538
; %bb.519:
	s_cmp_lt_i32 s46, 2
	s_cbranch_scc1 .LBB191_523
; %bb.520:
	s_cmp_lt_i32 s46, 3
	s_cbranch_scc1 .LBB191_524
; %bb.521:
	s_cmp_gt_i32 s46, 3
	s_cbranch_scc0 .LBB191_525
; %bb.522:
	global_load_dword v5, v[3:4], off
	s_mov_b64 s[0:1], 0
	s_branch .LBB191_526
.LBB191_523:
	s_mov_b64 s[0:1], -1
                                        ; implicit-def: $vgpr5
	s_branch .LBB191_532
.LBB191_524:
	s_mov_b64 s[0:1], -1
                                        ; implicit-def: $vgpr5
	s_branch .LBB191_529
.LBB191_525:
	s_mov_b64 s[0:1], -1
                                        ; implicit-def: $vgpr5
.LBB191_526:
	s_andn2_b64 vcc, exec, s[0:1]
	s_cbranch_vccnz .LBB191_528
; %bb.527:
	global_load_dword v5, v[3:4], off
.LBB191_528:
	s_mov_b64 s[0:1], 0
.LBB191_529:
	s_andn2_b64 vcc, exec, s[0:1]
	s_cbranch_vccnz .LBB191_531
; %bb.530:
	global_load_sshort v5, v[3:4], off
.LBB191_531:
	s_mov_b64 s[0:1], 0
.LBB191_532:
	s_andn2_b64 vcc, exec, s[0:1]
	s_cbranch_vccnz .LBB191_538
; %bb.533:
	s_cmp_gt_i32 s46, 0
	s_cbranch_scc0 .LBB191_535
; %bb.534:
	global_load_sbyte v5, v[3:4], off
	s_mov_b64 s[0:1], 0
	s_branch .LBB191_536
.LBB191_535:
	s_mov_b64 s[0:1], -1
                                        ; implicit-def: $vgpr5
.LBB191_536:
	s_andn2_b64 vcc, exec, s[0:1]
	s_cbranch_vccnz .LBB191_538
; %bb.537:
	global_load_ubyte v5, v[3:4], off
.LBB191_538:
	s_branch .LBB191_411
.LBB191_539:
	s_mov_b64 s[52:53], 0
	s_mov_b64 s[0:1], s[36:37]
	;; [unrolled: 1-line block ×3, first 2 shown]
.LBB191_540:
                                        ; implicit-def: $vgpr8
	s_branch .LBB191_778
.LBB191_541:
	s_andn2_saveexec_b64 s[48:49], s[48:49]
	s_cbranch_execz .LBB191_200
.LBB191_542:
	s_mov_b32 s52, 0x42800000
	v_add_f32_e64 v2, |v0|, s52
	v_and_b32_e32 v2, 0xff, v2
	v_cmp_ne_u32_e32 vcc, 0, v2
	s_andn2_b64 s[44:45], s[44:45], exec
	s_and_b64 s[52:53], vcc, exec
	s_or_b64 s[44:45], s[44:45], s[52:53]
	s_or_b64 exec, exec, s[48:49]
	v_mov_b32_e32 v5, 0
	s_and_saveexec_b64 s[48:49], s[44:45]
	s_cbranch_execnz .LBB191_201
	s_branch .LBB191_202
.LBB191_543:
	s_mov_b64 s[46:47], -1
                                        ; implicit-def: $vgpr3
	s_mov_b64 s[0:1], 0
.LBB191_544:
	s_and_b64 vcc, exec, s[48:49]
	s_cbranch_vccz .LBB191_548
; %bb.545:
	s_cmp_eq_u32 s53, 44
	s_cbranch_scc0 .LBB191_547
; %bb.546:
	global_load_ubyte v3, v[1:2], off
	s_mov_b64 s[0:1], -1
	s_mov_b64 s[46:47], 0
	s_waitcnt vmcnt(0)
	v_lshlrev_b32_e32 v4, 23, v3
	v_cvt_i32_f32_e32 v4, v4
	v_cmp_ne_u32_e32 vcc, 0, v3
	v_cndmask_b32_e32 v3, 0, v4, vcc
	s_branch .LBB191_548
.LBB191_547:
	s_mov_b64 s[46:47], -1
                                        ; implicit-def: $vgpr3
.LBB191_548:
	s_mov_b64 s[48:49], 0
.LBB191_549:
	s_and_b64 vcc, exec, s[48:49]
	s_cbranch_vccz .LBB191_553
; %bb.550:
	s_cmp_eq_u32 s53, 29
	s_cbranch_scc0 .LBB191_552
; %bb.551:
	global_load_dword v3, v[1:2], off
	s_mov_b64 s[0:1], -1
	s_mov_b64 s[46:47], 0
	s_branch .LBB191_553
.LBB191_552:
	s_mov_b64 s[46:47], -1
                                        ; implicit-def: $vgpr3
.LBB191_553:
	s_mov_b64 s[48:49], 0
.LBB191_554:
	s_and_b64 vcc, exec, s[48:49]
	s_cbranch_vccz .LBB191_570
; %bb.555:
	s_cmp_lt_i32 s53, 27
	s_cbranch_scc1 .LBB191_558
; %bb.556:
	s_cmp_gt_i32 s53, 27
	s_cbranch_scc0 .LBB191_559
; %bb.557:
	global_load_dword v3, v[1:2], off
	s_mov_b64 s[0:1], 0
	s_branch .LBB191_560
.LBB191_558:
	s_mov_b64 s[0:1], -1
                                        ; implicit-def: $vgpr3
	s_branch .LBB191_563
.LBB191_559:
	s_mov_b64 s[0:1], -1
                                        ; implicit-def: $vgpr3
.LBB191_560:
	s_andn2_b64 vcc, exec, s[0:1]
	s_cbranch_vccnz .LBB191_562
; %bb.561:
	global_load_ushort v3, v[1:2], off
.LBB191_562:
	s_mov_b64 s[0:1], 0
.LBB191_563:
	s_andn2_b64 vcc, exec, s[0:1]
	s_cbranch_vccnz .LBB191_569
; %bb.564:
	global_load_ubyte v4, v[1:2], off
	s_movk_i32 s0, 0x7f
	s_mov_b64 s[48:49], 0
	s_waitcnt vmcnt(0)
	v_cmp_lt_i16_e32 vcc, s0, v4
	s_and_saveexec_b64 s[0:1], vcc
	s_xor_b64 s[0:1], exec, s[0:1]
	s_cbranch_execz .LBB191_581
; %bb.565:
	s_movk_i32 s48, 0x80
	v_cmp_ne_u16_e32 vcc, s48, v4
	s_and_b64 s[48:49], vcc, exec
	s_andn2_saveexec_b64 s[0:1], s[0:1]
	s_cbranch_execnz .LBB191_582
.LBB191_566:
	s_or_b64 exec, exec, s[0:1]
	v_mov_b32_e32 v3, 0
	s_and_saveexec_b64 s[0:1], s[48:49]
	s_cbranch_execz .LBB191_568
.LBB191_567:
	v_lshlrev_b32_e32 v3, 24, v4
	v_and_b32_e32 v4, 0xffff, v4
	v_and_b32_e32 v6, 7, v4
	v_ffbh_u32_e32 v9, v6
	v_min_u32_e32 v9, 32, v9
	v_subrev_u32_e32 v10, 28, v9
	v_bfe_u32 v7, v4, 3, 4
	v_lshlrev_b32_e32 v4, v10, v4
	v_sub_u32_e32 v9, 29, v9
	v_and_b32_e32 v4, 7, v4
	v_cmp_eq_u32_e32 vcc, 0, v7
	v_cndmask_b32_e32 v7, v7, v9, vcc
	v_cndmask_b32_e32 v4, v6, v4, vcc
	v_mov_b32_e32 v6, 0x3b800000
	v_lshlrev_b32_e32 v4, 20, v4
	v_and_b32_e32 v3, 0x80000000, v3
	v_lshl_add_u32 v6, v7, 23, v6
	v_or3_b32 v3, v3, v6, v4
	v_cvt_i32_f32_e32 v3, v3
.LBB191_568:
	s_or_b64 exec, exec, s[0:1]
.LBB191_569:
	s_mov_b64 s[0:1], -1
.LBB191_570:
	s_mov_b64 s[48:49], 0
.LBB191_571:
	s_and_b64 vcc, exec, s[48:49]
	s_cbranch_vccz .LBB191_604
; %bb.572:
	s_cmp_gt_i32 s53, 22
	s_cbranch_scc0 .LBB191_580
; %bb.573:
	s_cmp_lt_i32 s53, 24
	s_cbranch_scc1 .LBB191_583
; %bb.574:
	s_cmp_gt_i32 s53, 24
	s_cbranch_scc0 .LBB191_584
; %bb.575:
	global_load_ubyte v4, v[1:2], off
	s_movk_i32 s0, 0x7f
	s_mov_b64 s[48:49], 0
	s_waitcnt vmcnt(0)
	v_cmp_lt_i16_e32 vcc, s0, v4
	s_and_saveexec_b64 s[0:1], vcc
	s_xor_b64 s[0:1], exec, s[0:1]
	s_cbranch_execz .LBB191_596
; %bb.576:
	s_movk_i32 s48, 0x80
	v_cmp_ne_u16_e32 vcc, s48, v4
	s_and_b64 s[48:49], vcc, exec
	s_andn2_saveexec_b64 s[0:1], s[0:1]
	s_cbranch_execnz .LBB191_597
.LBB191_577:
	s_or_b64 exec, exec, s[0:1]
	v_mov_b32_e32 v3, 0
	s_and_saveexec_b64 s[0:1], s[48:49]
	s_cbranch_execz .LBB191_579
.LBB191_578:
	v_lshlrev_b32_e32 v3, 24, v4
	v_and_b32_e32 v4, 0xffff, v4
	v_and_b32_e32 v6, 3, v4
	v_ffbh_u32_e32 v9, v6
	v_min_u32_e32 v9, 32, v9
	v_subrev_u32_e32 v10, 29, v9
	v_bfe_u32 v7, v4, 2, 5
	v_lshlrev_b32_e32 v4, v10, v4
	v_sub_u32_e32 v9, 30, v9
	v_and_b32_e32 v4, 3, v4
	v_cmp_eq_u32_e32 vcc, 0, v7
	v_cndmask_b32_e32 v7, v7, v9, vcc
	v_cndmask_b32_e32 v4, v6, v4, vcc
	v_mov_b32_e32 v6, 0x37800000
	v_lshlrev_b32_e32 v4, 21, v4
	v_and_b32_e32 v3, 0x80000000, v3
	v_lshl_add_u32 v6, v7, 23, v6
	v_or3_b32 v3, v3, v6, v4
	v_cvt_i32_f32_e32 v3, v3
.LBB191_579:
	s_or_b64 exec, exec, s[0:1]
	s_mov_b64 s[0:1], 0
	s_branch .LBB191_585
.LBB191_580:
	s_mov_b64 s[48:49], -1
                                        ; implicit-def: $vgpr3
	s_branch .LBB191_591
.LBB191_581:
	s_andn2_saveexec_b64 s[0:1], s[0:1]
	s_cbranch_execz .LBB191_566
.LBB191_582:
	v_cmp_ne_u16_e32 vcc, 0, v4
	s_andn2_b64 s[48:49], s[48:49], exec
	s_and_b64 s[54:55], vcc, exec
	s_or_b64 s[48:49], s[48:49], s[54:55]
	s_or_b64 exec, exec, s[0:1]
	v_mov_b32_e32 v3, 0
	s_and_saveexec_b64 s[0:1], s[48:49]
	s_cbranch_execnz .LBB191_567
	s_branch .LBB191_568
.LBB191_583:
	s_mov_b64 s[0:1], -1
                                        ; implicit-def: $vgpr3
	s_branch .LBB191_588
.LBB191_584:
	s_mov_b64 s[0:1], -1
                                        ; implicit-def: $vgpr3
.LBB191_585:
	s_and_b64 vcc, exec, s[0:1]
	s_cbranch_vccz .LBB191_587
; %bb.586:
	global_load_ubyte v3, v[1:2], off
	s_mov_b32 s0, 0x7f800000
	s_waitcnt vmcnt(0)
	v_lshlrev_b32_e32 v3, 24, v3
	v_and_b32_e32 v4, 0x7f000000, v3
	v_ffbh_u32_e32 v6, v4
	v_min_u32_e32 v6, 32, v6
	v_sub_u32_e64 v6, v6, 4 clamp
	v_lshlrev_b32_e32 v9, v6, v4
	v_lshlrev_b32_e32 v6, 23, v6
	v_lshrrev_b32_e32 v9, 4, v9
	v_add_u32_e32 v7, 0x1000000, v4
	v_sub_u32_e32 v6, v9, v6
	v_ashrrev_i32_e32 v7, 8, v7
	v_add_u32_e32 v6, 0x3c000000, v6
	v_and_or_b32 v6, v7, s0, v6
	v_cmp_ne_u32_e32 vcc, 0, v4
	v_cndmask_b32_e32 v4, 0, v6, vcc
	s_brev_b32 s0, 1
	v_and_or_b32 v3, v3, s0, v4
	v_cvt_i32_f32_e32 v3, v3
.LBB191_587:
	s_mov_b64 s[0:1], 0
.LBB191_588:
	s_andn2_b64 vcc, exec, s[0:1]
	s_cbranch_vccnz .LBB191_590
; %bb.589:
	global_load_ubyte v3, v[1:2], off
	s_movk_i32 s0, 0x7f00
	s_brev_b32 s1, 16
	s_waitcnt vmcnt(0)
	v_lshlrev_b16_e32 v4, 8, v3
	v_lshlrev_b32_e32 v3, 25, v3
	v_lshrrev_b32_e32 v6, 4, v3
	v_and_or_b32 v7, v4, s0, 0.5
	v_or_b32_e32 v6, 0x70000000, v6
	v_add_f32_e32 v7, -0.5, v7
	v_mul_f32_e32 v6, 0x7800000, v6
	v_cmp_gt_u32_e32 vcc, s1, v3
	v_bfe_i32 v4, v4, 0, 16
	v_cndmask_b32_e32 v3, v6, v7, vcc
	s_brev_b32 s0, 1
	v_and_or_b32 v3, v4, s0, v3
	v_cvt_i32_f32_e32 v3, v3
.LBB191_590:
	s_mov_b64 s[48:49], 0
	s_mov_b64 s[0:1], -1
.LBB191_591:
	s_andn2_b64 vcc, exec, s[48:49]
	s_cbranch_vccnz .LBB191_604
; %bb.592:
	s_cmp_gt_i32 s53, 14
	s_cbranch_scc0 .LBB191_595
; %bb.593:
	s_cmp_eq_u32 s53, 15
	s_cbranch_scc0 .LBB191_598
; %bb.594:
	global_load_ushort v3, v[1:2], off
	s_mov_b64 s[0:1], -1
	s_mov_b64 s[46:47], 0
	s_waitcnt vmcnt(0)
	v_lshlrev_b32_e32 v3, 16, v3
	v_cvt_i32_f32_e32 v3, v3
	s_branch .LBB191_599
.LBB191_595:
	s_mov_b64 s[48:49], -1
                                        ; implicit-def: $vgpr3
	s_branch .LBB191_600
.LBB191_596:
	s_andn2_saveexec_b64 s[0:1], s[0:1]
	s_cbranch_execz .LBB191_577
.LBB191_597:
	v_cmp_ne_u16_e32 vcc, 0, v4
	s_andn2_b64 s[48:49], s[48:49], exec
	s_and_b64 s[54:55], vcc, exec
	s_or_b64 s[48:49], s[48:49], s[54:55]
	s_or_b64 exec, exec, s[0:1]
	v_mov_b32_e32 v3, 0
	s_and_saveexec_b64 s[0:1], s[48:49]
	s_cbranch_execnz .LBB191_578
	s_branch .LBB191_579
.LBB191_598:
	s_mov_b64 s[46:47], -1
                                        ; implicit-def: $vgpr3
.LBB191_599:
	s_mov_b64 s[48:49], 0
.LBB191_600:
	s_and_b64 vcc, exec, s[48:49]
	s_cbranch_vccz .LBB191_604
; %bb.601:
	s_cmp_eq_u32 s53, 11
	s_cbranch_scc0 .LBB191_603
; %bb.602:
	global_load_ubyte v3, v[1:2], off
	s_mov_b64 s[0:1], -1
	s_mov_b64 s[46:47], 0
	s_waitcnt vmcnt(0)
	v_cmp_ne_u16_e32 vcc, 0, v3
	v_cndmask_b32_e64 v3, 0, 1, vcc
	s_branch .LBB191_604
.LBB191_603:
	s_mov_b64 s[46:47], -1
                                        ; implicit-def: $vgpr3
.LBB191_604:
	s_mov_b64 s[48:49], 0
.LBB191_605:
	s_and_b64 vcc, exec, s[48:49]
	s_cbranch_vccz .LBB191_654
; %bb.606:
	s_and_b32 s48, 0xffff, s52
	s_cmp_lt_i32 s48, 5
	s_cbranch_scc1 .LBB191_611
; %bb.607:
	s_cmp_lt_i32 s48, 8
	s_cbranch_scc1 .LBB191_612
; %bb.608:
	;; [unrolled: 3-line block ×3, first 2 shown]
	s_cmp_gt_i32 s48, 9
	s_cbranch_scc0 .LBB191_614
; %bb.610:
	global_load_dwordx2 v[3:4], v[1:2], off
	s_mov_b64 s[0:1], 0
	s_waitcnt vmcnt(0)
	v_cvt_i32_f64_e32 v3, v[3:4]
	s_branch .LBB191_615
.LBB191_611:
	s_mov_b64 s[0:1], -1
                                        ; implicit-def: $vgpr3
	s_branch .LBB191_633
.LBB191_612:
	s_mov_b64 s[0:1], -1
                                        ; implicit-def: $vgpr3
	s_branch .LBB191_621
.LBB191_613:
	s_mov_b64 s[0:1], -1
                                        ; implicit-def: $vgpr3
	s_branch .LBB191_618
.LBB191_614:
	s_mov_b64 s[0:1], -1
                                        ; implicit-def: $vgpr3
.LBB191_615:
	s_andn2_b64 vcc, exec, s[0:1]
	s_cbranch_vccnz .LBB191_617
; %bb.616:
	global_load_dword v3, v[1:2], off
	s_waitcnt vmcnt(0)
	v_cvt_i32_f32_e32 v3, v3
.LBB191_617:
	s_mov_b64 s[0:1], 0
.LBB191_618:
	s_andn2_b64 vcc, exec, s[0:1]
	s_cbranch_vccnz .LBB191_620
; %bb.619:
	global_load_dword v3, v[1:2], off
	s_waitcnt vmcnt(0)
	v_cvt_f32_f16_e32 v3, v3
	v_cvt_i32_f32_e32 v3, v3
.LBB191_620:
	s_mov_b64 s[0:1], 0
.LBB191_621:
	s_andn2_b64 vcc, exec, s[0:1]
	s_cbranch_vccnz .LBB191_632
; %bb.622:
	s_cmp_lt_i32 s48, 6
	s_cbranch_scc1 .LBB191_625
; %bb.623:
	s_cmp_gt_i32 s48, 6
	s_cbranch_scc0 .LBB191_626
; %bb.624:
	global_load_dwordx2 v[3:4], v[1:2], off
	s_mov_b64 s[0:1], 0
	s_waitcnt vmcnt(0)
	v_cvt_i32_f64_e32 v3, v[3:4]
	s_branch .LBB191_627
.LBB191_625:
	s_mov_b64 s[0:1], -1
                                        ; implicit-def: $vgpr3
	s_branch .LBB191_630
.LBB191_626:
	s_mov_b64 s[0:1], -1
                                        ; implicit-def: $vgpr3
.LBB191_627:
	s_andn2_b64 vcc, exec, s[0:1]
	s_cbranch_vccnz .LBB191_629
; %bb.628:
	global_load_dword v3, v[1:2], off
	s_waitcnt vmcnt(0)
	v_cvt_i32_f32_e32 v3, v3
.LBB191_629:
	s_mov_b64 s[0:1], 0
.LBB191_630:
	s_andn2_b64 vcc, exec, s[0:1]
	s_cbranch_vccnz .LBB191_632
; %bb.631:
	global_load_ushort v3, v[1:2], off
	s_waitcnt vmcnt(0)
	v_cvt_f32_f16_e32 v3, v3
	v_cvt_i32_f32_e32 v3, v3
.LBB191_632:
	s_mov_b64 s[0:1], 0
.LBB191_633:
	s_andn2_b64 vcc, exec, s[0:1]
	s_cbranch_vccnz .LBB191_653
; %bb.634:
	s_cmp_lt_i32 s48, 2
	s_cbranch_scc1 .LBB191_638
; %bb.635:
	s_cmp_lt_i32 s48, 3
	s_cbranch_scc1 .LBB191_639
; %bb.636:
	s_cmp_gt_i32 s48, 3
	s_cbranch_scc0 .LBB191_640
; %bb.637:
	global_load_dword v3, v[1:2], off
	s_mov_b64 s[0:1], 0
	s_branch .LBB191_641
.LBB191_638:
	s_mov_b64 s[0:1], -1
                                        ; implicit-def: $vgpr3
	s_branch .LBB191_647
.LBB191_639:
	s_mov_b64 s[0:1], -1
                                        ; implicit-def: $vgpr3
	s_branch .LBB191_644
.LBB191_640:
	s_mov_b64 s[0:1], -1
                                        ; implicit-def: $vgpr3
.LBB191_641:
	s_andn2_b64 vcc, exec, s[0:1]
	s_cbranch_vccnz .LBB191_643
; %bb.642:
	global_load_dword v3, v[1:2], off
.LBB191_643:
	s_mov_b64 s[0:1], 0
.LBB191_644:
	s_andn2_b64 vcc, exec, s[0:1]
	s_cbranch_vccnz .LBB191_646
; %bb.645:
	global_load_sshort v3, v[1:2], off
.LBB191_646:
	s_mov_b64 s[0:1], 0
.LBB191_647:
	s_andn2_b64 vcc, exec, s[0:1]
	s_cbranch_vccnz .LBB191_653
; %bb.648:
	s_cmp_gt_i32 s48, 0
	s_cbranch_scc0 .LBB191_650
; %bb.649:
	global_load_sbyte v3, v[1:2], off
	s_mov_b64 s[0:1], 0
	s_branch .LBB191_651
.LBB191_650:
	s_mov_b64 s[0:1], -1
                                        ; implicit-def: $vgpr3
.LBB191_651:
	s_andn2_b64 vcc, exec, s[0:1]
	s_cbranch_vccnz .LBB191_653
; %bb.652:
	global_load_ubyte v3, v[1:2], off
.LBB191_653:
	s_mov_b64 s[0:1], -1
.LBB191_654:
	s_andn2_b64 vcc, exec, s[0:1]
	s_cbranch_vccnz .LBB191_662
; %bb.655:
	s_waitcnt vmcnt(0)
	v_min_u32_e32 v1, 31, v3
	v_mov_b32_e32 v2, s9
	s_and_b32 s56, s69, 0xff
	v_add_co_u32_e32 v3, vcc, s8, v0
	v_ashrrev_i32_e32 v1, v1, v5
	s_cmp_lt_i32 s56, 11
	v_addc_co_u32_e32 v4, vcc, 0, v2, vcc
	s_cbranch_scc1 .LBB191_663
; %bb.656:
	s_and_b32 s57, 0xffff, s56
	s_cmp_gt_i32 s57, 25
	s_cbranch_scc0 .LBB191_664
; %bb.657:
	s_cmp_gt_i32 s57, 28
	s_cbranch_scc0 .LBB191_665
; %bb.658:
	;; [unrolled: 3-line block ×4, first 2 shown]
	s_mov_b64 s[52:53], 0
	s_mov_b64 s[0:1], -1
	s_cmp_eq_u32 s57, 46
	s_mov_b64 s[48:49], 0
	s_cbranch_scc0 .LBB191_668
; %bb.661:
	v_cvt_f32_i32_e32 v0, v1
	s_movk_i32 s0, 0x7fff
	s_mov_b64 s[48:49], -1
	v_bfe_u32 v2, v0, 16, 1
	v_add3_u32 v0, v0, v2, s0
	v_lshrrev_b32_e32 v0, 16, v0
	global_store_dword v[3:4], v0, off
	s_mov_b64 s[0:1], 0
	s_branch .LBB191_668
.LBB191_662:
	s_mov_b64 s[52:53], 0
                                        ; implicit-def: $vgpr8
	s_mov_b64 s[0:1], s[36:37]
	s_branch .LBB191_778
.LBB191_663:
	s_mov_b64 s[52:53], -1
	s_mov_b64 s[48:49], 0
	s_mov_b64 s[0:1], s[36:37]
	s_branch .LBB191_737
.LBB191_664:
	s_mov_b64 s[52:53], -1
	s_mov_b64 s[48:49], 0
	s_mov_b64 s[0:1], s[36:37]
	s_branch .LBB191_695
.LBB191_665:
	s_mov_b64 s[52:53], -1
	s_mov_b64 s[48:49], 0
	s_mov_b64 s[0:1], s[36:37]
	s_branch .LBB191_678
.LBB191_666:
	s_mov_b64 s[52:53], -1
	s_mov_b64 s[48:49], 0
	s_mov_b64 s[0:1], s[36:37]
	s_branch .LBB191_674
.LBB191_667:
	s_mov_b64 s[52:53], -1
	s_mov_b64 s[48:49], 0
	s_mov_b64 s[0:1], s[36:37]
.LBB191_668:
	s_and_b64 vcc, exec, s[52:53]
	s_cbranch_vccz .LBB191_673
; %bb.669:
	s_cmp_eq_u32 s57, 44
	s_mov_b64 s[0:1], -1
	s_cbranch_scc0 .LBB191_673
; %bb.670:
	v_cvt_f32_i32_e32 v0, v1
	s_movk_i32 s0, 0xff
	v_mov_b32_e32 v5, 0xff
	v_bfe_u32 v2, v0, 23, 8
	v_cmp_ne_u32_e32 vcc, s0, v2
	s_and_saveexec_b64 s[48:49], vcc
; %bb.671:
	s_mov_b32 s0, 0x3fffff
	v_lshrrev_b32_e32 v5, 23, v0
	v_and_b32_e32 v6, 0x400000, v0
	v_and_or_b32 v0, v0, s0, v2
	v_cmp_ne_u32_e32 vcc, 0, v6
	v_cmp_ne_u32_e64 s[0:1], 0, v0
	s_and_b64 s[0:1], vcc, s[0:1]
	v_cndmask_b32_e64 v0, 0, 1, s[0:1]
	v_add_u32_e32 v5, v5, v0
; %bb.672:
	s_or_b64 exec, exec, s[48:49]
	s_mov_b64 s[48:49], -1
	s_mov_b64 s[0:1], 0
	global_store_byte v[3:4], v5, off
.LBB191_673:
	s_mov_b64 s[52:53], 0
.LBB191_674:
	s_and_b64 vcc, exec, s[52:53]
	s_cbranch_vccz .LBB191_677
; %bb.675:
	s_cmp_eq_u32 s57, 29
	s_mov_b64 s[0:1], -1
	s_cbranch_scc0 .LBB191_677
; %bb.676:
	v_ashrrev_i32_e32 v2, 31, v1
	global_store_dwordx2 v[3:4], v[1:2], off
	s_mov_b64 s[48:49], -1
	s_mov_b64 s[0:1], 0
.LBB191_677:
	s_mov_b64 s[52:53], 0
.LBB191_678:
	s_and_b64 vcc, exec, s[52:53]
	s_cbranch_vccz .LBB191_694
; %bb.679:
	s_cmp_lt_i32 s57, 27
	s_mov_b64 s[48:49], -1
	s_cbranch_scc1 .LBB191_685
; %bb.680:
	s_cmp_gt_i32 s57, 27
	s_cbranch_scc0 .LBB191_682
; %bb.681:
	s_mov_b64 s[48:49], 0
	global_store_dword v[3:4], v1, off
.LBB191_682:
	s_andn2_b64 vcc, exec, s[48:49]
	s_cbranch_vccnz .LBB191_684
; %bb.683:
	global_store_short v[3:4], v1, off
.LBB191_684:
	s_mov_b64 s[48:49], 0
.LBB191_685:
	s_andn2_b64 vcc, exec, s[48:49]
	s_cbranch_vccnz .LBB191_693
; %bb.686:
	v_cvt_f32_i32_e32 v0, v1
	s_mov_b32 s48, 0x43800000
	v_mov_b32_e32 v5, 0x80
	v_and_b32_e32 v2, 0x7fffffff, v0
	v_cmp_gt_u32_e32 vcc, s48, v2
	s_and_saveexec_b64 s[48:49], vcc
	s_cbranch_execz .LBB191_692
; %bb.687:
	s_mov_b32 s52, 0x3bffffff
	v_cmp_lt_u32_e32 vcc, s52, v2
	s_mov_b64 s[52:53], 0
                                        ; implicit-def: $vgpr2
	s_and_saveexec_b64 s[54:55], vcc
	s_xor_b64 s[54:55], exec, s[54:55]
	s_cbranch_execz .LBB191_806
; %bb.688:
	v_bfe_u32 v2, v0, 20, 1
	s_mov_b32 s58, 0x487ffff
	v_add3_u32 v2, v0, v2, s58
	s_mov_b64 s[52:53], exec
	v_lshrrev_b32_e32 v2, 20, v2
	s_andn2_saveexec_b64 s[54:55], s[54:55]
	s_cbranch_execnz .LBB191_807
.LBB191_689:
	s_or_b64 exec, exec, s[54:55]
	v_mov_b32_e32 v5, 0
	s_and_saveexec_b64 s[54:55], s[52:53]
.LBB191_690:
	v_lshrrev_b32_e32 v0, 24, v0
	s_movk_i32 s52, 0x80
	v_and_or_b32 v5, v0, s52, v2
.LBB191_691:
	s_or_b64 exec, exec, s[54:55]
.LBB191_692:
	s_or_b64 exec, exec, s[48:49]
	global_store_byte v[3:4], v5, off
.LBB191_693:
	s_mov_b64 s[48:49], -1
.LBB191_694:
	s_mov_b64 s[52:53], 0
.LBB191_695:
	s_and_b64 vcc, exec, s[52:53]
	s_cbranch_vccz .LBB191_736
; %bb.696:
	s_cmp_gt_i32 s57, 22
	s_mov_b64 s[52:53], -1
	s_cbranch_scc0 .LBB191_728
; %bb.697:
	s_cmp_lt_i32 s57, 24
	s_mov_b64 s[48:49], -1
	s_cbranch_scc1 .LBB191_717
; %bb.698:
	s_cmp_gt_i32 s57, 24
	s_cbranch_scc0 .LBB191_706
; %bb.699:
	v_cvt_f32_i32_e32 v0, v1
	s_mov_b32 s48, 0x47800000
	v_mov_b32_e32 v5, 0x80
	v_and_b32_e32 v2, 0x7fffffff, v0
	v_cmp_gt_u32_e32 vcc, s48, v2
	s_and_saveexec_b64 s[48:49], vcc
	s_cbranch_execz .LBB191_705
; %bb.700:
	s_mov_b32 s52, 0x37ffffff
	v_cmp_lt_u32_e32 vcc, s52, v2
	s_mov_b64 s[52:53], 0
                                        ; implicit-def: $vgpr2
	s_and_saveexec_b64 s[54:55], vcc
	s_xor_b64 s[54:55], exec, s[54:55]
	s_cbranch_execz .LBB191_934
; %bb.701:
	v_bfe_u32 v2, v0, 21, 1
	s_mov_b32 s58, 0x88fffff
	v_add3_u32 v2, v0, v2, s58
	s_mov_b64 s[52:53], exec
	v_lshrrev_b32_e32 v2, 21, v2
	s_andn2_saveexec_b64 s[54:55], s[54:55]
	s_cbranch_execnz .LBB191_935
.LBB191_702:
	s_or_b64 exec, exec, s[54:55]
	v_mov_b32_e32 v5, 0
	s_and_saveexec_b64 s[54:55], s[52:53]
.LBB191_703:
	v_lshrrev_b32_e32 v0, 24, v0
	s_movk_i32 s52, 0x80
	v_and_or_b32 v5, v0, s52, v2
.LBB191_704:
	s_or_b64 exec, exec, s[54:55]
.LBB191_705:
	s_or_b64 exec, exec, s[48:49]
	s_mov_b64 s[48:49], 0
	global_store_byte v[3:4], v5, off
.LBB191_706:
	s_and_b64 vcc, exec, s[48:49]
	s_cbranch_vccz .LBB191_716
; %bb.707:
	v_cvt_f32_i32_e32 v0, v1
	s_mov_b32 s48, 0x43f00000
                                        ; implicit-def: $vgpr2
	v_and_b32_e32 v5, 0x7fffffff, v0
	v_cmp_gt_u32_e32 vcc, s48, v5
	s_and_saveexec_b64 s[48:49], vcc
	s_xor_b64 s[48:49], exec, s[48:49]
	s_cbranch_execz .LBB191_713
; %bb.708:
	s_mov_b32 s52, 0x3c7fffff
	v_cmp_lt_u32_e32 vcc, s52, v5
                                        ; implicit-def: $vgpr2
	s_and_saveexec_b64 s[52:53], vcc
	s_xor_b64 s[52:53], exec, s[52:53]
; %bb.709:
	v_bfe_u32 v2, v0, 20, 1
	s_mov_b32 s54, 0x407ffff
	v_add3_u32 v2, v0, v2, s54
	v_lshrrev_b32_e32 v5, 20, v2
	v_and_b32_e32 v2, 0xff00000, v2
	s_mov_b32 s54, 0x7f00000
	v_mov_b32_e32 v6, 0x7e
	v_cmp_ne_u32_e32 vcc, s54, v2
	v_cndmask_b32_e32 v2, v6, v5, vcc
; %bb.710:
	s_andn2_saveexec_b64 s[52:53], s[52:53]
; %bb.711:
	s_mov_b32 s54, 0x46800000
	v_add_f32_e64 v2, |v0|, s54
; %bb.712:
	s_or_b64 exec, exec, s[52:53]
                                        ; implicit-def: $vgpr5
.LBB191_713:
	s_andn2_saveexec_b64 s[48:49], s[48:49]
; %bb.714:
	s_mov_b32 s52, 0x7f800000
	v_mov_b32_e32 v2, 0x7e
	v_mov_b32_e32 v6, 0x7f
	v_cmp_lt_u32_e32 vcc, s52, v5
	v_cndmask_b32_e32 v2, v2, v6, vcc
; %bb.715:
	s_or_b64 exec, exec, s[48:49]
	v_lshrrev_b32_e32 v0, 24, v0
	s_movk_i32 s48, 0x80
	v_and_or_b32 v0, v0, s48, v2
	global_store_byte v[3:4], v0, off
.LBB191_716:
	s_mov_b64 s[48:49], 0
.LBB191_717:
	s_andn2_b64 vcc, exec, s[48:49]
	s_cbranch_vccnz .LBB191_727
; %bb.718:
	v_cvt_f32_i32_e32 v0, v1
	s_mov_b32 s48, 0x47800000
                                        ; implicit-def: $vgpr2
	v_and_b32_e32 v5, 0x7fffffff, v0
	v_cmp_gt_u32_e32 vcc, s48, v5
	s_and_saveexec_b64 s[48:49], vcc
	s_xor_b64 s[48:49], exec, s[48:49]
	s_cbranch_execz .LBB191_724
; %bb.719:
	s_mov_b32 s52, 0x387fffff
	v_cmp_lt_u32_e32 vcc, s52, v5
                                        ; implicit-def: $vgpr2
	s_and_saveexec_b64 s[52:53], vcc
	s_xor_b64 s[52:53], exec, s[52:53]
; %bb.720:
	v_bfe_u32 v2, v0, 21, 1
	s_mov_b32 s54, 0x80fffff
	v_add3_u32 v2, v0, v2, s54
	v_lshrrev_b32_e32 v2, 21, v2
; %bb.721:
	s_andn2_saveexec_b64 s[52:53], s[52:53]
; %bb.722:
	s_mov_b32 s54, 0x43000000
	v_add_f32_e64 v2, |v0|, s54
; %bb.723:
	s_or_b64 exec, exec, s[52:53]
                                        ; implicit-def: $vgpr5
.LBB191_724:
	s_andn2_saveexec_b64 s[48:49], s[48:49]
; %bb.725:
	s_mov_b32 s52, 0x7f800000
	v_mov_b32_e32 v2, 0x7c
	v_mov_b32_e32 v6, 0x7f
	v_cmp_lt_u32_e32 vcc, s52, v5
	v_cndmask_b32_e32 v2, v2, v6, vcc
; %bb.726:
	s_or_b64 exec, exec, s[48:49]
	v_lshrrev_b32_e32 v0, 24, v0
	s_movk_i32 s48, 0x80
	v_and_or_b32 v0, v0, s48, v2
	global_store_byte v[3:4], v0, off
.LBB191_727:
	s_mov_b64 s[52:53], 0
	s_mov_b64 s[48:49], -1
.LBB191_728:
	s_andn2_b64 vcc, exec, s[52:53]
	s_cbranch_vccnz .LBB191_736
; %bb.729:
	s_cmp_gt_i32 s57, 14
	s_mov_b64 s[52:53], -1
	s_cbranch_scc0 .LBB191_733
; %bb.730:
	s_cmp_eq_u32 s57, 15
	s_mov_b64 s[0:1], -1
	s_cbranch_scc0 .LBB191_732
; %bb.731:
	v_cvt_f32_i32_e32 v0, v1
	s_movk_i32 s0, 0x7fff
	s_mov_b64 s[48:49], -1
	v_bfe_u32 v2, v0, 16, 1
	v_add3_u32 v0, v0, v2, s0
	global_store_short_d16_hi v[3:4], v0, off
	s_mov_b64 s[0:1], 0
.LBB191_732:
	s_mov_b64 s[52:53], 0
.LBB191_733:
	s_and_b64 vcc, exec, s[52:53]
	s_cbranch_vccz .LBB191_736
; %bb.734:
	s_cmp_eq_u32 s57, 11
	s_mov_b64 s[0:1], -1
	s_cbranch_scc0 .LBB191_736
; %bb.735:
	v_cmp_ne_u32_e32 vcc, 0, v1
	v_cndmask_b32_e64 v0, 0, 1, vcc
	s_mov_b64 s[48:49], -1
	s_mov_b64 s[0:1], 0
	global_store_byte v[3:4], v0, off
.LBB191_736:
	s_mov_b64 s[52:53], 0
.LBB191_737:
	s_and_b64 vcc, exec, s[52:53]
	s_cbranch_vccz .LBB191_776
; %bb.738:
	s_and_b32 s52, 0xffff, s56
	s_cmp_lt_i32 s52, 5
	s_mov_b64 s[48:49], -1
	s_cbranch_scc1 .LBB191_759
; %bb.739:
	s_cmp_lt_i32 s52, 8
	s_cbranch_scc1 .LBB191_749
; %bb.740:
	s_cmp_lt_i32 s52, 9
	s_cbranch_scc1 .LBB191_746
; %bb.741:
	s_cmp_gt_i32 s52, 9
	s_cbranch_scc0 .LBB191_743
; %bb.742:
	v_cvt_f64_i32_e32 v[9:10], v1
	v_mov_b32_e32 v11, 0
	v_mov_b32_e32 v12, v11
	s_mov_b64 s[48:49], 0
	global_store_dwordx4 v[3:4], v[9:12], off
.LBB191_743:
	s_andn2_b64 vcc, exec, s[48:49]
	s_cbranch_vccnz .LBB191_745
; %bb.744:
	v_cvt_f32_i32_e32 v5, v1
	v_mov_b32_e32 v6, 0
	global_store_dwordx2 v[3:4], v[5:6], off
.LBB191_745:
	s_mov_b64 s[48:49], 0
.LBB191_746:
	s_andn2_b64 vcc, exec, s[48:49]
	s_cbranch_vccnz .LBB191_748
; %bb.747:
	v_cvt_f32_i32_e32 v0, v1
	v_cvt_f16_f32_e32 v0, v0
	global_store_dword v[3:4], v0, off
.LBB191_748:
	s_mov_b64 s[48:49], 0
.LBB191_749:
	s_andn2_b64 vcc, exec, s[48:49]
	s_cbranch_vccnz .LBB191_758
; %bb.750:
	s_cmp_lt_i32 s52, 6
	s_mov_b64 s[48:49], -1
	s_cbranch_scc1 .LBB191_756
; %bb.751:
	s_cmp_gt_i32 s52, 6
	s_cbranch_scc0 .LBB191_753
; %bb.752:
	v_cvt_f64_i32_e32 v[5:6], v1
	s_mov_b64 s[48:49], 0
	global_store_dwordx2 v[3:4], v[5:6], off
.LBB191_753:
	s_andn2_b64 vcc, exec, s[48:49]
	s_cbranch_vccnz .LBB191_755
; %bb.754:
	v_cvt_f32_i32_e32 v0, v1
	global_store_dword v[3:4], v0, off
.LBB191_755:
	s_mov_b64 s[48:49], 0
.LBB191_756:
	s_andn2_b64 vcc, exec, s[48:49]
	s_cbranch_vccnz .LBB191_758
; %bb.757:
	v_cvt_f32_i32_e32 v0, v1
	v_cvt_f16_f32_e32 v0, v0
	global_store_short v[3:4], v0, off
.LBB191_758:
	s_mov_b64 s[48:49], 0
.LBB191_759:
	s_andn2_b64 vcc, exec, s[48:49]
	s_cbranch_vccnz .LBB191_775
; %bb.760:
	s_cmp_lt_i32 s52, 2
	s_mov_b64 s[48:49], -1
	s_cbranch_scc1 .LBB191_770
; %bb.761:
	s_cmp_lt_i32 s52, 3
	s_cbranch_scc1 .LBB191_767
; %bb.762:
	s_cmp_gt_i32 s52, 3
	s_cbranch_scc0 .LBB191_764
; %bb.763:
	v_ashrrev_i32_e32 v2, 31, v1
	s_mov_b64 s[48:49], 0
	global_store_dwordx2 v[3:4], v[1:2], off
.LBB191_764:
	s_andn2_b64 vcc, exec, s[48:49]
	s_cbranch_vccnz .LBB191_766
; %bb.765:
	global_store_dword v[3:4], v1, off
.LBB191_766:
	s_mov_b64 s[48:49], 0
.LBB191_767:
	s_andn2_b64 vcc, exec, s[48:49]
	s_cbranch_vccnz .LBB191_769
; %bb.768:
	global_store_short v[3:4], v1, off
.LBB191_769:
	s_mov_b64 s[48:49], 0
.LBB191_770:
	s_andn2_b64 vcc, exec, s[48:49]
	s_cbranch_vccnz .LBB191_775
; %bb.771:
	s_cmp_gt_i32 s52, 0
	s_mov_b64 s[48:49], -1
	s_cbranch_scc0 .LBB191_773
; %bb.772:
	s_mov_b64 s[48:49], 0
	global_store_byte v[3:4], v1, off
.LBB191_773:
	s_andn2_b64 vcc, exec, s[48:49]
	s_cbranch_vccnz .LBB191_775
; %bb.774:
	global_store_byte v[3:4], v1, off
.LBB191_775:
	s_mov_b64 s[48:49], -1
.LBB191_776:
	s_andn2_b64 vcc, exec, s[48:49]
	s_cbranch_vccnz .LBB191_788
; %bb.777:
	v_add_u32_e32 v8, 0x80, v8
	s_mov_b64 s[52:53], -1
.LBB191_778:
	s_andn2_b64 s[48:49], s[36:37], exec
	s_and_b64 s[0:1], s[0:1], exec
	s_or_b64 s[48:49], s[48:49], s[0:1]
	s_andn2_b64 s[0:1], s[38:39], exec
	s_and_b64 s[46:47], s[46:47], exec
	s_or_b64 s[46:47], s[0:1], s[46:47]
	;; [unrolled: 3-line block ×3, first 2 shown]
	s_orn2_b64 s[0:1], s[52:53], exec
.LBB191_779:
	s_or_b64 exec, exec, s[50:51]
	s_mov_b64 s[52:53], 0
	s_mov_b64 s[54:55], 0
	;; [unrolled: 1-line block ×3, first 2 shown]
                                        ; implicit-def: $sgpr73
                                        ; implicit-def: $vgpr3_vgpr4
                                        ; implicit-def: $vgpr0
                                        ; implicit-def: $vgpr2
                                        ; implicit-def: $vgpr5
	s_and_saveexec_b64 s[50:51], s[0:1]
	s_cbranch_execz .LBB191_1264
; %bb.780:
	v_cmp_gt_i32_e32 vcc, s66, v8
	s_mov_b64 s[64:65], -1
	s_mov_b64 s[0:1], s[44:45]
	s_mov_b64 s[56:57], s[46:47]
	;; [unrolled: 1-line block ×3, first 2 shown]
	s_and_saveexec_b64 s[52:53], vcc
	s_cbranch_execz .LBB191_1172
; %bb.781:
	s_andn2_b64 vcc, exec, s[20:21]
	s_cbranch_vccnz .LBB191_787
; %bb.782:
	s_andn2_b64 vcc, exec, s[34:35]
	s_cbranch_vccnz .LBB191_789
; %bb.783:
	s_add_i32 s0, s72, 1
	s_and_b32 s54, s0, 30
	s_add_u32 s0, s2, 0xffffffe8
	s_addc_u32 s1, s3, -1
	v_mov_b32_e32 v2, 0
	v_mov_b32_e32 v4, 0
	;; [unrolled: 1-line block ×4, first 2 shown]
.LBB191_784:                            ; =>This Inner Loop Header: Depth=1
	s_load_dwordx4 s[56:59], s[0:1], 0x1c
	s_load_dwordx2 s[64:65], s[0:1], 0x2c
	s_load_dwordx2 s[74:75], s[0:1], 0xec
	s_load_dwordx4 s[60:63], s[0:1], 0xdc
	s_add_u32 s0, s0, 24
	s_waitcnt vmcnt(0) lgkmcnt(0)
	v_mul_hi_u32 v3, s57, v1
	s_addc_u32 s1, s1, 0
	s_add_i32 s54, s54, -2
	s_cmp_eq_u32 s54, 0
	v_add_u32_e32 v3, v1, v3
	v_lshrrev_b32_e32 v3, s58, v3
	v_mul_lo_u32 v5, v3, s56
	v_mul_hi_u32 v6, s64, v3
	v_sub_u32_e32 v5, v1, v5
	v_add_u32_e32 v1, v3, v6
	v_lshrrev_b32_e32 v1, s65, v1
	v_mul_lo_u32 v9, v1, s59
	v_mul_lo_u32 v6, v5, s60
	v_mul_lo_u32 v7, v5, s61
	v_mul_lo_u32 v5, v5, s62
	v_sub_u32_e32 v3, v3, v9
	v_mul_lo_u32 v9, v3, s63
	v_mul_lo_u32 v10, v3, s74
	;; [unrolled: 1-line block ×3, first 2 shown]
	v_add3_u32 v0, v6, v0, v9
	v_add3_u32 v4, v7, v4, v10
	;; [unrolled: 1-line block ×3, first 2 shown]
	s_cbranch_scc0 .LBB191_784
; %bb.785:
	s_bitcmp1_b32 s72, 0
	s_cselect_b64 s[54:55], -1, 0
	s_and_b64 vcc, exec, s[54:55]
	s_cbranch_vccnz .LBB191_790
; %bb.786:
	s_load_dwordx2 s[54:55], s[0:1], 0x1c
	s_load_dword s58, s[0:1], 0x24
	s_load_dwordx2 s[56:57], s[0:1], 0xdc
	s_waitcnt lgkmcnt(0)
	v_mul_hi_u32 v3, s55, v1
	v_add_u32_e32 v3, v1, v3
	v_lshrrev_b32_e32 v3, s58, v3
	v_mul_lo_u32 v3, v3, s54
	s_load_dword s54, s[0:1], 0xe4
	v_sub_u32_e32 v3, v1, v3
	v_mad_u64_u32 v[0:1], s[0:1], v3, s56, v[0:1]
	v_mad_u64_u32 v[4:5], s[0:1], v3, s57, v[4:5]
	s_waitcnt lgkmcnt(0)
	v_mad_u64_u32 v[2:3], s[0:1], v3, s54, v[2:3]
	s_branch .LBB191_790
.LBB191_787:
	s_mov_b64 s[0:1], -1
                                        ; implicit-def: $vgpr0
                                        ; implicit-def: $vgpr4
                                        ; implicit-def: $vgpr2
	s_branch .LBB191_791
.LBB191_788:
	s_mov_b64 s[52:53], 0
	s_branch .LBB191_540
.LBB191_789:
	v_mov_b32_e32 v0, 0
	v_mov_b32_e32 v4, 0
	;; [unrolled: 1-line block ×3, first 2 shown]
.LBB191_790:
	s_mov_b64 s[0:1], 0
.LBB191_791:
	s_andn2_b64 vcc, exec, s[0:1]
	s_cbranch_vccnz .LBB191_794
; %bb.792:
	s_waitcnt lgkmcnt(0)
	v_mul_hi_u32 v0, s17, v8
	s_andn2_b64 vcc, exec, s[30:31]
	v_add_u32_e32 v0, v8, v0
	v_lshrrev_b32_e32 v1, s18, v0
	v_mul_lo_u32 v0, v1, s16
	v_sub_u32_e32 v2, v8, v0
	v_mul_lo_u32 v0, v2, s12
	v_mul_lo_u32 v4, v2, s13
	;; [unrolled: 1-line block ×3, first 2 shown]
	s_cbranch_vccnz .LBB191_794
; %bb.793:
	s_waitcnt vmcnt(0)
	v_mul_hi_u32 v3, s28, v1
	v_add_u32_e32 v3, v1, v3
	v_lshrrev_b32_e32 v3, s29, v3
	v_mul_lo_u32 v3, v3, s19
	v_sub_u32_e32 v3, v1, v3
	v_mad_u64_u32 v[0:1], s[0:1], v3, s15, v[0:1]
	v_mad_u64_u32 v[4:5], s[0:1], v3, s26, v[4:5]
	;; [unrolled: 1-line block ×3, first 2 shown]
.LBB191_794:
	s_waitcnt lgkmcnt(0)
	v_mov_b32_e32 v1, s11
	s_and_b32 s58, s71, 0xff
	s_waitcnt vmcnt(0)
	v_add_co_u32_e32 v3, vcc, s10, v4
	s_cmp_lt_i32 s58, 11
	v_addc_co_u32_e32 v4, vcc, 0, v1, vcc
	s_cbranch_scc1 .LBB191_801
; %bb.795:
	s_and_b32 s59, 0xffff, s58
	s_cmp_gt_i32 s59, 25
	s_cbranch_scc0 .LBB191_802
; %bb.796:
	s_cmp_gt_i32 s59, 28
	s_cbranch_scc0 .LBB191_803
; %bb.797:
	;; [unrolled: 3-line block ×4, first 2 shown]
	s_cmp_eq_u32 s59, 46
	s_mov_b64 s[56:57], 0
	s_cbranch_scc0 .LBB191_808
; %bb.800:
	global_load_dword v1, v[3:4], off
	s_mov_b64 s[0:1], -1
	s_mov_b64 s[54:55], 0
	s_waitcnt vmcnt(0)
	v_lshlrev_b32_e32 v1, 16, v1
	v_cvt_i32_f32_e32 v5, v1
	s_branch .LBB191_809
.LBB191_801:
	s_mov_b64 s[56:57], -1
	s_mov_b64 s[0:1], 0
                                        ; implicit-def: $vgpr5
	s_mov_b64 s[54:55], s[44:45]
	s_branch .LBB191_870
.LBB191_802:
	s_mov_b64 s[56:57], -1
	s_mov_b64 s[0:1], 0
	s_mov_b64 s[54:55], s[44:45]
                                        ; implicit-def: $vgpr5
	s_branch .LBB191_836
.LBB191_803:
	s_mov_b64 s[56:57], -1
	s_mov_b64 s[0:1], 0
	s_mov_b64 s[54:55], s[44:45]
                                        ; implicit-def: $vgpr5
	s_branch .LBB191_819
.LBB191_804:
	s_mov_b64 s[56:57], -1
	s_mov_b64 s[0:1], 0
	s_mov_b64 s[54:55], s[44:45]
                                        ; implicit-def: $vgpr5
	s_branch .LBB191_814
.LBB191_805:
	s_mov_b64 s[56:57], -1
	s_mov_b64 s[0:1], 0
	s_mov_b64 s[54:55], s[44:45]
                                        ; implicit-def: $vgpr5
	s_branch .LBB191_809
.LBB191_806:
	s_andn2_saveexec_b64 s[54:55], s[54:55]
	s_cbranch_execz .LBB191_689
.LBB191_807:
	s_mov_b32 s58, 0x46000000
	v_add_f32_e64 v2, |v0|, s58
	v_and_b32_e32 v2, 0xff, v2
	v_cmp_ne_u32_e32 vcc, 0, v2
	s_andn2_b64 s[52:53], s[52:53], exec
	s_and_b64 s[58:59], vcc, exec
	s_or_b64 s[52:53], s[52:53], s[58:59]
	s_or_b64 exec, exec, s[54:55]
	v_mov_b32_e32 v5, 0
	s_and_saveexec_b64 s[54:55], s[52:53]
	s_cbranch_execnz .LBB191_690
	s_branch .LBB191_691
.LBB191_808:
	s_mov_b64 s[54:55], -1
                                        ; implicit-def: $vgpr5
	s_mov_b64 s[0:1], 0
.LBB191_809:
	s_and_b64 vcc, exec, s[56:57]
	s_cbranch_vccz .LBB191_813
; %bb.810:
	s_cmp_eq_u32 s59, 44
	s_cbranch_scc0 .LBB191_812
; %bb.811:
	global_load_ubyte v1, v[3:4], off
	s_mov_b64 s[0:1], -1
	s_mov_b64 s[54:55], 0
	s_waitcnt vmcnt(0)
	v_lshlrev_b32_e32 v5, 23, v1
	v_cvt_i32_f32_e32 v5, v5
	v_cmp_ne_u32_e32 vcc, 0, v1
	v_cndmask_b32_e32 v5, 0, v5, vcc
	s_branch .LBB191_813
.LBB191_812:
	s_mov_b64 s[54:55], -1
                                        ; implicit-def: $vgpr5
.LBB191_813:
	s_mov_b64 s[56:57], 0
.LBB191_814:
	s_and_b64 vcc, exec, s[56:57]
	s_cbranch_vccz .LBB191_818
; %bb.815:
	s_cmp_eq_u32 s59, 29
	s_cbranch_scc0 .LBB191_817
; %bb.816:
	global_load_dword v5, v[3:4], off
	s_mov_b64 s[0:1], -1
	s_mov_b64 s[54:55], 0
	s_branch .LBB191_818
.LBB191_817:
	s_mov_b64 s[54:55], -1
                                        ; implicit-def: $vgpr5
.LBB191_818:
	s_mov_b64 s[56:57], 0
.LBB191_819:
	s_and_b64 vcc, exec, s[56:57]
	s_cbranch_vccz .LBB191_835
; %bb.820:
	s_cmp_lt_i32 s59, 27
	s_cbranch_scc1 .LBB191_823
; %bb.821:
	s_cmp_gt_i32 s59, 27
	s_cbranch_scc0 .LBB191_824
; %bb.822:
	global_load_dword v5, v[3:4], off
	s_mov_b64 s[0:1], 0
	s_branch .LBB191_825
.LBB191_823:
	s_mov_b64 s[0:1], -1
                                        ; implicit-def: $vgpr5
	s_branch .LBB191_828
.LBB191_824:
	s_mov_b64 s[0:1], -1
                                        ; implicit-def: $vgpr5
.LBB191_825:
	s_andn2_b64 vcc, exec, s[0:1]
	s_cbranch_vccnz .LBB191_827
; %bb.826:
	global_load_ushort v5, v[3:4], off
.LBB191_827:
	s_mov_b64 s[0:1], 0
.LBB191_828:
	s_andn2_b64 vcc, exec, s[0:1]
	s_cbranch_vccnz .LBB191_834
; %bb.829:
	global_load_ubyte v1, v[3:4], off
	s_movk_i32 s0, 0x7f
	s_mov_b64 s[56:57], 0
	s_waitcnt vmcnt(0)
	v_cmp_lt_i16_e32 vcc, s0, v1
	s_and_saveexec_b64 s[0:1], vcc
	s_xor_b64 s[0:1], exec, s[0:1]
	s_cbranch_execz .LBB191_846
; %bb.830:
	s_movk_i32 s56, 0x80
	v_cmp_ne_u16_e32 vcc, s56, v1
	s_and_b64 s[56:57], vcc, exec
	s_andn2_saveexec_b64 s[0:1], s[0:1]
	s_cbranch_execnz .LBB191_847
.LBB191_831:
	s_or_b64 exec, exec, s[0:1]
	v_mov_b32_e32 v5, 0
	s_and_saveexec_b64 s[0:1], s[56:57]
	s_cbranch_execz .LBB191_833
.LBB191_832:
	v_lshlrev_b32_e32 v5, 24, v1
	v_and_b32_e32 v1, 0xffff, v1
	v_and_b32_e32 v6, 7, v1
	v_ffbh_u32_e32 v9, v6
	v_min_u32_e32 v9, 32, v9
	v_subrev_u32_e32 v10, 28, v9
	v_bfe_u32 v7, v1, 3, 4
	v_lshlrev_b32_e32 v1, v10, v1
	v_sub_u32_e32 v9, 29, v9
	v_and_b32_e32 v1, 7, v1
	v_cmp_eq_u32_e32 vcc, 0, v7
	v_cndmask_b32_e32 v7, v7, v9, vcc
	v_cndmask_b32_e32 v1, v6, v1, vcc
	v_mov_b32_e32 v6, 0x3b800000
	v_lshlrev_b32_e32 v1, 20, v1
	v_and_b32_e32 v5, 0x80000000, v5
	v_lshl_add_u32 v6, v7, 23, v6
	v_or3_b32 v1, v5, v6, v1
	v_cvt_i32_f32_e32 v5, v1
.LBB191_833:
	s_or_b64 exec, exec, s[0:1]
.LBB191_834:
	s_mov_b64 s[0:1], -1
.LBB191_835:
	s_mov_b64 s[56:57], 0
.LBB191_836:
	s_and_b64 vcc, exec, s[56:57]
	s_cbranch_vccz .LBB191_869
; %bb.837:
	s_cmp_gt_i32 s59, 22
	s_cbranch_scc0 .LBB191_845
; %bb.838:
	s_cmp_lt_i32 s59, 24
	s_cbranch_scc1 .LBB191_848
; %bb.839:
	s_cmp_gt_i32 s59, 24
	s_cbranch_scc0 .LBB191_849
; %bb.840:
	global_load_ubyte v1, v[3:4], off
	s_movk_i32 s0, 0x7f
	s_mov_b64 s[56:57], 0
	s_waitcnt vmcnt(0)
	v_cmp_lt_i16_e32 vcc, s0, v1
	s_and_saveexec_b64 s[0:1], vcc
	s_xor_b64 s[0:1], exec, s[0:1]
	s_cbranch_execz .LBB191_861
; %bb.841:
	s_movk_i32 s56, 0x80
	v_cmp_ne_u16_e32 vcc, s56, v1
	s_and_b64 s[56:57], vcc, exec
	s_andn2_saveexec_b64 s[0:1], s[0:1]
	s_cbranch_execnz .LBB191_862
.LBB191_842:
	s_or_b64 exec, exec, s[0:1]
	v_mov_b32_e32 v5, 0
	s_and_saveexec_b64 s[0:1], s[56:57]
	s_cbranch_execz .LBB191_844
.LBB191_843:
	v_lshlrev_b32_e32 v5, 24, v1
	v_and_b32_e32 v1, 0xffff, v1
	v_and_b32_e32 v6, 3, v1
	v_ffbh_u32_e32 v9, v6
	v_min_u32_e32 v9, 32, v9
	v_subrev_u32_e32 v10, 29, v9
	v_bfe_u32 v7, v1, 2, 5
	v_lshlrev_b32_e32 v1, v10, v1
	v_sub_u32_e32 v9, 30, v9
	v_and_b32_e32 v1, 3, v1
	v_cmp_eq_u32_e32 vcc, 0, v7
	v_cndmask_b32_e32 v7, v7, v9, vcc
	v_cndmask_b32_e32 v1, v6, v1, vcc
	v_mov_b32_e32 v6, 0x37800000
	v_lshlrev_b32_e32 v1, 21, v1
	v_and_b32_e32 v5, 0x80000000, v5
	v_lshl_add_u32 v6, v7, 23, v6
	v_or3_b32 v1, v5, v6, v1
	v_cvt_i32_f32_e32 v5, v1
.LBB191_844:
	s_or_b64 exec, exec, s[0:1]
	s_mov_b64 s[0:1], 0
	s_branch .LBB191_850
.LBB191_845:
	s_mov_b64 s[56:57], -1
                                        ; implicit-def: $vgpr5
	s_branch .LBB191_856
.LBB191_846:
	s_andn2_saveexec_b64 s[0:1], s[0:1]
	s_cbranch_execz .LBB191_831
.LBB191_847:
	v_cmp_ne_u16_e32 vcc, 0, v1
	s_andn2_b64 s[56:57], s[56:57], exec
	s_and_b64 s[60:61], vcc, exec
	s_or_b64 s[56:57], s[56:57], s[60:61]
	s_or_b64 exec, exec, s[0:1]
	v_mov_b32_e32 v5, 0
	s_and_saveexec_b64 s[0:1], s[56:57]
	s_cbranch_execnz .LBB191_832
	s_branch .LBB191_833
.LBB191_848:
	s_mov_b64 s[0:1], -1
                                        ; implicit-def: $vgpr5
	s_branch .LBB191_853
.LBB191_849:
	s_mov_b64 s[0:1], -1
                                        ; implicit-def: $vgpr5
.LBB191_850:
	s_and_b64 vcc, exec, s[0:1]
	s_cbranch_vccz .LBB191_852
; %bb.851:
	global_load_ubyte v1, v[3:4], off
	s_mov_b32 s0, 0x7f800000
	s_waitcnt vmcnt(0)
	v_lshlrev_b32_e32 v1, 24, v1
	v_and_b32_e32 v5, 0x7f000000, v1
	v_ffbh_u32_e32 v6, v5
	v_min_u32_e32 v6, 32, v6
	v_sub_u32_e64 v6, v6, 4 clamp
	v_lshlrev_b32_e32 v9, v6, v5
	v_lshlrev_b32_e32 v6, 23, v6
	v_lshrrev_b32_e32 v9, 4, v9
	v_add_u32_e32 v7, 0x1000000, v5
	v_sub_u32_e32 v6, v9, v6
	v_ashrrev_i32_e32 v7, 8, v7
	v_add_u32_e32 v6, 0x3c000000, v6
	v_and_or_b32 v6, v7, s0, v6
	v_cmp_ne_u32_e32 vcc, 0, v5
	v_cndmask_b32_e32 v5, 0, v6, vcc
	s_brev_b32 s0, 1
	v_and_or_b32 v1, v1, s0, v5
	v_cvt_i32_f32_e32 v5, v1
.LBB191_852:
	s_mov_b64 s[0:1], 0
.LBB191_853:
	s_andn2_b64 vcc, exec, s[0:1]
	s_cbranch_vccnz .LBB191_855
; %bb.854:
	global_load_ubyte v1, v[3:4], off
	s_movk_i32 s0, 0x7f00
	s_brev_b32 s1, 16
	s_waitcnt vmcnt(0)
	v_lshlrev_b16_e32 v5, 8, v1
	v_lshlrev_b32_e32 v1, 25, v1
	v_lshrrev_b32_e32 v6, 4, v1
	v_and_or_b32 v7, v5, s0, 0.5
	v_or_b32_e32 v6, 0x70000000, v6
	v_add_f32_e32 v7, -0.5, v7
	v_mul_f32_e32 v6, 0x7800000, v6
	v_cmp_gt_u32_e32 vcc, s1, v1
	v_bfe_i32 v5, v5, 0, 16
	v_cndmask_b32_e32 v1, v6, v7, vcc
	s_brev_b32 s0, 1
	v_and_or_b32 v1, v5, s0, v1
	v_cvt_i32_f32_e32 v5, v1
.LBB191_855:
	s_mov_b64 s[56:57], 0
	s_mov_b64 s[0:1], -1
.LBB191_856:
	s_andn2_b64 vcc, exec, s[56:57]
	s_cbranch_vccnz .LBB191_869
; %bb.857:
	s_cmp_gt_i32 s59, 14
	s_cbranch_scc0 .LBB191_860
; %bb.858:
	s_cmp_eq_u32 s59, 15
	s_cbranch_scc0 .LBB191_863
; %bb.859:
	global_load_ushort v1, v[3:4], off
	s_mov_b64 s[0:1], -1
	s_mov_b64 s[54:55], 0
	s_waitcnt vmcnt(0)
	v_lshlrev_b32_e32 v1, 16, v1
	v_cvt_i32_f32_e32 v5, v1
	s_branch .LBB191_864
.LBB191_860:
	s_mov_b64 s[56:57], -1
                                        ; implicit-def: $vgpr5
	s_branch .LBB191_865
.LBB191_861:
	s_andn2_saveexec_b64 s[0:1], s[0:1]
	s_cbranch_execz .LBB191_842
.LBB191_862:
	v_cmp_ne_u16_e32 vcc, 0, v1
	s_andn2_b64 s[56:57], s[56:57], exec
	s_and_b64 s[60:61], vcc, exec
	s_or_b64 s[56:57], s[56:57], s[60:61]
	s_or_b64 exec, exec, s[0:1]
	v_mov_b32_e32 v5, 0
	s_and_saveexec_b64 s[0:1], s[56:57]
	s_cbranch_execnz .LBB191_843
	s_branch .LBB191_844
.LBB191_863:
	s_mov_b64 s[54:55], -1
                                        ; implicit-def: $vgpr5
.LBB191_864:
	s_mov_b64 s[56:57], 0
.LBB191_865:
	s_and_b64 vcc, exec, s[56:57]
	s_cbranch_vccz .LBB191_869
; %bb.866:
	s_cmp_eq_u32 s59, 11
	s_cbranch_scc0 .LBB191_868
; %bb.867:
	global_load_ubyte v1, v[3:4], off
	s_mov_b64 s[0:1], -1
	s_mov_b64 s[54:55], 0
	s_waitcnt vmcnt(0)
	v_cmp_ne_u16_e32 vcc, 0, v1
	v_cndmask_b32_e64 v5, 0, 1, vcc
	s_branch .LBB191_869
.LBB191_868:
	s_mov_b64 s[54:55], -1
                                        ; implicit-def: $vgpr5
.LBB191_869:
	s_mov_b64 s[56:57], 0
.LBB191_870:
	s_and_b64 vcc, exec, s[56:57]
	s_cbranch_vccz .LBB191_919
; %bb.871:
	s_and_b32 s56, 0xffff, s58
	s_cmp_lt_i32 s56, 5
	s_cbranch_scc1 .LBB191_876
; %bb.872:
	s_cmp_lt_i32 s56, 8
	s_cbranch_scc1 .LBB191_877
; %bb.873:
	;; [unrolled: 3-line block ×3, first 2 shown]
	s_cmp_gt_i32 s56, 9
	s_cbranch_scc0 .LBB191_879
; %bb.875:
	global_load_dwordx2 v[5:6], v[3:4], off
	s_mov_b64 s[0:1], 0
	s_waitcnt vmcnt(0)
	v_cvt_i32_f64_e32 v5, v[5:6]
	s_branch .LBB191_880
.LBB191_876:
	s_mov_b64 s[0:1], -1
                                        ; implicit-def: $vgpr5
	s_branch .LBB191_898
.LBB191_877:
	s_mov_b64 s[0:1], -1
                                        ; implicit-def: $vgpr5
	s_branch .LBB191_886
.LBB191_878:
	s_mov_b64 s[0:1], -1
                                        ; implicit-def: $vgpr5
	s_branch .LBB191_883
.LBB191_879:
	s_mov_b64 s[0:1], -1
                                        ; implicit-def: $vgpr5
.LBB191_880:
	s_andn2_b64 vcc, exec, s[0:1]
	s_cbranch_vccnz .LBB191_882
; %bb.881:
	global_load_dword v1, v[3:4], off
	s_waitcnt vmcnt(0)
	v_cvt_i32_f32_e32 v5, v1
.LBB191_882:
	s_mov_b64 s[0:1], 0
.LBB191_883:
	s_andn2_b64 vcc, exec, s[0:1]
	s_cbranch_vccnz .LBB191_885
; %bb.884:
	global_load_dword v1, v[3:4], off
	s_waitcnt vmcnt(0)
	v_cvt_f32_f16_e32 v1, v1
	v_cvt_i32_f32_e32 v5, v1
.LBB191_885:
	s_mov_b64 s[0:1], 0
.LBB191_886:
	s_andn2_b64 vcc, exec, s[0:1]
	s_cbranch_vccnz .LBB191_897
; %bb.887:
	s_cmp_lt_i32 s56, 6
	s_cbranch_scc1 .LBB191_890
; %bb.888:
	s_cmp_gt_i32 s56, 6
	s_cbranch_scc0 .LBB191_891
; %bb.889:
	global_load_dwordx2 v[5:6], v[3:4], off
	s_mov_b64 s[0:1], 0
	s_waitcnt vmcnt(0)
	v_cvt_i32_f64_e32 v5, v[5:6]
	s_branch .LBB191_892
.LBB191_890:
	s_mov_b64 s[0:1], -1
                                        ; implicit-def: $vgpr5
	s_branch .LBB191_895
.LBB191_891:
	s_mov_b64 s[0:1], -1
                                        ; implicit-def: $vgpr5
.LBB191_892:
	s_andn2_b64 vcc, exec, s[0:1]
	s_cbranch_vccnz .LBB191_894
; %bb.893:
	global_load_dword v1, v[3:4], off
	s_waitcnt vmcnt(0)
	v_cvt_i32_f32_e32 v5, v1
.LBB191_894:
	s_mov_b64 s[0:1], 0
.LBB191_895:
	s_andn2_b64 vcc, exec, s[0:1]
	s_cbranch_vccnz .LBB191_897
; %bb.896:
	global_load_ushort v1, v[3:4], off
	s_waitcnt vmcnt(0)
	v_cvt_f32_f16_e32 v1, v1
	v_cvt_i32_f32_e32 v5, v1
.LBB191_897:
	s_mov_b64 s[0:1], 0
.LBB191_898:
	s_andn2_b64 vcc, exec, s[0:1]
	s_cbranch_vccnz .LBB191_918
; %bb.899:
	s_cmp_lt_i32 s56, 2
	s_cbranch_scc1 .LBB191_903
; %bb.900:
	s_cmp_lt_i32 s56, 3
	s_cbranch_scc1 .LBB191_904
; %bb.901:
	s_cmp_gt_i32 s56, 3
	s_cbranch_scc0 .LBB191_905
; %bb.902:
	global_load_dword v5, v[3:4], off
	s_mov_b64 s[0:1], 0
	s_branch .LBB191_906
.LBB191_903:
	s_mov_b64 s[0:1], -1
                                        ; implicit-def: $vgpr5
	s_branch .LBB191_912
.LBB191_904:
	s_mov_b64 s[0:1], -1
                                        ; implicit-def: $vgpr5
	s_branch .LBB191_909
.LBB191_905:
	s_mov_b64 s[0:1], -1
                                        ; implicit-def: $vgpr5
.LBB191_906:
	s_andn2_b64 vcc, exec, s[0:1]
	s_cbranch_vccnz .LBB191_908
; %bb.907:
	global_load_dword v5, v[3:4], off
.LBB191_908:
	s_mov_b64 s[0:1], 0
.LBB191_909:
	s_andn2_b64 vcc, exec, s[0:1]
	s_cbranch_vccnz .LBB191_911
; %bb.910:
	global_load_sshort v5, v[3:4], off
.LBB191_911:
	s_mov_b64 s[0:1], 0
.LBB191_912:
	s_andn2_b64 vcc, exec, s[0:1]
	s_cbranch_vccnz .LBB191_918
; %bb.913:
	s_cmp_gt_i32 s56, 0
	s_cbranch_scc0 .LBB191_915
; %bb.914:
	global_load_sbyte v5, v[3:4], off
	s_mov_b64 s[0:1], 0
	s_branch .LBB191_916
.LBB191_915:
	s_mov_b64 s[0:1], -1
                                        ; implicit-def: $vgpr5
.LBB191_916:
	s_andn2_b64 vcc, exec, s[0:1]
	s_cbranch_vccnz .LBB191_918
; %bb.917:
	global_load_ubyte v5, v[3:4], off
.LBB191_918:
	s_mov_b64 s[0:1], -1
.LBB191_919:
	s_andn2_b64 vcc, exec, s[0:1]
	s_cbranch_vccnz .LBB191_927
; %bb.920:
	v_mov_b32_e32 v3, s25
	s_and_b32 s60, s70, 0xff
	v_add_co_u32_e32 v1, vcc, s24, v2
	s_cmp_lt_i32 s60, 11
	v_addc_co_u32_e32 v2, vcc, 0, v3, vcc
	s_cbranch_scc1 .LBB191_929
; %bb.921:
	s_and_b32 s61, 0xffff, s60
	s_cmp_gt_i32 s61, 25
	s_cbranch_scc0 .LBB191_930
; %bb.922:
	s_cmp_gt_i32 s61, 28
	s_cbranch_scc0 .LBB191_931
; %bb.923:
	;; [unrolled: 3-line block ×4, first 2 shown]
	s_cmp_eq_u32 s61, 46
	s_mov_b64 s[58:59], 0
	s_cbranch_scc0 .LBB191_936
; %bb.926:
	global_load_dword v3, v[1:2], off
	s_mov_b64 s[0:1], -1
	s_mov_b64 s[56:57], 0
	s_waitcnt vmcnt(0)
	v_lshlrev_b32_e32 v3, 16, v3
	v_cvt_i32_f32_e32 v3, v3
	s_branch .LBB191_937
.LBB191_927:
	s_mov_b64 s[60:61], 0
	s_mov_b64 s[0:1], s[48:49]
	;; [unrolled: 1-line block ×3, first 2 shown]
.LBB191_928:
                                        ; implicit-def: $vgpr8
	s_branch .LBB191_1171
.LBB191_929:
	s_mov_b64 s[58:59], -1
	s_mov_b64 s[0:1], 0
                                        ; implicit-def: $vgpr3
	s_mov_b64 s[56:57], s[46:47]
	s_branch .LBB191_998
.LBB191_930:
	s_mov_b64 s[58:59], -1
	s_mov_b64 s[0:1], 0
	s_mov_b64 s[56:57], s[46:47]
                                        ; implicit-def: $vgpr3
	s_branch .LBB191_964
.LBB191_931:
	s_mov_b64 s[58:59], -1
	s_mov_b64 s[0:1], 0
	s_mov_b64 s[56:57], s[46:47]
                                        ; implicit-def: $vgpr3
	s_branch .LBB191_947
.LBB191_932:
	s_mov_b64 s[58:59], -1
	s_mov_b64 s[0:1], 0
	s_mov_b64 s[56:57], s[46:47]
                                        ; implicit-def: $vgpr3
	s_branch .LBB191_942
.LBB191_933:
	s_mov_b64 s[58:59], -1
	s_mov_b64 s[0:1], 0
	s_mov_b64 s[56:57], s[46:47]
                                        ; implicit-def: $vgpr3
	s_branch .LBB191_937
.LBB191_934:
	s_andn2_saveexec_b64 s[54:55], s[54:55]
	s_cbranch_execz .LBB191_702
.LBB191_935:
	s_mov_b32 s58, 0x42800000
	v_add_f32_e64 v2, |v0|, s58
	v_and_b32_e32 v2, 0xff, v2
	v_cmp_ne_u32_e32 vcc, 0, v2
	s_andn2_b64 s[52:53], s[52:53], exec
	s_and_b64 s[58:59], vcc, exec
	s_or_b64 s[52:53], s[52:53], s[58:59]
	s_or_b64 exec, exec, s[54:55]
	v_mov_b32_e32 v5, 0
	s_and_saveexec_b64 s[54:55], s[52:53]
	s_cbranch_execnz .LBB191_703
	s_branch .LBB191_704
.LBB191_936:
	s_mov_b64 s[56:57], -1
                                        ; implicit-def: $vgpr3
	s_mov_b64 s[0:1], 0
.LBB191_937:
	s_and_b64 vcc, exec, s[58:59]
	s_cbranch_vccz .LBB191_941
; %bb.938:
	s_cmp_eq_u32 s61, 44
	s_cbranch_scc0 .LBB191_940
; %bb.939:
	global_load_ubyte v3, v[1:2], off
	s_mov_b64 s[0:1], -1
	s_mov_b64 s[56:57], 0
	s_waitcnt vmcnt(0)
	v_lshlrev_b32_e32 v4, 23, v3
	v_cvt_i32_f32_e32 v4, v4
	v_cmp_ne_u32_e32 vcc, 0, v3
	v_cndmask_b32_e32 v3, 0, v4, vcc
	s_branch .LBB191_941
.LBB191_940:
	s_mov_b64 s[56:57], -1
                                        ; implicit-def: $vgpr3
.LBB191_941:
	s_mov_b64 s[58:59], 0
.LBB191_942:
	s_and_b64 vcc, exec, s[58:59]
	s_cbranch_vccz .LBB191_946
; %bb.943:
	s_cmp_eq_u32 s61, 29
	s_cbranch_scc0 .LBB191_945
; %bb.944:
	global_load_dword v3, v[1:2], off
	s_mov_b64 s[0:1], -1
	s_mov_b64 s[56:57], 0
	s_branch .LBB191_946
.LBB191_945:
	s_mov_b64 s[56:57], -1
                                        ; implicit-def: $vgpr3
.LBB191_946:
	s_mov_b64 s[58:59], 0
.LBB191_947:
	s_and_b64 vcc, exec, s[58:59]
	s_cbranch_vccz .LBB191_963
; %bb.948:
	s_cmp_lt_i32 s61, 27
	s_cbranch_scc1 .LBB191_951
; %bb.949:
	s_cmp_gt_i32 s61, 27
	s_cbranch_scc0 .LBB191_952
; %bb.950:
	global_load_dword v3, v[1:2], off
	s_mov_b64 s[0:1], 0
	s_branch .LBB191_953
.LBB191_951:
	s_mov_b64 s[0:1], -1
                                        ; implicit-def: $vgpr3
	s_branch .LBB191_956
.LBB191_952:
	s_mov_b64 s[0:1], -1
                                        ; implicit-def: $vgpr3
.LBB191_953:
	s_andn2_b64 vcc, exec, s[0:1]
	s_cbranch_vccnz .LBB191_955
; %bb.954:
	global_load_ushort v3, v[1:2], off
.LBB191_955:
	s_mov_b64 s[0:1], 0
.LBB191_956:
	s_andn2_b64 vcc, exec, s[0:1]
	s_cbranch_vccnz .LBB191_962
; %bb.957:
	global_load_ubyte v4, v[1:2], off
	s_movk_i32 s0, 0x7f
	s_mov_b64 s[58:59], 0
	s_waitcnt vmcnt(0)
	v_cmp_lt_i16_e32 vcc, s0, v4
	s_and_saveexec_b64 s[0:1], vcc
	s_xor_b64 s[0:1], exec, s[0:1]
	s_cbranch_execz .LBB191_974
; %bb.958:
	s_movk_i32 s58, 0x80
	v_cmp_ne_u16_e32 vcc, s58, v4
	s_and_b64 s[58:59], vcc, exec
	s_andn2_saveexec_b64 s[0:1], s[0:1]
	s_cbranch_execnz .LBB191_975
.LBB191_959:
	s_or_b64 exec, exec, s[0:1]
	v_mov_b32_e32 v3, 0
	s_and_saveexec_b64 s[0:1], s[58:59]
	s_cbranch_execz .LBB191_961
.LBB191_960:
	v_lshlrev_b32_e32 v3, 24, v4
	v_and_b32_e32 v4, 0xffff, v4
	v_and_b32_e32 v6, 7, v4
	v_ffbh_u32_e32 v9, v6
	v_min_u32_e32 v9, 32, v9
	v_subrev_u32_e32 v10, 28, v9
	v_bfe_u32 v7, v4, 3, 4
	v_lshlrev_b32_e32 v4, v10, v4
	v_sub_u32_e32 v9, 29, v9
	v_and_b32_e32 v4, 7, v4
	v_cmp_eq_u32_e32 vcc, 0, v7
	v_cndmask_b32_e32 v7, v7, v9, vcc
	v_cndmask_b32_e32 v4, v6, v4, vcc
	v_mov_b32_e32 v6, 0x3b800000
	v_lshlrev_b32_e32 v4, 20, v4
	v_and_b32_e32 v3, 0x80000000, v3
	v_lshl_add_u32 v6, v7, 23, v6
	v_or3_b32 v3, v3, v6, v4
	v_cvt_i32_f32_e32 v3, v3
.LBB191_961:
	s_or_b64 exec, exec, s[0:1]
.LBB191_962:
	s_mov_b64 s[0:1], -1
.LBB191_963:
	s_mov_b64 s[58:59], 0
.LBB191_964:
	s_and_b64 vcc, exec, s[58:59]
	s_cbranch_vccz .LBB191_997
; %bb.965:
	s_cmp_gt_i32 s61, 22
	s_cbranch_scc0 .LBB191_973
; %bb.966:
	s_cmp_lt_i32 s61, 24
	s_cbranch_scc1 .LBB191_976
; %bb.967:
	s_cmp_gt_i32 s61, 24
	s_cbranch_scc0 .LBB191_977
; %bb.968:
	global_load_ubyte v4, v[1:2], off
	s_movk_i32 s0, 0x7f
	s_mov_b64 s[58:59], 0
	s_waitcnt vmcnt(0)
	v_cmp_lt_i16_e32 vcc, s0, v4
	s_and_saveexec_b64 s[0:1], vcc
	s_xor_b64 s[0:1], exec, s[0:1]
	s_cbranch_execz .LBB191_989
; %bb.969:
	s_movk_i32 s58, 0x80
	v_cmp_ne_u16_e32 vcc, s58, v4
	s_and_b64 s[58:59], vcc, exec
	s_andn2_saveexec_b64 s[0:1], s[0:1]
	s_cbranch_execnz .LBB191_990
.LBB191_970:
	s_or_b64 exec, exec, s[0:1]
	v_mov_b32_e32 v3, 0
	s_and_saveexec_b64 s[0:1], s[58:59]
	s_cbranch_execz .LBB191_972
.LBB191_971:
	v_lshlrev_b32_e32 v3, 24, v4
	v_and_b32_e32 v4, 0xffff, v4
	v_and_b32_e32 v6, 3, v4
	v_ffbh_u32_e32 v9, v6
	v_min_u32_e32 v9, 32, v9
	v_subrev_u32_e32 v10, 29, v9
	v_bfe_u32 v7, v4, 2, 5
	v_lshlrev_b32_e32 v4, v10, v4
	v_sub_u32_e32 v9, 30, v9
	v_and_b32_e32 v4, 3, v4
	v_cmp_eq_u32_e32 vcc, 0, v7
	v_cndmask_b32_e32 v7, v7, v9, vcc
	v_cndmask_b32_e32 v4, v6, v4, vcc
	v_mov_b32_e32 v6, 0x37800000
	v_lshlrev_b32_e32 v4, 21, v4
	v_and_b32_e32 v3, 0x80000000, v3
	v_lshl_add_u32 v6, v7, 23, v6
	v_or3_b32 v3, v3, v6, v4
	v_cvt_i32_f32_e32 v3, v3
.LBB191_972:
	s_or_b64 exec, exec, s[0:1]
	s_mov_b64 s[0:1], 0
	s_branch .LBB191_978
.LBB191_973:
	s_mov_b64 s[58:59], -1
                                        ; implicit-def: $vgpr3
	s_branch .LBB191_984
.LBB191_974:
	s_andn2_saveexec_b64 s[0:1], s[0:1]
	s_cbranch_execz .LBB191_959
.LBB191_975:
	v_cmp_ne_u16_e32 vcc, 0, v4
	s_andn2_b64 s[58:59], s[58:59], exec
	s_and_b64 s[62:63], vcc, exec
	s_or_b64 s[58:59], s[58:59], s[62:63]
	s_or_b64 exec, exec, s[0:1]
	v_mov_b32_e32 v3, 0
	s_and_saveexec_b64 s[0:1], s[58:59]
	s_cbranch_execnz .LBB191_960
	s_branch .LBB191_961
.LBB191_976:
	s_mov_b64 s[0:1], -1
                                        ; implicit-def: $vgpr3
	s_branch .LBB191_981
.LBB191_977:
	s_mov_b64 s[0:1], -1
                                        ; implicit-def: $vgpr3
.LBB191_978:
	s_and_b64 vcc, exec, s[0:1]
	s_cbranch_vccz .LBB191_980
; %bb.979:
	global_load_ubyte v3, v[1:2], off
	s_mov_b32 s0, 0x7f800000
	s_waitcnt vmcnt(0)
	v_lshlrev_b32_e32 v3, 24, v3
	v_and_b32_e32 v4, 0x7f000000, v3
	v_ffbh_u32_e32 v6, v4
	v_min_u32_e32 v6, 32, v6
	v_sub_u32_e64 v6, v6, 4 clamp
	v_lshlrev_b32_e32 v9, v6, v4
	v_lshlrev_b32_e32 v6, 23, v6
	v_lshrrev_b32_e32 v9, 4, v9
	v_add_u32_e32 v7, 0x1000000, v4
	v_sub_u32_e32 v6, v9, v6
	v_ashrrev_i32_e32 v7, 8, v7
	v_add_u32_e32 v6, 0x3c000000, v6
	v_and_or_b32 v6, v7, s0, v6
	v_cmp_ne_u32_e32 vcc, 0, v4
	v_cndmask_b32_e32 v4, 0, v6, vcc
	s_brev_b32 s0, 1
	v_and_or_b32 v3, v3, s0, v4
	v_cvt_i32_f32_e32 v3, v3
.LBB191_980:
	s_mov_b64 s[0:1], 0
.LBB191_981:
	s_andn2_b64 vcc, exec, s[0:1]
	s_cbranch_vccnz .LBB191_983
; %bb.982:
	global_load_ubyte v3, v[1:2], off
	s_movk_i32 s0, 0x7f00
	s_brev_b32 s1, 16
	s_waitcnt vmcnt(0)
	v_lshlrev_b16_e32 v4, 8, v3
	v_lshlrev_b32_e32 v3, 25, v3
	v_lshrrev_b32_e32 v6, 4, v3
	v_and_or_b32 v7, v4, s0, 0.5
	v_or_b32_e32 v6, 0x70000000, v6
	v_add_f32_e32 v7, -0.5, v7
	v_mul_f32_e32 v6, 0x7800000, v6
	v_cmp_gt_u32_e32 vcc, s1, v3
	v_bfe_i32 v4, v4, 0, 16
	v_cndmask_b32_e32 v3, v6, v7, vcc
	s_brev_b32 s0, 1
	v_and_or_b32 v3, v4, s0, v3
	v_cvt_i32_f32_e32 v3, v3
.LBB191_983:
	s_mov_b64 s[58:59], 0
	s_mov_b64 s[0:1], -1
.LBB191_984:
	s_andn2_b64 vcc, exec, s[58:59]
	s_cbranch_vccnz .LBB191_997
; %bb.985:
	s_cmp_gt_i32 s61, 14
	s_cbranch_scc0 .LBB191_988
; %bb.986:
	s_cmp_eq_u32 s61, 15
	s_cbranch_scc0 .LBB191_991
; %bb.987:
	global_load_ushort v3, v[1:2], off
	s_mov_b64 s[0:1], -1
	s_mov_b64 s[56:57], 0
	s_waitcnt vmcnt(0)
	v_lshlrev_b32_e32 v3, 16, v3
	v_cvt_i32_f32_e32 v3, v3
	s_branch .LBB191_992
.LBB191_988:
	s_mov_b64 s[58:59], -1
                                        ; implicit-def: $vgpr3
	s_branch .LBB191_993
.LBB191_989:
	s_andn2_saveexec_b64 s[0:1], s[0:1]
	s_cbranch_execz .LBB191_970
.LBB191_990:
	v_cmp_ne_u16_e32 vcc, 0, v4
	s_andn2_b64 s[58:59], s[58:59], exec
	s_and_b64 s[62:63], vcc, exec
	s_or_b64 s[58:59], s[58:59], s[62:63]
	s_or_b64 exec, exec, s[0:1]
	v_mov_b32_e32 v3, 0
	s_and_saveexec_b64 s[0:1], s[58:59]
	s_cbranch_execnz .LBB191_971
	s_branch .LBB191_972
.LBB191_991:
	s_mov_b64 s[56:57], -1
                                        ; implicit-def: $vgpr3
.LBB191_992:
	s_mov_b64 s[58:59], 0
.LBB191_993:
	s_and_b64 vcc, exec, s[58:59]
	s_cbranch_vccz .LBB191_997
; %bb.994:
	s_cmp_eq_u32 s61, 11
	s_cbranch_scc0 .LBB191_996
; %bb.995:
	global_load_ubyte v3, v[1:2], off
	s_mov_b64 s[0:1], -1
	s_mov_b64 s[56:57], 0
	s_waitcnt vmcnt(0)
	v_cmp_ne_u16_e32 vcc, 0, v3
	v_cndmask_b32_e64 v3, 0, 1, vcc
	s_branch .LBB191_997
.LBB191_996:
	s_mov_b64 s[56:57], -1
                                        ; implicit-def: $vgpr3
.LBB191_997:
	s_mov_b64 s[58:59], 0
.LBB191_998:
	s_and_b64 vcc, exec, s[58:59]
	s_cbranch_vccz .LBB191_1047
; %bb.999:
	s_and_b32 s58, 0xffff, s60
	s_cmp_lt_i32 s58, 5
	s_cbranch_scc1 .LBB191_1004
; %bb.1000:
	s_cmp_lt_i32 s58, 8
	s_cbranch_scc1 .LBB191_1005
; %bb.1001:
	;; [unrolled: 3-line block ×3, first 2 shown]
	s_cmp_gt_i32 s58, 9
	s_cbranch_scc0 .LBB191_1007
; %bb.1003:
	global_load_dwordx2 v[3:4], v[1:2], off
	s_mov_b64 s[0:1], 0
	s_waitcnt vmcnt(0)
	v_cvt_i32_f64_e32 v3, v[3:4]
	s_branch .LBB191_1008
.LBB191_1004:
	s_mov_b64 s[0:1], -1
                                        ; implicit-def: $vgpr3
	s_branch .LBB191_1026
.LBB191_1005:
	s_mov_b64 s[0:1], -1
                                        ; implicit-def: $vgpr3
	s_branch .LBB191_1014
.LBB191_1006:
	s_mov_b64 s[0:1], -1
                                        ; implicit-def: $vgpr3
	s_branch .LBB191_1011
.LBB191_1007:
	s_mov_b64 s[0:1], -1
                                        ; implicit-def: $vgpr3
.LBB191_1008:
	s_andn2_b64 vcc, exec, s[0:1]
	s_cbranch_vccnz .LBB191_1010
; %bb.1009:
	global_load_dword v3, v[1:2], off
	s_waitcnt vmcnt(0)
	v_cvt_i32_f32_e32 v3, v3
.LBB191_1010:
	s_mov_b64 s[0:1], 0
.LBB191_1011:
	s_andn2_b64 vcc, exec, s[0:1]
	s_cbranch_vccnz .LBB191_1013
; %bb.1012:
	global_load_dword v3, v[1:2], off
	s_waitcnt vmcnt(0)
	v_cvt_f32_f16_e32 v3, v3
	v_cvt_i32_f32_e32 v3, v3
.LBB191_1013:
	s_mov_b64 s[0:1], 0
.LBB191_1014:
	s_andn2_b64 vcc, exec, s[0:1]
	s_cbranch_vccnz .LBB191_1025
; %bb.1015:
	s_cmp_lt_i32 s58, 6
	s_cbranch_scc1 .LBB191_1018
; %bb.1016:
	s_cmp_gt_i32 s58, 6
	s_cbranch_scc0 .LBB191_1019
; %bb.1017:
	global_load_dwordx2 v[3:4], v[1:2], off
	s_mov_b64 s[0:1], 0
	s_waitcnt vmcnt(0)
	v_cvt_i32_f64_e32 v3, v[3:4]
	s_branch .LBB191_1020
.LBB191_1018:
	s_mov_b64 s[0:1], -1
                                        ; implicit-def: $vgpr3
	s_branch .LBB191_1023
.LBB191_1019:
	s_mov_b64 s[0:1], -1
                                        ; implicit-def: $vgpr3
.LBB191_1020:
	s_andn2_b64 vcc, exec, s[0:1]
	s_cbranch_vccnz .LBB191_1022
; %bb.1021:
	global_load_dword v3, v[1:2], off
	s_waitcnt vmcnt(0)
	v_cvt_i32_f32_e32 v3, v3
.LBB191_1022:
	s_mov_b64 s[0:1], 0
.LBB191_1023:
	s_andn2_b64 vcc, exec, s[0:1]
	s_cbranch_vccnz .LBB191_1025
; %bb.1024:
	global_load_ushort v3, v[1:2], off
	s_waitcnt vmcnt(0)
	v_cvt_f32_f16_e32 v3, v3
	v_cvt_i32_f32_e32 v3, v3
.LBB191_1025:
	s_mov_b64 s[0:1], 0
.LBB191_1026:
	s_andn2_b64 vcc, exec, s[0:1]
	s_cbranch_vccnz .LBB191_1046
; %bb.1027:
	s_cmp_lt_i32 s58, 2
	s_cbranch_scc1 .LBB191_1031
; %bb.1028:
	s_cmp_lt_i32 s58, 3
	s_cbranch_scc1 .LBB191_1032
; %bb.1029:
	s_cmp_gt_i32 s58, 3
	s_cbranch_scc0 .LBB191_1033
; %bb.1030:
	global_load_dword v3, v[1:2], off
	s_mov_b64 s[0:1], 0
	s_branch .LBB191_1034
.LBB191_1031:
	s_mov_b64 s[0:1], -1
                                        ; implicit-def: $vgpr3
	s_branch .LBB191_1040
.LBB191_1032:
	s_mov_b64 s[0:1], -1
                                        ; implicit-def: $vgpr3
	s_branch .LBB191_1037
.LBB191_1033:
	s_mov_b64 s[0:1], -1
                                        ; implicit-def: $vgpr3
.LBB191_1034:
	s_andn2_b64 vcc, exec, s[0:1]
	s_cbranch_vccnz .LBB191_1036
; %bb.1035:
	global_load_dword v3, v[1:2], off
.LBB191_1036:
	s_mov_b64 s[0:1], 0
.LBB191_1037:
	s_andn2_b64 vcc, exec, s[0:1]
	s_cbranch_vccnz .LBB191_1039
; %bb.1038:
	global_load_sshort v3, v[1:2], off
.LBB191_1039:
	s_mov_b64 s[0:1], 0
.LBB191_1040:
	s_andn2_b64 vcc, exec, s[0:1]
	s_cbranch_vccnz .LBB191_1046
; %bb.1041:
	s_cmp_gt_i32 s58, 0
	s_cbranch_scc0 .LBB191_1043
; %bb.1042:
	global_load_sbyte v3, v[1:2], off
	s_mov_b64 s[0:1], 0
	s_branch .LBB191_1044
.LBB191_1043:
	s_mov_b64 s[0:1], -1
                                        ; implicit-def: $vgpr3
.LBB191_1044:
	s_andn2_b64 vcc, exec, s[0:1]
	s_cbranch_vccnz .LBB191_1046
; %bb.1045:
	global_load_ubyte v3, v[1:2], off
.LBB191_1046:
	s_mov_b64 s[0:1], -1
.LBB191_1047:
	s_andn2_b64 vcc, exec, s[0:1]
	s_cbranch_vccnz .LBB191_1055
; %bb.1048:
	s_waitcnt vmcnt(0)
	v_min_u32_e32 v1, 31, v3
	v_mov_b32_e32 v2, s9
	s_and_b32 s64, s69, 0xff
	v_add_co_u32_e32 v3, vcc, s8, v0
	v_ashrrev_i32_e32 v1, v1, v5
	s_cmp_lt_i32 s64, 11
	v_addc_co_u32_e32 v4, vcc, 0, v2, vcc
	s_cbranch_scc1 .LBB191_1056
; %bb.1049:
	s_and_b32 s65, 0xffff, s64
	s_cmp_gt_i32 s65, 25
	s_cbranch_scc0 .LBB191_1057
; %bb.1050:
	s_cmp_gt_i32 s65, 28
	s_cbranch_scc0 .LBB191_1058
; %bb.1051:
	;; [unrolled: 3-line block ×4, first 2 shown]
	s_mov_b64 s[60:61], 0
	s_mov_b64 s[0:1], -1
	s_cmp_eq_u32 s65, 46
	s_mov_b64 s[58:59], 0
	s_cbranch_scc0 .LBB191_1061
; %bb.1054:
	v_cvt_f32_i32_e32 v0, v1
	s_movk_i32 s0, 0x7fff
	s_mov_b64 s[58:59], -1
	v_bfe_u32 v2, v0, 16, 1
	v_add3_u32 v0, v0, v2, s0
	v_lshrrev_b32_e32 v0, 16, v0
	global_store_dword v[3:4], v0, off
	s_mov_b64 s[0:1], 0
	s_branch .LBB191_1061
.LBB191_1055:
	s_mov_b64 s[60:61], 0
                                        ; implicit-def: $vgpr8
	s_mov_b64 s[0:1], s[48:49]
	s_branch .LBB191_1171
.LBB191_1056:
	s_mov_b64 s[60:61], -1
	s_mov_b64 s[58:59], 0
	s_mov_b64 s[0:1], s[48:49]
	s_branch .LBB191_1130
.LBB191_1057:
	s_mov_b64 s[60:61], -1
	s_mov_b64 s[58:59], 0
	s_mov_b64 s[0:1], s[48:49]
	s_branch .LBB191_1088
.LBB191_1058:
	s_mov_b64 s[60:61], -1
	s_mov_b64 s[58:59], 0
	s_mov_b64 s[0:1], s[48:49]
	s_branch .LBB191_1071
.LBB191_1059:
	s_mov_b64 s[60:61], -1
	s_mov_b64 s[58:59], 0
	s_mov_b64 s[0:1], s[48:49]
	s_branch .LBB191_1067
.LBB191_1060:
	s_mov_b64 s[60:61], -1
	s_mov_b64 s[58:59], 0
	s_mov_b64 s[0:1], s[48:49]
.LBB191_1061:
	s_and_b64 vcc, exec, s[60:61]
	s_cbranch_vccz .LBB191_1066
; %bb.1062:
	s_cmp_eq_u32 s65, 44
	s_mov_b64 s[0:1], -1
	s_cbranch_scc0 .LBB191_1066
; %bb.1063:
	v_cvt_f32_i32_e32 v0, v1
	s_movk_i32 s0, 0xff
	v_mov_b32_e32 v5, 0xff
	v_bfe_u32 v2, v0, 23, 8
	v_cmp_ne_u32_e32 vcc, s0, v2
	s_and_saveexec_b64 s[58:59], vcc
; %bb.1064:
	s_mov_b32 s0, 0x3fffff
	v_lshrrev_b32_e32 v5, 23, v0
	v_and_b32_e32 v6, 0x400000, v0
	v_and_or_b32 v0, v0, s0, v2
	v_cmp_ne_u32_e32 vcc, 0, v6
	v_cmp_ne_u32_e64 s[0:1], 0, v0
	s_and_b64 s[0:1], vcc, s[0:1]
	v_cndmask_b32_e64 v0, 0, 1, s[0:1]
	v_add_u32_e32 v5, v5, v0
; %bb.1065:
	s_or_b64 exec, exec, s[58:59]
	s_mov_b64 s[58:59], -1
	s_mov_b64 s[0:1], 0
	global_store_byte v[3:4], v5, off
.LBB191_1066:
	s_mov_b64 s[60:61], 0
.LBB191_1067:
	s_and_b64 vcc, exec, s[60:61]
	s_cbranch_vccz .LBB191_1070
; %bb.1068:
	s_cmp_eq_u32 s65, 29
	s_mov_b64 s[0:1], -1
	s_cbranch_scc0 .LBB191_1070
; %bb.1069:
	v_ashrrev_i32_e32 v2, 31, v1
	global_store_dwordx2 v[3:4], v[1:2], off
	s_mov_b64 s[58:59], -1
	s_mov_b64 s[0:1], 0
.LBB191_1070:
	s_mov_b64 s[60:61], 0
.LBB191_1071:
	s_and_b64 vcc, exec, s[60:61]
	s_cbranch_vccz .LBB191_1087
; %bb.1072:
	s_cmp_lt_i32 s65, 27
	s_mov_b64 s[58:59], -1
	s_cbranch_scc1 .LBB191_1078
; %bb.1073:
	s_cmp_gt_i32 s65, 27
	s_cbranch_scc0 .LBB191_1075
; %bb.1074:
	s_mov_b64 s[58:59], 0
	global_store_dword v[3:4], v1, off
.LBB191_1075:
	s_andn2_b64 vcc, exec, s[58:59]
	s_cbranch_vccnz .LBB191_1077
; %bb.1076:
	global_store_short v[3:4], v1, off
.LBB191_1077:
	s_mov_b64 s[58:59], 0
.LBB191_1078:
	s_andn2_b64 vcc, exec, s[58:59]
	s_cbranch_vccnz .LBB191_1086
; %bb.1079:
	v_cvt_f32_i32_e32 v0, v1
	s_mov_b32 s58, 0x43800000
	v_mov_b32_e32 v5, 0x80
	v_and_b32_e32 v2, 0x7fffffff, v0
	v_cmp_gt_u32_e32 vcc, s58, v2
	s_and_saveexec_b64 s[58:59], vcc
	s_cbranch_execz .LBB191_1085
; %bb.1080:
	s_mov_b32 s60, 0x3bffffff
	v_cmp_lt_u32_e32 vcc, s60, v2
	s_mov_b64 s[60:61], 0
                                        ; implicit-def: $vgpr2
	s_and_saveexec_b64 s[62:63], vcc
	s_xor_b64 s[62:63], exec, s[62:63]
	s_cbranch_execz .LBB191_1199
; %bb.1081:
	v_bfe_u32 v2, v0, 20, 1
	s_mov_b32 s67, 0x487ffff
	v_add3_u32 v2, v0, v2, s67
	s_mov_b64 s[60:61], exec
	v_lshrrev_b32_e32 v2, 20, v2
	s_andn2_saveexec_b64 s[62:63], s[62:63]
	s_cbranch_execnz .LBB191_1200
.LBB191_1082:
	s_or_b64 exec, exec, s[62:63]
	v_mov_b32_e32 v5, 0
	s_and_saveexec_b64 s[62:63], s[60:61]
.LBB191_1083:
	v_lshrrev_b32_e32 v0, 24, v0
	s_movk_i32 s60, 0x80
	v_and_or_b32 v5, v0, s60, v2
.LBB191_1084:
	s_or_b64 exec, exec, s[62:63]
.LBB191_1085:
	s_or_b64 exec, exec, s[58:59]
	global_store_byte v[3:4], v5, off
.LBB191_1086:
	s_mov_b64 s[58:59], -1
.LBB191_1087:
	s_mov_b64 s[60:61], 0
.LBB191_1088:
	s_and_b64 vcc, exec, s[60:61]
	s_cbranch_vccz .LBB191_1129
; %bb.1089:
	s_cmp_gt_i32 s65, 22
	s_mov_b64 s[60:61], -1
	s_cbranch_scc0 .LBB191_1121
; %bb.1090:
	s_cmp_lt_i32 s65, 24
	s_mov_b64 s[58:59], -1
	s_cbranch_scc1 .LBB191_1110
; %bb.1091:
	s_cmp_gt_i32 s65, 24
	s_cbranch_scc0 .LBB191_1099
; %bb.1092:
	v_cvt_f32_i32_e32 v0, v1
	s_mov_b32 s58, 0x47800000
	v_mov_b32_e32 v5, 0x80
	v_and_b32_e32 v2, 0x7fffffff, v0
	v_cmp_gt_u32_e32 vcc, s58, v2
	s_and_saveexec_b64 s[58:59], vcc
	s_cbranch_execz .LBB191_1098
; %bb.1093:
	s_mov_b32 s60, 0x37ffffff
	v_cmp_lt_u32_e32 vcc, s60, v2
	s_mov_b64 s[60:61], 0
                                        ; implicit-def: $vgpr2
	s_and_saveexec_b64 s[62:63], vcc
	s_xor_b64 s[62:63], exec, s[62:63]
	s_cbranch_execz .LBB191_2236
; %bb.1094:
	v_bfe_u32 v2, v0, 21, 1
	s_mov_b32 s67, 0x88fffff
	v_add3_u32 v2, v0, v2, s67
	s_mov_b64 s[60:61], exec
	v_lshrrev_b32_e32 v2, 21, v2
	s_andn2_saveexec_b64 s[62:63], s[62:63]
	s_cbranch_execnz .LBB191_2237
.LBB191_1095:
	s_or_b64 exec, exec, s[62:63]
	v_mov_b32_e32 v5, 0
	s_and_saveexec_b64 s[62:63], s[60:61]
.LBB191_1096:
	v_lshrrev_b32_e32 v0, 24, v0
	s_movk_i32 s60, 0x80
	v_and_or_b32 v5, v0, s60, v2
.LBB191_1097:
	s_or_b64 exec, exec, s[62:63]
.LBB191_1098:
	s_or_b64 exec, exec, s[58:59]
	s_mov_b64 s[58:59], 0
	global_store_byte v[3:4], v5, off
.LBB191_1099:
	s_and_b64 vcc, exec, s[58:59]
	s_cbranch_vccz .LBB191_1109
; %bb.1100:
	v_cvt_f32_i32_e32 v0, v1
	s_mov_b32 s58, 0x43f00000
                                        ; implicit-def: $vgpr2
	v_and_b32_e32 v5, 0x7fffffff, v0
	v_cmp_gt_u32_e32 vcc, s58, v5
	s_and_saveexec_b64 s[58:59], vcc
	s_xor_b64 s[58:59], exec, s[58:59]
	s_cbranch_execz .LBB191_1106
; %bb.1101:
	s_mov_b32 s60, 0x3c7fffff
	v_cmp_lt_u32_e32 vcc, s60, v5
                                        ; implicit-def: $vgpr2
	s_and_saveexec_b64 s[60:61], vcc
	s_xor_b64 s[60:61], exec, s[60:61]
; %bb.1102:
	v_bfe_u32 v2, v0, 20, 1
	s_mov_b32 s62, 0x407ffff
	v_add3_u32 v2, v0, v2, s62
	v_lshrrev_b32_e32 v5, 20, v2
	v_and_b32_e32 v2, 0xff00000, v2
	s_mov_b32 s62, 0x7f00000
	v_mov_b32_e32 v6, 0x7e
	v_cmp_ne_u32_e32 vcc, s62, v2
	v_cndmask_b32_e32 v2, v6, v5, vcc
; %bb.1103:
	s_andn2_saveexec_b64 s[60:61], s[60:61]
; %bb.1104:
	s_mov_b32 s62, 0x46800000
	v_add_f32_e64 v2, |v0|, s62
; %bb.1105:
	s_or_b64 exec, exec, s[60:61]
                                        ; implicit-def: $vgpr5
.LBB191_1106:
	s_andn2_saveexec_b64 s[58:59], s[58:59]
; %bb.1107:
	s_mov_b32 s60, 0x7f800000
	v_mov_b32_e32 v2, 0x7e
	v_mov_b32_e32 v6, 0x7f
	v_cmp_lt_u32_e32 vcc, s60, v5
	v_cndmask_b32_e32 v2, v2, v6, vcc
; %bb.1108:
	s_or_b64 exec, exec, s[58:59]
	v_lshrrev_b32_e32 v0, 24, v0
	s_movk_i32 s58, 0x80
	v_and_or_b32 v0, v0, s58, v2
	global_store_byte v[3:4], v0, off
.LBB191_1109:
	s_mov_b64 s[58:59], 0
.LBB191_1110:
	s_andn2_b64 vcc, exec, s[58:59]
	s_cbranch_vccnz .LBB191_1120
; %bb.1111:
	v_cvt_f32_i32_e32 v0, v1
	s_mov_b32 s58, 0x47800000
                                        ; implicit-def: $vgpr2
	v_and_b32_e32 v5, 0x7fffffff, v0
	v_cmp_gt_u32_e32 vcc, s58, v5
	s_and_saveexec_b64 s[58:59], vcc
	s_xor_b64 s[58:59], exec, s[58:59]
	s_cbranch_execz .LBB191_1117
; %bb.1112:
	s_mov_b32 s60, 0x387fffff
	v_cmp_lt_u32_e32 vcc, s60, v5
                                        ; implicit-def: $vgpr2
	s_and_saveexec_b64 s[60:61], vcc
	s_xor_b64 s[60:61], exec, s[60:61]
; %bb.1113:
	v_bfe_u32 v2, v0, 21, 1
	s_mov_b32 s62, 0x80fffff
	v_add3_u32 v2, v0, v2, s62
	v_lshrrev_b32_e32 v2, 21, v2
; %bb.1114:
	s_andn2_saveexec_b64 s[60:61], s[60:61]
; %bb.1115:
	s_mov_b32 s62, 0x43000000
	v_add_f32_e64 v2, |v0|, s62
; %bb.1116:
	s_or_b64 exec, exec, s[60:61]
                                        ; implicit-def: $vgpr5
.LBB191_1117:
	s_andn2_saveexec_b64 s[58:59], s[58:59]
; %bb.1118:
	s_mov_b32 s60, 0x7f800000
	v_mov_b32_e32 v2, 0x7c
	v_mov_b32_e32 v6, 0x7f
	v_cmp_lt_u32_e32 vcc, s60, v5
	v_cndmask_b32_e32 v2, v2, v6, vcc
; %bb.1119:
	s_or_b64 exec, exec, s[58:59]
	v_lshrrev_b32_e32 v0, 24, v0
	s_movk_i32 s58, 0x80
	v_and_or_b32 v0, v0, s58, v2
	global_store_byte v[3:4], v0, off
.LBB191_1120:
	s_mov_b64 s[60:61], 0
	s_mov_b64 s[58:59], -1
.LBB191_1121:
	s_andn2_b64 vcc, exec, s[60:61]
	s_cbranch_vccnz .LBB191_1129
; %bb.1122:
	s_cmp_gt_i32 s65, 14
	s_mov_b64 s[60:61], -1
	s_cbranch_scc0 .LBB191_1126
; %bb.1123:
	s_cmp_eq_u32 s65, 15
	s_mov_b64 s[0:1], -1
	s_cbranch_scc0 .LBB191_1125
; %bb.1124:
	v_cvt_f32_i32_e32 v0, v1
	s_movk_i32 s0, 0x7fff
	s_mov_b64 s[58:59], -1
	v_bfe_u32 v2, v0, 16, 1
	v_add3_u32 v0, v0, v2, s0
	global_store_short_d16_hi v[3:4], v0, off
	s_mov_b64 s[0:1], 0
.LBB191_1125:
	s_mov_b64 s[60:61], 0
.LBB191_1126:
	s_and_b64 vcc, exec, s[60:61]
	s_cbranch_vccz .LBB191_1129
; %bb.1127:
	s_cmp_eq_u32 s65, 11
	s_mov_b64 s[0:1], -1
	s_cbranch_scc0 .LBB191_1129
; %bb.1128:
	v_cmp_ne_u32_e32 vcc, 0, v1
	v_cndmask_b32_e64 v0, 0, 1, vcc
	s_mov_b64 s[58:59], -1
	s_mov_b64 s[0:1], 0
	global_store_byte v[3:4], v0, off
.LBB191_1129:
	s_mov_b64 s[60:61], 0
.LBB191_1130:
	s_and_b64 vcc, exec, s[60:61]
	s_cbranch_vccz .LBB191_1169
; %bb.1131:
	s_and_b32 s60, 0xffff, s64
	s_cmp_lt_i32 s60, 5
	s_mov_b64 s[58:59], -1
	s_cbranch_scc1 .LBB191_1152
; %bb.1132:
	s_cmp_lt_i32 s60, 8
	s_cbranch_scc1 .LBB191_1142
; %bb.1133:
	s_cmp_lt_i32 s60, 9
	s_cbranch_scc1 .LBB191_1139
; %bb.1134:
	s_cmp_gt_i32 s60, 9
	s_cbranch_scc0 .LBB191_1136
; %bb.1135:
	v_cvt_f64_i32_e32 v[9:10], v1
	v_mov_b32_e32 v11, 0
	v_mov_b32_e32 v12, v11
	s_mov_b64 s[58:59], 0
	global_store_dwordx4 v[3:4], v[9:12], off
.LBB191_1136:
	s_andn2_b64 vcc, exec, s[58:59]
	s_cbranch_vccnz .LBB191_1138
; %bb.1137:
	v_cvt_f32_i32_e32 v5, v1
	v_mov_b32_e32 v6, 0
	global_store_dwordx2 v[3:4], v[5:6], off
.LBB191_1138:
	s_mov_b64 s[58:59], 0
.LBB191_1139:
	s_andn2_b64 vcc, exec, s[58:59]
	s_cbranch_vccnz .LBB191_1141
; %bb.1140:
	v_cvt_f32_i32_e32 v0, v1
	v_cvt_f16_f32_e32 v0, v0
	global_store_dword v[3:4], v0, off
.LBB191_1141:
	s_mov_b64 s[58:59], 0
.LBB191_1142:
	s_andn2_b64 vcc, exec, s[58:59]
	s_cbranch_vccnz .LBB191_1151
; %bb.1143:
	s_cmp_lt_i32 s60, 6
	s_mov_b64 s[58:59], -1
	s_cbranch_scc1 .LBB191_1149
; %bb.1144:
	s_cmp_gt_i32 s60, 6
	s_cbranch_scc0 .LBB191_1146
; %bb.1145:
	v_cvt_f64_i32_e32 v[5:6], v1
	s_mov_b64 s[58:59], 0
	global_store_dwordx2 v[3:4], v[5:6], off
.LBB191_1146:
	s_andn2_b64 vcc, exec, s[58:59]
	s_cbranch_vccnz .LBB191_1148
; %bb.1147:
	v_cvt_f32_i32_e32 v0, v1
	global_store_dword v[3:4], v0, off
.LBB191_1148:
	s_mov_b64 s[58:59], 0
.LBB191_1149:
	s_andn2_b64 vcc, exec, s[58:59]
	s_cbranch_vccnz .LBB191_1151
; %bb.1150:
	v_cvt_f32_i32_e32 v0, v1
	v_cvt_f16_f32_e32 v0, v0
	global_store_short v[3:4], v0, off
.LBB191_1151:
	s_mov_b64 s[58:59], 0
.LBB191_1152:
	s_andn2_b64 vcc, exec, s[58:59]
	s_cbranch_vccnz .LBB191_1168
; %bb.1153:
	s_cmp_lt_i32 s60, 2
	s_mov_b64 s[58:59], -1
	s_cbranch_scc1 .LBB191_1163
; %bb.1154:
	s_cmp_lt_i32 s60, 3
	s_cbranch_scc1 .LBB191_1160
; %bb.1155:
	s_cmp_gt_i32 s60, 3
	s_cbranch_scc0 .LBB191_1157
; %bb.1156:
	v_ashrrev_i32_e32 v2, 31, v1
	s_mov_b64 s[58:59], 0
	global_store_dwordx2 v[3:4], v[1:2], off
.LBB191_1157:
	s_andn2_b64 vcc, exec, s[58:59]
	s_cbranch_vccnz .LBB191_1159
; %bb.1158:
	global_store_dword v[3:4], v1, off
.LBB191_1159:
	s_mov_b64 s[58:59], 0
.LBB191_1160:
	s_andn2_b64 vcc, exec, s[58:59]
	s_cbranch_vccnz .LBB191_1162
; %bb.1161:
	global_store_short v[3:4], v1, off
.LBB191_1162:
	s_mov_b64 s[58:59], 0
.LBB191_1163:
	s_andn2_b64 vcc, exec, s[58:59]
	s_cbranch_vccnz .LBB191_1168
; %bb.1164:
	s_cmp_gt_i32 s60, 0
	s_mov_b64 s[58:59], -1
	s_cbranch_scc0 .LBB191_1166
; %bb.1165:
	s_mov_b64 s[58:59], 0
	global_store_byte v[3:4], v1, off
.LBB191_1166:
	s_andn2_b64 vcc, exec, s[58:59]
	s_cbranch_vccnz .LBB191_1168
; %bb.1167:
	global_store_byte v[3:4], v1, off
.LBB191_1168:
	s_mov_b64 s[58:59], -1
.LBB191_1169:
	s_andn2_b64 vcc, exec, s[58:59]
	s_cbranch_vccnz .LBB191_1181
; %bb.1170:
	v_add_u32_e32 v8, 0x80, v8
	s_mov_b64 s[60:61], -1
.LBB191_1171:
	s_andn2_b64 s[58:59], s[48:49], exec
	s_and_b64 s[0:1], s[0:1], exec
	s_or_b64 s[58:59], s[58:59], s[0:1]
	s_andn2_b64 s[0:1], s[46:47], exec
	s_and_b64 s[56:57], s[56:57], exec
	s_or_b64 s[56:57], s[0:1], s[56:57]
	s_andn2_b64 s[0:1], s[44:45], exec
	s_and_b64 s[54:55], s[54:55], exec
	s_or_b64 s[0:1], s[0:1], s[54:55]
	s_orn2_b64 s[64:65], s[60:61], exec
.LBB191_1172:
	s_or_b64 exec, exec, s[52:53]
	s_mov_b64 s[60:61], 0
	s_mov_b64 s[54:55], 0
	s_mov_b64 s[62:63], 0
                                        ; implicit-def: $sgpr73
                                        ; implicit-def: $vgpr3_vgpr4
                                        ; implicit-def: $vgpr0
                                        ; implicit-def: $vgpr2
                                        ; implicit-def: $vgpr5
	s_and_saveexec_b64 s[52:53], s[64:65]
	s_cbranch_execz .LBB191_1263
; %bb.1173:
	v_cmp_gt_i32_e32 vcc, s66, v8
	s_mov_b64 s[64:65], s[0:1]
	s_mov_b64 s[66:67], 0
                                        ; implicit-def: $sgpr73
                                        ; implicit-def: $vgpr3_vgpr4
                                        ; implicit-def: $vgpr0
                                        ; implicit-def: $vgpr2
                                        ; implicit-def: $vgpr5
	s_and_saveexec_b64 s[54:55], vcc
	s_cbranch_execz .LBB191_1262
; %bb.1174:
	s_andn2_b64 vcc, exec, s[20:21]
	s_cbranch_vccnz .LBB191_1180
; %bb.1175:
	s_andn2_b64 vcc, exec, s[34:35]
	s_cbranch_vccnz .LBB191_1182
; %bb.1176:
	s_add_i32 s34, s72, 1
	s_and_b32 s60, s34, 30
	s_add_u32 s34, s2, 0xffffffe8
	s_addc_u32 s35, s3, -1
	v_mov_b32_e32 v2, 0
	v_mov_b32_e32 v4, 0
	;; [unrolled: 1-line block ×4, first 2 shown]
.LBB191_1177:                           ; =>This Inner Loop Header: Depth=1
	s_load_dwordx4 s[64:67], s[34:35], 0x1c
	s_load_dwordx2 s[62:63], s[34:35], 0x2c
	s_load_dwordx2 s[74:75], s[34:35], 0xec
	s_load_dwordx4 s[76:79], s[34:35], 0xdc
	s_add_u32 s34, s34, 24
	s_waitcnt vmcnt(0) lgkmcnt(0)
	v_mul_hi_u32 v3, s65, v1
	s_addc_u32 s35, s35, 0
	s_add_i32 s60, s60, -2
	s_cmp_eq_u32 s60, 0
	v_add_u32_e32 v3, v1, v3
	v_lshrrev_b32_e32 v3, s66, v3
	v_mul_lo_u32 v5, v3, s64
	v_mul_hi_u32 v6, s62, v3
	v_sub_u32_e32 v5, v1, v5
	v_add_u32_e32 v1, v3, v6
	v_lshrrev_b32_e32 v1, s63, v1
	v_mul_lo_u32 v9, v1, s67
	v_mul_lo_u32 v6, v5, s76
	;; [unrolled: 1-line block ×4, first 2 shown]
	v_sub_u32_e32 v3, v3, v9
	v_mul_lo_u32 v9, v3, s79
	v_mul_lo_u32 v10, v3, s74
	;; [unrolled: 1-line block ×3, first 2 shown]
	v_add3_u32 v0, v6, v0, v9
	v_add3_u32 v4, v7, v4, v10
	;; [unrolled: 1-line block ×3, first 2 shown]
	s_cbranch_scc0 .LBB191_1177
; %bb.1178:
	s_bitcmp1_b32 s72, 0
	s_cselect_b64 s[60:61], -1, 0
	s_and_b64 vcc, exec, s[60:61]
	s_cbranch_vccnz .LBB191_1183
; %bb.1179:
	s_load_dwordx2 s[60:61], s[34:35], 0x1c
	s_load_dword s64, s[34:35], 0x24
	s_load_dwordx2 s[62:63], s[34:35], 0xdc
	s_waitcnt lgkmcnt(0)
	v_mul_hi_u32 v3, s61, v1
	v_add_u32_e32 v3, v1, v3
	v_lshrrev_b32_e32 v3, s64, v3
	v_mul_lo_u32 v3, v3, s60
	s_load_dword s60, s[34:35], 0xe4
	v_sub_u32_e32 v3, v1, v3
	v_mad_u64_u32 v[0:1], s[34:35], v3, s62, v[0:1]
	v_mad_u64_u32 v[4:5], s[34:35], v3, s63, v[4:5]
	s_waitcnt lgkmcnt(0)
	v_mad_u64_u32 v[2:3], s[34:35], v3, s60, v[2:3]
	s_branch .LBB191_1183
.LBB191_1180:
	s_mov_b64 s[34:35], -1
                                        ; implicit-def: $vgpr0
                                        ; implicit-def: $vgpr4
                                        ; implicit-def: $vgpr2
	s_branch .LBB191_1184
.LBB191_1181:
	s_mov_b64 s[60:61], 0
	s_branch .LBB191_928
.LBB191_1182:
	v_mov_b32_e32 v0, 0
	v_mov_b32_e32 v4, 0
	;; [unrolled: 1-line block ×3, first 2 shown]
.LBB191_1183:
	s_mov_b64 s[34:35], 0
.LBB191_1184:
	s_andn2_b64 vcc, exec, s[34:35]
	s_cbranch_vccnz .LBB191_1187
; %bb.1185:
	s_waitcnt lgkmcnt(0)
	v_mul_hi_u32 v0, s17, v8
	s_andn2_b64 vcc, exec, s[30:31]
	v_add_u32_e32 v0, v8, v0
	v_lshrrev_b32_e32 v1, s18, v0
	v_mul_lo_u32 v0, v1, s16
	v_sub_u32_e32 v2, v8, v0
	v_mul_lo_u32 v0, v2, s12
	v_mul_lo_u32 v4, v2, s13
	;; [unrolled: 1-line block ×3, first 2 shown]
	s_cbranch_vccnz .LBB191_1187
; %bb.1186:
	s_waitcnt vmcnt(0)
	v_mul_hi_u32 v3, s28, v1
	v_add_u32_e32 v3, v1, v3
	v_lshrrev_b32_e32 v3, s29, v3
	v_mul_lo_u32 v3, v3, s19
	v_sub_u32_e32 v3, v1, v3
	v_mad_u64_u32 v[0:1], s[12:13], v3, s15, v[0:1]
	v_mad_u64_u32 v[4:5], s[12:13], v3, s26, v[4:5]
	;; [unrolled: 1-line block ×3, first 2 shown]
.LBB191_1187:
	s_waitcnt lgkmcnt(0)
	v_mov_b32_e32 v1, s11
	s_and_b32 s73, s71, 0xff
	s_waitcnt vmcnt(0)
	v_add_co_u32_e32 v3, vcc, s10, v4
	s_cmp_lt_i32 s73, 11
	v_addc_co_u32_e32 v4, vcc, 0, v1, vcc
	s_cbranch_scc1 .LBB191_1194
; %bb.1188:
	s_and_b32 s18, 0xffff, s73
	s_cmp_gt_i32 s18, 25
	s_mov_b64 s[12:13], 0
	s_cbranch_scc0 .LBB191_1195
; %bb.1189:
	s_cmp_gt_i32 s18, 28
	s_cbranch_scc0 .LBB191_1196
; %bb.1190:
	s_cmp_gt_i32 s18, 43
	;; [unrolled: 3-line block ×3, first 2 shown]
	s_cbranch_scc0 .LBB191_1198
; %bb.1192:
	s_cmp_eq_u32 s18, 46
	s_mov_b64 s[16:17], 0
	s_cbranch_scc0 .LBB191_1201
; %bb.1193:
	global_load_dword v1, v[3:4], off
	s_mov_b64 s[10:11], 0
	s_mov_b64 s[14:15], -1
	s_waitcnt vmcnt(0)
	v_lshlrev_b32_e32 v1, 16, v1
	v_cvt_i32_f32_e32 v5, v1
	s_branch .LBB191_1202
.LBB191_1194:
	s_mov_b64 s[16:17], -1
	s_mov_b64 s[14:15], 0
	s_mov_b64 s[12:13], 0
	;; [unrolled: 1-line block ×3, first 2 shown]
                                        ; implicit-def: $vgpr5
	s_branch .LBB191_1261
.LBB191_1195:
	s_mov_b64 s[16:17], -1
	s_mov_b64 s[14:15], 0
	s_mov_b64 s[10:11], s[0:1]
                                        ; implicit-def: $vgpr5
	s_branch .LBB191_1229
.LBB191_1196:
	s_mov_b64 s[16:17], -1
	s_mov_b64 s[14:15], 0
	s_mov_b64 s[10:11], s[0:1]
                                        ; implicit-def: $vgpr5
	s_branch .LBB191_1212
.LBB191_1197:
	s_mov_b64 s[16:17], -1
	s_mov_b64 s[14:15], 0
	s_mov_b64 s[10:11], s[0:1]
                                        ; implicit-def: $vgpr5
	s_branch .LBB191_1207
.LBB191_1198:
	s_mov_b64 s[16:17], -1
	s_mov_b64 s[14:15], 0
	s_mov_b64 s[10:11], s[0:1]
                                        ; implicit-def: $vgpr5
	s_branch .LBB191_1202
.LBB191_1199:
	s_andn2_saveexec_b64 s[62:63], s[62:63]
	s_cbranch_execz .LBB191_1082
.LBB191_1200:
	s_mov_b32 s67, 0x46000000
	v_add_f32_e64 v2, |v0|, s67
	v_and_b32_e32 v2, 0xff, v2
	v_cmp_ne_u32_e32 vcc, 0, v2
	s_andn2_b64 s[60:61], s[60:61], exec
	s_and_b64 s[74:75], vcc, exec
	s_or_b64 s[60:61], s[60:61], s[74:75]
	s_or_b64 exec, exec, s[62:63]
	v_mov_b32_e32 v5, 0
	s_and_saveexec_b64 s[62:63], s[60:61]
	s_cbranch_execnz .LBB191_1083
	s_branch .LBB191_1084
.LBB191_1201:
	s_mov_b64 s[10:11], -1
                                        ; implicit-def: $vgpr5
	s_mov_b64 s[14:15], 0
.LBB191_1202:
	s_and_b64 vcc, exec, s[16:17]
	s_cbranch_vccz .LBB191_1206
; %bb.1203:
	s_cmp_eq_u32 s18, 44
	s_cbranch_scc0 .LBB191_1205
; %bb.1204:
	global_load_ubyte v1, v[3:4], off
	s_mov_b64 s[10:11], 0
	s_mov_b64 s[14:15], -1
	s_waitcnt vmcnt(0)
	v_lshlrev_b32_e32 v5, 23, v1
	v_cvt_i32_f32_e32 v5, v5
	v_cmp_ne_u32_e32 vcc, 0, v1
	v_cndmask_b32_e32 v5, 0, v5, vcc
	s_branch .LBB191_1206
.LBB191_1205:
	s_mov_b64 s[10:11], -1
                                        ; implicit-def: $vgpr5
.LBB191_1206:
	s_mov_b64 s[16:17], 0
.LBB191_1207:
	s_and_b64 vcc, exec, s[16:17]
	s_cbranch_vccz .LBB191_1211
; %bb.1208:
	s_cmp_eq_u32 s18, 29
	s_cbranch_scc0 .LBB191_1210
; %bb.1209:
	global_load_dword v5, v[3:4], off
	s_mov_b64 s[10:11], 0
	s_mov_b64 s[14:15], -1
	s_branch .LBB191_1211
.LBB191_1210:
	s_mov_b64 s[10:11], -1
                                        ; implicit-def: $vgpr5
.LBB191_1211:
	s_mov_b64 s[16:17], 0
.LBB191_1212:
	s_and_b64 vcc, exec, s[16:17]
	s_cbranch_vccz .LBB191_1228
; %bb.1213:
	s_cmp_lt_i32 s18, 27
	s_cbranch_scc1 .LBB191_1216
; %bb.1214:
	s_cmp_gt_i32 s18, 27
	s_cbranch_scc0 .LBB191_1217
; %bb.1215:
	global_load_dword v5, v[3:4], off
	s_mov_b64 s[14:15], 0
	s_branch .LBB191_1218
.LBB191_1216:
	s_mov_b64 s[14:15], -1
                                        ; implicit-def: $vgpr5
	s_branch .LBB191_1221
.LBB191_1217:
	s_mov_b64 s[14:15], -1
                                        ; implicit-def: $vgpr5
.LBB191_1218:
	s_andn2_b64 vcc, exec, s[14:15]
	s_cbranch_vccnz .LBB191_1220
; %bb.1219:
	global_load_ushort v5, v[3:4], off
.LBB191_1220:
	s_mov_b64 s[14:15], 0
.LBB191_1221:
	s_andn2_b64 vcc, exec, s[14:15]
	s_cbranch_vccnz .LBB191_1227
; %bb.1222:
	global_load_ubyte v1, v[3:4], off
	s_movk_i32 s14, 0x7f
	s_mov_b64 s[16:17], 0
	s_waitcnt vmcnt(0)
	v_cmp_lt_i16_e32 vcc, s14, v1
	s_and_saveexec_b64 s[14:15], vcc
	s_xor_b64 s[14:15], exec, s[14:15]
	s_cbranch_execz .LBB191_1239
; %bb.1223:
	s_movk_i32 s16, 0x80
	v_cmp_ne_u16_e32 vcc, s16, v1
	s_and_b64 s[16:17], vcc, exec
	s_andn2_saveexec_b64 s[14:15], s[14:15]
	s_cbranch_execnz .LBB191_1240
.LBB191_1224:
	s_or_b64 exec, exec, s[14:15]
	v_mov_b32_e32 v5, 0
	s_and_saveexec_b64 s[14:15], s[16:17]
	s_cbranch_execz .LBB191_1226
.LBB191_1225:
	v_lshlrev_b32_e32 v5, 24, v1
	v_and_b32_e32 v1, 0xffff, v1
	v_and_b32_e32 v6, 7, v1
	v_ffbh_u32_e32 v8, v6
	v_min_u32_e32 v8, 32, v8
	v_subrev_u32_e32 v9, 28, v8
	v_bfe_u32 v7, v1, 3, 4
	v_lshlrev_b32_e32 v1, v9, v1
	v_sub_u32_e32 v8, 29, v8
	v_and_b32_e32 v1, 7, v1
	v_cmp_eq_u32_e32 vcc, 0, v7
	v_cndmask_b32_e32 v7, v7, v8, vcc
	v_cndmask_b32_e32 v1, v6, v1, vcc
	v_mov_b32_e32 v6, 0x3b800000
	v_lshlrev_b32_e32 v1, 20, v1
	v_and_b32_e32 v5, 0x80000000, v5
	v_lshl_add_u32 v6, v7, 23, v6
	v_or3_b32 v1, v5, v6, v1
	v_cvt_i32_f32_e32 v5, v1
.LBB191_1226:
	s_or_b64 exec, exec, s[14:15]
.LBB191_1227:
	s_mov_b64 s[14:15], -1
.LBB191_1228:
	s_mov_b64 s[16:17], 0
.LBB191_1229:
	s_and_b64 vcc, exec, s[16:17]
	s_cbranch_vccz .LBB191_1260
; %bb.1230:
	s_cmp_gt_i32 s18, 22
	s_cbranch_scc0 .LBB191_1238
; %bb.1231:
	s_cmp_lt_i32 s18, 24
	s_cbranch_scc1 .LBB191_1241
; %bb.1232:
	s_cmp_gt_i32 s18, 24
	s_cbranch_scc0 .LBB191_1242
; %bb.1233:
	global_load_ubyte v1, v[3:4], off
	s_movk_i32 s12, 0x7f
	s_mov_b64 s[14:15], 0
	s_waitcnt vmcnt(0)
	v_cmp_lt_i16_e32 vcc, s12, v1
	s_and_saveexec_b64 s[12:13], vcc
	s_xor_b64 s[12:13], exec, s[12:13]
	s_cbranch_execz .LBB191_1254
; %bb.1234:
	s_movk_i32 s14, 0x80
	v_cmp_ne_u16_e32 vcc, s14, v1
	s_and_b64 s[14:15], vcc, exec
	s_andn2_saveexec_b64 s[12:13], s[12:13]
	s_cbranch_execnz .LBB191_1255
.LBB191_1235:
	s_or_b64 exec, exec, s[12:13]
	v_mov_b32_e32 v5, 0
	s_and_saveexec_b64 s[12:13], s[14:15]
	s_cbranch_execz .LBB191_1237
.LBB191_1236:
	v_lshlrev_b32_e32 v5, 24, v1
	v_and_b32_e32 v1, 0xffff, v1
	v_and_b32_e32 v6, 3, v1
	v_ffbh_u32_e32 v8, v6
	v_min_u32_e32 v8, 32, v8
	v_subrev_u32_e32 v9, 29, v8
	v_bfe_u32 v7, v1, 2, 5
	v_lshlrev_b32_e32 v1, v9, v1
	v_sub_u32_e32 v8, 30, v8
	v_and_b32_e32 v1, 3, v1
	v_cmp_eq_u32_e32 vcc, 0, v7
	v_cndmask_b32_e32 v7, v7, v8, vcc
	v_cndmask_b32_e32 v1, v6, v1, vcc
	v_mov_b32_e32 v6, 0x37800000
	v_lshlrev_b32_e32 v1, 21, v1
	v_and_b32_e32 v5, 0x80000000, v5
	v_lshl_add_u32 v6, v7, 23, v6
	v_or3_b32 v1, v5, v6, v1
	v_cvt_i32_f32_e32 v5, v1
.LBB191_1237:
	s_or_b64 exec, exec, s[12:13]
	s_mov_b64 s[12:13], 0
	s_branch .LBB191_1243
.LBB191_1238:
	s_mov_b64 s[12:13], -1
                                        ; implicit-def: $vgpr5
	s_branch .LBB191_1249
.LBB191_1239:
	s_andn2_saveexec_b64 s[14:15], s[14:15]
	s_cbranch_execz .LBB191_1224
.LBB191_1240:
	v_cmp_ne_u16_e32 vcc, 0, v1
	s_andn2_b64 s[16:17], s[16:17], exec
	s_and_b64 s[26:27], vcc, exec
	s_or_b64 s[16:17], s[16:17], s[26:27]
	s_or_b64 exec, exec, s[14:15]
	v_mov_b32_e32 v5, 0
	s_and_saveexec_b64 s[14:15], s[16:17]
	s_cbranch_execnz .LBB191_1225
	s_branch .LBB191_1226
.LBB191_1241:
	s_mov_b64 s[12:13], -1
                                        ; implicit-def: $vgpr5
	s_branch .LBB191_1246
.LBB191_1242:
	s_mov_b64 s[12:13], -1
                                        ; implicit-def: $vgpr5
.LBB191_1243:
	s_and_b64 vcc, exec, s[12:13]
	s_cbranch_vccz .LBB191_1245
; %bb.1244:
	global_load_ubyte v1, v[3:4], off
	s_mov_b32 s12, 0x7f800000
	s_waitcnt vmcnt(0)
	v_lshlrev_b32_e32 v1, 24, v1
	v_and_b32_e32 v5, 0x7f000000, v1
	v_ffbh_u32_e32 v6, v5
	v_min_u32_e32 v6, 32, v6
	v_sub_u32_e64 v6, v6, 4 clamp
	v_lshlrev_b32_e32 v8, v6, v5
	v_lshlrev_b32_e32 v6, 23, v6
	v_lshrrev_b32_e32 v8, 4, v8
	v_add_u32_e32 v7, 0x1000000, v5
	v_sub_u32_e32 v6, v8, v6
	v_ashrrev_i32_e32 v7, 8, v7
	v_add_u32_e32 v6, 0x3c000000, v6
	v_and_or_b32 v6, v7, s12, v6
	v_cmp_ne_u32_e32 vcc, 0, v5
	v_cndmask_b32_e32 v5, 0, v6, vcc
	s_brev_b32 s12, 1
	v_and_or_b32 v1, v1, s12, v5
	v_cvt_i32_f32_e32 v5, v1
.LBB191_1245:
	s_mov_b64 s[12:13], 0
.LBB191_1246:
	s_andn2_b64 vcc, exec, s[12:13]
	s_cbranch_vccnz .LBB191_1248
; %bb.1247:
	global_load_ubyte v1, v[3:4], off
	s_movk_i32 s12, 0x7f00
	s_brev_b32 s13, 16
	s_waitcnt vmcnt(0)
	v_lshlrev_b16_e32 v5, 8, v1
	v_lshlrev_b32_e32 v1, 25, v1
	v_lshrrev_b32_e32 v6, 4, v1
	v_and_or_b32 v7, v5, s12, 0.5
	v_or_b32_e32 v6, 0x70000000, v6
	v_add_f32_e32 v7, -0.5, v7
	v_mul_f32_e32 v6, 0x7800000, v6
	v_cmp_gt_u32_e32 vcc, s13, v1
	v_bfe_i32 v5, v5, 0, 16
	v_cndmask_b32_e32 v1, v6, v7, vcc
	s_brev_b32 s12, 1
	v_and_or_b32 v1, v5, s12, v1
	v_cvt_i32_f32_e32 v5, v1
.LBB191_1248:
	s_mov_b64 s[12:13], 0
	s_mov_b64 s[14:15], -1
.LBB191_1249:
	s_andn2_b64 vcc, exec, s[12:13]
	s_mov_b64 s[12:13], 0
	s_cbranch_vccnz .LBB191_1260
; %bb.1250:
	s_cmp_gt_i32 s18, 14
	s_cbranch_scc0 .LBB191_1253
; %bb.1251:
	s_cmp_eq_u32 s18, 15
	s_cbranch_scc0 .LBB191_1256
; %bb.1252:
	global_load_ushort v1, v[3:4], off
	s_mov_b64 s[10:11], 0
	s_mov_b64 s[14:15], -1
	s_waitcnt vmcnt(0)
	v_lshlrev_b32_e32 v1, 16, v1
	v_cvt_i32_f32_e32 v5, v1
	s_branch .LBB191_1257
.LBB191_1253:
	s_mov_b64 s[16:17], -1
                                        ; implicit-def: $vgpr5
	s_branch .LBB191_1258
.LBB191_1254:
	s_andn2_saveexec_b64 s[12:13], s[12:13]
	s_cbranch_execz .LBB191_1235
.LBB191_1255:
	v_cmp_ne_u16_e32 vcc, 0, v1
	s_andn2_b64 s[14:15], s[14:15], exec
	s_and_b64 s[16:17], vcc, exec
	s_or_b64 s[14:15], s[14:15], s[16:17]
	s_or_b64 exec, exec, s[12:13]
	v_mov_b32_e32 v5, 0
	s_and_saveexec_b64 s[12:13], s[14:15]
	s_cbranch_execnz .LBB191_1236
	s_branch .LBB191_1237
.LBB191_1256:
	s_mov_b64 s[10:11], -1
                                        ; implicit-def: $vgpr5
.LBB191_1257:
	s_mov_b64 s[16:17], 0
.LBB191_1258:
	s_and_b64 vcc, exec, s[16:17]
	s_cbranch_vccz .LBB191_1260
; %bb.1259:
	s_cmp_lg_u32 s18, 11
	s_cselect_b64 s[16:17], -1, 0
	s_andn2_b64 s[10:11], s[10:11], exec
	s_and_b64 s[16:17], s[16:17], exec
	s_mov_b64 s[12:13], -1
	s_or_b64 s[10:11], s[10:11], s[16:17]
.LBB191_1260:
	s_mov_b64 s[16:17], 0
.LBB191_1261:
	s_and_b64 s[60:61], s[12:13], exec
	s_andn2_b64 s[12:13], s[0:1], exec
	s_and_b64 s[10:11], s[10:11], exec
	s_and_b64 s[62:63], s[14:15], exec
	;; [unrolled: 1-line block ×3, first 2 shown]
	s_or_b64 s[64:65], s[12:13], s[10:11]
.LBB191_1262:
	s_or_b64 exec, exec, s[54:55]
	s_andn2_b64 s[0:1], s[0:1], exec
	s_waitcnt lgkmcnt(0)
	s_and_b64 s[10:11], s[64:65], exec
	s_and_b64 s[62:63], s[62:63], exec
	;; [unrolled: 1-line block ×4, first 2 shown]
	s_or_b64 s[0:1], s[0:1], s[10:11]
.LBB191_1263:
	s_or_b64 exec, exec, s[52:53]
	s_waitcnt lgkmcnt(0)
	s_andn2_b64 s[10:11], s[48:49], exec
	s_and_b64 s[12:13], s[58:59], exec
	s_or_b64 s[48:49], s[10:11], s[12:13]
	s_andn2_b64 s[10:11], s[46:47], exec
	s_and_b64 s[12:13], s[56:57], exec
	s_or_b64 s[46:47], s[10:11], s[12:13]
	s_andn2_b64 s[10:11], s[44:45], exec
	s_and_b64 s[0:1], s[0:1], exec
	s_and_b64 s[56:57], s[62:63], exec
	;; [unrolled: 1-line block ×4, first 2 shown]
	s_or_b64 s[44:45], s[10:11], s[0:1]
.LBB191_1264:
	s_or_b64 exec, exec, s[50:51]
	s_andn2_b64 s[0:1], s[36:37], exec
	s_waitcnt lgkmcnt(0)
	s_and_b64 s[10:11], s[48:49], exec
	s_or_b64 s[36:37], s[0:1], s[10:11]
	s_andn2_b64 s[0:1], s[38:39], exec
	s_and_b64 s[10:11], s[46:47], exec
	s_or_b64 s[38:39], s[0:1], s[10:11]
	s_andn2_b64 s[0:1], s[40:41], exec
	s_and_b64 s[10:11], s[44:45], exec
	s_and_b64 s[48:49], s[56:57], exec
	;; [unrolled: 1-line block ×4, first 2 shown]
	s_or_b64 s[40:41], s[0:1], s[10:11]
	s_or_b64 exec, exec, s[42:43]
	s_mov_b64 s[10:11], 0
	s_and_saveexec_b64 s[0:1], s[40:41]
	s_cbranch_execz .LBB191_395
.LBB191_1265:
	s_mov_b64 s[10:11], exec
	s_andn2_b64 s[46:47], s[46:47], exec
	s_trap 2
	s_or_b64 exec, exec, s[0:1]
	s_and_saveexec_b64 s[0:1], s[46:47]
	s_xor_b64 s[0:1], exec, s[0:1]
	s_cbranch_execnz .LBB191_396
.LBB191_1266:
	s_or_b64 exec, exec, s[0:1]
	s_and_saveexec_b64 s[0:1], s[50:51]
	s_cbranch_execz .LBB191_1312
.LBB191_1267:
	s_sext_i32_i16 s12, s73
	s_cmp_lt_i32 s12, 5
	s_cbranch_scc1 .LBB191_1272
; %bb.1268:
	s_cmp_lt_i32 s12, 8
	s_cbranch_scc1 .LBB191_1273
; %bb.1269:
	;; [unrolled: 3-line block ×3, first 2 shown]
	s_cmp_gt_i32 s12, 9
	s_cbranch_scc0 .LBB191_1275
; %bb.1271:
	s_waitcnt vmcnt(0)
	global_load_dwordx2 v[5:6], v[3:4], off
	s_mov_b64 s[12:13], 0
	s_waitcnt vmcnt(0)
	v_cvt_i32_f64_e32 v5, v[5:6]
	s_branch .LBB191_1276
.LBB191_1272:
                                        ; implicit-def: $vgpr5
	s_branch .LBB191_1293
.LBB191_1273:
                                        ; implicit-def: $vgpr5
	s_branch .LBB191_1282
.LBB191_1274:
	s_mov_b64 s[12:13], -1
                                        ; implicit-def: $vgpr5
	s_branch .LBB191_1279
.LBB191_1275:
	s_mov_b64 s[12:13], -1
                                        ; implicit-def: $vgpr5
.LBB191_1276:
	s_andn2_b64 vcc, exec, s[12:13]
	s_cbranch_vccnz .LBB191_1278
; %bb.1277:
	s_waitcnt vmcnt(0)
	global_load_dword v1, v[3:4], off
	s_waitcnt vmcnt(0)
	v_cvt_i32_f32_e32 v5, v1
.LBB191_1278:
	s_mov_b64 s[12:13], 0
.LBB191_1279:
	s_andn2_b64 vcc, exec, s[12:13]
	s_cbranch_vccnz .LBB191_1281
; %bb.1280:
	s_waitcnt vmcnt(0)
	global_load_dword v1, v[3:4], off
	s_waitcnt vmcnt(0)
	v_cvt_f32_f16_e32 v1, v1
	v_cvt_i32_f32_e32 v5, v1
.LBB191_1281:
	s_cbranch_execnz .LBB191_1292
.LBB191_1282:
	s_sext_i32_i16 s12, s73
	s_cmp_lt_i32 s12, 6
	s_cbranch_scc1 .LBB191_1285
; %bb.1283:
	s_cmp_gt_i32 s12, 6
	s_cbranch_scc0 .LBB191_1286
; %bb.1284:
	s_waitcnt vmcnt(0)
	global_load_dwordx2 v[5:6], v[3:4], off
	s_mov_b64 s[12:13], 0
	s_waitcnt vmcnt(0)
	v_cvt_i32_f64_e32 v5, v[5:6]
	s_branch .LBB191_1287
.LBB191_1285:
	s_mov_b64 s[12:13], -1
                                        ; implicit-def: $vgpr5
	s_branch .LBB191_1290
.LBB191_1286:
	s_mov_b64 s[12:13], -1
                                        ; implicit-def: $vgpr5
.LBB191_1287:
	s_andn2_b64 vcc, exec, s[12:13]
	s_cbranch_vccnz .LBB191_1289
; %bb.1288:
	s_waitcnt vmcnt(0)
	global_load_dword v1, v[3:4], off
	s_waitcnt vmcnt(0)
	v_cvt_i32_f32_e32 v5, v1
.LBB191_1289:
	s_mov_b64 s[12:13], 0
.LBB191_1290:
	s_andn2_b64 vcc, exec, s[12:13]
	s_cbranch_vccnz .LBB191_1292
; %bb.1291:
	s_waitcnt vmcnt(0)
	global_load_ushort v1, v[3:4], off
	s_waitcnt vmcnt(0)
	v_cvt_f32_f16_e32 v1, v1
	v_cvt_i32_f32_e32 v5, v1
.LBB191_1292:
	s_cbranch_execnz .LBB191_1311
.LBB191_1293:
	s_sext_i32_i16 s12, s73
	s_cmp_lt_i32 s12, 2
	s_cbranch_scc1 .LBB191_1297
; %bb.1294:
	s_cmp_lt_i32 s12, 3
	s_cbranch_scc1 .LBB191_1298
; %bb.1295:
	s_cmp_gt_i32 s12, 3
	s_cbranch_scc0 .LBB191_1299
; %bb.1296:
	s_waitcnt vmcnt(0)
	global_load_dword v5, v[3:4], off
	s_mov_b64 s[12:13], 0
	s_branch .LBB191_1300
.LBB191_1297:
                                        ; implicit-def: $vgpr5
	s_branch .LBB191_1306
.LBB191_1298:
	s_mov_b64 s[12:13], -1
                                        ; implicit-def: $vgpr5
	s_branch .LBB191_1303
.LBB191_1299:
	s_mov_b64 s[12:13], -1
                                        ; implicit-def: $vgpr5
.LBB191_1300:
	s_andn2_b64 vcc, exec, s[12:13]
	s_cbranch_vccnz .LBB191_1302
; %bb.1301:
	s_waitcnt vmcnt(0)
	global_load_dword v5, v[3:4], off
.LBB191_1302:
	s_mov_b64 s[12:13], 0
.LBB191_1303:
	s_andn2_b64 vcc, exec, s[12:13]
	s_cbranch_vccnz .LBB191_1305
; %bb.1304:
	s_waitcnt vmcnt(0)
	global_load_sshort v5, v[3:4], off
.LBB191_1305:
	s_cbranch_execnz .LBB191_1311
.LBB191_1306:
	s_sext_i32_i16 s12, s73
	s_cmp_gt_i32 s12, 0
	s_cbranch_scc0 .LBB191_1308
; %bb.1307:
	s_waitcnt vmcnt(0)
	global_load_sbyte v5, v[3:4], off
	s_mov_b64 s[12:13], 0
	s_branch .LBB191_1309
.LBB191_1308:
	s_mov_b64 s[12:13], -1
                                        ; implicit-def: $vgpr5
.LBB191_1309:
	s_andn2_b64 vcc, exec, s[12:13]
	s_cbranch_vccnz .LBB191_1311
; %bb.1310:
	s_waitcnt vmcnt(0)
	global_load_ubyte v5, v[3:4], off
.LBB191_1311:
	s_or_b64 s[48:49], s[48:49], exec
.LBB191_1312:
	s_or_b64 exec, exec, s[0:1]
	s_mov_b64 s[16:17], 0
	s_mov_b64 s[18:19], 0
	;; [unrolled: 1-line block ×3, first 2 shown]
                                        ; implicit-def: $sgpr26
                                        ; implicit-def: $vgpr3_vgpr4
                                        ; implicit-def: $vgpr6
	s_and_saveexec_b64 s[0:1], s[48:49]
	s_cbranch_execz .LBB191_1320
; %bb.1313:
	v_mov_b32_e32 v1, s25
	s_and_b32 s26, s70, 0xff
	s_waitcnt vmcnt(0)
	v_add_co_u32_e32 v3, vcc, s24, v2
	s_cmp_lt_i32 s26, 11
	v_addc_co_u32_e32 v4, vcc, 0, v1, vcc
	s_cbranch_scc1 .LBB191_1323
; %bb.1314:
	s_and_b32 s24, 0xffff, s26
	s_cmp_gt_i32 s24, 25
	s_cbranch_scc0 .LBB191_1324
; %bb.1315:
	s_cmp_gt_i32 s24, 28
	s_cbranch_scc0 .LBB191_1325
; %bb.1316:
	;; [unrolled: 3-line block ×4, first 2 shown]
	s_cmp_eq_u32 s24, 46
	s_cbranch_scc0 .LBB191_1328
; %bb.1319:
	global_load_dword v1, v[3:4], off
	s_mov_b64 s[12:13], 0
	s_mov_b64 s[14:15], -1
	s_waitcnt vmcnt(0)
	v_lshlrev_b32_e32 v1, 16, v1
	v_cvt_i32_f32_e32 v6, v1
	s_branch .LBB191_1330
.LBB191_1320:
	s_or_b64 exec, exec, s[0:1]
	s_and_saveexec_b64 s[0:1], s[38:39]
	s_cbranch_execnz .LBB191_1389
.LBB191_1321:
	s_or_b64 exec, exec, s[0:1]
	s_and_saveexec_b64 s[0:1], s[16:17]
	s_xor_b64 s[0:1], exec, s[0:1]
	s_cbranch_execz .LBB191_1390
.LBB191_1322:
	s_waitcnt vmcnt(0)
	global_load_ubyte v1, v[3:4], off
	s_or_b64 s[14:15], s[14:15], exec
	s_waitcnt vmcnt(0)
	v_cmp_ne_u16_e32 vcc, 0, v1
	v_cndmask_b32_e64 v6, 0, 1, vcc
	s_or_b64 exec, exec, s[0:1]
	s_and_saveexec_b64 s[0:1], s[18:19]
	s_cbranch_execz .LBB191_1436
	s_branch .LBB191_1391
.LBB191_1323:
	s_mov_b64 s[18:19], -1
                                        ; implicit-def: $vgpr6
	s_mov_b64 s[12:13], s[38:39]
	s_branch .LBB191_1388
.LBB191_1324:
	s_mov_b64 s[12:13], s[38:39]
                                        ; implicit-def: $vgpr6
	s_cbranch_execnz .LBB191_1357
	s_branch .LBB191_1387
.LBB191_1325:
	s_mov_b64 s[18:19], -1
	s_mov_b64 s[12:13], s[38:39]
                                        ; implicit-def: $vgpr6
	s_branch .LBB191_1340
.LBB191_1326:
	s_mov_b64 s[18:19], -1
	s_mov_b64 s[12:13], s[38:39]
                                        ; implicit-def: $vgpr6
	s_branch .LBB191_1335
.LBB191_1327:
	s_mov_b64 s[18:19], -1
	s_mov_b64 s[12:13], s[38:39]
	s_branch .LBB191_1329
.LBB191_1328:
	s_mov_b64 s[12:13], -1
.LBB191_1329:
                                        ; implicit-def: $vgpr6
.LBB191_1330:
	s_and_b64 vcc, exec, s[18:19]
	s_cbranch_vccz .LBB191_1334
; %bb.1331:
	s_cmp_eq_u32 s24, 44
	s_cbranch_scc0 .LBB191_1333
; %bb.1332:
	global_load_ubyte v1, v[3:4], off
	s_mov_b64 s[12:13], 0
	s_mov_b64 s[14:15], -1
	s_waitcnt vmcnt(0)
	v_lshlrev_b32_e32 v2, 23, v1
	v_cvt_i32_f32_e32 v2, v2
	v_cmp_ne_u32_e32 vcc, 0, v1
	v_cndmask_b32_e32 v6, 0, v2, vcc
	s_branch .LBB191_1334
.LBB191_1333:
	s_mov_b64 s[12:13], -1
                                        ; implicit-def: $vgpr6
.LBB191_1334:
	s_mov_b64 s[18:19], 0
.LBB191_1335:
	s_and_b64 vcc, exec, s[18:19]
	s_cbranch_vccz .LBB191_1339
; %bb.1336:
	s_cmp_eq_u32 s24, 29
	s_cbranch_scc0 .LBB191_1338
; %bb.1337:
	global_load_dword v6, v[3:4], off
	s_mov_b64 s[12:13], 0
	s_mov_b64 s[14:15], -1
	s_branch .LBB191_1339
.LBB191_1338:
	s_mov_b64 s[12:13], -1
                                        ; implicit-def: $vgpr6
.LBB191_1339:
	s_mov_b64 s[18:19], 0
.LBB191_1340:
	s_and_b64 vcc, exec, s[18:19]
	s_cbranch_vccz .LBB191_1356
; %bb.1341:
	s_cmp_lt_i32 s24, 27
	s_cbranch_scc1 .LBB191_1344
; %bb.1342:
	s_cmp_gt_i32 s24, 27
	s_cbranch_scc0 .LBB191_1345
; %bb.1343:
	global_load_dword v6, v[3:4], off
	s_mov_b64 s[14:15], 0
	s_branch .LBB191_1346
.LBB191_1344:
	s_mov_b64 s[14:15], -1
                                        ; implicit-def: $vgpr6
	s_branch .LBB191_1349
.LBB191_1345:
	s_mov_b64 s[14:15], -1
                                        ; implicit-def: $vgpr6
.LBB191_1346:
	s_andn2_b64 vcc, exec, s[14:15]
	s_cbranch_vccnz .LBB191_1348
; %bb.1347:
	global_load_ushort v6, v[3:4], off
.LBB191_1348:
	s_mov_b64 s[14:15], 0
.LBB191_1349:
	s_andn2_b64 vcc, exec, s[14:15]
	s_cbranch_vccnz .LBB191_1355
; %bb.1350:
	global_load_ubyte v1, v[3:4], off
	s_movk_i32 s14, 0x7f
	s_mov_b64 s[18:19], 0
	s_waitcnt vmcnt(0)
	v_cmp_lt_i16_e32 vcc, s14, v1
	s_and_saveexec_b64 s[14:15], vcc
	s_xor_b64 s[14:15], exec, s[14:15]
	s_cbranch_execz .LBB191_1366
; %bb.1351:
	s_movk_i32 s18, 0x80
	v_cmp_ne_u16_e32 vcc, s18, v1
	s_and_b64 s[18:19], vcc, exec
	s_andn2_saveexec_b64 s[14:15], s[14:15]
	s_cbranch_execnz .LBB191_1367
.LBB191_1352:
	s_or_b64 exec, exec, s[14:15]
	v_mov_b32_e32 v6, 0
	s_and_saveexec_b64 s[14:15], s[18:19]
	s_cbranch_execz .LBB191_1354
.LBB191_1353:
	v_lshlrev_b32_e32 v2, 24, v1
	v_and_b32_e32 v1, 0xffff, v1
	v_and_b32_e32 v6, 7, v1
	v_ffbh_u32_e32 v8, v6
	v_min_u32_e32 v8, 32, v8
	v_subrev_u32_e32 v9, 28, v8
	v_bfe_u32 v7, v1, 3, 4
	v_lshlrev_b32_e32 v1, v9, v1
	v_sub_u32_e32 v8, 29, v8
	v_and_b32_e32 v1, 7, v1
	v_cmp_eq_u32_e32 vcc, 0, v7
	v_cndmask_b32_e32 v7, v7, v8, vcc
	v_cndmask_b32_e32 v1, v6, v1, vcc
	v_mov_b32_e32 v6, 0x3b800000
	v_lshlrev_b32_e32 v1, 20, v1
	v_and_b32_e32 v2, 0x80000000, v2
	v_lshl_add_u32 v6, v7, 23, v6
	v_or3_b32 v1, v2, v6, v1
	v_cvt_i32_f32_e32 v6, v1
.LBB191_1354:
	s_or_b64 exec, exec, s[14:15]
.LBB191_1355:
	s_mov_b64 s[14:15], -1
.LBB191_1356:
	s_branch .LBB191_1387
.LBB191_1357:
	s_cmp_gt_i32 s24, 22
	s_cbranch_scc0 .LBB191_1365
; %bb.1358:
	s_cmp_lt_i32 s24, 24
	s_cbranch_scc1 .LBB191_1368
; %bb.1359:
	s_cmp_gt_i32 s24, 24
	s_cbranch_scc0 .LBB191_1369
; %bb.1360:
	global_load_ubyte v1, v[3:4], off
	s_movk_i32 s14, 0x7f
	s_waitcnt vmcnt(0)
	v_cmp_lt_i16_e32 vcc, s14, v1
	s_and_saveexec_b64 s[14:15], vcc
	s_xor_b64 s[14:15], exec, s[14:15]
	s_cbranch_execz .LBB191_1381
; %bb.1361:
	s_movk_i32 s16, 0x80
	v_cmp_ne_u16_e32 vcc, s16, v1
	s_and_b64 s[16:17], vcc, exec
	s_andn2_saveexec_b64 s[14:15], s[14:15]
	s_cbranch_execnz .LBB191_1382
.LBB191_1362:
	s_or_b64 exec, exec, s[14:15]
	v_mov_b32_e32 v6, 0
	s_and_saveexec_b64 s[14:15], s[16:17]
	s_cbranch_execz .LBB191_1364
.LBB191_1363:
	v_lshlrev_b32_e32 v2, 24, v1
	v_and_b32_e32 v1, 0xffff, v1
	v_and_b32_e32 v6, 3, v1
	v_ffbh_u32_e32 v8, v6
	v_min_u32_e32 v8, 32, v8
	v_subrev_u32_e32 v9, 29, v8
	v_bfe_u32 v7, v1, 2, 5
	v_lshlrev_b32_e32 v1, v9, v1
	v_sub_u32_e32 v8, 30, v8
	v_and_b32_e32 v1, 3, v1
	v_cmp_eq_u32_e32 vcc, 0, v7
	v_cndmask_b32_e32 v7, v7, v8, vcc
	v_cndmask_b32_e32 v1, v6, v1, vcc
	v_mov_b32_e32 v6, 0x37800000
	v_lshlrev_b32_e32 v1, 21, v1
	v_and_b32_e32 v2, 0x80000000, v2
	v_lshl_add_u32 v6, v7, 23, v6
	v_or3_b32 v1, v2, v6, v1
	v_cvt_i32_f32_e32 v6, v1
.LBB191_1364:
	s_or_b64 exec, exec, s[14:15]
	s_mov_b64 s[14:15], 0
	s_branch .LBB191_1370
.LBB191_1365:
	s_mov_b64 s[16:17], -1
                                        ; implicit-def: $vgpr6
	s_branch .LBB191_1376
.LBB191_1366:
	s_andn2_saveexec_b64 s[14:15], s[14:15]
	s_cbranch_execz .LBB191_1352
.LBB191_1367:
	v_cmp_ne_u16_e32 vcc, 0, v1
	s_andn2_b64 s[18:19], s[18:19], exec
	s_and_b64 s[28:29], vcc, exec
	s_or_b64 s[18:19], s[18:19], s[28:29]
	s_or_b64 exec, exec, s[14:15]
	v_mov_b32_e32 v6, 0
	s_and_saveexec_b64 s[14:15], s[18:19]
	s_cbranch_execnz .LBB191_1353
	s_branch .LBB191_1354
.LBB191_1368:
	s_mov_b64 s[14:15], -1
                                        ; implicit-def: $vgpr6
	s_branch .LBB191_1373
.LBB191_1369:
	s_mov_b64 s[14:15], -1
                                        ; implicit-def: $vgpr6
.LBB191_1370:
	s_and_b64 vcc, exec, s[14:15]
	s_cbranch_vccz .LBB191_1372
; %bb.1371:
	global_load_ubyte v1, v[3:4], off
	s_mov_b32 s14, 0x7f800000
	s_waitcnt vmcnt(0)
	v_lshlrev_b32_e32 v1, 24, v1
	v_and_b32_e32 v2, 0x7f000000, v1
	v_ffbh_u32_e32 v6, v2
	v_min_u32_e32 v6, 32, v6
	v_sub_u32_e64 v6, v6, 4 clamp
	v_lshlrev_b32_e32 v8, v6, v2
	v_lshlrev_b32_e32 v6, 23, v6
	v_lshrrev_b32_e32 v8, 4, v8
	v_add_u32_e32 v7, 0x1000000, v2
	v_sub_u32_e32 v6, v8, v6
	v_ashrrev_i32_e32 v7, 8, v7
	v_add_u32_e32 v6, 0x3c000000, v6
	v_and_or_b32 v6, v7, s14, v6
	v_cmp_ne_u32_e32 vcc, 0, v2
	v_cndmask_b32_e32 v2, 0, v6, vcc
	s_brev_b32 s14, 1
	v_and_or_b32 v1, v1, s14, v2
	v_cvt_i32_f32_e32 v6, v1
.LBB191_1372:
	s_mov_b64 s[14:15], 0
.LBB191_1373:
	s_andn2_b64 vcc, exec, s[14:15]
	s_cbranch_vccnz .LBB191_1375
; %bb.1374:
	global_load_ubyte v1, v[3:4], off
	s_movk_i32 s14, 0x7f00
	s_brev_b32 s15, 16
	s_waitcnt vmcnt(0)
	v_lshlrev_b16_e32 v2, 8, v1
	v_lshlrev_b32_e32 v1, 25, v1
	v_lshrrev_b32_e32 v6, 4, v1
	v_and_or_b32 v7, v2, s14, 0.5
	v_or_b32_e32 v6, 0x70000000, v6
	v_add_f32_e32 v7, -0.5, v7
	v_mul_f32_e32 v6, 0x7800000, v6
	v_cmp_gt_u32_e32 vcc, s15, v1
	v_bfe_i32 v2, v2, 0, 16
	v_cndmask_b32_e32 v1, v6, v7, vcc
	s_brev_b32 s14, 1
	v_and_or_b32 v1, v2, s14, v1
	v_cvt_i32_f32_e32 v6, v1
.LBB191_1375:
	s_mov_b64 s[16:17], 0
	s_mov_b64 s[14:15], -1
.LBB191_1376:
	s_andn2_b64 vcc, exec, s[16:17]
	s_mov_b64 s[16:17], 0
	s_cbranch_vccnz .LBB191_1387
; %bb.1377:
	s_cmp_gt_i32 s24, 14
	s_cbranch_scc0 .LBB191_1380
; %bb.1378:
	s_cmp_eq_u32 s24, 15
	s_cbranch_scc0 .LBB191_1383
; %bb.1379:
	global_load_ushort v1, v[3:4], off
	s_mov_b64 s[12:13], 0
	s_mov_b64 s[14:15], -1
	s_waitcnt vmcnt(0)
	v_lshlrev_b32_e32 v1, 16, v1
	v_cvt_i32_f32_e32 v6, v1
	s_branch .LBB191_1384
.LBB191_1380:
	s_mov_b64 s[18:19], -1
                                        ; implicit-def: $vgpr6
	s_branch .LBB191_1385
.LBB191_1381:
	s_andn2_saveexec_b64 s[14:15], s[14:15]
	s_cbranch_execz .LBB191_1362
.LBB191_1382:
	v_cmp_ne_u16_e32 vcc, 0, v1
	s_andn2_b64 s[16:17], s[16:17], exec
	s_and_b64 s[18:19], vcc, exec
	s_or_b64 s[16:17], s[16:17], s[18:19]
	s_or_b64 exec, exec, s[14:15]
	v_mov_b32_e32 v6, 0
	s_and_saveexec_b64 s[14:15], s[16:17]
	s_cbranch_execnz .LBB191_1363
	s_branch .LBB191_1364
.LBB191_1383:
	s_mov_b64 s[12:13], -1
                                        ; implicit-def: $vgpr6
.LBB191_1384:
	s_mov_b64 s[18:19], 0
.LBB191_1385:
	s_and_b64 vcc, exec, s[18:19]
	s_cbranch_vccz .LBB191_1387
; %bb.1386:
	s_cmp_lg_u32 s24, 11
	s_cselect_b64 s[18:19], -1, 0
	s_andn2_b64 s[12:13], s[12:13], exec
	s_and_b64 s[18:19], s[18:19], exec
	s_mov_b64 s[16:17], -1
	s_or_b64 s[12:13], s[12:13], s[18:19]
.LBB191_1387:
	s_mov_b64 s[18:19], 0
.LBB191_1388:
	s_andn2_b64 s[24:25], s[38:39], exec
	s_and_b64 s[12:13], s[12:13], exec
	s_and_b64 s[14:15], s[14:15], exec
	;; [unrolled: 1-line block ×4, first 2 shown]
	s_or_b64 s[38:39], s[24:25], s[12:13]
	s_or_b64 exec, exec, s[0:1]
	s_and_saveexec_b64 s[0:1], s[38:39]
	s_cbranch_execz .LBB191_1321
.LBB191_1389:
	s_or_b64 s[10:11], s[10:11], exec
	s_andn2_b64 s[16:17], s[16:17], exec
	s_trap 2
	s_or_b64 exec, exec, s[0:1]
	s_and_saveexec_b64 s[0:1], s[16:17]
	s_xor_b64 s[0:1], exec, s[0:1]
	s_cbranch_execnz .LBB191_1322
.LBB191_1390:
	s_or_b64 exec, exec, s[0:1]
	s_and_saveexec_b64 s[0:1], s[18:19]
	s_cbranch_execz .LBB191_1436
.LBB191_1391:
	s_sext_i32_i16 s12, s26
	s_cmp_lt_i32 s12, 5
	s_cbranch_scc1 .LBB191_1396
; %bb.1392:
	s_cmp_lt_i32 s12, 8
	s_cbranch_scc1 .LBB191_1397
; %bb.1393:
	s_cmp_lt_i32 s12, 9
	s_cbranch_scc1 .LBB191_1398
; %bb.1394:
	s_cmp_gt_i32 s12, 9
	s_cbranch_scc0 .LBB191_1399
; %bb.1395:
	s_waitcnt vmcnt(0)
	global_load_dwordx2 v[1:2], v[3:4], off
	s_mov_b64 s[12:13], 0
	s_waitcnt vmcnt(0)
	v_cvt_i32_f64_e32 v6, v[1:2]
	s_branch .LBB191_1400
.LBB191_1396:
                                        ; implicit-def: $vgpr6
	s_branch .LBB191_1417
.LBB191_1397:
                                        ; implicit-def: $vgpr6
	s_branch .LBB191_1406
.LBB191_1398:
	s_mov_b64 s[12:13], -1
                                        ; implicit-def: $vgpr6
	s_branch .LBB191_1403
.LBB191_1399:
	s_mov_b64 s[12:13], -1
                                        ; implicit-def: $vgpr6
.LBB191_1400:
	s_andn2_b64 vcc, exec, s[12:13]
	s_cbranch_vccnz .LBB191_1402
; %bb.1401:
	s_waitcnt vmcnt(0)
	global_load_dword v1, v[3:4], off
	s_waitcnt vmcnt(0)
	v_cvt_i32_f32_e32 v6, v1
.LBB191_1402:
	s_mov_b64 s[12:13], 0
.LBB191_1403:
	s_andn2_b64 vcc, exec, s[12:13]
	s_cbranch_vccnz .LBB191_1405
; %bb.1404:
	s_waitcnt vmcnt(0)
	global_load_dword v1, v[3:4], off
	s_waitcnt vmcnt(0)
	v_cvt_f32_f16_e32 v1, v1
	v_cvt_i32_f32_e32 v6, v1
.LBB191_1405:
	s_cbranch_execnz .LBB191_1416
.LBB191_1406:
	s_sext_i32_i16 s12, s26
	s_cmp_lt_i32 s12, 6
	s_cbranch_scc1 .LBB191_1409
; %bb.1407:
	s_cmp_gt_i32 s12, 6
	s_cbranch_scc0 .LBB191_1410
; %bb.1408:
	s_waitcnt vmcnt(0)
	global_load_dwordx2 v[1:2], v[3:4], off
	s_mov_b64 s[12:13], 0
	s_waitcnt vmcnt(0)
	v_cvt_i32_f64_e32 v6, v[1:2]
	s_branch .LBB191_1411
.LBB191_1409:
	s_mov_b64 s[12:13], -1
                                        ; implicit-def: $vgpr6
	s_branch .LBB191_1414
.LBB191_1410:
	s_mov_b64 s[12:13], -1
                                        ; implicit-def: $vgpr6
.LBB191_1411:
	s_andn2_b64 vcc, exec, s[12:13]
	s_cbranch_vccnz .LBB191_1413
; %bb.1412:
	s_waitcnt vmcnt(0)
	global_load_dword v1, v[3:4], off
	s_waitcnt vmcnt(0)
	v_cvt_i32_f32_e32 v6, v1
.LBB191_1413:
	s_mov_b64 s[12:13], 0
.LBB191_1414:
	s_andn2_b64 vcc, exec, s[12:13]
	s_cbranch_vccnz .LBB191_1416
; %bb.1415:
	s_waitcnt vmcnt(0)
	global_load_ushort v1, v[3:4], off
	s_waitcnt vmcnt(0)
	v_cvt_f32_f16_e32 v1, v1
	v_cvt_i32_f32_e32 v6, v1
.LBB191_1416:
	s_cbranch_execnz .LBB191_1435
.LBB191_1417:
	s_sext_i32_i16 s12, s26
	s_cmp_lt_i32 s12, 2
	s_cbranch_scc1 .LBB191_1421
; %bb.1418:
	s_cmp_lt_i32 s12, 3
	s_cbranch_scc1 .LBB191_1422
; %bb.1419:
	s_cmp_gt_i32 s12, 3
	s_cbranch_scc0 .LBB191_1423
; %bb.1420:
	s_waitcnt vmcnt(0)
	global_load_dword v6, v[3:4], off
	s_mov_b64 s[12:13], 0
	s_branch .LBB191_1424
.LBB191_1421:
                                        ; implicit-def: $vgpr6
	s_branch .LBB191_1430
.LBB191_1422:
	s_mov_b64 s[12:13], -1
                                        ; implicit-def: $vgpr6
	s_branch .LBB191_1427
.LBB191_1423:
	s_mov_b64 s[12:13], -1
                                        ; implicit-def: $vgpr6
.LBB191_1424:
	s_andn2_b64 vcc, exec, s[12:13]
	s_cbranch_vccnz .LBB191_1426
; %bb.1425:
	s_waitcnt vmcnt(0)
	global_load_dword v6, v[3:4], off
.LBB191_1426:
	s_mov_b64 s[12:13], 0
.LBB191_1427:
	s_andn2_b64 vcc, exec, s[12:13]
	s_cbranch_vccnz .LBB191_1429
; %bb.1428:
	s_waitcnt vmcnt(0)
	global_load_sshort v6, v[3:4], off
.LBB191_1429:
	s_cbranch_execnz .LBB191_1435
.LBB191_1430:
	s_sext_i32_i16 s12, s26
	s_cmp_gt_i32 s12, 0
	s_cbranch_scc0 .LBB191_1432
; %bb.1431:
	s_waitcnt vmcnt(0)
	global_load_sbyte v6, v[3:4], off
	s_mov_b64 s[12:13], 0
	s_branch .LBB191_1433
.LBB191_1432:
	s_mov_b64 s[12:13], -1
                                        ; implicit-def: $vgpr6
.LBB191_1433:
	s_andn2_b64 vcc, exec, s[12:13]
	s_cbranch_vccnz .LBB191_1435
; %bb.1434:
	s_waitcnt vmcnt(0)
	global_load_ubyte v6, v[3:4], off
.LBB191_1435:
	s_or_b64 s[14:15], s[14:15], exec
.LBB191_1436:
	s_or_b64 exec, exec, s[0:1]
	s_mov_b64 s[18:19], 0
	s_mov_b64 s[16:17], 0
                                        ; implicit-def: $sgpr24
                                        ; implicit-def: $vgpr3_vgpr4
                                        ; implicit-def: $vgpr1
	s_and_saveexec_b64 s[12:13], s[14:15]
	s_cbranch_execz .LBB191_1444
; %bb.1437:
	s_waitcnt vmcnt(0)
	v_min_u32_e32 v1, 31, v6
	v_mov_b32_e32 v2, s9
	s_and_b32 s24, s69, 0xff
	v_add_co_u32_e32 v3, vcc, s8, v0
	v_ashrrev_i32_e32 v1, v1, v5
	s_cmp_lt_i32 s24, 11
	v_addc_co_u32_e32 v4, vcc, 0, v2, vcc
	s_cbranch_scc1 .LBB191_1447
; %bb.1438:
	s_and_b32 s25, 0xffff, s24
	s_mov_b64 s[14:15], -1
	s_cmp_gt_i32 s25, 25
	s_mov_b64 s[0:1], s[36:37]
	s_cbranch_scc0 .LBB191_1475
; %bb.1439:
	s_mov_b64 s[8:9], -1
	s_cmp_gt_i32 s25, 28
	s_mov_b64 s[0:1], s[36:37]
	s_cbranch_scc0 .LBB191_1459
; %bb.1440:
	s_cmp_gt_i32 s25, 43
	s_mov_b64 s[0:1], s[36:37]
	s_cbranch_scc0 .LBB191_1455
; %bb.1441:
	;; [unrolled: 4-line block ×3, first 2 shown]
	s_cmp_eq_u32 s25, 46
	s_mov_b64 s[0:1], -1
	s_cbranch_scc0 .LBB191_1448
; %bb.1443:
	v_cvt_f32_i32_e32 v0, v1
	s_movk_i32 s0, 0x7fff
	s_mov_b64 s[8:9], 0
	v_bfe_u32 v2, v0, 16, 1
	v_add3_u32 v0, v0, v2, s0
	v_lshrrev_b32_e32 v0, 16, v0
	global_store_dword v[3:4], v0, off
	s_mov_b64 s[0:1], 0
	s_branch .LBB191_1449
.LBB191_1444:
	s_or_b64 exec, exec, s[12:13]
	s_and_saveexec_b64 s[0:1], s[36:37]
	s_cbranch_execnz .LBB191_1517
.LBB191_1445:
	s_or_b64 exec, exec, s[0:1]
	s_and_saveexec_b64 s[0:1], s[18:19]
	s_xor_b64 s[0:1], exec, s[0:1]
	s_cbranch_execz .LBB191_1518
.LBB191_1446:
	v_cmp_ne_u32_e32 vcc, 0, v1
	v_cndmask_b32_e64 v0, 0, 1, vcc
	s_waitcnt vmcnt(0)
	global_store_byte v[3:4], v0, off
	s_or_b64 exec, exec, s[0:1]
	s_and_saveexec_b64 s[0:1], s[16:17]
	s_xor_b64 s[0:1], exec, s[0:1]
	s_cbranch_execz .LBB191_1556
	s_branch .LBB191_1519
.LBB191_1447:
	s_mov_b64 s[14:15], 0
	s_mov_b64 s[8:9], -1
	s_mov_b64 s[0:1], s[36:37]
	s_branch .LBB191_1516
.LBB191_1448:
	s_mov_b64 s[8:9], 0
.LBB191_1449:
	s_and_b64 vcc, exec, s[8:9]
	s_cbranch_vccz .LBB191_1454
; %bb.1450:
	s_cmp_eq_u32 s25, 44
	s_mov_b64 s[0:1], -1
	s_cbranch_scc0 .LBB191_1454
; %bb.1451:
	v_cvt_f32_i32_e32 v0, v1
	s_movk_i32 s0, 0xff
	v_mov_b32_e32 v5, 0xff
	v_bfe_u32 v2, v0, 23, 8
	v_cmp_ne_u32_e32 vcc, s0, v2
	s_and_saveexec_b64 s[8:9], vcc
; %bb.1452:
	s_mov_b32 s0, 0x3fffff
	v_lshrrev_b32_e32 v5, 23, v0
	v_and_b32_e32 v6, 0x400000, v0
	v_and_or_b32 v0, v0, s0, v2
	v_cmp_ne_u32_e32 vcc, 0, v6
	v_cmp_ne_u32_e64 s[0:1], 0, v0
	s_and_b64 s[0:1], vcc, s[0:1]
	v_cndmask_b32_e64 v0, 0, 1, s[0:1]
	v_add_u32_e32 v5, v5, v0
; %bb.1453:
	s_or_b64 exec, exec, s[8:9]
	s_mov_b64 s[0:1], 0
	global_store_byte v[3:4], v5, off
.LBB191_1454:
	s_mov_b64 s[8:9], 0
.LBB191_1455:
	s_and_b64 vcc, exec, s[8:9]
	s_cbranch_vccz .LBB191_1458
; %bb.1456:
	s_cmp_eq_u32 s25, 29
	s_mov_b64 s[0:1], -1
	s_cbranch_scc0 .LBB191_1458
; %bb.1457:
	v_ashrrev_i32_e32 v2, 31, v1
	global_store_dwordx2 v[3:4], v[1:2], off
	s_mov_b64 s[0:1], 0
.LBB191_1458:
	s_mov_b64 s[8:9], 0
.LBB191_1459:
	s_and_b64 vcc, exec, s[8:9]
	s_cbranch_vccz .LBB191_1474
; %bb.1460:
	s_cmp_lt_i32 s25, 27
	s_mov_b64 s[8:9], -1
	s_cbranch_scc1 .LBB191_1466
; %bb.1461:
	s_cmp_gt_i32 s25, 27
	s_cbranch_scc0 .LBB191_1463
; %bb.1462:
	s_mov_b64 s[8:9], 0
	global_store_dword v[3:4], v1, off
.LBB191_1463:
	s_andn2_b64 vcc, exec, s[8:9]
	s_cbranch_vccnz .LBB191_1465
; %bb.1464:
	global_store_short v[3:4], v1, off
.LBB191_1465:
	s_mov_b64 s[8:9], 0
.LBB191_1466:
	s_andn2_b64 vcc, exec, s[8:9]
	s_cbranch_vccnz .LBB191_1474
; %bb.1467:
	v_cvt_f32_i32_e32 v0, v1
	s_mov_b32 s8, 0x43800000
	v_mov_b32_e32 v5, 0x80
	v_and_b32_e32 v2, 0x7fffffff, v0
	v_cmp_gt_u32_e32 vcc, s8, v2
	s_and_saveexec_b64 s[8:9], vcc
	s_cbranch_execz .LBB191_1473
; %bb.1468:
	s_mov_b32 s14, 0x3bffffff
	v_cmp_lt_u32_e32 vcc, s14, v2
	s_mov_b64 s[14:15], 0
                                        ; implicit-def: $vgpr2
	s_and_saveexec_b64 s[16:17], vcc
	s_xor_b64 s[16:17], exec, s[16:17]
	s_cbranch_execz .LBB191_1615
; %bb.1469:
	v_bfe_u32 v2, v0, 20, 1
	s_mov_b32 s18, 0x487ffff
	v_add3_u32 v2, v0, v2, s18
	s_mov_b64 s[14:15], exec
	v_lshrrev_b32_e32 v2, 20, v2
	s_andn2_saveexec_b64 s[16:17], s[16:17]
	s_cbranch_execnz .LBB191_1616
.LBB191_1470:
	s_or_b64 exec, exec, s[16:17]
	v_mov_b32_e32 v5, 0
	s_and_saveexec_b64 s[16:17], s[14:15]
.LBB191_1471:
	v_lshrrev_b32_e32 v0, 24, v0
	s_movk_i32 s14, 0x80
	v_and_or_b32 v5, v0, s14, v2
.LBB191_1472:
	s_or_b64 exec, exec, s[16:17]
.LBB191_1473:
	s_or_b64 exec, exec, s[8:9]
	global_store_byte v[3:4], v5, off
.LBB191_1474:
	s_mov_b64 s[14:15], 0
.LBB191_1475:
	s_mov_b64 s[8:9], 0
	s_and_b64 vcc, exec, s[14:15]
	s_cbranch_vccz .LBB191_1515
; %bb.1476:
	s_cmp_gt_i32 s25, 22
	s_mov_b64 s[14:15], -1
	s_cbranch_scc0 .LBB191_1508
; %bb.1477:
	s_cmp_lt_i32 s25, 24
	s_cbranch_scc1 .LBB191_1497
; %bb.1478:
	s_cmp_gt_i32 s25, 24
	s_cbranch_scc0 .LBB191_1486
; %bb.1479:
	v_cvt_f32_i32_e32 v0, v1
	s_mov_b32 s14, 0x47800000
	v_mov_b32_e32 v5, 0x80
	v_and_b32_e32 v2, 0x7fffffff, v0
	v_cmp_gt_u32_e32 vcc, s14, v2
	s_and_saveexec_b64 s[14:15], vcc
	s_cbranch_execz .LBB191_1485
; %bb.1480:
	s_mov_b32 s16, 0x37ffffff
	v_cmp_lt_u32_e32 vcc, s16, v2
	s_mov_b64 s[16:17], 0
                                        ; implicit-def: $vgpr2
	s_and_saveexec_b64 s[18:19], vcc
	s_xor_b64 s[18:19], exec, s[18:19]
	s_cbranch_execz .LBB191_1735
; %bb.1481:
	v_bfe_u32 v2, v0, 21, 1
	s_mov_b32 s26, 0x88fffff
	v_add3_u32 v2, v0, v2, s26
	s_mov_b64 s[16:17], exec
	v_lshrrev_b32_e32 v2, 21, v2
	s_andn2_saveexec_b64 s[18:19], s[18:19]
	s_cbranch_execnz .LBB191_1736
.LBB191_1482:
	s_or_b64 exec, exec, s[18:19]
	v_mov_b32_e32 v5, 0
	s_and_saveexec_b64 s[18:19], s[16:17]
.LBB191_1483:
	v_lshrrev_b32_e32 v0, 24, v0
	s_movk_i32 s16, 0x80
	v_and_or_b32 v5, v0, s16, v2
.LBB191_1484:
	s_or_b64 exec, exec, s[18:19]
.LBB191_1485:
	s_or_b64 exec, exec, s[14:15]
	s_mov_b64 s[14:15], 0
	global_store_byte v[3:4], v5, off
.LBB191_1486:
	s_and_b64 vcc, exec, s[14:15]
	s_cbranch_vccz .LBB191_1496
; %bb.1487:
	v_cvt_f32_i32_e32 v0, v1
	s_mov_b32 s14, 0x43f00000
                                        ; implicit-def: $vgpr2
	v_and_b32_e32 v5, 0x7fffffff, v0
	v_cmp_gt_u32_e32 vcc, s14, v5
	s_and_saveexec_b64 s[14:15], vcc
	s_xor_b64 s[14:15], exec, s[14:15]
	s_cbranch_execz .LBB191_1493
; %bb.1488:
	s_mov_b32 s16, 0x3c7fffff
	v_cmp_lt_u32_e32 vcc, s16, v5
                                        ; implicit-def: $vgpr2
	s_and_saveexec_b64 s[16:17], vcc
	s_xor_b64 s[16:17], exec, s[16:17]
; %bb.1489:
	v_bfe_u32 v2, v0, 20, 1
	s_mov_b32 s18, 0x407ffff
	v_add3_u32 v2, v0, v2, s18
	v_lshrrev_b32_e32 v5, 20, v2
	v_and_b32_e32 v2, 0xff00000, v2
	s_mov_b32 s18, 0x7f00000
	v_mov_b32_e32 v6, 0x7e
	v_cmp_ne_u32_e32 vcc, s18, v2
	v_cndmask_b32_e32 v2, v6, v5, vcc
; %bb.1490:
	s_andn2_saveexec_b64 s[16:17], s[16:17]
; %bb.1491:
	s_mov_b32 s18, 0x46800000
	v_add_f32_e64 v2, |v0|, s18
; %bb.1492:
	s_or_b64 exec, exec, s[16:17]
                                        ; implicit-def: $vgpr5
.LBB191_1493:
	s_andn2_saveexec_b64 s[14:15], s[14:15]
; %bb.1494:
	s_mov_b32 s16, 0x7f800000
	v_mov_b32_e32 v2, 0x7e
	v_mov_b32_e32 v6, 0x7f
	v_cmp_lt_u32_e32 vcc, s16, v5
	v_cndmask_b32_e32 v2, v2, v6, vcc
; %bb.1495:
	s_or_b64 exec, exec, s[14:15]
	v_lshrrev_b32_e32 v0, 24, v0
	s_movk_i32 s14, 0x80
	v_and_or_b32 v0, v0, s14, v2
	global_store_byte v[3:4], v0, off
.LBB191_1496:
	s_mov_b64 s[14:15], 0
.LBB191_1497:
	s_andn2_b64 vcc, exec, s[14:15]
	s_cbranch_vccnz .LBB191_1507
; %bb.1498:
	v_cvt_f32_i32_e32 v0, v1
	s_mov_b32 s14, 0x47800000
                                        ; implicit-def: $vgpr2
	v_and_b32_e32 v5, 0x7fffffff, v0
	v_cmp_gt_u32_e32 vcc, s14, v5
	s_and_saveexec_b64 s[14:15], vcc
	s_xor_b64 s[14:15], exec, s[14:15]
	s_cbranch_execz .LBB191_1504
; %bb.1499:
	s_mov_b32 s16, 0x387fffff
	v_cmp_lt_u32_e32 vcc, s16, v5
                                        ; implicit-def: $vgpr2
	s_and_saveexec_b64 s[16:17], vcc
	s_xor_b64 s[16:17], exec, s[16:17]
; %bb.1500:
	v_bfe_u32 v2, v0, 21, 1
	s_mov_b32 s18, 0x80fffff
	v_add3_u32 v2, v0, v2, s18
	v_lshrrev_b32_e32 v2, 21, v2
; %bb.1501:
	s_andn2_saveexec_b64 s[16:17], s[16:17]
; %bb.1502:
	s_mov_b32 s18, 0x43000000
	v_add_f32_e64 v2, |v0|, s18
; %bb.1503:
	s_or_b64 exec, exec, s[16:17]
                                        ; implicit-def: $vgpr5
.LBB191_1504:
	s_andn2_saveexec_b64 s[14:15], s[14:15]
; %bb.1505:
	s_mov_b32 s16, 0x7f800000
	v_mov_b32_e32 v2, 0x7c
	v_mov_b32_e32 v6, 0x7f
	v_cmp_lt_u32_e32 vcc, s16, v5
	v_cndmask_b32_e32 v2, v2, v6, vcc
; %bb.1506:
	s_or_b64 exec, exec, s[14:15]
	v_lshrrev_b32_e32 v0, 24, v0
	s_movk_i32 s14, 0x80
	v_and_or_b32 v0, v0, s14, v2
	global_store_byte v[3:4], v0, off
.LBB191_1507:
	s_mov_b64 s[14:15], 0
.LBB191_1508:
	s_andn2_b64 vcc, exec, s[14:15]
	s_mov_b64 s[14:15], 0
	s_cbranch_vccnz .LBB191_1516
; %bb.1509:
	s_cmp_gt_i32 s25, 14
	s_mov_b64 s[16:17], -1
	s_cbranch_scc0 .LBB191_1513
; %bb.1510:
	s_cmp_eq_u32 s25, 15
	s_mov_b64 s[0:1], -1
	s_cbranch_scc0 .LBB191_1512
; %bb.1511:
	v_cvt_f32_i32_e32 v0, v1
	s_movk_i32 s0, 0x7fff
	v_bfe_u32 v2, v0, 16, 1
	v_add3_u32 v0, v0, v2, s0
	global_store_short_d16_hi v[3:4], v0, off
	s_mov_b64 s[0:1], 0
.LBB191_1512:
	s_mov_b64 s[16:17], 0
.LBB191_1513:
	s_and_b64 vcc, exec, s[16:17]
	s_cbranch_vccz .LBB191_1516
; %bb.1514:
	s_cmp_lg_u32 s25, 11
	s_cselect_b64 s[16:17], -1, 0
	s_andn2_b64 s[0:1], s[0:1], exec
	s_and_b64 s[16:17], s[16:17], exec
	s_mov_b64 s[14:15], -1
	s_or_b64 s[0:1], s[0:1], s[16:17]
	s_branch .LBB191_1516
.LBB191_1515:
	s_mov_b64 s[14:15], 0
.LBB191_1516:
	s_and_b64 s[16:17], s[8:9], exec
	s_andn2_b64 s[8:9], s[36:37], exec
	s_and_b64 s[0:1], s[0:1], exec
	s_and_b64 s[18:19], s[14:15], exec
	s_or_b64 s[36:37], s[8:9], s[0:1]
	s_or_b64 exec, exec, s[12:13]
	s_and_saveexec_b64 s[0:1], s[36:37]
	s_cbranch_execz .LBB191_1445
.LBB191_1517:
	s_or_b64 s[10:11], s[10:11], exec
	s_andn2_b64 s[18:19], s[18:19], exec
	s_trap 2
	s_or_b64 exec, exec, s[0:1]
	s_and_saveexec_b64 s[0:1], s[18:19]
	s_xor_b64 s[0:1], exec, s[0:1]
	s_cbranch_execnz .LBB191_1446
.LBB191_1518:
	s_or_b64 exec, exec, s[0:1]
	s_and_saveexec_b64 s[0:1], s[16:17]
	s_xor_b64 s[0:1], exec, s[0:1]
	s_cbranch_execz .LBB191_1556
.LBB191_1519:
	s_sext_i32_i16 s12, s24
	s_cmp_lt_i32 s12, 5
	s_mov_b64 s[8:9], -1
	s_cbranch_scc1 .LBB191_1540
; %bb.1520:
	s_cmp_lt_i32 s12, 8
	s_cbranch_scc1 .LBB191_1530
; %bb.1521:
	s_cmp_lt_i32 s12, 9
	s_cbranch_scc1 .LBB191_1527
; %bb.1522:
	s_cmp_gt_i32 s12, 9
	s_cbranch_scc0 .LBB191_1524
; %bb.1523:
	s_waitcnt vmcnt(0)
	v_cvt_f64_i32_e32 v[5:6], v1
	v_mov_b32_e32 v7, 0
	v_mov_b32_e32 v8, v7
	s_mov_b64 s[8:9], 0
	global_store_dwordx4 v[3:4], v[5:8], off
.LBB191_1524:
	s_andn2_b64 vcc, exec, s[8:9]
	s_cbranch_vccnz .LBB191_1526
; %bb.1525:
	s_waitcnt vmcnt(0)
	v_cvt_f32_i32_e32 v5, v1
	v_mov_b32_e32 v6, 0
	global_store_dwordx2 v[3:4], v[5:6], off
.LBB191_1526:
	s_mov_b64 s[8:9], 0
.LBB191_1527:
	s_andn2_b64 vcc, exec, s[8:9]
	s_cbranch_vccnz .LBB191_1529
; %bb.1528:
	v_cvt_f32_i32_e32 v0, v1
	v_cvt_f16_f32_e32 v0, v0
	s_waitcnt vmcnt(0)
	global_store_dword v[3:4], v0, off
.LBB191_1529:
	s_mov_b64 s[8:9], 0
.LBB191_1530:
	s_andn2_b64 vcc, exec, s[8:9]
	s_cbranch_vccnz .LBB191_1539
; %bb.1531:
	s_sext_i32_i16 s12, s24
	s_cmp_lt_i32 s12, 6
	s_mov_b64 s[8:9], -1
	s_cbranch_scc1 .LBB191_1537
; %bb.1532:
	s_cmp_gt_i32 s12, 6
	s_cbranch_scc0 .LBB191_1534
; %bb.1533:
	s_waitcnt vmcnt(0)
	v_cvt_f64_i32_e32 v[5:6], v1
	s_mov_b64 s[8:9], 0
	global_store_dwordx2 v[3:4], v[5:6], off
.LBB191_1534:
	s_andn2_b64 vcc, exec, s[8:9]
	s_cbranch_vccnz .LBB191_1536
; %bb.1535:
	v_cvt_f32_i32_e32 v0, v1
	s_waitcnt vmcnt(0)
	global_store_dword v[3:4], v0, off
.LBB191_1536:
	s_mov_b64 s[8:9], 0
.LBB191_1537:
	s_andn2_b64 vcc, exec, s[8:9]
	s_cbranch_vccnz .LBB191_1539
; %bb.1538:
	v_cvt_f32_i32_e32 v0, v1
	v_cvt_f16_f32_e32 v0, v0
	s_waitcnt vmcnt(0)
	global_store_short v[3:4], v0, off
.LBB191_1539:
	s_mov_b64 s[8:9], 0
.LBB191_1540:
	s_andn2_b64 vcc, exec, s[8:9]
	s_cbranch_vccnz .LBB191_1556
; %bb.1541:
	s_sext_i32_i16 s12, s24
	s_cmp_lt_i32 s12, 2
	s_mov_b64 s[8:9], -1
	s_cbranch_scc1 .LBB191_1551
; %bb.1542:
	s_cmp_lt_i32 s12, 3
	s_cbranch_scc1 .LBB191_1548
; %bb.1543:
	s_cmp_gt_i32 s12, 3
	s_cbranch_scc0 .LBB191_1545
; %bb.1544:
	v_ashrrev_i32_e32 v2, 31, v1
	s_mov_b64 s[8:9], 0
	s_waitcnt vmcnt(0)
	global_store_dwordx2 v[3:4], v[1:2], off
.LBB191_1545:
	s_andn2_b64 vcc, exec, s[8:9]
	s_cbranch_vccnz .LBB191_1547
; %bb.1546:
	s_waitcnt vmcnt(0)
	global_store_dword v[3:4], v1, off
.LBB191_1547:
	s_mov_b64 s[8:9], 0
.LBB191_1548:
	s_andn2_b64 vcc, exec, s[8:9]
	s_cbranch_vccnz .LBB191_1550
; %bb.1549:
	s_waitcnt vmcnt(0)
	global_store_short v[3:4], v1, off
.LBB191_1550:
	s_mov_b64 s[8:9], 0
.LBB191_1551:
	s_andn2_b64 vcc, exec, s[8:9]
	s_cbranch_vccnz .LBB191_1556
; %bb.1552:
	s_sext_i32_i16 s8, s24
	s_cmp_gt_i32 s8, 0
	s_mov_b64 s[8:9], -1
	s_cbranch_scc0 .LBB191_1554
; %bb.1553:
	s_mov_b64 s[8:9], 0
	s_waitcnt vmcnt(0)
	global_store_byte v[3:4], v1, off
.LBB191_1554:
	s_andn2_b64 vcc, exec, s[8:9]
	s_cbranch_vccnz .LBB191_1556
; %bb.1555:
	s_waitcnt vmcnt(0)
	global_store_byte v[3:4], v1, off
.LBB191_1556:
	s_or_b64 exec, exec, s[0:1]
	s_and_b64 s[12:13], s[10:11], exec
                                        ; implicit-def: $vgpr23
                                        ; implicit-def: $vgpr8
.LBB191_1557:
	s_or_saveexec_b64 s[14:15], s[22:23]
	s_mov_b64 s[0:1], 0
                                        ; implicit-def: $vgpr0_vgpr1
                                        ; implicit-def: $sgpr18
                                        ; implicit-def: $vgpr2
	s_xor_b64 exec, exec, s[14:15]
	s_cbranch_execz .LBB191_3038
; %bb.1558:
	v_cndmask_b32_e64 v0, 0, 1, s[20:21]
	v_cmp_ne_u32_e64 s[0:1], 1, v0
	s_andn2_b64 vcc, exec, s[20:21]
	s_cbranch_vccnz .LBB191_1564
; %bb.1559:
	s_cmp_lg_u32 s33, 0
	s_cbranch_scc0 .LBB191_1565
; %bb.1560:
	s_min_u32 s8, s68, 15
	s_add_i32 s6, s8, 1
	s_and_b32 s9, s6, 30
	s_add_u32 s6, s2, 0xffffffe8
	s_addc_u32 s7, s3, -1
	v_mov_b32_e32 v19, 0
	v_mov_b32_e32 v21, 0
	s_waitcnt vmcnt(0)
	v_mov_b32_e32 v6, 0
	v_mov_b32_e32 v0, v8
.LBB191_1561:                           ; =>This Inner Loop Header: Depth=1
	s_load_dwordx4 s[16:19], s[6:7], 0x1c
	s_load_dwordx2 s[10:11], s[6:7], 0x2c
	s_load_dwordx2 s[24:25], s[6:7], 0xec
	s_load_dwordx4 s[20:23], s[6:7], 0xdc
	s_add_u32 s6, s6, 24
	s_waitcnt lgkmcnt(0)
	v_mul_hi_u32 v1, s17, v0
	s_addc_u32 s7, s7, 0
	s_add_i32 s9, s9, -2
	s_cmp_lg_u32 s9, 0
	v_add_u32_e32 v1, v0, v1
	v_lshrrev_b32_e32 v1, s18, v1
	v_mul_lo_u32 v2, v1, s16
	v_mul_hi_u32 v3, s10, v1
	v_sub_u32_e32 v2, v0, v2
	v_add_u32_e32 v0, v1, v3
	v_lshrrev_b32_e32 v0, s11, v0
	v_mul_lo_u32 v5, v0, s19
	v_mul_lo_u32 v3, v2, s20
	v_mul_lo_u32 v4, v2, s21
	v_mul_lo_u32 v2, v2, s22
	v_sub_u32_e32 v1, v1, v5
	v_mul_lo_u32 v5, v1, s23
	v_mul_lo_u32 v7, v1, s24
	;; [unrolled: 1-line block ×3, first 2 shown]
	v_add3_u32 v6, v3, v6, v5
	v_add3_u32 v21, v4, v21, v7
	;; [unrolled: 1-line block ×3, first 2 shown]
	s_cbranch_scc1 .LBB191_1561
; %bb.1562:
	s_bitcmp1_b32 s8, 0
	s_cselect_b64 s[8:9], -1, 0
	s_and_b64 vcc, exec, s[8:9]
	s_cbranch_vccnz .LBB191_1566
; %bb.1563:
	s_load_dwordx2 s[8:9], s[6:7], 0x1c
	s_load_dword s16, s[6:7], 0x24
	s_load_dwordx2 s[10:11], s[6:7], 0xdc
	s_waitcnt lgkmcnt(0)
	v_mul_hi_u32 v1, s9, v0
	v_add_u32_e32 v1, v0, v1
	v_lshrrev_b32_e32 v1, s16, v1
	v_mul_lo_u32 v1, v1, s8
	s_load_dword s8, s[6:7], 0xe4
	v_sub_u32_e32 v0, v0, v1
	v_mad_u64_u32 v[6:7], s[6:7], v0, s10, v[6:7]
	v_mad_u64_u32 v[21:22], s[6:7], v0, s11, v[21:22]
	s_waitcnt lgkmcnt(0)
	v_mad_u64_u32 v[19:20], s[6:7], v0, s8, v[19:20]
	s_cbranch_execz .LBB191_1567
	s_branch .LBB191_1569
.LBB191_1564:
                                        ; implicit-def: $vgpr6
                                        ; implicit-def: $vgpr21
                                        ; implicit-def: $vgpr19
	s_branch .LBB191_1567
.LBB191_1565:
	s_waitcnt vmcnt(0)
	v_mov_b32_e32 v6, 0
	v_mov_b32_e32 v21, 0
	;; [unrolled: 1-line block ×3, first 2 shown]
.LBB191_1566:
	s_cbranch_execnz .LBB191_1569
.LBB191_1567:
	s_load_dwordx4 s[8:11], s[2:3], 0x4
	s_load_dwordx4 s[16:19], s[2:3], 0xc4
	s_cmp_lt_u32 s33, 2
	s_waitcnt lgkmcnt(0)
	v_mul_hi_u32 v0, s9, v8
	v_add_u32_e32 v0, v8, v0
	v_lshrrev_b32_e32 v0, s10, v0
	v_mul_lo_u32 v1, v0, s8
	v_sub_u32_e32 v1, v8, v1
	s_waitcnt vmcnt(0)
	v_mul_lo_u32 v6, v1, s16
	v_mul_lo_u32 v21, v1, s17
	;; [unrolled: 1-line block ×3, first 2 shown]
	s_cbranch_scc1 .LBB191_1569
; %bb.1568:
	s_load_dwordx4 s[8:11], s[2:3], 0x10
	s_load_dwordx4 s[16:19], s[2:3], 0xd0
	s_waitcnt lgkmcnt(0)
	v_mul_hi_u32 v1, s9, v0
	v_add_u32_e32 v1, v0, v1
	v_lshrrev_b32_e32 v1, s10, v1
	v_mul_lo_u32 v1, v1, s8
	v_sub_u32_e32 v0, v0, v1
	v_mad_u64_u32 v[6:7], s[6:7], v0, s16, v[6:7]
	v_mad_u64_u32 v[21:22], s[6:7], v0, s17, v[21:22]
	;; [unrolled: 1-line block ×3, first 2 shown]
.LBB191_1569:
	s_and_b64 vcc, exec, s[0:1]
	v_add_u32_e32 v0, 0x80, v8
	s_cbranch_vccnz .LBB191_1575
; %bb.1570:
	s_cmp_lg_u32 s33, 0
	s_cbranch_scc0 .LBB191_1576
; %bb.1571:
	s_min_u32 s8, s68, 15
	s_add_i32 s6, s8, 1
	s_and_b32 s9, s6, 30
	s_add_u32 s6, s2, 0xffffffe8
	s_addc_u32 s7, s3, -1
	v_mov_b32_e32 v15, 0
	v_mov_b32_e32 v17, 0
	;; [unrolled: 1-line block ×4, first 2 shown]
.LBB191_1572:                           ; =>This Inner Loop Header: Depth=1
	s_load_dwordx4 s[16:19], s[6:7], 0x1c
	s_load_dwordx2 s[10:11], s[6:7], 0x2c
	s_load_dwordx2 s[24:25], s[6:7], 0xec
	s_load_dwordx4 s[20:23], s[6:7], 0xdc
	s_add_u32 s6, s6, 24
	s_waitcnt lgkmcnt(0)
	v_mul_hi_u32 v2, s17, v1
	s_addc_u32 s7, s7, 0
	s_add_i32 s9, s9, -2
	s_cmp_lg_u32 s9, 0
	v_add_u32_e32 v2, v1, v2
	v_lshrrev_b32_e32 v2, s18, v2
	s_waitcnt vmcnt(0)
	v_mul_lo_u32 v3, v2, s16
	v_mul_hi_u32 v5, s10, v2
	v_sub_u32_e32 v3, v1, v3
	v_add_u32_e32 v1, v2, v5
	v_lshrrev_b32_e32 v1, s11, v1
	v_mul_lo_u32 v9, v1, s19
	v_mul_lo_u32 v5, v3, s20
	v_mul_lo_u32 v7, v3, s21
	v_mul_lo_u32 v3, v3, s22
	v_sub_u32_e32 v2, v2, v9
	v_mul_lo_u32 v9, v2, s23
	v_mul_lo_u32 v10, v2, s24
	;; [unrolled: 1-line block ×3, first 2 shown]
	v_add3_u32 v4, v5, v4, v9
	v_add3_u32 v17, v7, v17, v10
	v_add3_u32 v15, v3, v15, v2
	s_cbranch_scc1 .LBB191_1572
; %bb.1573:
	s_bitcmp1_b32 s8, 0
	s_cselect_b64 s[8:9], -1, 0
	s_and_b64 vcc, exec, s[8:9]
	s_cbranch_vccnz .LBB191_1577
; %bb.1574:
	s_load_dwordx2 s[8:9], s[6:7], 0x1c
	s_load_dword s16, s[6:7], 0x24
	s_load_dwordx2 s[10:11], s[6:7], 0xdc
	s_waitcnt lgkmcnt(0)
	v_mul_hi_u32 v2, s9, v1
	v_add_u32_e32 v2, v1, v2
	v_lshrrev_b32_e32 v2, s16, v2
	v_mul_lo_u32 v2, v2, s8
	s_load_dword s8, s[6:7], 0xe4
	v_sub_u32_e32 v1, v1, v2
	v_mad_u64_u32 v[4:5], s[6:7], v1, s10, v[4:5]
	v_mad_u64_u32 v[17:18], s[6:7], v1, s11, v[17:18]
	s_waitcnt lgkmcnt(0)
	v_mad_u64_u32 v[15:16], s[6:7], v1, s8, v[15:16]
	s_cbranch_execz .LBB191_1578
	s_branch .LBB191_1580
.LBB191_1575:
                                        ; implicit-def: $vgpr4
                                        ; implicit-def: $vgpr17
                                        ; implicit-def: $vgpr15
	s_branch .LBB191_1578
.LBB191_1576:
	v_mov_b32_e32 v4, 0
	v_mov_b32_e32 v17, 0
	;; [unrolled: 1-line block ×3, first 2 shown]
.LBB191_1577:
	s_cbranch_execnz .LBB191_1580
.LBB191_1578:
	s_load_dwordx4 s[8:11], s[2:3], 0x4
	s_load_dwordx4 s[16:19], s[2:3], 0xc4
	s_cmp_lt_u32 s33, 2
	s_waitcnt lgkmcnt(0)
	v_mul_hi_u32 v1, s9, v0
	v_add_u32_e32 v1, v0, v1
	v_lshrrev_b32_e32 v1, s10, v1
	v_mul_lo_u32 v2, v1, s8
	v_sub_u32_e32 v0, v0, v2
	v_mul_lo_u32 v4, v0, s16
	v_mul_lo_u32 v17, v0, s17
	;; [unrolled: 1-line block ×3, first 2 shown]
	s_cbranch_scc1 .LBB191_1580
; %bb.1579:
	s_load_dwordx4 s[8:11], s[2:3], 0x10
	s_load_dwordx4 s[16:19], s[2:3], 0xd0
	s_waitcnt lgkmcnt(0)
	v_mul_hi_u32 v0, s9, v1
	v_add_u32_e32 v0, v1, v0
	v_lshrrev_b32_e32 v0, s10, v0
	v_mul_lo_u32 v0, v0, s8
	v_sub_u32_e32 v0, v1, v0
	s_waitcnt vmcnt(0)
	v_mad_u64_u32 v[4:5], s[6:7], v0, s16, v[4:5]
	v_mad_u64_u32 v[17:18], s[6:7], v0, s17, v[17:18]
	;; [unrolled: 1-line block ×3, first 2 shown]
.LBB191_1580:
	s_and_b64 vcc, exec, s[0:1]
	v_add_u32_e32 v0, 0x100, v8
	s_cbranch_vccnz .LBB191_1586
; %bb.1581:
	s_cmp_lg_u32 s33, 0
	s_cbranch_scc0 .LBB191_1587
; %bb.1582:
	s_min_u32 s8, s68, 15
	s_add_i32 s6, s8, 1
	s_and_b32 s9, s6, 30
	s_add_u32 s6, s2, 0xffffffe8
	s_addc_u32 s7, s3, -1
	v_mov_b32_e32 v11, 0
	v_mov_b32_e32 v13, 0
	;; [unrolled: 1-line block ×4, first 2 shown]
.LBB191_1583:                           ; =>This Inner Loop Header: Depth=1
	s_load_dwordx4 s[16:19], s[6:7], 0x1c
	s_load_dwordx2 s[10:11], s[6:7], 0x2c
	s_load_dwordx2 s[24:25], s[6:7], 0xec
	s_load_dwordx4 s[20:23], s[6:7], 0xdc
	s_add_u32 s6, s6, 24
	s_waitcnt vmcnt(0) lgkmcnt(0)
	v_mul_hi_u32 v3, s17, v1
	s_addc_u32 s7, s7, 0
	s_add_i32 s9, s9, -2
	s_cmp_lg_u32 s9, 0
	v_add_u32_e32 v3, v1, v3
	v_lshrrev_b32_e32 v3, s18, v3
	v_mul_lo_u32 v5, v3, s16
	v_mul_hi_u32 v7, s10, v3
	v_sub_u32_e32 v5, v1, v5
	v_add_u32_e32 v1, v3, v7
	v_lshrrev_b32_e32 v1, s11, v1
	v_mul_lo_u32 v9, v1, s19
	v_mul_lo_u32 v7, v5, s20
	;; [unrolled: 1-line block ×4, first 2 shown]
	v_sub_u32_e32 v3, v3, v9
	v_mul_lo_u32 v9, v3, s23
	v_mul_lo_u32 v10, v3, s24
	;; [unrolled: 1-line block ×3, first 2 shown]
	v_add3_u32 v2, v7, v2, v9
	v_add3_u32 v13, v8, v13, v10
	;; [unrolled: 1-line block ×3, first 2 shown]
	s_cbranch_scc1 .LBB191_1583
; %bb.1584:
	s_bitcmp1_b32 s8, 0
	s_cselect_b64 s[8:9], -1, 0
	s_and_b64 vcc, exec, s[8:9]
	s_cbranch_vccnz .LBB191_1588
; %bb.1585:
	s_load_dwordx2 s[8:9], s[6:7], 0x1c
	s_load_dword s16, s[6:7], 0x24
	s_load_dwordx2 s[10:11], s[6:7], 0xdc
	s_waitcnt lgkmcnt(0)
	v_mul_hi_u32 v3, s9, v1
	v_add_u32_e32 v3, v1, v3
	v_lshrrev_b32_e32 v3, s16, v3
	v_mul_lo_u32 v3, v3, s8
	s_load_dword s8, s[6:7], 0xe4
	v_sub_u32_e32 v1, v1, v3
	v_mad_u64_u32 v[2:3], s[6:7], v1, s10, v[2:3]
	v_mad_u64_u32 v[13:14], s[6:7], v1, s11, v[13:14]
	s_waitcnt lgkmcnt(0)
	v_mad_u64_u32 v[11:12], s[6:7], v1, s8, v[11:12]
	s_cbranch_execz .LBB191_1589
	s_branch .LBB191_1591
.LBB191_1586:
                                        ; implicit-def: $vgpr2
                                        ; implicit-def: $vgpr13
                                        ; implicit-def: $vgpr11
	s_branch .LBB191_1589
.LBB191_1587:
	v_mov_b32_e32 v2, 0
	v_mov_b32_e32 v13, 0
	;; [unrolled: 1-line block ×3, first 2 shown]
.LBB191_1588:
	s_cbranch_execnz .LBB191_1591
.LBB191_1589:
	s_load_dwordx4 s[8:11], s[2:3], 0x4
	s_load_dwordx4 s[16:19], s[2:3], 0xc4
	s_cmp_lt_u32 s33, 2
	s_waitcnt lgkmcnt(0)
	v_mul_hi_u32 v1, s9, v0
	v_add_u32_e32 v1, v0, v1
	v_lshrrev_b32_e32 v1, s10, v1
	v_mul_lo_u32 v2, v1, s8
	v_sub_u32_e32 v0, v0, v2
	v_mul_lo_u32 v2, v0, s16
	v_mul_lo_u32 v13, v0, s17
	;; [unrolled: 1-line block ×3, first 2 shown]
	s_cbranch_scc1 .LBB191_1591
; %bb.1590:
	s_load_dwordx4 s[8:11], s[2:3], 0x10
	s_load_dwordx4 s[16:19], s[2:3], 0xd0
	s_waitcnt lgkmcnt(0)
	v_mul_hi_u32 v0, s9, v1
	v_add_u32_e32 v0, v1, v0
	v_lshrrev_b32_e32 v0, s10, v0
	v_mul_lo_u32 v0, v0, s8
	v_sub_u32_e32 v0, v1, v0
	s_waitcnt vmcnt(0)
	v_mad_u64_u32 v[2:3], s[6:7], v0, s16, v[2:3]
	v_mad_u64_u32 v[13:14], s[6:7], v0, s17, v[13:14]
	;; [unrolled: 1-line block ×3, first 2 shown]
.LBB191_1591:
	s_and_b64 vcc, exec, s[0:1]
	s_cbranch_vccnz .LBB191_1597
; %bb.1592:
	s_cmp_lg_u32 s33, 0
	s_cbranch_scc0 .LBB191_1598
; %bb.1593:
	s_min_u32 s6, s68, 15
	s_add_i32 s0, s6, 1
	s_and_b32 s7, s0, 30
	s_add_u32 s0, s2, 0xffffffe8
	s_addc_u32 s1, s3, -1
	v_mov_b32_e32 v7, 0
	v_mov_b32_e32 v9, 0
	v_mov_b32_e32 v0, 0
	v_mov_b32_e32 v1, v23
.LBB191_1594:                           ; =>This Inner Loop Header: Depth=1
	s_load_dwordx4 s[8:11], s[0:1], 0x1c
	s_load_dwordx2 s[20:21], s[0:1], 0x2c
	s_load_dwordx2 s[22:23], s[0:1], 0xec
	s_load_dwordx4 s[16:19], s[0:1], 0xdc
	s_add_u32 s0, s0, 24
	s_waitcnt vmcnt(0) lgkmcnt(0)
	v_mul_hi_u32 v3, s9, v1
	s_addc_u32 s1, s1, 0
	s_add_i32 s7, s7, -2
	s_cmp_lg_u32 s7, 0
	v_add_u32_e32 v3, v1, v3
	v_lshrrev_b32_e32 v3, s10, v3
	v_mul_lo_u32 v5, v3, s8
	v_mul_hi_u32 v8, s20, v3
	v_sub_u32_e32 v5, v1, v5
	v_add_u32_e32 v1, v3, v8
	v_lshrrev_b32_e32 v1, s21, v1
	v_mul_lo_u32 v12, v1, s11
	v_mul_lo_u32 v8, v5, s16
	;; [unrolled: 1-line block ×4, first 2 shown]
	v_sub_u32_e32 v3, v3, v12
	v_mul_lo_u32 v12, v3, s19
	v_mul_lo_u32 v14, v3, s22
	;; [unrolled: 1-line block ×3, first 2 shown]
	v_add3_u32 v0, v8, v0, v12
	v_add3_u32 v9, v10, v9, v14
	;; [unrolled: 1-line block ×3, first 2 shown]
	s_cbranch_scc1 .LBB191_1594
; %bb.1595:
	s_bitcmp1_b32 s6, 0
	s_cselect_b64 s[6:7], -1, 0
	s_and_b64 vcc, exec, s[6:7]
	s_cbranch_vccnz .LBB191_1599
; %bb.1596:
	s_load_dwordx2 s[6:7], s[0:1], 0x1c
	s_load_dword s10, s[0:1], 0x24
	s_load_dwordx2 s[8:9], s[0:1], 0xdc
	s_waitcnt lgkmcnt(0)
	v_mul_hi_u32 v3, s7, v1
	v_add_u32_e32 v3, v1, v3
	v_lshrrev_b32_e32 v3, s10, v3
	v_mul_lo_u32 v3, v3, s6
	s_load_dword s6, s[0:1], 0xe4
	v_sub_u32_e32 v3, v1, v3
	v_mad_u64_u32 v[0:1], s[0:1], v3, s8, v[0:1]
	v_mad_u64_u32 v[9:10], s[0:1], v3, s9, v[9:10]
	s_waitcnt lgkmcnt(0)
	v_mad_u64_u32 v[7:8], s[0:1], v3, s6, v[7:8]
	s_cbranch_execz .LBB191_1600
	s_branch .LBB191_1602
.LBB191_1597:
                                        ; implicit-def: $vgpr0
                                        ; implicit-def: $vgpr9
                                        ; implicit-def: $vgpr7
	s_branch .LBB191_1600
.LBB191_1598:
	v_mov_b32_e32 v0, 0
	v_mov_b32_e32 v9, 0
	;; [unrolled: 1-line block ×3, first 2 shown]
.LBB191_1599:
	s_cbranch_execnz .LBB191_1602
.LBB191_1600:
	s_load_dwordx4 s[8:11], s[2:3], 0x4
	s_load_dwordx4 s[16:19], s[2:3], 0xc4
	s_cmp_lt_u32 s33, 2
	s_waitcnt lgkmcnt(0)
	v_mul_hi_u32 v0, s9, v23
	v_add_u32_e32 v0, v23, v0
	v_lshrrev_b32_e32 v1, s10, v0
	v_mul_lo_u32 v0, v1, s8
	s_waitcnt vmcnt(0)
	v_sub_u32_e32 v3, v23, v0
	v_mul_lo_u32 v0, v3, s16
	v_mul_lo_u32 v9, v3, s17
	v_mul_lo_u32 v7, v3, s18
	s_cbranch_scc1 .LBB191_1602
; %bb.1601:
	s_load_dwordx4 s[8:11], s[2:3], 0x10
	s_load_dwordx4 s[16:19], s[2:3], 0xd0
	s_waitcnt lgkmcnt(0)
	v_mul_hi_u32 v3, s9, v1
	v_add_u32_e32 v3, v1, v3
	v_lshrrev_b32_e32 v3, s10, v3
	v_mul_lo_u32 v3, v3, s8
	v_sub_u32_e32 v3, v1, v3
	v_mad_u64_u32 v[0:1], s[0:1], v3, s16, v[0:1]
	v_mad_u64_u32 v[9:10], s[0:1], v3, s17, v[9:10]
	;; [unrolled: 1-line block ×3, first 2 shown]
.LBB191_1602:
	s_load_dwordx4 s[8:11], s[2:3], 0x188
	s_load_dword s20, s[4:5], 0x1a8
	s_waitcnt lgkmcnt(0)
	v_mov_b32_e32 v1, s11
	s_bfe_u32 s18, s20, 0x80010
	v_add_co_u32_e32 v20, vcc, s10, v21
	s_cmp_lt_i32 s18, 11
	v_addc_co_u32_e32 v21, vcc, 0, v1, vcc
	s_cbranch_scc1 .LBB191_1609
; %bb.1603:
	s_and_b32 s19, 0xffff, s18
	s_cmp_gt_i32 s19, 25
	s_mov_b64 s[6:7], 0
	s_cbranch_scc0 .LBB191_1611
; %bb.1604:
	s_cmp_gt_i32 s19, 28
	s_cbranch_scc0 .LBB191_1612
; %bb.1605:
	s_cmp_gt_i32 s19, 43
	;; [unrolled: 3-line block ×3, first 2 shown]
	s_cbranch_scc0 .LBB191_1614
; %bb.1607:
	s_cmp_eq_u32 s19, 46
	s_mov_b64 s[4:5], 0
	s_cbranch_scc0 .LBB191_1617
; %bb.1608:
	global_load_dword v1, v[20:21], off
	s_mov_b64 s[0:1], 0
	s_mov_b64 s[16:17], -1
	s_waitcnt vmcnt(0)
	v_lshlrev_b32_e32 v1, 16, v1
	v_cvt_i32_f32_e32 v1, v1
	s_branch .LBB191_1618
.LBB191_1609:
	s_mov_b64 s[16:17], 0
                                        ; implicit-def: $vgpr1
	s_mov_b64 s[4:5], s[12:13]
	s_cbranch_execnz .LBB191_1676
.LBB191_1610:
	s_andn2_b64 vcc, exec, s[16:17]
	s_cbranch_vccz .LBB191_1721
	s_branch .LBB191_3036
.LBB191_1611:
	s_mov_b64 s[16:17], 0
	s_mov_b64 s[0:1], 0
                                        ; implicit-def: $vgpr1
	s_cbranch_execnz .LBB191_1643
	s_branch .LBB191_1672
.LBB191_1612:
	s_mov_b64 s[16:17], 0
	s_mov_b64 s[0:1], 0
                                        ; implicit-def: $vgpr1
	s_cbranch_execz .LBB191_1642
	s_branch .LBB191_1627
.LBB191_1613:
	s_mov_b64 s[16:17], 0
	s_mov_b64 s[0:1], 0
                                        ; implicit-def: $vgpr1
	s_cbranch_execnz .LBB191_1623
	s_branch .LBB191_1626
.LBB191_1614:
	s_mov_b64 s[4:5], -1
	s_mov_b64 s[16:17], 0
	s_mov_b64 s[0:1], 0
                                        ; implicit-def: $vgpr1
	s_branch .LBB191_1618
.LBB191_1615:
	s_andn2_saveexec_b64 s[16:17], s[16:17]
	s_cbranch_execz .LBB191_1470
.LBB191_1616:
	s_mov_b32 s18, 0x46000000
	v_add_f32_e64 v2, |v0|, s18
	v_and_b32_e32 v2, 0xff, v2
	v_cmp_ne_u32_e32 vcc, 0, v2
	s_andn2_b64 s[14:15], s[14:15], exec
	s_and_b64 s[18:19], vcc, exec
	s_or_b64 s[14:15], s[14:15], s[18:19]
	s_or_b64 exec, exec, s[16:17]
	v_mov_b32_e32 v5, 0
	s_and_saveexec_b64 s[16:17], s[14:15]
	s_cbranch_execnz .LBB191_1471
	s_branch .LBB191_1472
.LBB191_1617:
	s_mov_b64 s[0:1], -1
                                        ; implicit-def: $vgpr1
	s_mov_b64 s[16:17], 0
.LBB191_1618:
	s_and_b64 vcc, exec, s[4:5]
	s_cbranch_vccz .LBB191_1621
; %bb.1619:
	s_cmp_eq_u32 s19, 44
	s_cbranch_scc0 .LBB191_1622
; %bb.1620:
	global_load_ubyte v1, v[20:21], off
	s_mov_b64 s[0:1], 0
	s_mov_b64 s[16:17], -1
	s_waitcnt vmcnt(0)
	v_lshlrev_b32_e32 v3, 23, v1
	v_cvt_i32_f32_e32 v3, v3
	v_cmp_ne_u32_e32 vcc, 0, v1
	v_cndmask_b32_e32 v1, 0, v3, vcc
.LBB191_1621:
	s_branch .LBB191_1626
.LBB191_1622:
	s_mov_b64 s[0:1], -1
                                        ; implicit-def: $vgpr1
	s_branch .LBB191_1626
.LBB191_1623:
	s_cmp_eq_u32 s19, 29
	s_cbranch_scc0 .LBB191_1625
; %bb.1624:
	global_load_dword v1, v[20:21], off
	s_mov_b64 s[0:1], 0
	s_mov_b64 s[16:17], -1
	s_branch .LBB191_1626
.LBB191_1625:
	s_mov_b64 s[0:1], -1
                                        ; implicit-def: $vgpr1
.LBB191_1626:
	s_branch .LBB191_1642
.LBB191_1627:
	s_cmp_lt_i32 s19, 27
	s_cbranch_scc1 .LBB191_1630
; %bb.1628:
	s_cmp_gt_i32 s19, 27
	s_cbranch_scc0 .LBB191_1631
; %bb.1629:
	global_load_dword v1, v[20:21], off
	s_mov_b64 s[4:5], 0
	s_branch .LBB191_1632
.LBB191_1630:
	s_mov_b64 s[4:5], -1
                                        ; implicit-def: $vgpr1
	s_branch .LBB191_1635
.LBB191_1631:
	s_mov_b64 s[4:5], -1
                                        ; implicit-def: $vgpr1
.LBB191_1632:
	s_andn2_b64 vcc, exec, s[4:5]
	s_cbranch_vccnz .LBB191_1634
; %bb.1633:
	global_load_ushort v1, v[20:21], off
.LBB191_1634:
	s_mov_b64 s[4:5], 0
.LBB191_1635:
	s_andn2_b64 vcc, exec, s[4:5]
	s_cbranch_vccnz .LBB191_1641
; %bb.1636:
	global_load_ubyte v3, v[20:21], off
	s_movk_i32 s4, 0x7f
	s_mov_b64 s[16:17], 0
	s_waitcnt vmcnt(0)
	v_cmp_lt_i16_e32 vcc, s4, v3
	s_and_saveexec_b64 s[4:5], vcc
	s_xor_b64 s[4:5], exec, s[4:5]
	s_cbranch_execz .LBB191_1652
; %bb.1637:
	s_movk_i32 s16, 0x80
	v_cmp_ne_u16_e32 vcc, s16, v3
	s_and_b64 s[16:17], vcc, exec
	s_andn2_saveexec_b64 s[4:5], s[4:5]
	s_cbranch_execnz .LBB191_1653
.LBB191_1638:
	s_or_b64 exec, exec, s[4:5]
	v_mov_b32_e32 v1, 0
	s_and_saveexec_b64 s[4:5], s[16:17]
	s_cbranch_execz .LBB191_1640
.LBB191_1639:
	v_lshlrev_b32_e32 v1, 24, v3
	v_and_b32_e32 v3, 0xffff, v3
	v_and_b32_e32 v5, 7, v3
	v_ffbh_u32_e32 v10, v5
	v_min_u32_e32 v10, 32, v10
	v_subrev_u32_e32 v12, 28, v10
	v_bfe_u32 v8, v3, 3, 4
	v_lshlrev_b32_e32 v3, v12, v3
	v_sub_u32_e32 v10, 29, v10
	v_and_b32_e32 v3, 7, v3
	v_cmp_eq_u32_e32 vcc, 0, v8
	v_cndmask_b32_e32 v8, v8, v10, vcc
	v_cndmask_b32_e32 v3, v5, v3, vcc
	v_mov_b32_e32 v5, 0x3b800000
	v_lshlrev_b32_e32 v3, 20, v3
	v_and_b32_e32 v1, 0x80000000, v1
	v_lshl_add_u32 v5, v8, 23, v5
	v_or3_b32 v1, v1, v5, v3
	v_cvt_i32_f32_e32 v1, v1
.LBB191_1640:
	s_or_b64 exec, exec, s[4:5]
.LBB191_1641:
	s_mov_b64 s[16:17], -1
.LBB191_1642:
	s_branch .LBB191_1672
.LBB191_1643:
	s_cmp_gt_i32 s19, 22
	s_cbranch_scc0 .LBB191_1651
; %bb.1644:
	s_cmp_lt_i32 s19, 24
	s_cbranch_scc1 .LBB191_1654
; %bb.1645:
	s_cmp_gt_i32 s19, 24
	s_cbranch_scc0 .LBB191_1655
; %bb.1646:
	global_load_ubyte v3, v[20:21], off
	s_movk_i32 s4, 0x7f
	s_waitcnt vmcnt(0)
	v_cmp_lt_i16_e32 vcc, s4, v3
	s_and_saveexec_b64 s[4:5], vcc
	s_xor_b64 s[4:5], exec, s[4:5]
	s_cbranch_execz .LBB191_1666
; %bb.1647:
	s_movk_i32 s6, 0x80
	v_cmp_ne_u16_e32 vcc, s6, v3
	s_and_b64 s[6:7], vcc, exec
	s_andn2_saveexec_b64 s[4:5], s[4:5]
	s_cbranch_execnz .LBB191_1667
.LBB191_1648:
	s_or_b64 exec, exec, s[4:5]
	v_mov_b32_e32 v1, 0
	s_and_saveexec_b64 s[4:5], s[6:7]
	s_cbranch_execz .LBB191_1650
.LBB191_1649:
	v_lshlrev_b32_e32 v1, 24, v3
	v_and_b32_e32 v3, 0xffff, v3
	v_and_b32_e32 v5, 3, v3
	v_ffbh_u32_e32 v10, v5
	v_min_u32_e32 v10, 32, v10
	v_subrev_u32_e32 v12, 29, v10
	v_bfe_u32 v8, v3, 2, 5
	v_lshlrev_b32_e32 v3, v12, v3
	v_sub_u32_e32 v10, 30, v10
	v_and_b32_e32 v3, 3, v3
	v_cmp_eq_u32_e32 vcc, 0, v8
	v_cndmask_b32_e32 v8, v8, v10, vcc
	v_cndmask_b32_e32 v3, v5, v3, vcc
	v_mov_b32_e32 v5, 0x37800000
	v_lshlrev_b32_e32 v3, 21, v3
	v_and_b32_e32 v1, 0x80000000, v1
	v_lshl_add_u32 v5, v8, 23, v5
	v_or3_b32 v1, v1, v5, v3
	v_cvt_i32_f32_e32 v1, v1
.LBB191_1650:
	s_or_b64 exec, exec, s[4:5]
	s_mov_b64 s[4:5], 0
	s_branch .LBB191_1656
.LBB191_1651:
                                        ; implicit-def: $vgpr1
	s_mov_b64 s[6:7], 0
	s_branch .LBB191_1662
.LBB191_1652:
	s_andn2_saveexec_b64 s[4:5], s[4:5]
	s_cbranch_execz .LBB191_1638
.LBB191_1653:
	v_cmp_ne_u16_e32 vcc, 0, v3
	s_andn2_b64 s[16:17], s[16:17], exec
	s_and_b64 s[22:23], vcc, exec
	s_or_b64 s[16:17], s[16:17], s[22:23]
	s_or_b64 exec, exec, s[4:5]
	v_mov_b32_e32 v1, 0
	s_and_saveexec_b64 s[4:5], s[16:17]
	s_cbranch_execnz .LBB191_1639
	s_branch .LBB191_1640
.LBB191_1654:
	s_mov_b64 s[4:5], -1
                                        ; implicit-def: $vgpr1
	s_branch .LBB191_1659
.LBB191_1655:
	s_mov_b64 s[4:5], -1
                                        ; implicit-def: $vgpr1
.LBB191_1656:
	s_and_b64 vcc, exec, s[4:5]
	s_cbranch_vccz .LBB191_1658
; %bb.1657:
	global_load_ubyte v1, v[20:21], off
	s_mov_b32 s4, 0x7f800000
	s_waitcnt vmcnt(0)
	v_lshlrev_b32_e32 v1, 24, v1
	v_and_b32_e32 v3, 0x7f000000, v1
	v_ffbh_u32_e32 v5, v3
	v_min_u32_e32 v5, 32, v5
	v_sub_u32_e64 v5, v5, 4 clamp
	v_lshlrev_b32_e32 v10, v5, v3
	v_lshlrev_b32_e32 v5, 23, v5
	v_lshrrev_b32_e32 v10, 4, v10
	v_add_u32_e32 v8, 0x1000000, v3
	v_sub_u32_e32 v5, v10, v5
	v_ashrrev_i32_e32 v8, 8, v8
	v_add_u32_e32 v5, 0x3c000000, v5
	v_and_or_b32 v5, v8, s4, v5
	v_cmp_ne_u32_e32 vcc, 0, v3
	v_cndmask_b32_e32 v3, 0, v5, vcc
	s_brev_b32 s4, 1
	v_and_or_b32 v1, v1, s4, v3
	v_cvt_i32_f32_e32 v1, v1
.LBB191_1658:
	s_mov_b64 s[4:5], 0
.LBB191_1659:
	s_andn2_b64 vcc, exec, s[4:5]
	s_cbranch_vccnz .LBB191_1661
; %bb.1660:
	global_load_ubyte v1, v[20:21], off
	s_movk_i32 s4, 0x7f00
	s_brev_b32 s5, 16
	s_waitcnt vmcnt(0)
	v_lshlrev_b16_e32 v3, 8, v1
	v_lshlrev_b32_e32 v1, 25, v1
	v_lshrrev_b32_e32 v5, 4, v1
	v_and_or_b32 v8, v3, s4, 0.5
	v_or_b32_e32 v5, 0x70000000, v5
	v_add_f32_e32 v8, -0.5, v8
	v_mul_f32_e32 v5, 0x7800000, v5
	v_cmp_gt_u32_e32 vcc, s5, v1
	v_bfe_i32 v3, v3, 0, 16
	v_cndmask_b32_e32 v1, v5, v8, vcc
	s_brev_b32 s4, 1
	v_and_or_b32 v1, v3, s4, v1
	v_cvt_i32_f32_e32 v1, v1
.LBB191_1661:
	s_mov_b64 s[16:17], -1
	s_mov_b64 s[6:7], 0
	s_cbranch_execnz .LBB191_1672
.LBB191_1662:
	s_cmp_gt_i32 s19, 14
	s_cbranch_scc0 .LBB191_1665
; %bb.1663:
	s_cmp_eq_u32 s19, 15
	s_cbranch_scc0 .LBB191_1668
; %bb.1664:
	global_load_ushort v1, v[20:21], off
	s_mov_b64 s[0:1], 0
	s_mov_b64 s[16:17], -1
	s_waitcnt vmcnt(0)
	v_lshlrev_b32_e32 v1, 16, v1
	v_cvt_i32_f32_e32 v1, v1
	s_branch .LBB191_1669
.LBB191_1665:
	s_mov_b64 s[4:5], -1
                                        ; implicit-def: $vgpr1
	s_branch .LBB191_1670
.LBB191_1666:
	s_andn2_saveexec_b64 s[4:5], s[4:5]
	s_cbranch_execz .LBB191_1648
.LBB191_1667:
	v_cmp_ne_u16_e32 vcc, 0, v3
	s_andn2_b64 s[6:7], s[6:7], exec
	s_and_b64 s[16:17], vcc, exec
	s_or_b64 s[6:7], s[6:7], s[16:17]
	s_or_b64 exec, exec, s[4:5]
	v_mov_b32_e32 v1, 0
	s_and_saveexec_b64 s[4:5], s[6:7]
	s_cbranch_execnz .LBB191_1649
	s_branch .LBB191_1650
.LBB191_1668:
	s_mov_b64 s[0:1], -1
                                        ; implicit-def: $vgpr1
.LBB191_1669:
	s_mov_b64 s[4:5], 0
.LBB191_1670:
	s_and_b64 vcc, exec, s[4:5]
	s_cbranch_vccz .LBB191_1672
; %bb.1671:
	s_cmp_lg_u32 s19, 11
	s_mov_b64 s[6:7], -1
	s_cselect_b64 s[0:1], -1, 0
.LBB191_1672:
	s_and_b64 vcc, exec, s[0:1]
	s_mov_b64 s[4:5], s[12:13]
	s_cbranch_vccnz .LBB191_1733
; %bb.1673:
	s_andn2_b64 vcc, exec, s[6:7]
	s_cbranch_vccnz .LBB191_1675
.LBB191_1674:
	global_load_ubyte v1, v[20:21], off
	s_mov_b64 s[16:17], -1
	s_waitcnt vmcnt(0)
	v_cmp_ne_u16_e32 vcc, 0, v1
	v_cndmask_b32_e64 v1, 0, 1, vcc
.LBB191_1675:
	s_branch .LBB191_1610
.LBB191_1676:
	s_and_b32 s6, 0xffff, s18
	s_cmp_lt_i32 s6, 5
	s_cbranch_scc1 .LBB191_1681
; %bb.1677:
	s_cmp_lt_i32 s6, 8
	s_cbranch_scc1 .LBB191_1682
; %bb.1678:
	;; [unrolled: 3-line block ×3, first 2 shown]
	s_cmp_gt_i32 s6, 9
	s_cbranch_scc0 .LBB191_1684
; %bb.1680:
	global_load_dwordx2 v[22:23], v[20:21], off
	s_mov_b64 s[0:1], 0
	s_waitcnt vmcnt(0)
	v_cvt_i32_f64_e32 v1, v[22:23]
	s_branch .LBB191_1685
.LBB191_1681:
                                        ; implicit-def: $vgpr1
	s_branch .LBB191_1702
.LBB191_1682:
                                        ; implicit-def: $vgpr1
	s_branch .LBB191_1691
.LBB191_1683:
	s_mov_b64 s[0:1], -1
                                        ; implicit-def: $vgpr1
	s_branch .LBB191_1688
.LBB191_1684:
	s_mov_b64 s[0:1], -1
                                        ; implicit-def: $vgpr1
.LBB191_1685:
	s_andn2_b64 vcc, exec, s[0:1]
	s_cbranch_vccnz .LBB191_1687
; %bb.1686:
	global_load_dword v1, v[20:21], off
	s_waitcnt vmcnt(0)
	v_cvt_i32_f32_e32 v1, v1
.LBB191_1687:
	s_mov_b64 s[0:1], 0
.LBB191_1688:
	s_andn2_b64 vcc, exec, s[0:1]
	s_cbranch_vccnz .LBB191_1690
; %bb.1689:
	global_load_dword v1, v[20:21], off
	s_waitcnt vmcnt(0)
	v_cvt_f32_f16_e32 v1, v1
	v_cvt_i32_f32_e32 v1, v1
.LBB191_1690:
	s_cbranch_execnz .LBB191_1701
.LBB191_1691:
	s_cmp_lt_i32 s6, 6
	s_cbranch_scc1 .LBB191_1694
; %bb.1692:
	s_cmp_gt_i32 s6, 6
	s_cbranch_scc0 .LBB191_1695
; %bb.1693:
	global_load_dwordx2 v[22:23], v[20:21], off
	s_mov_b64 s[0:1], 0
	s_waitcnt vmcnt(0)
	v_cvt_i32_f64_e32 v1, v[22:23]
	s_branch .LBB191_1696
.LBB191_1694:
	s_mov_b64 s[0:1], -1
                                        ; implicit-def: $vgpr1
	s_branch .LBB191_1699
.LBB191_1695:
	s_mov_b64 s[0:1], -1
                                        ; implicit-def: $vgpr1
.LBB191_1696:
	s_andn2_b64 vcc, exec, s[0:1]
	s_cbranch_vccnz .LBB191_1698
; %bb.1697:
	global_load_dword v1, v[20:21], off
	s_waitcnt vmcnt(0)
	v_cvt_i32_f32_e32 v1, v1
.LBB191_1698:
	s_mov_b64 s[0:1], 0
.LBB191_1699:
	s_andn2_b64 vcc, exec, s[0:1]
	s_cbranch_vccnz .LBB191_1701
; %bb.1700:
	global_load_ushort v1, v[20:21], off
	s_waitcnt vmcnt(0)
	v_cvt_f32_f16_e32 v1, v1
	v_cvt_i32_f32_e32 v1, v1
.LBB191_1701:
	s_cbranch_execnz .LBB191_1720
.LBB191_1702:
	s_cmp_lt_i32 s6, 2
	s_cbranch_scc1 .LBB191_1706
; %bb.1703:
	s_cmp_lt_i32 s6, 3
	s_cbranch_scc1 .LBB191_1707
; %bb.1704:
	s_cmp_gt_i32 s6, 3
	s_cbranch_scc0 .LBB191_1708
; %bb.1705:
	global_load_dword v1, v[20:21], off
	s_mov_b64 s[0:1], 0
	s_branch .LBB191_1709
.LBB191_1706:
                                        ; implicit-def: $vgpr1
	s_branch .LBB191_1715
.LBB191_1707:
	s_mov_b64 s[0:1], -1
                                        ; implicit-def: $vgpr1
	s_branch .LBB191_1712
.LBB191_1708:
	s_mov_b64 s[0:1], -1
                                        ; implicit-def: $vgpr1
.LBB191_1709:
	s_andn2_b64 vcc, exec, s[0:1]
	s_cbranch_vccnz .LBB191_1711
; %bb.1710:
	global_load_dword v1, v[20:21], off
.LBB191_1711:
	s_mov_b64 s[0:1], 0
.LBB191_1712:
	s_andn2_b64 vcc, exec, s[0:1]
	s_cbranch_vccnz .LBB191_1714
; %bb.1713:
	global_load_sshort v1, v[20:21], off
.LBB191_1714:
	s_cbranch_execnz .LBB191_1720
.LBB191_1715:
	s_cmp_gt_i32 s6, 0
	s_cbranch_scc0 .LBB191_1717
; %bb.1716:
	global_load_sbyte v1, v[20:21], off
	s_mov_b64 s[0:1], 0
	s_branch .LBB191_1718
.LBB191_1717:
	s_mov_b64 s[0:1], -1
                                        ; implicit-def: $vgpr1
.LBB191_1718:
	s_andn2_b64 vcc, exec, s[0:1]
	s_cbranch_vccnz .LBB191_1720
; %bb.1719:
	global_load_ubyte v1, v[20:21], off
.LBB191_1720:
.LBB191_1721:
	s_load_dwordx2 s[0:1], s[2:3], 0x198
	s_lshr_b32 s21, s20, 24
	s_cmp_lt_i32 s21, 11
	s_waitcnt vmcnt(0) lgkmcnt(0)
	v_mov_b32_e32 v3, s1
	v_add_co_u32_e32 v18, vcc, s0, v19
	v_addc_co_u32_e32 v19, vcc, 0, v3, vcc
	s_cbranch_scc1 .LBB191_1728
; %bb.1722:
	s_and_b32 s22, 0xffff, s21
	s_cmp_gt_i32 s22, 25
	s_mov_b64 s[6:7], 0
	s_cbranch_scc0 .LBB191_1730
; %bb.1723:
	s_cmp_gt_i32 s22, 28
	s_cbranch_scc0 .LBB191_1731
; %bb.1724:
	s_cmp_gt_i32 s22, 43
	;; [unrolled: 3-line block ×3, first 2 shown]
	s_cbranch_scc0 .LBB191_1734
; %bb.1726:
	s_cmp_eq_u32 s22, 46
	s_mov_b64 s[18:19], 0
	s_cbranch_scc0 .LBB191_1737
; %bb.1727:
	global_load_dword v3, v[18:19], off
	s_mov_b64 s[2:3], 0
	s_mov_b64 s[16:17], -1
	s_waitcnt vmcnt(0)
	v_lshlrev_b32_e32 v3, 16, v3
	v_cvt_i32_f32_e32 v5, v3
	s_branch .LBB191_1738
.LBB191_1728:
	s_mov_b64 s[16:17], 0
                                        ; implicit-def: $vgpr5
	s_cbranch_execnz .LBB191_1799
.LBB191_1729:
	s_andn2_b64 vcc, exec, s[16:17]
	s_cbranch_vccnz .LBB191_3036
	s_branch .LBB191_1846
.LBB191_1730:
	s_mov_b64 s[16:17], 0
	s_mov_b64 s[2:3], 0
                                        ; implicit-def: $vgpr5
	s_cbranch_execnz .LBB191_1765
	s_branch .LBB191_1795
.LBB191_1731:
	s_mov_b64 s[18:19], -1
	s_mov_b64 s[16:17], 0
	s_mov_b64 s[2:3], 0
                                        ; implicit-def: $vgpr5
	s_branch .LBB191_1748
.LBB191_1732:
	s_mov_b64 s[18:19], -1
	s_mov_b64 s[16:17], 0
	s_mov_b64 s[2:3], 0
                                        ; implicit-def: $vgpr5
	s_branch .LBB191_1743
.LBB191_1733:
	s_or_b64 s[4:5], s[12:13], exec
	s_trap 2
	s_cbranch_execz .LBB191_1674
	s_branch .LBB191_1675
.LBB191_1734:
	s_mov_b64 s[18:19], -1
	s_mov_b64 s[16:17], 0
	s_mov_b64 s[2:3], 0
                                        ; implicit-def: $vgpr5
	s_branch .LBB191_1738
.LBB191_1735:
	s_andn2_saveexec_b64 s[18:19], s[18:19]
	s_cbranch_execz .LBB191_1482
.LBB191_1736:
	s_mov_b32 s26, 0x42800000
	v_add_f32_e64 v2, |v0|, s26
	v_and_b32_e32 v2, 0xff, v2
	v_cmp_ne_u32_e32 vcc, 0, v2
	s_andn2_b64 s[16:17], s[16:17], exec
	s_and_b64 s[26:27], vcc, exec
	s_or_b64 s[16:17], s[16:17], s[26:27]
	s_or_b64 exec, exec, s[18:19]
	v_mov_b32_e32 v5, 0
	s_and_saveexec_b64 s[18:19], s[16:17]
	s_cbranch_execnz .LBB191_1483
	s_branch .LBB191_1484
.LBB191_1737:
	s_mov_b64 s[2:3], -1
                                        ; implicit-def: $vgpr5
	s_mov_b64 s[16:17], 0
.LBB191_1738:
	s_and_b64 vcc, exec, s[18:19]
	s_cbranch_vccz .LBB191_1742
; %bb.1739:
	s_cmp_eq_u32 s22, 44
	s_cbranch_scc0 .LBB191_1741
; %bb.1740:
	global_load_ubyte v3, v[18:19], off
	s_mov_b64 s[2:3], 0
	s_mov_b64 s[16:17], -1
	s_waitcnt vmcnt(0)
	v_lshlrev_b32_e32 v5, 23, v3
	v_cvt_i32_f32_e32 v5, v5
	v_cmp_ne_u32_e32 vcc, 0, v3
	v_cndmask_b32_e32 v5, 0, v5, vcc
	s_branch .LBB191_1742
.LBB191_1741:
	s_mov_b64 s[2:3], -1
                                        ; implicit-def: $vgpr5
.LBB191_1742:
	s_mov_b64 s[18:19], 0
.LBB191_1743:
	s_and_b64 vcc, exec, s[18:19]
	s_cbranch_vccz .LBB191_1747
; %bb.1744:
	s_cmp_eq_u32 s22, 29
	s_cbranch_scc0 .LBB191_1746
; %bb.1745:
	global_load_dword v5, v[18:19], off
	s_mov_b64 s[2:3], 0
	s_mov_b64 s[16:17], -1
	s_branch .LBB191_1747
.LBB191_1746:
	s_mov_b64 s[2:3], -1
                                        ; implicit-def: $vgpr5
.LBB191_1747:
	s_mov_b64 s[18:19], 0
.LBB191_1748:
	s_and_b64 vcc, exec, s[18:19]
	s_cbranch_vccz .LBB191_1764
; %bb.1749:
	s_cmp_lt_i32 s22, 27
	s_cbranch_scc1 .LBB191_1752
; %bb.1750:
	s_cmp_gt_i32 s22, 27
	s_cbranch_scc0 .LBB191_1753
; %bb.1751:
	global_load_dword v5, v[18:19], off
	s_mov_b64 s[16:17], 0
	s_branch .LBB191_1754
.LBB191_1752:
	s_mov_b64 s[16:17], -1
                                        ; implicit-def: $vgpr5
	s_branch .LBB191_1757
.LBB191_1753:
	s_mov_b64 s[16:17], -1
                                        ; implicit-def: $vgpr5
.LBB191_1754:
	s_andn2_b64 vcc, exec, s[16:17]
	s_cbranch_vccnz .LBB191_1756
; %bb.1755:
	global_load_ushort v5, v[18:19], off
.LBB191_1756:
	s_mov_b64 s[16:17], 0
.LBB191_1757:
	s_andn2_b64 vcc, exec, s[16:17]
	s_cbranch_vccnz .LBB191_1763
; %bb.1758:
	global_load_ubyte v3, v[18:19], off
	s_movk_i32 s16, 0x7f
	s_mov_b64 s[18:19], 0
	s_waitcnt vmcnt(0)
	v_cmp_lt_i16_e32 vcc, s16, v3
	s_and_saveexec_b64 s[16:17], vcc
	s_xor_b64 s[16:17], exec, s[16:17]
	s_cbranch_execz .LBB191_1774
; %bb.1759:
	s_movk_i32 s18, 0x80
	v_cmp_ne_u16_e32 vcc, s18, v3
	s_and_b64 s[18:19], vcc, exec
	s_andn2_saveexec_b64 s[16:17], s[16:17]
	s_cbranch_execnz .LBB191_1775
.LBB191_1760:
	s_or_b64 exec, exec, s[16:17]
	v_mov_b32_e32 v5, 0
	s_and_saveexec_b64 s[16:17], s[18:19]
	s_cbranch_execz .LBB191_1762
.LBB191_1761:
	v_lshlrev_b32_e32 v5, 24, v3
	v_and_b32_e32 v3, 0xffff, v3
	v_and_b32_e32 v8, 7, v3
	v_ffbh_u32_e32 v12, v8
	v_min_u32_e32 v12, 32, v12
	v_subrev_u32_e32 v14, 28, v12
	v_bfe_u32 v10, v3, 3, 4
	v_lshlrev_b32_e32 v3, v14, v3
	v_sub_u32_e32 v12, 29, v12
	v_and_b32_e32 v3, 7, v3
	v_cmp_eq_u32_e32 vcc, 0, v10
	v_cndmask_b32_e32 v10, v10, v12, vcc
	v_cndmask_b32_e32 v3, v8, v3, vcc
	v_mov_b32_e32 v8, 0x3b800000
	v_lshlrev_b32_e32 v3, 20, v3
	v_and_b32_e32 v5, 0x80000000, v5
	v_lshl_add_u32 v8, v10, 23, v8
	v_or3_b32 v3, v5, v8, v3
	v_cvt_i32_f32_e32 v5, v3
.LBB191_1762:
	s_or_b64 exec, exec, s[16:17]
.LBB191_1763:
	s_mov_b64 s[16:17], -1
.LBB191_1764:
	s_branch .LBB191_1795
.LBB191_1765:
	s_cmp_gt_i32 s22, 22
	s_cbranch_scc0 .LBB191_1773
; %bb.1766:
	s_cmp_lt_i32 s22, 24
	s_cbranch_scc1 .LBB191_1776
; %bb.1767:
	s_cmp_gt_i32 s22, 24
	s_cbranch_scc0 .LBB191_1777
; %bb.1768:
	global_load_ubyte v3, v[18:19], off
	s_movk_i32 s6, 0x7f
	s_mov_b64 s[16:17], 0
	s_waitcnt vmcnt(0)
	v_cmp_lt_i16_e32 vcc, s6, v3
	s_and_saveexec_b64 s[6:7], vcc
	s_xor_b64 s[6:7], exec, s[6:7]
	s_cbranch_execz .LBB191_1789
; %bb.1769:
	s_movk_i32 s16, 0x80
	v_cmp_ne_u16_e32 vcc, s16, v3
	s_and_b64 s[16:17], vcc, exec
	s_andn2_saveexec_b64 s[6:7], s[6:7]
	s_cbranch_execnz .LBB191_1790
.LBB191_1770:
	s_or_b64 exec, exec, s[6:7]
	v_mov_b32_e32 v5, 0
	s_and_saveexec_b64 s[6:7], s[16:17]
	s_cbranch_execz .LBB191_1772
.LBB191_1771:
	v_lshlrev_b32_e32 v5, 24, v3
	v_and_b32_e32 v3, 0xffff, v3
	v_and_b32_e32 v8, 3, v3
	v_ffbh_u32_e32 v12, v8
	v_min_u32_e32 v12, 32, v12
	v_subrev_u32_e32 v14, 29, v12
	v_bfe_u32 v10, v3, 2, 5
	v_lshlrev_b32_e32 v3, v14, v3
	v_sub_u32_e32 v12, 30, v12
	v_and_b32_e32 v3, 3, v3
	v_cmp_eq_u32_e32 vcc, 0, v10
	v_cndmask_b32_e32 v10, v10, v12, vcc
	v_cndmask_b32_e32 v3, v8, v3, vcc
	v_mov_b32_e32 v8, 0x37800000
	v_lshlrev_b32_e32 v3, 21, v3
	v_and_b32_e32 v5, 0x80000000, v5
	v_lshl_add_u32 v8, v10, 23, v8
	v_or3_b32 v3, v5, v8, v3
	v_cvt_i32_f32_e32 v5, v3
.LBB191_1772:
	s_or_b64 exec, exec, s[6:7]
	s_mov_b64 s[6:7], 0
	s_branch .LBB191_1778
.LBB191_1773:
	s_mov_b64 s[6:7], -1
                                        ; implicit-def: $vgpr5
	s_branch .LBB191_1784
.LBB191_1774:
	s_andn2_saveexec_b64 s[16:17], s[16:17]
	s_cbranch_execz .LBB191_1760
.LBB191_1775:
	v_cmp_ne_u16_e32 vcc, 0, v3
	s_andn2_b64 s[18:19], s[18:19], exec
	s_and_b64 s[24:25], vcc, exec
	s_or_b64 s[18:19], s[18:19], s[24:25]
	s_or_b64 exec, exec, s[16:17]
	v_mov_b32_e32 v5, 0
	s_and_saveexec_b64 s[16:17], s[18:19]
	s_cbranch_execnz .LBB191_1761
	s_branch .LBB191_1762
.LBB191_1776:
	s_mov_b64 s[6:7], -1
                                        ; implicit-def: $vgpr5
	s_branch .LBB191_1781
.LBB191_1777:
	s_mov_b64 s[6:7], -1
                                        ; implicit-def: $vgpr5
.LBB191_1778:
	s_and_b64 vcc, exec, s[6:7]
	s_cbranch_vccz .LBB191_1780
; %bb.1779:
	global_load_ubyte v3, v[18:19], off
	s_mov_b32 s6, 0x7f800000
	s_waitcnt vmcnt(0)
	v_lshlrev_b32_e32 v3, 24, v3
	v_and_b32_e32 v5, 0x7f000000, v3
	v_ffbh_u32_e32 v8, v5
	v_min_u32_e32 v8, 32, v8
	v_sub_u32_e64 v8, v8, 4 clamp
	v_lshlrev_b32_e32 v12, v8, v5
	v_lshlrev_b32_e32 v8, 23, v8
	v_lshrrev_b32_e32 v12, 4, v12
	v_add_u32_e32 v10, 0x1000000, v5
	v_sub_u32_e32 v8, v12, v8
	v_ashrrev_i32_e32 v10, 8, v10
	v_add_u32_e32 v8, 0x3c000000, v8
	v_and_or_b32 v8, v10, s6, v8
	v_cmp_ne_u32_e32 vcc, 0, v5
	v_cndmask_b32_e32 v5, 0, v8, vcc
	s_brev_b32 s6, 1
	v_and_or_b32 v3, v3, s6, v5
	v_cvt_i32_f32_e32 v5, v3
.LBB191_1780:
	s_mov_b64 s[6:7], 0
.LBB191_1781:
	s_andn2_b64 vcc, exec, s[6:7]
	s_cbranch_vccnz .LBB191_1783
; %bb.1782:
	global_load_ubyte v3, v[18:19], off
	s_movk_i32 s6, 0x7f00
	s_brev_b32 s7, 16
	s_waitcnt vmcnt(0)
	v_lshlrev_b16_e32 v5, 8, v3
	v_lshlrev_b32_e32 v3, 25, v3
	v_lshrrev_b32_e32 v8, 4, v3
	v_and_or_b32 v10, v5, s6, 0.5
	v_or_b32_e32 v8, 0x70000000, v8
	v_add_f32_e32 v10, -0.5, v10
	v_mul_f32_e32 v8, 0x7800000, v8
	v_cmp_gt_u32_e32 vcc, s7, v3
	v_bfe_i32 v5, v5, 0, 16
	v_cndmask_b32_e32 v3, v8, v10, vcc
	s_brev_b32 s6, 1
	v_and_or_b32 v3, v5, s6, v3
	v_cvt_i32_f32_e32 v5, v3
.LBB191_1783:
	s_mov_b64 s[6:7], 0
	s_mov_b64 s[16:17], -1
.LBB191_1784:
	s_andn2_b64 vcc, exec, s[6:7]
	s_mov_b64 s[6:7], 0
	s_cbranch_vccnz .LBB191_1795
; %bb.1785:
	s_cmp_gt_i32 s22, 14
	s_cbranch_scc0 .LBB191_1788
; %bb.1786:
	s_cmp_eq_u32 s22, 15
	s_cbranch_scc0 .LBB191_1791
; %bb.1787:
	global_load_ushort v3, v[18:19], off
	s_mov_b64 s[2:3], 0
	s_mov_b64 s[16:17], -1
	s_waitcnt vmcnt(0)
	v_lshlrev_b32_e32 v3, 16, v3
	v_cvt_i32_f32_e32 v5, v3
	s_branch .LBB191_1792
.LBB191_1788:
	s_mov_b64 s[18:19], -1
                                        ; implicit-def: $vgpr5
	s_branch .LBB191_1793
.LBB191_1789:
	s_andn2_saveexec_b64 s[6:7], s[6:7]
	s_cbranch_execz .LBB191_1770
.LBB191_1790:
	v_cmp_ne_u16_e32 vcc, 0, v3
	s_andn2_b64 s[16:17], s[16:17], exec
	s_and_b64 s[18:19], vcc, exec
	s_or_b64 s[16:17], s[16:17], s[18:19]
	s_or_b64 exec, exec, s[6:7]
	v_mov_b32_e32 v5, 0
	s_and_saveexec_b64 s[6:7], s[16:17]
	s_cbranch_execnz .LBB191_1771
	s_branch .LBB191_1772
.LBB191_1791:
	s_mov_b64 s[2:3], -1
                                        ; implicit-def: $vgpr5
.LBB191_1792:
	s_mov_b64 s[18:19], 0
.LBB191_1793:
	s_and_b64 vcc, exec, s[18:19]
	s_cbranch_vccz .LBB191_1795
; %bb.1794:
	s_cmp_lg_u32 s22, 11
	s_mov_b64 s[6:7], -1
	s_cselect_b64 s[2:3], -1, 0
.LBB191_1795:
	s_and_b64 vcc, exec, s[2:3]
	s_cbranch_vccnz .LBB191_1858
; %bb.1796:
	s_andn2_b64 vcc, exec, s[6:7]
	s_cbranch_vccnz .LBB191_1798
.LBB191_1797:
	global_load_ubyte v3, v[18:19], off
	s_mov_b64 s[16:17], -1
	s_waitcnt vmcnt(0)
	v_cmp_ne_u16_e32 vcc, 0, v3
	v_cndmask_b32_e64 v5, 0, 1, vcc
.LBB191_1798:
	s_branch .LBB191_1729
.LBB191_1799:
	s_and_b32 s6, 0xffff, s21
	s_cmp_lt_i32 s6, 5
	s_cbranch_scc1 .LBB191_1804
; %bb.1800:
	s_cmp_lt_i32 s6, 8
	s_cbranch_scc1 .LBB191_1805
; %bb.1801:
	;; [unrolled: 3-line block ×3, first 2 shown]
	s_cmp_gt_i32 s6, 9
	s_cbranch_scc0 .LBB191_1807
; %bb.1803:
	global_load_dwordx2 v[20:21], v[18:19], off
	s_mov_b64 s[2:3], 0
	s_waitcnt vmcnt(0)
	v_cvt_i32_f64_e32 v5, v[20:21]
	s_branch .LBB191_1808
.LBB191_1804:
                                        ; implicit-def: $vgpr5
	s_branch .LBB191_1826
.LBB191_1805:
	s_mov_b64 s[2:3], -1
                                        ; implicit-def: $vgpr5
	s_branch .LBB191_1814
.LBB191_1806:
	s_mov_b64 s[2:3], -1
                                        ; implicit-def: $vgpr5
	s_branch .LBB191_1811
.LBB191_1807:
	s_mov_b64 s[2:3], -1
                                        ; implicit-def: $vgpr5
.LBB191_1808:
	s_andn2_b64 vcc, exec, s[2:3]
	s_cbranch_vccnz .LBB191_1810
; %bb.1809:
	global_load_dword v3, v[18:19], off
	s_waitcnt vmcnt(0)
	v_cvt_i32_f32_e32 v5, v3
.LBB191_1810:
	s_mov_b64 s[2:3], 0
.LBB191_1811:
	s_andn2_b64 vcc, exec, s[2:3]
	s_cbranch_vccnz .LBB191_1813
; %bb.1812:
	global_load_dword v3, v[18:19], off
	s_waitcnt vmcnt(0)
	v_cvt_f32_f16_e32 v3, v3
	v_cvt_i32_f32_e32 v5, v3
.LBB191_1813:
	s_mov_b64 s[2:3], 0
.LBB191_1814:
	s_andn2_b64 vcc, exec, s[2:3]
	s_cbranch_vccnz .LBB191_1825
; %bb.1815:
	s_cmp_lt_i32 s6, 6
	s_cbranch_scc1 .LBB191_1818
; %bb.1816:
	s_cmp_gt_i32 s6, 6
	s_cbranch_scc0 .LBB191_1819
; %bb.1817:
	global_load_dwordx2 v[20:21], v[18:19], off
	s_mov_b64 s[2:3], 0
	s_waitcnt vmcnt(0)
	v_cvt_i32_f64_e32 v5, v[20:21]
	s_branch .LBB191_1820
.LBB191_1818:
	s_mov_b64 s[2:3], -1
                                        ; implicit-def: $vgpr5
	s_branch .LBB191_1823
.LBB191_1819:
	s_mov_b64 s[2:3], -1
                                        ; implicit-def: $vgpr5
.LBB191_1820:
	s_andn2_b64 vcc, exec, s[2:3]
	s_cbranch_vccnz .LBB191_1822
; %bb.1821:
	global_load_dword v3, v[18:19], off
	s_waitcnt vmcnt(0)
	v_cvt_i32_f32_e32 v5, v3
.LBB191_1822:
	s_mov_b64 s[2:3], 0
.LBB191_1823:
	s_andn2_b64 vcc, exec, s[2:3]
	s_cbranch_vccnz .LBB191_1825
; %bb.1824:
	global_load_ushort v3, v[18:19], off
	s_waitcnt vmcnt(0)
	v_cvt_f32_f16_e32 v3, v3
	v_cvt_i32_f32_e32 v5, v3
.LBB191_1825:
	s_cbranch_execnz .LBB191_1845
.LBB191_1826:
	s_cmp_lt_i32 s6, 2
	s_cbranch_scc1 .LBB191_1830
; %bb.1827:
	s_cmp_lt_i32 s6, 3
	s_cbranch_scc1 .LBB191_1831
; %bb.1828:
	s_cmp_gt_i32 s6, 3
	s_cbranch_scc0 .LBB191_1832
; %bb.1829:
	global_load_dword v5, v[18:19], off
	s_mov_b64 s[2:3], 0
	s_branch .LBB191_1833
.LBB191_1830:
	s_mov_b64 s[2:3], -1
                                        ; implicit-def: $vgpr5
	s_branch .LBB191_1839
.LBB191_1831:
	s_mov_b64 s[2:3], -1
                                        ; implicit-def: $vgpr5
	s_branch .LBB191_1836
.LBB191_1832:
	s_mov_b64 s[2:3], -1
                                        ; implicit-def: $vgpr5
.LBB191_1833:
	s_andn2_b64 vcc, exec, s[2:3]
	s_cbranch_vccnz .LBB191_1835
; %bb.1834:
	global_load_dword v5, v[18:19], off
.LBB191_1835:
	s_mov_b64 s[2:3], 0
.LBB191_1836:
	s_andn2_b64 vcc, exec, s[2:3]
	s_cbranch_vccnz .LBB191_1838
; %bb.1837:
	global_load_sshort v5, v[18:19], off
.LBB191_1838:
	s_mov_b64 s[2:3], 0
.LBB191_1839:
	s_andn2_b64 vcc, exec, s[2:3]
	s_cbranch_vccnz .LBB191_1845
; %bb.1840:
	s_cmp_gt_i32 s6, 0
	s_cbranch_scc0 .LBB191_1842
; %bb.1841:
	global_load_sbyte v5, v[18:19], off
	s_mov_b64 s[2:3], 0
	s_branch .LBB191_1843
.LBB191_1842:
	s_mov_b64 s[2:3], -1
                                        ; implicit-def: $vgpr5
.LBB191_1843:
	s_andn2_b64 vcc, exec, s[2:3]
	s_cbranch_vccnz .LBB191_1845
; %bb.1844:
	global_load_ubyte v5, v[18:19], off
.LBB191_1845:
.LBB191_1846:
	s_lshr_b32 s2, s20, 16
	v_mov_b32_e32 v3, s11
	s_and_b32 s22, s2, 0xff
	v_add_co_u32_e32 v16, vcc, s10, v17
	s_cmp_lt_i32 s22, 11
	v_addc_co_u32_e32 v17, vcc, 0, v3, vcc
	s_cbranch_scc1 .LBB191_1853
; %bb.1847:
	s_and_b32 s23, 0xffff, s22
	s_cmp_gt_i32 s23, 25
	s_mov_b64 s[6:7], 0
	s_cbranch_scc0 .LBB191_1855
; %bb.1848:
	s_cmp_gt_i32 s23, 28
	s_cbranch_scc0 .LBB191_1856
; %bb.1849:
	s_cmp_gt_i32 s23, 43
	;; [unrolled: 3-line block ×3, first 2 shown]
	s_cbranch_scc0 .LBB191_1859
; %bb.1851:
	s_cmp_eq_u32 s23, 46
	s_mov_b64 s[18:19], 0
	s_cbranch_scc0 .LBB191_1860
; %bb.1852:
	global_load_dword v3, v[16:17], off
	s_mov_b64 s[2:3], 0
	s_mov_b64 s[16:17], -1
	s_waitcnt vmcnt(0)
	v_lshlrev_b32_e32 v3, 16, v3
	v_cvt_i32_f32_e32 v3, v3
	s_branch .LBB191_1861
.LBB191_1853:
	s_mov_b64 s[16:17], 0
                                        ; implicit-def: $vgpr3
	s_cbranch_execnz .LBB191_1923
.LBB191_1854:
	s_andn2_b64 vcc, exec, s[16:17]
	s_cbranch_vccnz .LBB191_3036
	s_branch .LBB191_1971
.LBB191_1855:
	s_mov_b64 s[18:19], -1
	s_mov_b64 s[16:17], 0
	s_mov_b64 s[2:3], 0
                                        ; implicit-def: $vgpr3
	s_branch .LBB191_1888
.LBB191_1856:
	s_mov_b64 s[18:19], -1
	s_mov_b64 s[16:17], 0
	s_mov_b64 s[2:3], 0
                                        ; implicit-def: $vgpr3
	s_branch .LBB191_1871
.LBB191_1857:
	s_mov_b64 s[18:19], -1
	s_mov_b64 s[16:17], 0
	s_mov_b64 s[2:3], 0
                                        ; implicit-def: $vgpr3
	s_branch .LBB191_1866
.LBB191_1858:
	s_trap 2
	s_or_b64 s[4:5], s[4:5], exec
	s_cbranch_execz .LBB191_1797
	s_branch .LBB191_1798
.LBB191_1859:
	s_mov_b64 s[18:19], -1
	s_mov_b64 s[16:17], 0
	s_mov_b64 s[2:3], 0
                                        ; implicit-def: $vgpr3
	s_branch .LBB191_1861
.LBB191_1860:
	s_mov_b64 s[2:3], -1
                                        ; implicit-def: $vgpr3
	s_mov_b64 s[16:17], 0
.LBB191_1861:
	s_and_b64 vcc, exec, s[18:19]
	s_cbranch_vccz .LBB191_1865
; %bb.1862:
	s_cmp_eq_u32 s23, 44
	s_cbranch_scc0 .LBB191_1864
; %bb.1863:
	global_load_ubyte v3, v[16:17], off
	s_mov_b64 s[2:3], 0
	s_mov_b64 s[16:17], -1
	s_waitcnt vmcnt(0)
	v_lshlrev_b32_e32 v8, 23, v3
	v_cvt_i32_f32_e32 v8, v8
	v_cmp_ne_u32_e32 vcc, 0, v3
	v_cndmask_b32_e32 v3, 0, v8, vcc
	s_branch .LBB191_1865
.LBB191_1864:
	s_mov_b64 s[2:3], -1
                                        ; implicit-def: $vgpr3
.LBB191_1865:
	s_mov_b64 s[18:19], 0
.LBB191_1866:
	s_and_b64 vcc, exec, s[18:19]
	s_cbranch_vccz .LBB191_1870
; %bb.1867:
	s_cmp_eq_u32 s23, 29
	s_cbranch_scc0 .LBB191_1869
; %bb.1868:
	global_load_dword v3, v[16:17], off
	s_mov_b64 s[2:3], 0
	s_mov_b64 s[16:17], -1
	s_branch .LBB191_1870
.LBB191_1869:
	s_mov_b64 s[2:3], -1
                                        ; implicit-def: $vgpr3
.LBB191_1870:
	s_mov_b64 s[18:19], 0
.LBB191_1871:
	s_and_b64 vcc, exec, s[18:19]
	s_cbranch_vccz .LBB191_1887
; %bb.1872:
	s_cmp_lt_i32 s23, 27
	s_cbranch_scc1 .LBB191_1875
; %bb.1873:
	s_cmp_gt_i32 s23, 27
	s_cbranch_scc0 .LBB191_1876
; %bb.1874:
	global_load_dword v3, v[16:17], off
	s_mov_b64 s[16:17], 0
	s_branch .LBB191_1877
.LBB191_1875:
	s_mov_b64 s[16:17], -1
                                        ; implicit-def: $vgpr3
	s_branch .LBB191_1880
.LBB191_1876:
	s_mov_b64 s[16:17], -1
                                        ; implicit-def: $vgpr3
.LBB191_1877:
	s_andn2_b64 vcc, exec, s[16:17]
	s_cbranch_vccnz .LBB191_1879
; %bb.1878:
	global_load_ushort v3, v[16:17], off
.LBB191_1879:
	s_mov_b64 s[16:17], 0
.LBB191_1880:
	s_andn2_b64 vcc, exec, s[16:17]
	s_cbranch_vccnz .LBB191_1886
; %bb.1881:
	global_load_ubyte v8, v[16:17], off
	s_movk_i32 s16, 0x7f
	s_mov_b64 s[18:19], 0
	s_waitcnt vmcnt(0)
	v_cmp_lt_i16_e32 vcc, s16, v8
	s_and_saveexec_b64 s[16:17], vcc
	s_xor_b64 s[16:17], exec, s[16:17]
	s_cbranch_execz .LBB191_1898
; %bb.1882:
	s_movk_i32 s18, 0x80
	v_cmp_ne_u16_e32 vcc, s18, v8
	s_and_b64 s[18:19], vcc, exec
	s_andn2_saveexec_b64 s[16:17], s[16:17]
	s_cbranch_execnz .LBB191_1899
.LBB191_1883:
	s_or_b64 exec, exec, s[16:17]
	v_mov_b32_e32 v3, 0
	s_and_saveexec_b64 s[16:17], s[18:19]
	s_cbranch_execz .LBB191_1885
.LBB191_1884:
	v_lshlrev_b32_e32 v3, 24, v8
	v_and_b32_e32 v8, 0xffff, v8
	v_and_b32_e32 v10, 7, v8
	v_ffbh_u32_e32 v14, v10
	v_min_u32_e32 v14, 32, v14
	v_subrev_u32_e32 v18, 28, v14
	v_bfe_u32 v12, v8, 3, 4
	v_lshlrev_b32_e32 v8, v18, v8
	v_sub_u32_e32 v14, 29, v14
	v_and_b32_e32 v8, 7, v8
	v_cmp_eq_u32_e32 vcc, 0, v12
	v_cndmask_b32_e32 v12, v12, v14, vcc
	v_cndmask_b32_e32 v8, v10, v8, vcc
	v_mov_b32_e32 v10, 0x3b800000
	v_lshlrev_b32_e32 v8, 20, v8
	v_and_b32_e32 v3, 0x80000000, v3
	v_lshl_add_u32 v10, v12, 23, v10
	v_or3_b32 v3, v3, v10, v8
	v_cvt_i32_f32_e32 v3, v3
.LBB191_1885:
	s_or_b64 exec, exec, s[16:17]
.LBB191_1886:
	s_mov_b64 s[16:17], -1
.LBB191_1887:
	s_mov_b64 s[18:19], 0
.LBB191_1888:
	s_and_b64 vcc, exec, s[18:19]
	s_cbranch_vccz .LBB191_1919
; %bb.1889:
	s_cmp_gt_i32 s23, 22
	s_cbranch_scc0 .LBB191_1897
; %bb.1890:
	s_cmp_lt_i32 s23, 24
	s_cbranch_scc1 .LBB191_1900
; %bb.1891:
	s_cmp_gt_i32 s23, 24
	s_cbranch_scc0 .LBB191_1901
; %bb.1892:
	global_load_ubyte v8, v[16:17], off
	s_movk_i32 s6, 0x7f
	s_mov_b64 s[16:17], 0
	s_waitcnt vmcnt(0)
	v_cmp_lt_i16_e32 vcc, s6, v8
	s_and_saveexec_b64 s[6:7], vcc
	s_xor_b64 s[6:7], exec, s[6:7]
	s_cbranch_execz .LBB191_1913
; %bb.1893:
	s_movk_i32 s16, 0x80
	v_cmp_ne_u16_e32 vcc, s16, v8
	s_and_b64 s[16:17], vcc, exec
	s_andn2_saveexec_b64 s[6:7], s[6:7]
	s_cbranch_execnz .LBB191_1914
.LBB191_1894:
	s_or_b64 exec, exec, s[6:7]
	v_mov_b32_e32 v3, 0
	s_and_saveexec_b64 s[6:7], s[16:17]
	s_cbranch_execz .LBB191_1896
.LBB191_1895:
	v_lshlrev_b32_e32 v3, 24, v8
	v_and_b32_e32 v8, 0xffff, v8
	v_and_b32_e32 v10, 3, v8
	v_ffbh_u32_e32 v14, v10
	v_min_u32_e32 v14, 32, v14
	v_subrev_u32_e32 v18, 29, v14
	v_bfe_u32 v12, v8, 2, 5
	v_lshlrev_b32_e32 v8, v18, v8
	v_sub_u32_e32 v14, 30, v14
	v_and_b32_e32 v8, 3, v8
	v_cmp_eq_u32_e32 vcc, 0, v12
	v_cndmask_b32_e32 v12, v12, v14, vcc
	v_cndmask_b32_e32 v8, v10, v8, vcc
	v_mov_b32_e32 v10, 0x37800000
	v_lshlrev_b32_e32 v8, 21, v8
	v_and_b32_e32 v3, 0x80000000, v3
	v_lshl_add_u32 v10, v12, 23, v10
	v_or3_b32 v3, v3, v10, v8
	v_cvt_i32_f32_e32 v3, v3
.LBB191_1896:
	s_or_b64 exec, exec, s[6:7]
	s_mov_b64 s[6:7], 0
	s_branch .LBB191_1902
.LBB191_1897:
	s_mov_b64 s[6:7], -1
                                        ; implicit-def: $vgpr3
	s_branch .LBB191_1908
.LBB191_1898:
	s_andn2_saveexec_b64 s[16:17], s[16:17]
	s_cbranch_execz .LBB191_1883
.LBB191_1899:
	v_cmp_ne_u16_e32 vcc, 0, v8
	s_andn2_b64 s[18:19], s[18:19], exec
	s_and_b64 s[24:25], vcc, exec
	s_or_b64 s[18:19], s[18:19], s[24:25]
	s_or_b64 exec, exec, s[16:17]
	v_mov_b32_e32 v3, 0
	s_and_saveexec_b64 s[16:17], s[18:19]
	s_cbranch_execnz .LBB191_1884
	s_branch .LBB191_1885
.LBB191_1900:
	s_mov_b64 s[6:7], -1
                                        ; implicit-def: $vgpr3
	s_branch .LBB191_1905
.LBB191_1901:
	s_mov_b64 s[6:7], -1
                                        ; implicit-def: $vgpr3
.LBB191_1902:
	s_and_b64 vcc, exec, s[6:7]
	s_cbranch_vccz .LBB191_1904
; %bb.1903:
	global_load_ubyte v3, v[16:17], off
	s_mov_b32 s6, 0x7f800000
	s_waitcnt vmcnt(0)
	v_lshlrev_b32_e32 v3, 24, v3
	v_and_b32_e32 v8, 0x7f000000, v3
	v_ffbh_u32_e32 v10, v8
	v_min_u32_e32 v10, 32, v10
	v_sub_u32_e64 v10, v10, 4 clamp
	v_lshlrev_b32_e32 v14, v10, v8
	v_lshlrev_b32_e32 v10, 23, v10
	v_lshrrev_b32_e32 v14, 4, v14
	v_add_u32_e32 v12, 0x1000000, v8
	v_sub_u32_e32 v10, v14, v10
	v_ashrrev_i32_e32 v12, 8, v12
	v_add_u32_e32 v10, 0x3c000000, v10
	v_and_or_b32 v10, v12, s6, v10
	v_cmp_ne_u32_e32 vcc, 0, v8
	v_cndmask_b32_e32 v8, 0, v10, vcc
	s_brev_b32 s6, 1
	v_and_or_b32 v3, v3, s6, v8
	v_cvt_i32_f32_e32 v3, v3
.LBB191_1904:
	s_mov_b64 s[6:7], 0
.LBB191_1905:
	s_andn2_b64 vcc, exec, s[6:7]
	s_cbranch_vccnz .LBB191_1907
; %bb.1906:
	global_load_ubyte v3, v[16:17], off
	s_movk_i32 s6, 0x7f00
	s_brev_b32 s7, 16
	s_waitcnt vmcnt(0)
	v_lshlrev_b16_e32 v8, 8, v3
	v_lshlrev_b32_e32 v3, 25, v3
	v_lshrrev_b32_e32 v10, 4, v3
	v_and_or_b32 v12, v8, s6, 0.5
	v_or_b32_e32 v10, 0x70000000, v10
	v_add_f32_e32 v12, -0.5, v12
	v_mul_f32_e32 v10, 0x7800000, v10
	v_cmp_gt_u32_e32 vcc, s7, v3
	v_bfe_i32 v8, v8, 0, 16
	v_cndmask_b32_e32 v3, v10, v12, vcc
	s_brev_b32 s6, 1
	v_and_or_b32 v3, v8, s6, v3
	v_cvt_i32_f32_e32 v3, v3
.LBB191_1907:
	s_mov_b64 s[6:7], 0
	s_mov_b64 s[16:17], -1
.LBB191_1908:
	s_andn2_b64 vcc, exec, s[6:7]
	s_mov_b64 s[6:7], 0
	s_cbranch_vccnz .LBB191_1919
; %bb.1909:
	s_cmp_gt_i32 s23, 14
	s_cbranch_scc0 .LBB191_1912
; %bb.1910:
	s_cmp_eq_u32 s23, 15
	s_cbranch_scc0 .LBB191_1915
; %bb.1911:
	global_load_ushort v3, v[16:17], off
	s_mov_b64 s[2:3], 0
	s_mov_b64 s[16:17], -1
	s_waitcnt vmcnt(0)
	v_lshlrev_b32_e32 v3, 16, v3
	v_cvt_i32_f32_e32 v3, v3
	s_branch .LBB191_1916
.LBB191_1912:
	s_mov_b64 s[18:19], -1
                                        ; implicit-def: $vgpr3
	s_branch .LBB191_1917
.LBB191_1913:
	s_andn2_saveexec_b64 s[6:7], s[6:7]
	s_cbranch_execz .LBB191_1894
.LBB191_1914:
	v_cmp_ne_u16_e32 vcc, 0, v8
	s_andn2_b64 s[16:17], s[16:17], exec
	s_and_b64 s[18:19], vcc, exec
	s_or_b64 s[16:17], s[16:17], s[18:19]
	s_or_b64 exec, exec, s[6:7]
	v_mov_b32_e32 v3, 0
	s_and_saveexec_b64 s[6:7], s[16:17]
	s_cbranch_execnz .LBB191_1895
	s_branch .LBB191_1896
.LBB191_1915:
	s_mov_b64 s[2:3], -1
                                        ; implicit-def: $vgpr3
.LBB191_1916:
	s_mov_b64 s[18:19], 0
.LBB191_1917:
	s_and_b64 vcc, exec, s[18:19]
	s_cbranch_vccz .LBB191_1919
; %bb.1918:
	s_cmp_lg_u32 s23, 11
	s_mov_b64 s[6:7], -1
	s_cselect_b64 s[2:3], -1, 0
.LBB191_1919:
	s_and_b64 vcc, exec, s[2:3]
	s_cbranch_vccnz .LBB191_1982
; %bb.1920:
	s_andn2_b64 vcc, exec, s[6:7]
	s_cbranch_vccnz .LBB191_1922
.LBB191_1921:
	global_load_ubyte v3, v[16:17], off
	s_mov_b64 s[16:17], -1
	s_waitcnt vmcnt(0)
	v_cmp_ne_u16_e32 vcc, 0, v3
	v_cndmask_b32_e64 v3, 0, 1, vcc
.LBB191_1922:
	s_branch .LBB191_1854
.LBB191_1923:
	s_and_b32 s6, 0xffff, s22
	s_cmp_lt_i32 s6, 5
	s_cbranch_scc1 .LBB191_1928
; %bb.1924:
	s_cmp_lt_i32 s6, 8
	s_cbranch_scc1 .LBB191_1929
; %bb.1925:
	;; [unrolled: 3-line block ×3, first 2 shown]
	s_cmp_gt_i32 s6, 9
	s_cbranch_scc0 .LBB191_1931
; %bb.1927:
	global_load_dwordx2 v[18:19], v[16:17], off
	s_mov_b64 s[2:3], 0
	s_waitcnt vmcnt(0)
	v_cvt_i32_f64_e32 v3, v[18:19]
	s_branch .LBB191_1932
.LBB191_1928:
	s_mov_b64 s[2:3], -1
                                        ; implicit-def: $vgpr3
	s_branch .LBB191_1950
.LBB191_1929:
	s_mov_b64 s[2:3], -1
                                        ; implicit-def: $vgpr3
	s_branch .LBB191_1938
.LBB191_1930:
	s_mov_b64 s[2:3], -1
                                        ; implicit-def: $vgpr3
	s_branch .LBB191_1935
.LBB191_1931:
	s_mov_b64 s[2:3], -1
                                        ; implicit-def: $vgpr3
.LBB191_1932:
	s_andn2_b64 vcc, exec, s[2:3]
	s_cbranch_vccnz .LBB191_1934
; %bb.1933:
	global_load_dword v3, v[16:17], off
	s_waitcnt vmcnt(0)
	v_cvt_i32_f32_e32 v3, v3
.LBB191_1934:
	s_mov_b64 s[2:3], 0
.LBB191_1935:
	s_andn2_b64 vcc, exec, s[2:3]
	s_cbranch_vccnz .LBB191_1937
; %bb.1936:
	global_load_dword v3, v[16:17], off
	s_waitcnt vmcnt(0)
	v_cvt_f32_f16_e32 v3, v3
	v_cvt_i32_f32_e32 v3, v3
.LBB191_1937:
	s_mov_b64 s[2:3], 0
.LBB191_1938:
	s_andn2_b64 vcc, exec, s[2:3]
	s_cbranch_vccnz .LBB191_1949
; %bb.1939:
	s_cmp_lt_i32 s6, 6
	s_cbranch_scc1 .LBB191_1942
; %bb.1940:
	s_cmp_gt_i32 s6, 6
	s_cbranch_scc0 .LBB191_1943
; %bb.1941:
	global_load_dwordx2 v[18:19], v[16:17], off
	s_mov_b64 s[2:3], 0
	s_waitcnt vmcnt(0)
	v_cvt_i32_f64_e32 v3, v[18:19]
	s_branch .LBB191_1944
.LBB191_1942:
	s_mov_b64 s[2:3], -1
                                        ; implicit-def: $vgpr3
	s_branch .LBB191_1947
.LBB191_1943:
	s_mov_b64 s[2:3], -1
                                        ; implicit-def: $vgpr3
.LBB191_1944:
	s_andn2_b64 vcc, exec, s[2:3]
	s_cbranch_vccnz .LBB191_1946
; %bb.1945:
	global_load_dword v3, v[16:17], off
	s_waitcnt vmcnt(0)
	v_cvt_i32_f32_e32 v3, v3
.LBB191_1946:
	s_mov_b64 s[2:3], 0
.LBB191_1947:
	s_andn2_b64 vcc, exec, s[2:3]
	s_cbranch_vccnz .LBB191_1949
; %bb.1948:
	global_load_ushort v3, v[16:17], off
	s_waitcnt vmcnt(0)
	v_cvt_f32_f16_e32 v3, v3
	v_cvt_i32_f32_e32 v3, v3
.LBB191_1949:
	s_mov_b64 s[2:3], 0
.LBB191_1950:
	s_andn2_b64 vcc, exec, s[2:3]
	s_cbranch_vccnz .LBB191_1970
; %bb.1951:
	s_cmp_lt_i32 s6, 2
	s_cbranch_scc1 .LBB191_1955
; %bb.1952:
	s_cmp_lt_i32 s6, 3
	s_cbranch_scc1 .LBB191_1956
; %bb.1953:
	s_cmp_gt_i32 s6, 3
	s_cbranch_scc0 .LBB191_1957
; %bb.1954:
	global_load_dword v3, v[16:17], off
	s_mov_b64 s[2:3], 0
	s_branch .LBB191_1958
.LBB191_1955:
	s_mov_b64 s[2:3], -1
                                        ; implicit-def: $vgpr3
	s_branch .LBB191_1964
.LBB191_1956:
	s_mov_b64 s[2:3], -1
                                        ; implicit-def: $vgpr3
	s_branch .LBB191_1961
.LBB191_1957:
	s_mov_b64 s[2:3], -1
                                        ; implicit-def: $vgpr3
.LBB191_1958:
	s_andn2_b64 vcc, exec, s[2:3]
	s_cbranch_vccnz .LBB191_1960
; %bb.1959:
	global_load_dword v3, v[16:17], off
.LBB191_1960:
	s_mov_b64 s[2:3], 0
.LBB191_1961:
	s_andn2_b64 vcc, exec, s[2:3]
	s_cbranch_vccnz .LBB191_1963
; %bb.1962:
	global_load_sshort v3, v[16:17], off
.LBB191_1963:
	s_mov_b64 s[2:3], 0
.LBB191_1964:
	s_andn2_b64 vcc, exec, s[2:3]
	s_cbranch_vccnz .LBB191_1970
; %bb.1965:
	s_cmp_gt_i32 s6, 0
	s_cbranch_scc0 .LBB191_1967
; %bb.1966:
	global_load_sbyte v3, v[16:17], off
	s_mov_b64 s[2:3], 0
	s_branch .LBB191_1968
.LBB191_1967:
	s_mov_b64 s[2:3], -1
                                        ; implicit-def: $vgpr3
.LBB191_1968:
	s_andn2_b64 vcc, exec, s[2:3]
	s_cbranch_vccnz .LBB191_1970
; %bb.1969:
	global_load_ubyte v3, v[16:17], off
.LBB191_1970:
.LBB191_1971:
	v_mov_b32_e32 v8, s1
	s_and_b32 s21, 0xffff, s21
	v_add_co_u32_e32 v14, vcc, s0, v15
	s_cmp_lt_i32 s21, 11
	v_addc_co_u32_e32 v15, vcc, 0, v8, vcc
	s_cbranch_scc1 .LBB191_1978
; %bb.1972:
	s_cmp_gt_i32 s21, 25
	s_mov_b64 s[6:7], 0
	s_cbranch_scc0 .LBB191_1979
; %bb.1973:
	s_cmp_gt_i32 s21, 28
	s_cbranch_scc0 .LBB191_1980
; %bb.1974:
	s_cmp_gt_i32 s21, 43
	;; [unrolled: 3-line block ×3, first 2 shown]
	s_cbranch_scc0 .LBB191_1983
; %bb.1976:
	s_cmp_eq_u32 s21, 46
	s_mov_b64 s[18:19], 0
	s_cbranch_scc0 .LBB191_1984
; %bb.1977:
	global_load_dword v8, v[14:15], off
	s_mov_b64 s[2:3], 0
	s_mov_b64 s[16:17], -1
	s_waitcnt vmcnt(0)
	v_lshlrev_b32_e32 v8, 16, v8
	v_cvt_i32_f32_e32 v16, v8
	s_branch .LBB191_1985
.LBB191_1978:
	s_mov_b64 s[2:3], -1
	s_mov_b64 s[16:17], 0
                                        ; implicit-def: $vgpr16
	s_branch .LBB191_2047
.LBB191_1979:
	s_mov_b64 s[18:19], -1
	s_mov_b64 s[16:17], 0
	s_mov_b64 s[2:3], 0
                                        ; implicit-def: $vgpr16
	s_branch .LBB191_2012
.LBB191_1980:
	s_mov_b64 s[18:19], -1
	s_mov_b64 s[16:17], 0
	s_mov_b64 s[2:3], 0
                                        ; implicit-def: $vgpr16
	s_branch .LBB191_1995
.LBB191_1981:
	s_mov_b64 s[18:19], -1
	s_mov_b64 s[16:17], 0
	s_mov_b64 s[2:3], 0
                                        ; implicit-def: $vgpr16
	s_branch .LBB191_1990
.LBB191_1982:
	s_trap 2
	s_or_b64 s[4:5], s[4:5], exec
	s_cbranch_execz .LBB191_1921
	s_branch .LBB191_1922
.LBB191_1983:
	s_mov_b64 s[18:19], -1
	s_mov_b64 s[16:17], 0
	s_mov_b64 s[2:3], 0
                                        ; implicit-def: $vgpr16
	s_branch .LBB191_1985
.LBB191_1984:
	s_mov_b64 s[2:3], -1
                                        ; implicit-def: $vgpr16
	s_mov_b64 s[16:17], 0
.LBB191_1985:
	s_and_b64 vcc, exec, s[18:19]
	s_cbranch_vccz .LBB191_1989
; %bb.1986:
	s_cmp_eq_u32 s21, 44
	s_cbranch_scc0 .LBB191_1988
; %bb.1987:
	global_load_ubyte v8, v[14:15], off
	s_mov_b64 s[2:3], 0
	s_mov_b64 s[16:17], -1
	s_waitcnt vmcnt(0)
	v_lshlrev_b32_e32 v10, 23, v8
	v_cvt_i32_f32_e32 v10, v10
	v_cmp_ne_u32_e32 vcc, 0, v8
	v_cndmask_b32_e32 v16, 0, v10, vcc
	s_branch .LBB191_1989
.LBB191_1988:
	s_mov_b64 s[2:3], -1
                                        ; implicit-def: $vgpr16
.LBB191_1989:
	s_mov_b64 s[18:19], 0
.LBB191_1990:
	s_and_b64 vcc, exec, s[18:19]
	s_cbranch_vccz .LBB191_1994
; %bb.1991:
	s_cmp_eq_u32 s21, 29
	s_cbranch_scc0 .LBB191_1993
; %bb.1992:
	global_load_dword v16, v[14:15], off
	s_mov_b64 s[2:3], 0
	s_mov_b64 s[16:17], -1
	s_branch .LBB191_1994
.LBB191_1993:
	s_mov_b64 s[2:3], -1
                                        ; implicit-def: $vgpr16
.LBB191_1994:
	s_mov_b64 s[18:19], 0
.LBB191_1995:
	s_and_b64 vcc, exec, s[18:19]
	s_cbranch_vccz .LBB191_2011
; %bb.1996:
	s_cmp_lt_i32 s21, 27
	s_cbranch_scc1 .LBB191_1999
; %bb.1997:
	s_cmp_gt_i32 s21, 27
	s_cbranch_scc0 .LBB191_2000
; %bb.1998:
	global_load_dword v16, v[14:15], off
	s_mov_b64 s[16:17], 0
	s_branch .LBB191_2001
.LBB191_1999:
	s_mov_b64 s[16:17], -1
                                        ; implicit-def: $vgpr16
	s_branch .LBB191_2004
.LBB191_2000:
	s_mov_b64 s[16:17], -1
                                        ; implicit-def: $vgpr16
.LBB191_2001:
	s_andn2_b64 vcc, exec, s[16:17]
	s_cbranch_vccnz .LBB191_2003
; %bb.2002:
	global_load_ushort v16, v[14:15], off
.LBB191_2003:
	s_mov_b64 s[16:17], 0
.LBB191_2004:
	s_andn2_b64 vcc, exec, s[16:17]
	s_cbranch_vccnz .LBB191_2010
; %bb.2005:
	global_load_ubyte v8, v[14:15], off
	s_movk_i32 s16, 0x7f
	s_mov_b64 s[18:19], 0
	s_waitcnt vmcnt(0)
	v_cmp_lt_i16_e32 vcc, s16, v8
	s_and_saveexec_b64 s[16:17], vcc
	s_xor_b64 s[16:17], exec, s[16:17]
	s_cbranch_execz .LBB191_2022
; %bb.2006:
	s_movk_i32 s18, 0x80
	v_cmp_ne_u16_e32 vcc, s18, v8
	s_and_b64 s[18:19], vcc, exec
	s_andn2_saveexec_b64 s[16:17], s[16:17]
	s_cbranch_execnz .LBB191_2023
.LBB191_2007:
	s_or_b64 exec, exec, s[16:17]
	v_mov_b32_e32 v16, 0
	s_and_saveexec_b64 s[16:17], s[18:19]
	s_cbranch_execz .LBB191_2009
.LBB191_2008:
	v_lshlrev_b32_e32 v10, 24, v8
	v_and_b32_e32 v8, 0xffff, v8
	v_and_b32_e32 v12, 7, v8
	v_ffbh_u32_e32 v17, v12
	v_min_u32_e32 v17, 32, v17
	v_subrev_u32_e32 v18, 28, v17
	v_bfe_u32 v16, v8, 3, 4
	v_lshlrev_b32_e32 v8, v18, v8
	v_sub_u32_e32 v17, 29, v17
	v_and_b32_e32 v8, 7, v8
	v_cmp_eq_u32_e32 vcc, 0, v16
	v_cndmask_b32_e32 v16, v16, v17, vcc
	v_cndmask_b32_e32 v8, v12, v8, vcc
	v_mov_b32_e32 v12, 0x3b800000
	v_lshlrev_b32_e32 v8, 20, v8
	v_and_b32_e32 v10, 0x80000000, v10
	v_lshl_add_u32 v12, v16, 23, v12
	v_or3_b32 v8, v10, v12, v8
	v_cvt_i32_f32_e32 v16, v8
.LBB191_2009:
	s_or_b64 exec, exec, s[16:17]
.LBB191_2010:
	s_mov_b64 s[16:17], -1
.LBB191_2011:
	s_mov_b64 s[18:19], 0
.LBB191_2012:
	s_and_b64 vcc, exec, s[18:19]
	s_cbranch_vccz .LBB191_2043
; %bb.2013:
	s_cmp_gt_i32 s21, 22
	s_cbranch_scc0 .LBB191_2021
; %bb.2014:
	s_cmp_lt_i32 s21, 24
	s_cbranch_scc1 .LBB191_2024
; %bb.2015:
	s_cmp_gt_i32 s21, 24
	s_cbranch_scc0 .LBB191_2025
; %bb.2016:
	global_load_ubyte v8, v[14:15], off
	s_movk_i32 s6, 0x7f
	s_mov_b64 s[16:17], 0
	s_waitcnt vmcnt(0)
	v_cmp_lt_i16_e32 vcc, s6, v8
	s_and_saveexec_b64 s[6:7], vcc
	s_xor_b64 s[6:7], exec, s[6:7]
	s_cbranch_execz .LBB191_2037
; %bb.2017:
	s_movk_i32 s16, 0x80
	v_cmp_ne_u16_e32 vcc, s16, v8
	s_and_b64 s[16:17], vcc, exec
	s_andn2_saveexec_b64 s[6:7], s[6:7]
	s_cbranch_execnz .LBB191_2038
.LBB191_2018:
	s_or_b64 exec, exec, s[6:7]
	v_mov_b32_e32 v16, 0
	s_and_saveexec_b64 s[6:7], s[16:17]
	s_cbranch_execz .LBB191_2020
.LBB191_2019:
	v_lshlrev_b32_e32 v10, 24, v8
	v_and_b32_e32 v8, 0xffff, v8
	v_and_b32_e32 v12, 3, v8
	v_ffbh_u32_e32 v17, v12
	v_min_u32_e32 v17, 32, v17
	v_subrev_u32_e32 v18, 29, v17
	v_bfe_u32 v16, v8, 2, 5
	v_lshlrev_b32_e32 v8, v18, v8
	v_sub_u32_e32 v17, 30, v17
	v_and_b32_e32 v8, 3, v8
	v_cmp_eq_u32_e32 vcc, 0, v16
	v_cndmask_b32_e32 v16, v16, v17, vcc
	v_cndmask_b32_e32 v8, v12, v8, vcc
	v_mov_b32_e32 v12, 0x37800000
	v_lshlrev_b32_e32 v8, 21, v8
	v_and_b32_e32 v10, 0x80000000, v10
	v_lshl_add_u32 v12, v16, 23, v12
	v_or3_b32 v8, v10, v12, v8
	v_cvt_i32_f32_e32 v16, v8
.LBB191_2020:
	s_or_b64 exec, exec, s[6:7]
	s_mov_b64 s[6:7], 0
	s_branch .LBB191_2026
.LBB191_2021:
	s_mov_b64 s[6:7], -1
                                        ; implicit-def: $vgpr16
	s_branch .LBB191_2032
.LBB191_2022:
	s_andn2_saveexec_b64 s[16:17], s[16:17]
	s_cbranch_execz .LBB191_2007
.LBB191_2023:
	v_cmp_ne_u16_e32 vcc, 0, v8
	s_andn2_b64 s[18:19], s[18:19], exec
	s_and_b64 s[24:25], vcc, exec
	s_or_b64 s[18:19], s[18:19], s[24:25]
	s_or_b64 exec, exec, s[16:17]
	v_mov_b32_e32 v16, 0
	s_and_saveexec_b64 s[16:17], s[18:19]
	s_cbranch_execnz .LBB191_2008
	s_branch .LBB191_2009
.LBB191_2024:
	s_mov_b64 s[6:7], -1
                                        ; implicit-def: $vgpr16
	s_branch .LBB191_2029
.LBB191_2025:
	s_mov_b64 s[6:7], -1
                                        ; implicit-def: $vgpr16
.LBB191_2026:
	s_and_b64 vcc, exec, s[6:7]
	s_cbranch_vccz .LBB191_2028
; %bb.2027:
	global_load_ubyte v8, v[14:15], off
	s_mov_b32 s6, 0x7f800000
	s_waitcnt vmcnt(0)
	v_lshlrev_b32_e32 v8, 24, v8
	v_and_b32_e32 v10, 0x7f000000, v8
	v_ffbh_u32_e32 v12, v10
	v_min_u32_e32 v12, 32, v12
	v_sub_u32_e64 v12, v12, 4 clamp
	v_lshlrev_b32_e32 v17, v12, v10
	v_lshlrev_b32_e32 v12, 23, v12
	v_lshrrev_b32_e32 v17, 4, v17
	v_add_u32_e32 v16, 0x1000000, v10
	v_sub_u32_e32 v12, v17, v12
	v_ashrrev_i32_e32 v16, 8, v16
	v_add_u32_e32 v12, 0x3c000000, v12
	v_and_or_b32 v12, v16, s6, v12
	v_cmp_ne_u32_e32 vcc, 0, v10
	v_cndmask_b32_e32 v10, 0, v12, vcc
	s_brev_b32 s6, 1
	v_and_or_b32 v8, v8, s6, v10
	v_cvt_i32_f32_e32 v16, v8
.LBB191_2028:
	s_mov_b64 s[6:7], 0
.LBB191_2029:
	s_andn2_b64 vcc, exec, s[6:7]
	s_cbranch_vccnz .LBB191_2031
; %bb.2030:
	global_load_ubyte v8, v[14:15], off
	s_movk_i32 s6, 0x7f00
	s_brev_b32 s7, 16
	s_waitcnt vmcnt(0)
	v_lshlrev_b16_e32 v10, 8, v8
	v_lshlrev_b32_e32 v8, 25, v8
	v_lshrrev_b32_e32 v12, 4, v8
	v_and_or_b32 v16, v10, s6, 0.5
	v_or_b32_e32 v12, 0x70000000, v12
	v_add_f32_e32 v16, -0.5, v16
	v_mul_f32_e32 v12, 0x7800000, v12
	v_cmp_gt_u32_e32 vcc, s7, v8
	v_bfe_i32 v10, v10, 0, 16
	v_cndmask_b32_e32 v8, v12, v16, vcc
	s_brev_b32 s6, 1
	v_and_or_b32 v8, v10, s6, v8
	v_cvt_i32_f32_e32 v16, v8
.LBB191_2031:
	s_mov_b64 s[6:7], 0
	s_mov_b64 s[16:17], -1
.LBB191_2032:
	s_andn2_b64 vcc, exec, s[6:7]
	s_mov_b64 s[6:7], 0
	s_cbranch_vccnz .LBB191_2043
; %bb.2033:
	s_cmp_gt_i32 s21, 14
	s_cbranch_scc0 .LBB191_2036
; %bb.2034:
	s_cmp_eq_u32 s21, 15
	s_cbranch_scc0 .LBB191_2039
; %bb.2035:
	global_load_ushort v8, v[14:15], off
	s_mov_b64 s[2:3], 0
	s_mov_b64 s[16:17], -1
	s_waitcnt vmcnt(0)
	v_lshlrev_b32_e32 v8, 16, v8
	v_cvt_i32_f32_e32 v16, v8
	s_branch .LBB191_2040
.LBB191_2036:
	s_mov_b64 s[18:19], -1
                                        ; implicit-def: $vgpr16
	s_branch .LBB191_2041
.LBB191_2037:
	s_andn2_saveexec_b64 s[6:7], s[6:7]
	s_cbranch_execz .LBB191_2018
.LBB191_2038:
	v_cmp_ne_u16_e32 vcc, 0, v8
	s_andn2_b64 s[16:17], s[16:17], exec
	s_and_b64 s[18:19], vcc, exec
	s_or_b64 s[16:17], s[16:17], s[18:19]
	s_or_b64 exec, exec, s[6:7]
	v_mov_b32_e32 v16, 0
	s_and_saveexec_b64 s[6:7], s[16:17]
	s_cbranch_execnz .LBB191_2019
	s_branch .LBB191_2020
.LBB191_2039:
	s_mov_b64 s[2:3], -1
                                        ; implicit-def: $vgpr16
.LBB191_2040:
	s_mov_b64 s[18:19], 0
.LBB191_2041:
	s_and_b64 vcc, exec, s[18:19]
	s_cbranch_vccz .LBB191_2043
; %bb.2042:
	s_cmp_lg_u32 s21, 11
	s_mov_b64 s[6:7], -1
	s_cselect_b64 s[2:3], -1, 0
.LBB191_2043:
	s_and_b64 vcc, exec, s[2:3]
	s_cbranch_vccnz .LBB191_2108
; %bb.2044:
	s_andn2_b64 vcc, exec, s[6:7]
	s_cbranch_vccnz .LBB191_2046
.LBB191_2045:
	global_load_ubyte v8, v[14:15], off
	s_mov_b64 s[16:17], -1
	s_waitcnt vmcnt(0)
	v_cmp_ne_u16_e32 vcc, 0, v8
	v_cndmask_b32_e64 v16, 0, 1, vcc
.LBB191_2046:
	s_mov_b64 s[2:3], 0
.LBB191_2047:
	s_and_b64 vcc, exec, s[2:3]
	s_cbranch_vccz .LBB191_2096
; %bb.2048:
	s_cmp_lt_i32 s21, 5
	s_cbranch_scc1 .LBB191_2053
; %bb.2049:
	s_cmp_lt_i32 s21, 8
	s_cbranch_scc1 .LBB191_2054
	;; [unrolled: 3-line block ×3, first 2 shown]
; %bb.2051:
	s_cmp_gt_i32 s21, 9
	s_cbranch_scc0 .LBB191_2056
; %bb.2052:
	global_load_dwordx2 v[16:17], v[14:15], off
	s_mov_b64 s[2:3], 0
	s_waitcnt vmcnt(0)
	v_cvt_i32_f64_e32 v16, v[16:17]
	s_branch .LBB191_2057
.LBB191_2053:
	s_mov_b64 s[2:3], -1
                                        ; implicit-def: $vgpr16
	s_branch .LBB191_2075
.LBB191_2054:
	s_mov_b64 s[2:3], -1
                                        ; implicit-def: $vgpr16
	s_branch .LBB191_2063
.LBB191_2055:
	s_mov_b64 s[2:3], -1
                                        ; implicit-def: $vgpr16
	s_branch .LBB191_2060
.LBB191_2056:
	s_mov_b64 s[2:3], -1
                                        ; implicit-def: $vgpr16
.LBB191_2057:
	s_andn2_b64 vcc, exec, s[2:3]
	s_cbranch_vccnz .LBB191_2059
; %bb.2058:
	global_load_dword v8, v[14:15], off
	s_waitcnt vmcnt(0)
	v_cvt_i32_f32_e32 v16, v8
.LBB191_2059:
	s_mov_b64 s[2:3], 0
.LBB191_2060:
	s_andn2_b64 vcc, exec, s[2:3]
	s_cbranch_vccnz .LBB191_2062
; %bb.2061:
	global_load_dword v8, v[14:15], off
	s_waitcnt vmcnt(0)
	v_cvt_f32_f16_e32 v8, v8
	v_cvt_i32_f32_e32 v16, v8
.LBB191_2062:
	s_mov_b64 s[2:3], 0
.LBB191_2063:
	s_andn2_b64 vcc, exec, s[2:3]
	s_cbranch_vccnz .LBB191_2074
; %bb.2064:
	s_cmp_lt_i32 s21, 6
	s_cbranch_scc1 .LBB191_2067
; %bb.2065:
	s_cmp_gt_i32 s21, 6
	s_cbranch_scc0 .LBB191_2068
; %bb.2066:
	global_load_dwordx2 v[16:17], v[14:15], off
	s_mov_b64 s[2:3], 0
	s_waitcnt vmcnt(0)
	v_cvt_i32_f64_e32 v16, v[16:17]
	s_branch .LBB191_2069
.LBB191_2067:
	s_mov_b64 s[2:3], -1
                                        ; implicit-def: $vgpr16
	s_branch .LBB191_2072
.LBB191_2068:
	s_mov_b64 s[2:3], -1
                                        ; implicit-def: $vgpr16
.LBB191_2069:
	s_andn2_b64 vcc, exec, s[2:3]
	s_cbranch_vccnz .LBB191_2071
; %bb.2070:
	global_load_dword v8, v[14:15], off
	s_waitcnt vmcnt(0)
	v_cvt_i32_f32_e32 v16, v8
.LBB191_2071:
	s_mov_b64 s[2:3], 0
.LBB191_2072:
	s_andn2_b64 vcc, exec, s[2:3]
	s_cbranch_vccnz .LBB191_2074
; %bb.2073:
	global_load_ushort v8, v[14:15], off
	s_waitcnt vmcnt(0)
	v_cvt_f32_f16_e32 v8, v8
	v_cvt_i32_f32_e32 v16, v8
.LBB191_2074:
	s_mov_b64 s[2:3], 0
.LBB191_2075:
	s_andn2_b64 vcc, exec, s[2:3]
	s_cbranch_vccnz .LBB191_2095
; %bb.2076:
	s_cmp_lt_i32 s21, 2
	s_cbranch_scc1 .LBB191_2080
; %bb.2077:
	s_cmp_lt_i32 s21, 3
	s_cbranch_scc1 .LBB191_2081
; %bb.2078:
	s_cmp_gt_i32 s21, 3
	s_cbranch_scc0 .LBB191_2082
; %bb.2079:
	global_load_dword v16, v[14:15], off
	s_mov_b64 s[2:3], 0
	s_branch .LBB191_2083
.LBB191_2080:
	s_mov_b64 s[2:3], -1
                                        ; implicit-def: $vgpr16
	s_branch .LBB191_2089
.LBB191_2081:
	s_mov_b64 s[2:3], -1
                                        ; implicit-def: $vgpr16
	s_branch .LBB191_2086
.LBB191_2082:
	s_mov_b64 s[2:3], -1
                                        ; implicit-def: $vgpr16
.LBB191_2083:
	s_andn2_b64 vcc, exec, s[2:3]
	s_cbranch_vccnz .LBB191_2085
; %bb.2084:
	global_load_dword v16, v[14:15], off
.LBB191_2085:
	s_mov_b64 s[2:3], 0
.LBB191_2086:
	s_andn2_b64 vcc, exec, s[2:3]
	s_cbranch_vccnz .LBB191_2088
; %bb.2087:
	global_load_sshort v16, v[14:15], off
.LBB191_2088:
	s_mov_b64 s[2:3], 0
.LBB191_2089:
	s_andn2_b64 vcc, exec, s[2:3]
	s_cbranch_vccnz .LBB191_2095
; %bb.2090:
	s_cmp_gt_i32 s21, 0
	s_cbranch_scc0 .LBB191_2092
; %bb.2091:
	global_load_sbyte v16, v[14:15], off
	s_mov_b64 s[2:3], 0
	s_branch .LBB191_2093
.LBB191_2092:
	s_mov_b64 s[2:3], -1
                                        ; implicit-def: $vgpr16
.LBB191_2093:
	s_andn2_b64 vcc, exec, s[2:3]
	s_cbranch_vccnz .LBB191_2095
; %bb.2094:
	global_load_ubyte v16, v[14:15], off
.LBB191_2095:
	s_mov_b64 s[16:17], -1
.LBB191_2096:
	s_andn2_b64 vcc, exec, s[16:17]
	s_cbranch_vccnz .LBB191_3036
; %bb.2097:
	v_mov_b32_e32 v8, s11
	v_add_co_u32_e32 v12, vcc, s10, v13
	s_cmp_lt_i32 s22, 11
	v_addc_co_u32_e32 v13, vcc, 0, v8, vcc
	s_cbranch_scc1 .LBB191_2104
; %bb.2098:
	s_and_b32 s23, 0xffff, s22
	s_cmp_gt_i32 s23, 25
	s_mov_b64 s[6:7], 0
	s_cbranch_scc0 .LBB191_2105
; %bb.2099:
	s_cmp_gt_i32 s23, 28
	s_cbranch_scc0 .LBB191_2106
; %bb.2100:
	s_cmp_gt_i32 s23, 43
	;; [unrolled: 3-line block ×3, first 2 shown]
	s_cbranch_scc0 .LBB191_2109
; %bb.2102:
	s_cmp_eq_u32 s23, 46
	s_mov_b64 s[18:19], 0
	s_cbranch_scc0 .LBB191_2110
; %bb.2103:
	global_load_dword v8, v[12:13], off
	s_mov_b64 s[2:3], 0
	s_mov_b64 s[16:17], -1
	s_waitcnt vmcnt(0)
	v_lshlrev_b32_e32 v8, 16, v8
	v_cvt_i32_f32_e32 v14, v8
	s_branch .LBB191_2111
.LBB191_2104:
	s_mov_b64 s[2:3], -1
	s_mov_b64 s[16:17], 0
                                        ; implicit-def: $vgpr14
	s_branch .LBB191_2173
.LBB191_2105:
	s_mov_b64 s[18:19], -1
	s_mov_b64 s[16:17], 0
	s_mov_b64 s[2:3], 0
                                        ; implicit-def: $vgpr14
	s_branch .LBB191_2138
.LBB191_2106:
	s_mov_b64 s[18:19], -1
	s_mov_b64 s[16:17], 0
	s_mov_b64 s[2:3], 0
                                        ; implicit-def: $vgpr14
	s_branch .LBB191_2121
.LBB191_2107:
	s_mov_b64 s[18:19], -1
	s_mov_b64 s[16:17], 0
	s_mov_b64 s[2:3], 0
                                        ; implicit-def: $vgpr14
	s_branch .LBB191_2116
.LBB191_2108:
	s_trap 2
	s_or_b64 s[4:5], s[4:5], exec
	s_cbranch_execz .LBB191_2045
	s_branch .LBB191_2046
.LBB191_2109:
	s_mov_b64 s[18:19], -1
	s_mov_b64 s[16:17], 0
	s_mov_b64 s[2:3], 0
                                        ; implicit-def: $vgpr14
	s_branch .LBB191_2111
.LBB191_2110:
	s_mov_b64 s[2:3], -1
                                        ; implicit-def: $vgpr14
	s_mov_b64 s[16:17], 0
.LBB191_2111:
	s_and_b64 vcc, exec, s[18:19]
	s_cbranch_vccz .LBB191_2115
; %bb.2112:
	s_cmp_eq_u32 s23, 44
	s_cbranch_scc0 .LBB191_2114
; %bb.2113:
	global_load_ubyte v8, v[12:13], off
	s_mov_b64 s[2:3], 0
	s_mov_b64 s[16:17], -1
	s_waitcnt vmcnt(0)
	v_lshlrev_b32_e32 v10, 23, v8
	v_cvt_i32_f32_e32 v10, v10
	v_cmp_ne_u32_e32 vcc, 0, v8
	v_cndmask_b32_e32 v14, 0, v10, vcc
	s_branch .LBB191_2115
.LBB191_2114:
	s_mov_b64 s[2:3], -1
                                        ; implicit-def: $vgpr14
.LBB191_2115:
	s_mov_b64 s[18:19], 0
.LBB191_2116:
	s_and_b64 vcc, exec, s[18:19]
	s_cbranch_vccz .LBB191_2120
; %bb.2117:
	s_cmp_eq_u32 s23, 29
	s_cbranch_scc0 .LBB191_2119
; %bb.2118:
	global_load_dword v14, v[12:13], off
	s_mov_b64 s[2:3], 0
	s_mov_b64 s[16:17], -1
	s_branch .LBB191_2120
.LBB191_2119:
	s_mov_b64 s[2:3], -1
                                        ; implicit-def: $vgpr14
.LBB191_2120:
	s_mov_b64 s[18:19], 0
.LBB191_2121:
	s_and_b64 vcc, exec, s[18:19]
	s_cbranch_vccz .LBB191_2137
; %bb.2122:
	s_cmp_lt_i32 s23, 27
	s_cbranch_scc1 .LBB191_2125
; %bb.2123:
	s_cmp_gt_i32 s23, 27
	s_cbranch_scc0 .LBB191_2126
; %bb.2124:
	global_load_dword v14, v[12:13], off
	s_mov_b64 s[16:17], 0
	s_branch .LBB191_2127
.LBB191_2125:
	s_mov_b64 s[16:17], -1
                                        ; implicit-def: $vgpr14
	s_branch .LBB191_2130
.LBB191_2126:
	s_mov_b64 s[16:17], -1
                                        ; implicit-def: $vgpr14
.LBB191_2127:
	s_andn2_b64 vcc, exec, s[16:17]
	s_cbranch_vccnz .LBB191_2129
; %bb.2128:
	global_load_ushort v14, v[12:13], off
.LBB191_2129:
	s_mov_b64 s[16:17], 0
.LBB191_2130:
	s_andn2_b64 vcc, exec, s[16:17]
	s_cbranch_vccnz .LBB191_2136
; %bb.2131:
	global_load_ubyte v8, v[12:13], off
	s_movk_i32 s16, 0x7f
	s_mov_b64 s[18:19], 0
	s_waitcnt vmcnt(0)
	v_cmp_lt_i16_e32 vcc, s16, v8
	s_and_saveexec_b64 s[16:17], vcc
	s_xor_b64 s[16:17], exec, s[16:17]
	s_cbranch_execz .LBB191_2148
; %bb.2132:
	s_movk_i32 s18, 0x80
	v_cmp_ne_u16_e32 vcc, s18, v8
	s_and_b64 s[18:19], vcc, exec
	s_andn2_saveexec_b64 s[16:17], s[16:17]
	s_cbranch_execnz .LBB191_2149
.LBB191_2133:
	s_or_b64 exec, exec, s[16:17]
	v_mov_b32_e32 v14, 0
	s_and_saveexec_b64 s[16:17], s[18:19]
	s_cbranch_execz .LBB191_2135
.LBB191_2134:
	v_lshlrev_b32_e32 v10, 24, v8
	v_and_b32_e32 v8, 0xffff, v8
	v_and_b32_e32 v14, 7, v8
	v_ffbh_u32_e32 v17, v14
	v_min_u32_e32 v17, 32, v17
	v_subrev_u32_e32 v18, 28, v17
	v_bfe_u32 v15, v8, 3, 4
	v_lshlrev_b32_e32 v8, v18, v8
	v_sub_u32_e32 v17, 29, v17
	v_and_b32_e32 v8, 7, v8
	v_cmp_eq_u32_e32 vcc, 0, v15
	v_cndmask_b32_e32 v15, v15, v17, vcc
	v_cndmask_b32_e32 v8, v14, v8, vcc
	v_mov_b32_e32 v14, 0x3b800000
	v_lshlrev_b32_e32 v8, 20, v8
	v_and_b32_e32 v10, 0x80000000, v10
	v_lshl_add_u32 v14, v15, 23, v14
	v_or3_b32 v8, v10, v14, v8
	v_cvt_i32_f32_e32 v14, v8
.LBB191_2135:
	s_or_b64 exec, exec, s[16:17]
.LBB191_2136:
	s_mov_b64 s[16:17], -1
.LBB191_2137:
	s_mov_b64 s[18:19], 0
.LBB191_2138:
	s_and_b64 vcc, exec, s[18:19]
	s_cbranch_vccz .LBB191_2169
; %bb.2139:
	s_cmp_gt_i32 s23, 22
	s_cbranch_scc0 .LBB191_2147
; %bb.2140:
	s_cmp_lt_i32 s23, 24
	s_cbranch_scc1 .LBB191_2150
; %bb.2141:
	s_cmp_gt_i32 s23, 24
	s_cbranch_scc0 .LBB191_2151
; %bb.2142:
	global_load_ubyte v8, v[12:13], off
	s_movk_i32 s6, 0x7f
	s_mov_b64 s[16:17], 0
	s_waitcnt vmcnt(0)
	v_cmp_lt_i16_e32 vcc, s6, v8
	s_and_saveexec_b64 s[6:7], vcc
	s_xor_b64 s[6:7], exec, s[6:7]
	s_cbranch_execz .LBB191_2163
; %bb.2143:
	s_movk_i32 s16, 0x80
	v_cmp_ne_u16_e32 vcc, s16, v8
	s_and_b64 s[16:17], vcc, exec
	s_andn2_saveexec_b64 s[6:7], s[6:7]
	s_cbranch_execnz .LBB191_2164
.LBB191_2144:
	s_or_b64 exec, exec, s[6:7]
	v_mov_b32_e32 v14, 0
	s_and_saveexec_b64 s[6:7], s[16:17]
	s_cbranch_execz .LBB191_2146
.LBB191_2145:
	v_lshlrev_b32_e32 v10, 24, v8
	v_and_b32_e32 v8, 0xffff, v8
	v_and_b32_e32 v14, 3, v8
	v_ffbh_u32_e32 v17, v14
	v_min_u32_e32 v17, 32, v17
	v_subrev_u32_e32 v18, 29, v17
	v_bfe_u32 v15, v8, 2, 5
	v_lshlrev_b32_e32 v8, v18, v8
	v_sub_u32_e32 v17, 30, v17
	v_and_b32_e32 v8, 3, v8
	v_cmp_eq_u32_e32 vcc, 0, v15
	v_cndmask_b32_e32 v15, v15, v17, vcc
	v_cndmask_b32_e32 v8, v14, v8, vcc
	v_mov_b32_e32 v14, 0x37800000
	v_lshlrev_b32_e32 v8, 21, v8
	v_and_b32_e32 v10, 0x80000000, v10
	v_lshl_add_u32 v14, v15, 23, v14
	v_or3_b32 v8, v10, v14, v8
	v_cvt_i32_f32_e32 v14, v8
.LBB191_2146:
	s_or_b64 exec, exec, s[6:7]
	s_mov_b64 s[6:7], 0
	s_branch .LBB191_2152
.LBB191_2147:
	s_mov_b64 s[6:7], -1
                                        ; implicit-def: $vgpr14
	s_branch .LBB191_2158
.LBB191_2148:
	s_andn2_saveexec_b64 s[16:17], s[16:17]
	s_cbranch_execz .LBB191_2133
.LBB191_2149:
	v_cmp_ne_u16_e32 vcc, 0, v8
	s_andn2_b64 s[18:19], s[18:19], exec
	s_and_b64 s[24:25], vcc, exec
	s_or_b64 s[18:19], s[18:19], s[24:25]
	s_or_b64 exec, exec, s[16:17]
	v_mov_b32_e32 v14, 0
	s_and_saveexec_b64 s[16:17], s[18:19]
	s_cbranch_execnz .LBB191_2134
	s_branch .LBB191_2135
.LBB191_2150:
	s_mov_b64 s[6:7], -1
                                        ; implicit-def: $vgpr14
	s_branch .LBB191_2155
.LBB191_2151:
	s_mov_b64 s[6:7], -1
                                        ; implicit-def: $vgpr14
.LBB191_2152:
	s_and_b64 vcc, exec, s[6:7]
	s_cbranch_vccz .LBB191_2154
; %bb.2153:
	global_load_ubyte v8, v[12:13], off
	s_mov_b32 s6, 0x7f800000
	s_waitcnt vmcnt(0)
	v_lshlrev_b32_e32 v8, 24, v8
	v_and_b32_e32 v10, 0x7f000000, v8
	v_ffbh_u32_e32 v14, v10
	v_min_u32_e32 v14, 32, v14
	v_sub_u32_e64 v14, v14, 4 clamp
	v_lshlrev_b32_e32 v17, v14, v10
	v_lshlrev_b32_e32 v14, 23, v14
	v_lshrrev_b32_e32 v17, 4, v17
	v_add_u32_e32 v15, 0x1000000, v10
	v_sub_u32_e32 v14, v17, v14
	v_ashrrev_i32_e32 v15, 8, v15
	v_add_u32_e32 v14, 0x3c000000, v14
	v_and_or_b32 v14, v15, s6, v14
	v_cmp_ne_u32_e32 vcc, 0, v10
	v_cndmask_b32_e32 v10, 0, v14, vcc
	s_brev_b32 s6, 1
	v_and_or_b32 v8, v8, s6, v10
	v_cvt_i32_f32_e32 v14, v8
.LBB191_2154:
	s_mov_b64 s[6:7], 0
.LBB191_2155:
	s_andn2_b64 vcc, exec, s[6:7]
	s_cbranch_vccnz .LBB191_2157
; %bb.2156:
	global_load_ubyte v8, v[12:13], off
	s_movk_i32 s6, 0x7f00
	s_brev_b32 s7, 16
	s_waitcnt vmcnt(0)
	v_lshlrev_b16_e32 v10, 8, v8
	v_lshlrev_b32_e32 v8, 25, v8
	v_lshrrev_b32_e32 v14, 4, v8
	v_and_or_b32 v15, v10, s6, 0.5
	v_or_b32_e32 v14, 0x70000000, v14
	v_add_f32_e32 v15, -0.5, v15
	v_mul_f32_e32 v14, 0x7800000, v14
	v_cmp_gt_u32_e32 vcc, s7, v8
	v_bfe_i32 v10, v10, 0, 16
	v_cndmask_b32_e32 v8, v14, v15, vcc
	s_brev_b32 s6, 1
	v_and_or_b32 v8, v10, s6, v8
	v_cvt_i32_f32_e32 v14, v8
.LBB191_2157:
	s_mov_b64 s[6:7], 0
	s_mov_b64 s[16:17], -1
.LBB191_2158:
	s_andn2_b64 vcc, exec, s[6:7]
	s_mov_b64 s[6:7], 0
	s_cbranch_vccnz .LBB191_2169
; %bb.2159:
	s_cmp_gt_i32 s23, 14
	s_cbranch_scc0 .LBB191_2162
; %bb.2160:
	s_cmp_eq_u32 s23, 15
	s_cbranch_scc0 .LBB191_2165
; %bb.2161:
	global_load_ushort v8, v[12:13], off
	s_mov_b64 s[2:3], 0
	s_mov_b64 s[16:17], -1
	s_waitcnt vmcnt(0)
	v_lshlrev_b32_e32 v8, 16, v8
	v_cvt_i32_f32_e32 v14, v8
	s_branch .LBB191_2166
.LBB191_2162:
	s_mov_b64 s[18:19], -1
                                        ; implicit-def: $vgpr14
	s_branch .LBB191_2167
.LBB191_2163:
	s_andn2_saveexec_b64 s[6:7], s[6:7]
	s_cbranch_execz .LBB191_2144
.LBB191_2164:
	v_cmp_ne_u16_e32 vcc, 0, v8
	s_andn2_b64 s[16:17], s[16:17], exec
	s_and_b64 s[18:19], vcc, exec
	s_or_b64 s[16:17], s[16:17], s[18:19]
	s_or_b64 exec, exec, s[6:7]
	v_mov_b32_e32 v14, 0
	s_and_saveexec_b64 s[6:7], s[16:17]
	s_cbranch_execnz .LBB191_2145
	s_branch .LBB191_2146
.LBB191_2165:
	s_mov_b64 s[2:3], -1
                                        ; implicit-def: $vgpr14
.LBB191_2166:
	s_mov_b64 s[18:19], 0
.LBB191_2167:
	s_and_b64 vcc, exec, s[18:19]
	s_cbranch_vccz .LBB191_2169
; %bb.2168:
	s_cmp_lg_u32 s23, 11
	s_mov_b64 s[6:7], -1
	s_cselect_b64 s[2:3], -1, 0
.LBB191_2169:
	s_and_b64 vcc, exec, s[2:3]
	s_cbranch_vccnz .LBB191_2234
; %bb.2170:
	s_andn2_b64 vcc, exec, s[6:7]
	s_cbranch_vccnz .LBB191_2172
.LBB191_2171:
	global_load_ubyte v8, v[12:13], off
	s_mov_b64 s[16:17], -1
	s_waitcnt vmcnt(0)
	v_cmp_ne_u16_e32 vcc, 0, v8
	v_cndmask_b32_e64 v14, 0, 1, vcc
.LBB191_2172:
	s_mov_b64 s[2:3], 0
.LBB191_2173:
	s_and_b64 vcc, exec, s[2:3]
	s_cbranch_vccz .LBB191_2222
; %bb.2174:
	s_and_b32 s6, 0xffff, s22
	s_cmp_lt_i32 s6, 5
	s_cbranch_scc1 .LBB191_2179
; %bb.2175:
	s_cmp_lt_i32 s6, 8
	s_cbranch_scc1 .LBB191_2180
; %bb.2176:
	;; [unrolled: 3-line block ×3, first 2 shown]
	s_cmp_gt_i32 s6, 9
	s_cbranch_scc0 .LBB191_2182
; %bb.2178:
	global_load_dwordx2 v[14:15], v[12:13], off
	s_mov_b64 s[2:3], 0
	s_waitcnt vmcnt(0)
	v_cvt_i32_f64_e32 v14, v[14:15]
	s_branch .LBB191_2183
.LBB191_2179:
	s_mov_b64 s[2:3], -1
                                        ; implicit-def: $vgpr14
	s_branch .LBB191_2201
.LBB191_2180:
	s_mov_b64 s[2:3], -1
                                        ; implicit-def: $vgpr14
	s_branch .LBB191_2189
.LBB191_2181:
	s_mov_b64 s[2:3], -1
                                        ; implicit-def: $vgpr14
	s_branch .LBB191_2186
.LBB191_2182:
	s_mov_b64 s[2:3], -1
                                        ; implicit-def: $vgpr14
.LBB191_2183:
	s_andn2_b64 vcc, exec, s[2:3]
	s_cbranch_vccnz .LBB191_2185
; %bb.2184:
	global_load_dword v8, v[12:13], off
	s_waitcnt vmcnt(0)
	v_cvt_i32_f32_e32 v14, v8
.LBB191_2185:
	s_mov_b64 s[2:3], 0
.LBB191_2186:
	s_andn2_b64 vcc, exec, s[2:3]
	s_cbranch_vccnz .LBB191_2188
; %bb.2187:
	global_load_dword v8, v[12:13], off
	s_waitcnt vmcnt(0)
	v_cvt_f32_f16_e32 v8, v8
	v_cvt_i32_f32_e32 v14, v8
.LBB191_2188:
	s_mov_b64 s[2:3], 0
.LBB191_2189:
	s_andn2_b64 vcc, exec, s[2:3]
	s_cbranch_vccnz .LBB191_2200
; %bb.2190:
	s_cmp_lt_i32 s6, 6
	s_cbranch_scc1 .LBB191_2193
; %bb.2191:
	s_cmp_gt_i32 s6, 6
	s_cbranch_scc0 .LBB191_2194
; %bb.2192:
	global_load_dwordx2 v[14:15], v[12:13], off
	s_mov_b64 s[2:3], 0
	s_waitcnt vmcnt(0)
	v_cvt_i32_f64_e32 v14, v[14:15]
	s_branch .LBB191_2195
.LBB191_2193:
	s_mov_b64 s[2:3], -1
                                        ; implicit-def: $vgpr14
	s_branch .LBB191_2198
.LBB191_2194:
	s_mov_b64 s[2:3], -1
                                        ; implicit-def: $vgpr14
.LBB191_2195:
	s_andn2_b64 vcc, exec, s[2:3]
	s_cbranch_vccnz .LBB191_2197
; %bb.2196:
	global_load_dword v8, v[12:13], off
	s_waitcnt vmcnt(0)
	v_cvt_i32_f32_e32 v14, v8
.LBB191_2197:
	s_mov_b64 s[2:3], 0
.LBB191_2198:
	s_andn2_b64 vcc, exec, s[2:3]
	s_cbranch_vccnz .LBB191_2200
; %bb.2199:
	global_load_ushort v8, v[12:13], off
	s_waitcnt vmcnt(0)
	v_cvt_f32_f16_e32 v8, v8
	v_cvt_i32_f32_e32 v14, v8
.LBB191_2200:
	s_mov_b64 s[2:3], 0
.LBB191_2201:
	s_andn2_b64 vcc, exec, s[2:3]
	s_cbranch_vccnz .LBB191_2221
; %bb.2202:
	s_cmp_lt_i32 s6, 2
	s_cbranch_scc1 .LBB191_2206
; %bb.2203:
	s_cmp_lt_i32 s6, 3
	s_cbranch_scc1 .LBB191_2207
; %bb.2204:
	s_cmp_gt_i32 s6, 3
	s_cbranch_scc0 .LBB191_2208
; %bb.2205:
	global_load_dword v14, v[12:13], off
	s_mov_b64 s[2:3], 0
	s_branch .LBB191_2209
.LBB191_2206:
	s_mov_b64 s[2:3], -1
                                        ; implicit-def: $vgpr14
	s_branch .LBB191_2215
.LBB191_2207:
	s_mov_b64 s[2:3], -1
                                        ; implicit-def: $vgpr14
	s_branch .LBB191_2212
.LBB191_2208:
	s_mov_b64 s[2:3], -1
                                        ; implicit-def: $vgpr14
.LBB191_2209:
	s_andn2_b64 vcc, exec, s[2:3]
	s_cbranch_vccnz .LBB191_2211
; %bb.2210:
	global_load_dword v14, v[12:13], off
.LBB191_2211:
	s_mov_b64 s[2:3], 0
.LBB191_2212:
	s_andn2_b64 vcc, exec, s[2:3]
	s_cbranch_vccnz .LBB191_2214
; %bb.2213:
	global_load_sshort v14, v[12:13], off
.LBB191_2214:
	s_mov_b64 s[2:3], 0
.LBB191_2215:
	s_andn2_b64 vcc, exec, s[2:3]
	s_cbranch_vccnz .LBB191_2221
; %bb.2216:
	s_cmp_gt_i32 s6, 0
	s_cbranch_scc0 .LBB191_2218
; %bb.2217:
	global_load_sbyte v14, v[12:13], off
	s_mov_b64 s[2:3], 0
	s_branch .LBB191_2219
.LBB191_2218:
	s_mov_b64 s[2:3], -1
                                        ; implicit-def: $vgpr14
.LBB191_2219:
	s_andn2_b64 vcc, exec, s[2:3]
	s_cbranch_vccnz .LBB191_2221
; %bb.2220:
	global_load_ubyte v14, v[12:13], off
.LBB191_2221:
	s_mov_b64 s[16:17], -1
.LBB191_2222:
	s_andn2_b64 vcc, exec, s[16:17]
	s_cbranch_vccnz .LBB191_3036
; %bb.2223:
	v_mov_b32_e32 v8, s1
	v_add_co_u32_e32 v10, vcc, s0, v11
	s_cmp_lt_i32 s21, 11
	v_addc_co_u32_e32 v11, vcc, 0, v8, vcc
	s_cbranch_scc1 .LBB191_2230
; %bb.2224:
	s_cmp_gt_i32 s21, 25
	s_mov_b64 s[6:7], 0
	s_cbranch_scc0 .LBB191_2231
; %bb.2225:
	s_cmp_gt_i32 s21, 28
	s_cbranch_scc0 .LBB191_2232
; %bb.2226:
	s_cmp_gt_i32 s21, 43
	;; [unrolled: 3-line block ×3, first 2 shown]
	s_cbranch_scc0 .LBB191_2235
; %bb.2228:
	s_cmp_eq_u32 s21, 46
	s_mov_b64 s[18:19], 0
	s_cbranch_scc0 .LBB191_2238
; %bb.2229:
	global_load_dword v8, v[10:11], off
	s_mov_b64 s[2:3], 0
	s_mov_b64 s[16:17], -1
	s_waitcnt vmcnt(0)
	v_lshlrev_b32_e32 v8, 16, v8
	v_cvt_i32_f32_e32 v12, v8
	s_branch .LBB191_2239
.LBB191_2230:
	s_mov_b64 s[2:3], -1
	s_mov_b64 s[16:17], 0
                                        ; implicit-def: $vgpr12
	s_branch .LBB191_2301
.LBB191_2231:
	s_mov_b64 s[18:19], -1
	s_mov_b64 s[16:17], 0
	s_mov_b64 s[2:3], 0
                                        ; implicit-def: $vgpr12
	s_branch .LBB191_2266
.LBB191_2232:
	s_mov_b64 s[18:19], -1
	s_mov_b64 s[16:17], 0
	s_mov_b64 s[2:3], 0
                                        ; implicit-def: $vgpr12
	s_branch .LBB191_2249
.LBB191_2233:
	s_mov_b64 s[18:19], -1
	s_mov_b64 s[16:17], 0
	s_mov_b64 s[2:3], 0
                                        ; implicit-def: $vgpr12
	s_branch .LBB191_2244
.LBB191_2234:
	s_trap 2
	s_or_b64 s[4:5], s[4:5], exec
	s_cbranch_execz .LBB191_2171
	s_branch .LBB191_2172
.LBB191_2235:
	s_mov_b64 s[18:19], -1
	s_mov_b64 s[16:17], 0
	s_mov_b64 s[2:3], 0
                                        ; implicit-def: $vgpr12
	s_branch .LBB191_2239
.LBB191_2236:
	s_andn2_saveexec_b64 s[62:63], s[62:63]
	s_cbranch_execz .LBB191_1095
.LBB191_2237:
	s_mov_b32 s67, 0x42800000
	v_add_f32_e64 v2, |v0|, s67
	v_and_b32_e32 v2, 0xff, v2
	v_cmp_ne_u32_e32 vcc, 0, v2
	s_andn2_b64 s[60:61], s[60:61], exec
	s_and_b64 s[74:75], vcc, exec
	s_or_b64 s[60:61], s[60:61], s[74:75]
	s_or_b64 exec, exec, s[62:63]
	v_mov_b32_e32 v5, 0
	s_and_saveexec_b64 s[62:63], s[60:61]
	s_cbranch_execnz .LBB191_1096
	s_branch .LBB191_1097
.LBB191_2238:
	s_mov_b64 s[2:3], -1
                                        ; implicit-def: $vgpr12
	s_mov_b64 s[16:17], 0
.LBB191_2239:
	s_and_b64 vcc, exec, s[18:19]
	s_cbranch_vccz .LBB191_2243
; %bb.2240:
	s_cmp_eq_u32 s21, 44
	s_cbranch_scc0 .LBB191_2242
; %bb.2241:
	global_load_ubyte v8, v[10:11], off
	s_mov_b64 s[2:3], 0
	s_mov_b64 s[16:17], -1
	s_waitcnt vmcnt(0)
	v_lshlrev_b32_e32 v12, 23, v8
	v_cvt_i32_f32_e32 v12, v12
	v_cmp_ne_u32_e32 vcc, 0, v8
	v_cndmask_b32_e32 v12, 0, v12, vcc
	s_branch .LBB191_2243
.LBB191_2242:
	s_mov_b64 s[2:3], -1
                                        ; implicit-def: $vgpr12
.LBB191_2243:
	s_mov_b64 s[18:19], 0
.LBB191_2244:
	s_and_b64 vcc, exec, s[18:19]
	s_cbranch_vccz .LBB191_2248
; %bb.2245:
	s_cmp_eq_u32 s21, 29
	s_cbranch_scc0 .LBB191_2247
; %bb.2246:
	global_load_dword v12, v[10:11], off
	s_mov_b64 s[2:3], 0
	s_mov_b64 s[16:17], -1
	s_branch .LBB191_2248
.LBB191_2247:
	s_mov_b64 s[2:3], -1
                                        ; implicit-def: $vgpr12
.LBB191_2248:
	s_mov_b64 s[18:19], 0
.LBB191_2249:
	s_and_b64 vcc, exec, s[18:19]
	s_cbranch_vccz .LBB191_2265
; %bb.2250:
	s_cmp_lt_i32 s21, 27
	s_cbranch_scc1 .LBB191_2253
; %bb.2251:
	s_cmp_gt_i32 s21, 27
	s_cbranch_scc0 .LBB191_2254
; %bb.2252:
	global_load_dword v12, v[10:11], off
	s_mov_b64 s[16:17], 0
	s_branch .LBB191_2255
.LBB191_2253:
	s_mov_b64 s[16:17], -1
                                        ; implicit-def: $vgpr12
	s_branch .LBB191_2258
.LBB191_2254:
	s_mov_b64 s[16:17], -1
                                        ; implicit-def: $vgpr12
.LBB191_2255:
	s_andn2_b64 vcc, exec, s[16:17]
	s_cbranch_vccnz .LBB191_2257
; %bb.2256:
	global_load_ushort v12, v[10:11], off
.LBB191_2257:
	s_mov_b64 s[16:17], 0
.LBB191_2258:
	s_andn2_b64 vcc, exec, s[16:17]
	s_cbranch_vccnz .LBB191_2264
; %bb.2259:
	global_load_ubyte v8, v[10:11], off
	s_movk_i32 s16, 0x7f
	s_mov_b64 s[18:19], 0
	s_waitcnt vmcnt(0)
	v_cmp_lt_i16_e32 vcc, s16, v8
	s_and_saveexec_b64 s[16:17], vcc
	s_xor_b64 s[16:17], exec, s[16:17]
	s_cbranch_execz .LBB191_2276
; %bb.2260:
	s_movk_i32 s18, 0x80
	v_cmp_ne_u16_e32 vcc, s18, v8
	s_and_b64 s[18:19], vcc, exec
	s_andn2_saveexec_b64 s[16:17], s[16:17]
	s_cbranch_execnz .LBB191_2277
.LBB191_2261:
	s_or_b64 exec, exec, s[16:17]
	v_mov_b32_e32 v12, 0
	s_and_saveexec_b64 s[16:17], s[18:19]
	s_cbranch_execz .LBB191_2263
.LBB191_2262:
	v_lshlrev_b32_e32 v12, 24, v8
	v_and_b32_e32 v8, 0xffff, v8
	v_and_b32_e32 v13, 7, v8
	v_ffbh_u32_e32 v17, v13
	v_min_u32_e32 v17, 32, v17
	v_subrev_u32_e32 v18, 28, v17
	v_bfe_u32 v15, v8, 3, 4
	v_lshlrev_b32_e32 v8, v18, v8
	v_sub_u32_e32 v17, 29, v17
	v_and_b32_e32 v8, 7, v8
	v_cmp_eq_u32_e32 vcc, 0, v15
	v_cndmask_b32_e32 v15, v15, v17, vcc
	v_cndmask_b32_e32 v8, v13, v8, vcc
	v_mov_b32_e32 v13, 0x3b800000
	v_lshlrev_b32_e32 v8, 20, v8
	v_and_b32_e32 v12, 0x80000000, v12
	v_lshl_add_u32 v13, v15, 23, v13
	v_or3_b32 v8, v12, v13, v8
	v_cvt_i32_f32_e32 v12, v8
.LBB191_2263:
	s_or_b64 exec, exec, s[16:17]
.LBB191_2264:
	s_mov_b64 s[16:17], -1
.LBB191_2265:
	s_mov_b64 s[18:19], 0
.LBB191_2266:
	s_and_b64 vcc, exec, s[18:19]
	s_cbranch_vccz .LBB191_2297
; %bb.2267:
	s_cmp_gt_i32 s21, 22
	s_cbranch_scc0 .LBB191_2275
; %bb.2268:
	s_cmp_lt_i32 s21, 24
	s_cbranch_scc1 .LBB191_2278
; %bb.2269:
	s_cmp_gt_i32 s21, 24
	s_cbranch_scc0 .LBB191_2279
; %bb.2270:
	global_load_ubyte v8, v[10:11], off
	s_movk_i32 s6, 0x7f
	s_mov_b64 s[16:17], 0
	s_waitcnt vmcnt(0)
	v_cmp_lt_i16_e32 vcc, s6, v8
	s_and_saveexec_b64 s[6:7], vcc
	s_xor_b64 s[6:7], exec, s[6:7]
	s_cbranch_execz .LBB191_2291
; %bb.2271:
	s_movk_i32 s16, 0x80
	v_cmp_ne_u16_e32 vcc, s16, v8
	s_and_b64 s[16:17], vcc, exec
	s_andn2_saveexec_b64 s[6:7], s[6:7]
	s_cbranch_execnz .LBB191_2292
.LBB191_2272:
	s_or_b64 exec, exec, s[6:7]
	v_mov_b32_e32 v12, 0
	s_and_saveexec_b64 s[6:7], s[16:17]
	s_cbranch_execz .LBB191_2274
.LBB191_2273:
	v_lshlrev_b32_e32 v12, 24, v8
	v_and_b32_e32 v8, 0xffff, v8
	v_and_b32_e32 v13, 3, v8
	v_ffbh_u32_e32 v17, v13
	v_min_u32_e32 v17, 32, v17
	v_subrev_u32_e32 v18, 29, v17
	v_bfe_u32 v15, v8, 2, 5
	v_lshlrev_b32_e32 v8, v18, v8
	v_sub_u32_e32 v17, 30, v17
	v_and_b32_e32 v8, 3, v8
	v_cmp_eq_u32_e32 vcc, 0, v15
	v_cndmask_b32_e32 v15, v15, v17, vcc
	v_cndmask_b32_e32 v8, v13, v8, vcc
	v_mov_b32_e32 v13, 0x37800000
	v_lshlrev_b32_e32 v8, 21, v8
	v_and_b32_e32 v12, 0x80000000, v12
	v_lshl_add_u32 v13, v15, 23, v13
	v_or3_b32 v8, v12, v13, v8
	v_cvt_i32_f32_e32 v12, v8
.LBB191_2274:
	s_or_b64 exec, exec, s[6:7]
	s_mov_b64 s[6:7], 0
	s_branch .LBB191_2280
.LBB191_2275:
	s_mov_b64 s[6:7], -1
                                        ; implicit-def: $vgpr12
	s_branch .LBB191_2286
.LBB191_2276:
	s_andn2_saveexec_b64 s[16:17], s[16:17]
	s_cbranch_execz .LBB191_2261
.LBB191_2277:
	v_cmp_ne_u16_e32 vcc, 0, v8
	s_andn2_b64 s[18:19], s[18:19], exec
	s_and_b64 s[24:25], vcc, exec
	s_or_b64 s[18:19], s[18:19], s[24:25]
	s_or_b64 exec, exec, s[16:17]
	v_mov_b32_e32 v12, 0
	s_and_saveexec_b64 s[16:17], s[18:19]
	s_cbranch_execnz .LBB191_2262
	s_branch .LBB191_2263
.LBB191_2278:
	s_mov_b64 s[6:7], -1
                                        ; implicit-def: $vgpr12
	s_branch .LBB191_2283
.LBB191_2279:
	s_mov_b64 s[6:7], -1
                                        ; implicit-def: $vgpr12
.LBB191_2280:
	s_and_b64 vcc, exec, s[6:7]
	s_cbranch_vccz .LBB191_2282
; %bb.2281:
	global_load_ubyte v8, v[10:11], off
	s_mov_b32 s6, 0x7f800000
	s_waitcnt vmcnt(0)
	v_lshlrev_b32_e32 v8, 24, v8
	v_and_b32_e32 v12, 0x7f000000, v8
	v_ffbh_u32_e32 v13, v12
	v_min_u32_e32 v13, 32, v13
	v_sub_u32_e64 v13, v13, 4 clamp
	v_lshlrev_b32_e32 v17, v13, v12
	v_lshlrev_b32_e32 v13, 23, v13
	v_lshrrev_b32_e32 v17, 4, v17
	v_add_u32_e32 v15, 0x1000000, v12
	v_sub_u32_e32 v13, v17, v13
	v_ashrrev_i32_e32 v15, 8, v15
	v_add_u32_e32 v13, 0x3c000000, v13
	v_and_or_b32 v13, v15, s6, v13
	v_cmp_ne_u32_e32 vcc, 0, v12
	v_cndmask_b32_e32 v12, 0, v13, vcc
	s_brev_b32 s6, 1
	v_and_or_b32 v8, v8, s6, v12
	v_cvt_i32_f32_e32 v12, v8
.LBB191_2282:
	s_mov_b64 s[6:7], 0
.LBB191_2283:
	s_andn2_b64 vcc, exec, s[6:7]
	s_cbranch_vccnz .LBB191_2285
; %bb.2284:
	global_load_ubyte v8, v[10:11], off
	s_movk_i32 s6, 0x7f00
	s_brev_b32 s7, 16
	s_waitcnt vmcnt(0)
	v_lshlrev_b16_e32 v12, 8, v8
	v_lshlrev_b32_e32 v8, 25, v8
	v_lshrrev_b32_e32 v13, 4, v8
	v_and_or_b32 v15, v12, s6, 0.5
	v_or_b32_e32 v13, 0x70000000, v13
	v_add_f32_e32 v15, -0.5, v15
	v_mul_f32_e32 v13, 0x7800000, v13
	v_cmp_gt_u32_e32 vcc, s7, v8
	v_bfe_i32 v12, v12, 0, 16
	v_cndmask_b32_e32 v8, v13, v15, vcc
	s_brev_b32 s6, 1
	v_and_or_b32 v8, v12, s6, v8
	v_cvt_i32_f32_e32 v12, v8
.LBB191_2285:
	s_mov_b64 s[6:7], 0
	s_mov_b64 s[16:17], -1
.LBB191_2286:
	s_andn2_b64 vcc, exec, s[6:7]
	s_mov_b64 s[6:7], 0
	s_cbranch_vccnz .LBB191_2297
; %bb.2287:
	s_cmp_gt_i32 s21, 14
	s_cbranch_scc0 .LBB191_2290
; %bb.2288:
	s_cmp_eq_u32 s21, 15
	s_cbranch_scc0 .LBB191_2293
; %bb.2289:
	global_load_ushort v8, v[10:11], off
	s_mov_b64 s[2:3], 0
	s_mov_b64 s[16:17], -1
	s_waitcnt vmcnt(0)
	v_lshlrev_b32_e32 v8, 16, v8
	v_cvt_i32_f32_e32 v12, v8
	s_branch .LBB191_2294
.LBB191_2290:
	s_mov_b64 s[18:19], -1
                                        ; implicit-def: $vgpr12
	s_branch .LBB191_2295
.LBB191_2291:
	s_andn2_saveexec_b64 s[6:7], s[6:7]
	s_cbranch_execz .LBB191_2272
.LBB191_2292:
	v_cmp_ne_u16_e32 vcc, 0, v8
	s_andn2_b64 s[16:17], s[16:17], exec
	s_and_b64 s[18:19], vcc, exec
	s_or_b64 s[16:17], s[16:17], s[18:19]
	s_or_b64 exec, exec, s[6:7]
	v_mov_b32_e32 v12, 0
	s_and_saveexec_b64 s[6:7], s[16:17]
	s_cbranch_execnz .LBB191_2273
	s_branch .LBB191_2274
.LBB191_2293:
	s_mov_b64 s[2:3], -1
                                        ; implicit-def: $vgpr12
.LBB191_2294:
	s_mov_b64 s[18:19], 0
.LBB191_2295:
	s_and_b64 vcc, exec, s[18:19]
	s_cbranch_vccz .LBB191_2297
; %bb.2296:
	s_cmp_lg_u32 s21, 11
	s_mov_b64 s[6:7], -1
	s_cselect_b64 s[2:3], -1, 0
.LBB191_2297:
	s_and_b64 vcc, exec, s[2:3]
	s_cbranch_vccnz .LBB191_2362
; %bb.2298:
	s_andn2_b64 vcc, exec, s[6:7]
	s_cbranch_vccnz .LBB191_2300
.LBB191_2299:
	global_load_ubyte v8, v[10:11], off
	s_mov_b64 s[16:17], -1
	s_waitcnt vmcnt(0)
	v_cmp_ne_u16_e32 vcc, 0, v8
	v_cndmask_b32_e64 v12, 0, 1, vcc
.LBB191_2300:
	s_mov_b64 s[2:3], 0
.LBB191_2301:
	s_and_b64 vcc, exec, s[2:3]
	s_cbranch_vccz .LBB191_2350
; %bb.2302:
	s_cmp_lt_i32 s21, 5
	s_cbranch_scc1 .LBB191_2307
; %bb.2303:
	s_cmp_lt_i32 s21, 8
	s_cbranch_scc1 .LBB191_2308
	;; [unrolled: 3-line block ×3, first 2 shown]
; %bb.2305:
	s_cmp_gt_i32 s21, 9
	s_cbranch_scc0 .LBB191_2310
; %bb.2306:
	global_load_dwordx2 v[12:13], v[10:11], off
	s_mov_b64 s[2:3], 0
	s_waitcnt vmcnt(0)
	v_cvt_i32_f64_e32 v12, v[12:13]
	s_branch .LBB191_2311
.LBB191_2307:
	s_mov_b64 s[2:3], -1
                                        ; implicit-def: $vgpr12
	s_branch .LBB191_2329
.LBB191_2308:
	s_mov_b64 s[2:3], -1
                                        ; implicit-def: $vgpr12
	s_branch .LBB191_2317
.LBB191_2309:
	s_mov_b64 s[2:3], -1
                                        ; implicit-def: $vgpr12
	s_branch .LBB191_2314
.LBB191_2310:
	s_mov_b64 s[2:3], -1
                                        ; implicit-def: $vgpr12
.LBB191_2311:
	s_andn2_b64 vcc, exec, s[2:3]
	s_cbranch_vccnz .LBB191_2313
; %bb.2312:
	global_load_dword v8, v[10:11], off
	s_waitcnt vmcnt(0)
	v_cvt_i32_f32_e32 v12, v8
.LBB191_2313:
	s_mov_b64 s[2:3], 0
.LBB191_2314:
	s_andn2_b64 vcc, exec, s[2:3]
	s_cbranch_vccnz .LBB191_2316
; %bb.2315:
	global_load_dword v8, v[10:11], off
	s_waitcnt vmcnt(0)
	v_cvt_f32_f16_e32 v8, v8
	v_cvt_i32_f32_e32 v12, v8
.LBB191_2316:
	s_mov_b64 s[2:3], 0
.LBB191_2317:
	s_andn2_b64 vcc, exec, s[2:3]
	s_cbranch_vccnz .LBB191_2328
; %bb.2318:
	s_cmp_lt_i32 s21, 6
	s_cbranch_scc1 .LBB191_2321
; %bb.2319:
	s_cmp_gt_i32 s21, 6
	s_cbranch_scc0 .LBB191_2322
; %bb.2320:
	global_load_dwordx2 v[12:13], v[10:11], off
	s_mov_b64 s[2:3], 0
	s_waitcnt vmcnt(0)
	v_cvt_i32_f64_e32 v12, v[12:13]
	s_branch .LBB191_2323
.LBB191_2321:
	s_mov_b64 s[2:3], -1
                                        ; implicit-def: $vgpr12
	s_branch .LBB191_2326
.LBB191_2322:
	s_mov_b64 s[2:3], -1
                                        ; implicit-def: $vgpr12
.LBB191_2323:
	s_andn2_b64 vcc, exec, s[2:3]
	s_cbranch_vccnz .LBB191_2325
; %bb.2324:
	global_load_dword v8, v[10:11], off
	s_waitcnt vmcnt(0)
	v_cvt_i32_f32_e32 v12, v8
.LBB191_2325:
	s_mov_b64 s[2:3], 0
.LBB191_2326:
	s_andn2_b64 vcc, exec, s[2:3]
	s_cbranch_vccnz .LBB191_2328
; %bb.2327:
	global_load_ushort v8, v[10:11], off
	s_waitcnt vmcnt(0)
	v_cvt_f32_f16_e32 v8, v8
	v_cvt_i32_f32_e32 v12, v8
.LBB191_2328:
	s_mov_b64 s[2:3], 0
.LBB191_2329:
	s_andn2_b64 vcc, exec, s[2:3]
	s_cbranch_vccnz .LBB191_2349
; %bb.2330:
	s_cmp_lt_i32 s21, 2
	s_cbranch_scc1 .LBB191_2334
; %bb.2331:
	s_cmp_lt_i32 s21, 3
	s_cbranch_scc1 .LBB191_2335
; %bb.2332:
	s_cmp_gt_i32 s21, 3
	s_cbranch_scc0 .LBB191_2336
; %bb.2333:
	global_load_dword v12, v[10:11], off
	s_mov_b64 s[2:3], 0
	s_branch .LBB191_2337
.LBB191_2334:
	s_mov_b64 s[2:3], -1
                                        ; implicit-def: $vgpr12
	s_branch .LBB191_2343
.LBB191_2335:
	s_mov_b64 s[2:3], -1
                                        ; implicit-def: $vgpr12
	s_branch .LBB191_2340
.LBB191_2336:
	s_mov_b64 s[2:3], -1
                                        ; implicit-def: $vgpr12
.LBB191_2337:
	s_andn2_b64 vcc, exec, s[2:3]
	s_cbranch_vccnz .LBB191_2339
; %bb.2338:
	global_load_dword v12, v[10:11], off
.LBB191_2339:
	s_mov_b64 s[2:3], 0
.LBB191_2340:
	s_andn2_b64 vcc, exec, s[2:3]
	s_cbranch_vccnz .LBB191_2342
; %bb.2341:
	global_load_sshort v12, v[10:11], off
.LBB191_2342:
	s_mov_b64 s[2:3], 0
.LBB191_2343:
	s_andn2_b64 vcc, exec, s[2:3]
	s_cbranch_vccnz .LBB191_2349
; %bb.2344:
	s_cmp_gt_i32 s21, 0
	s_cbranch_scc0 .LBB191_2346
; %bb.2345:
	global_load_sbyte v12, v[10:11], off
	s_mov_b64 s[2:3], 0
	s_branch .LBB191_2347
.LBB191_2346:
	s_mov_b64 s[2:3], -1
                                        ; implicit-def: $vgpr12
.LBB191_2347:
	s_andn2_b64 vcc, exec, s[2:3]
	s_cbranch_vccnz .LBB191_2349
; %bb.2348:
	global_load_ubyte v12, v[10:11], off
.LBB191_2349:
	s_mov_b64 s[16:17], -1
.LBB191_2350:
	s_andn2_b64 vcc, exec, s[16:17]
	s_cbranch_vccnz .LBB191_3036
; %bb.2351:
	v_mov_b32_e32 v10, s11
	v_add_co_u32_e32 v8, vcc, s10, v9
	s_cmp_lt_i32 s22, 11
	v_addc_co_u32_e32 v9, vcc, 0, v10, vcc
	s_cbranch_scc1 .LBB191_2358
; %bb.2352:
	s_and_b32 s18, 0xffff, s22
	s_cmp_gt_i32 s18, 25
	s_mov_b64 s[6:7], 0
	s_cbranch_scc0 .LBB191_2359
; %bb.2353:
	s_cmp_gt_i32 s18, 28
	s_cbranch_scc0 .LBB191_2360
; %bb.2354:
	s_cmp_gt_i32 s18, 43
	;; [unrolled: 3-line block ×3, first 2 shown]
	s_cbranch_scc0 .LBB191_2363
; %bb.2356:
	s_cmp_eq_u32 s18, 46
	s_mov_b64 s[16:17], 0
	s_cbranch_scc0 .LBB191_2364
; %bb.2357:
	global_load_dword v10, v[8:9], off
	s_mov_b64 s[2:3], 0
	s_mov_b64 s[10:11], -1
	s_waitcnt vmcnt(0)
	v_lshlrev_b32_e32 v10, 16, v10
	v_cvt_i32_f32_e32 v10, v10
	s_branch .LBB191_2365
.LBB191_2358:
	s_mov_b64 s[2:3], -1
	s_mov_b64 s[10:11], 0
                                        ; implicit-def: $vgpr10
	s_branch .LBB191_2427
.LBB191_2359:
	s_mov_b64 s[16:17], -1
	s_mov_b64 s[10:11], 0
	s_mov_b64 s[2:3], 0
                                        ; implicit-def: $vgpr10
	s_branch .LBB191_2392
.LBB191_2360:
	s_mov_b64 s[16:17], -1
	s_mov_b64 s[10:11], 0
	s_mov_b64 s[2:3], 0
                                        ; implicit-def: $vgpr10
	s_branch .LBB191_2375
.LBB191_2361:
	s_mov_b64 s[16:17], -1
	s_mov_b64 s[10:11], 0
	s_mov_b64 s[2:3], 0
                                        ; implicit-def: $vgpr10
	s_branch .LBB191_2370
.LBB191_2362:
	s_trap 2
	s_or_b64 s[4:5], s[4:5], exec
	s_cbranch_execz .LBB191_2299
	s_branch .LBB191_2300
.LBB191_2363:
	s_mov_b64 s[16:17], -1
	s_mov_b64 s[10:11], 0
	s_mov_b64 s[2:3], 0
                                        ; implicit-def: $vgpr10
	s_branch .LBB191_2365
.LBB191_2364:
	s_mov_b64 s[2:3], -1
                                        ; implicit-def: $vgpr10
	s_mov_b64 s[10:11], 0
.LBB191_2365:
	s_and_b64 vcc, exec, s[16:17]
	s_cbranch_vccz .LBB191_2369
; %bb.2366:
	s_cmp_eq_u32 s18, 44
	s_cbranch_scc0 .LBB191_2368
; %bb.2367:
	global_load_ubyte v10, v[8:9], off
	s_mov_b64 s[2:3], 0
	s_mov_b64 s[10:11], -1
	s_waitcnt vmcnt(0)
	v_lshlrev_b32_e32 v11, 23, v10
	v_cvt_i32_f32_e32 v11, v11
	v_cmp_ne_u32_e32 vcc, 0, v10
	v_cndmask_b32_e32 v10, 0, v11, vcc
	s_branch .LBB191_2369
.LBB191_2368:
	s_mov_b64 s[2:3], -1
                                        ; implicit-def: $vgpr10
.LBB191_2369:
	s_mov_b64 s[16:17], 0
.LBB191_2370:
	s_and_b64 vcc, exec, s[16:17]
	s_cbranch_vccz .LBB191_2374
; %bb.2371:
	s_cmp_eq_u32 s18, 29
	s_cbranch_scc0 .LBB191_2373
; %bb.2372:
	global_load_dword v10, v[8:9], off
	s_mov_b64 s[2:3], 0
	s_mov_b64 s[10:11], -1
	s_branch .LBB191_2374
.LBB191_2373:
	s_mov_b64 s[2:3], -1
                                        ; implicit-def: $vgpr10
.LBB191_2374:
	s_mov_b64 s[16:17], 0
.LBB191_2375:
	s_and_b64 vcc, exec, s[16:17]
	s_cbranch_vccz .LBB191_2391
; %bb.2376:
	s_cmp_lt_i32 s18, 27
	s_cbranch_scc1 .LBB191_2379
; %bb.2377:
	s_cmp_gt_i32 s18, 27
	s_cbranch_scc0 .LBB191_2380
; %bb.2378:
	global_load_dword v10, v[8:9], off
	s_mov_b64 s[10:11], 0
	s_branch .LBB191_2381
.LBB191_2379:
	s_mov_b64 s[10:11], -1
                                        ; implicit-def: $vgpr10
	s_branch .LBB191_2384
.LBB191_2380:
	s_mov_b64 s[10:11], -1
                                        ; implicit-def: $vgpr10
.LBB191_2381:
	s_andn2_b64 vcc, exec, s[10:11]
	s_cbranch_vccnz .LBB191_2383
; %bb.2382:
	global_load_ushort v10, v[8:9], off
.LBB191_2383:
	s_mov_b64 s[10:11], 0
.LBB191_2384:
	s_andn2_b64 vcc, exec, s[10:11]
	s_cbranch_vccnz .LBB191_2390
; %bb.2385:
	global_load_ubyte v11, v[8:9], off
	s_movk_i32 s10, 0x7f
	s_mov_b64 s[16:17], 0
	s_waitcnt vmcnt(0)
	v_cmp_lt_i16_e32 vcc, s10, v11
	s_and_saveexec_b64 s[10:11], vcc
	s_xor_b64 s[10:11], exec, s[10:11]
	s_cbranch_execz .LBB191_2402
; %bb.2386:
	s_movk_i32 s16, 0x80
	v_cmp_ne_u16_e32 vcc, s16, v11
	s_and_b64 s[16:17], vcc, exec
	s_andn2_saveexec_b64 s[10:11], s[10:11]
	s_cbranch_execnz .LBB191_2403
.LBB191_2387:
	s_or_b64 exec, exec, s[10:11]
	v_mov_b32_e32 v10, 0
	s_and_saveexec_b64 s[10:11], s[16:17]
	s_cbranch_execz .LBB191_2389
.LBB191_2388:
	v_lshlrev_b32_e32 v10, 24, v11
	v_and_b32_e32 v11, 0xffff, v11
	v_and_b32_e32 v13, 7, v11
	v_ffbh_u32_e32 v17, v13
	v_min_u32_e32 v17, 32, v17
	v_subrev_u32_e32 v18, 28, v17
	v_bfe_u32 v15, v11, 3, 4
	v_lshlrev_b32_e32 v11, v18, v11
	v_sub_u32_e32 v17, 29, v17
	v_and_b32_e32 v11, 7, v11
	v_cmp_eq_u32_e32 vcc, 0, v15
	v_cndmask_b32_e32 v15, v15, v17, vcc
	v_cndmask_b32_e32 v11, v13, v11, vcc
	v_mov_b32_e32 v13, 0x3b800000
	v_lshlrev_b32_e32 v11, 20, v11
	v_and_b32_e32 v10, 0x80000000, v10
	v_lshl_add_u32 v13, v15, 23, v13
	v_or3_b32 v10, v10, v13, v11
	v_cvt_i32_f32_e32 v10, v10
.LBB191_2389:
	s_or_b64 exec, exec, s[10:11]
.LBB191_2390:
	s_mov_b64 s[10:11], -1
.LBB191_2391:
	s_mov_b64 s[16:17], 0
.LBB191_2392:
	s_and_b64 vcc, exec, s[16:17]
	s_cbranch_vccz .LBB191_2423
; %bb.2393:
	s_cmp_gt_i32 s18, 22
	s_cbranch_scc0 .LBB191_2401
; %bb.2394:
	s_cmp_lt_i32 s18, 24
	s_cbranch_scc1 .LBB191_2404
; %bb.2395:
	s_cmp_gt_i32 s18, 24
	s_cbranch_scc0 .LBB191_2405
; %bb.2396:
	global_load_ubyte v11, v[8:9], off
	s_movk_i32 s6, 0x7f
	s_mov_b64 s[10:11], 0
	s_waitcnt vmcnt(0)
	v_cmp_lt_i16_e32 vcc, s6, v11
	s_and_saveexec_b64 s[6:7], vcc
	s_xor_b64 s[6:7], exec, s[6:7]
	s_cbranch_execz .LBB191_2417
; %bb.2397:
	s_movk_i32 s10, 0x80
	v_cmp_ne_u16_e32 vcc, s10, v11
	s_and_b64 s[10:11], vcc, exec
	s_andn2_saveexec_b64 s[6:7], s[6:7]
	s_cbranch_execnz .LBB191_2418
.LBB191_2398:
	s_or_b64 exec, exec, s[6:7]
	v_mov_b32_e32 v10, 0
	s_and_saveexec_b64 s[6:7], s[10:11]
	s_cbranch_execz .LBB191_2400
.LBB191_2399:
	v_lshlrev_b32_e32 v10, 24, v11
	v_and_b32_e32 v11, 0xffff, v11
	v_and_b32_e32 v13, 3, v11
	v_ffbh_u32_e32 v17, v13
	v_min_u32_e32 v17, 32, v17
	v_subrev_u32_e32 v18, 29, v17
	v_bfe_u32 v15, v11, 2, 5
	v_lshlrev_b32_e32 v11, v18, v11
	v_sub_u32_e32 v17, 30, v17
	v_and_b32_e32 v11, 3, v11
	v_cmp_eq_u32_e32 vcc, 0, v15
	v_cndmask_b32_e32 v15, v15, v17, vcc
	v_cndmask_b32_e32 v11, v13, v11, vcc
	v_mov_b32_e32 v13, 0x37800000
	v_lshlrev_b32_e32 v11, 21, v11
	v_and_b32_e32 v10, 0x80000000, v10
	v_lshl_add_u32 v13, v15, 23, v13
	v_or3_b32 v10, v10, v13, v11
	v_cvt_i32_f32_e32 v10, v10
.LBB191_2400:
	s_or_b64 exec, exec, s[6:7]
	s_mov_b64 s[6:7], 0
	s_branch .LBB191_2406
.LBB191_2401:
	s_mov_b64 s[6:7], -1
                                        ; implicit-def: $vgpr10
	s_branch .LBB191_2412
.LBB191_2402:
	s_andn2_saveexec_b64 s[10:11], s[10:11]
	s_cbranch_execz .LBB191_2387
.LBB191_2403:
	v_cmp_ne_u16_e32 vcc, 0, v11
	s_andn2_b64 s[16:17], s[16:17], exec
	s_and_b64 s[24:25], vcc, exec
	s_or_b64 s[16:17], s[16:17], s[24:25]
	s_or_b64 exec, exec, s[10:11]
	v_mov_b32_e32 v10, 0
	s_and_saveexec_b64 s[10:11], s[16:17]
	s_cbranch_execnz .LBB191_2388
	s_branch .LBB191_2389
.LBB191_2404:
	s_mov_b64 s[6:7], -1
                                        ; implicit-def: $vgpr10
	s_branch .LBB191_2409
.LBB191_2405:
	s_mov_b64 s[6:7], -1
                                        ; implicit-def: $vgpr10
.LBB191_2406:
	s_and_b64 vcc, exec, s[6:7]
	s_cbranch_vccz .LBB191_2408
; %bb.2407:
	global_load_ubyte v10, v[8:9], off
	s_mov_b32 s6, 0x7f800000
	s_waitcnt vmcnt(0)
	v_lshlrev_b32_e32 v10, 24, v10
	v_and_b32_e32 v11, 0x7f000000, v10
	v_ffbh_u32_e32 v13, v11
	v_min_u32_e32 v13, 32, v13
	v_sub_u32_e64 v13, v13, 4 clamp
	v_lshlrev_b32_e32 v17, v13, v11
	v_lshlrev_b32_e32 v13, 23, v13
	v_lshrrev_b32_e32 v17, 4, v17
	v_add_u32_e32 v15, 0x1000000, v11
	v_sub_u32_e32 v13, v17, v13
	v_ashrrev_i32_e32 v15, 8, v15
	v_add_u32_e32 v13, 0x3c000000, v13
	v_and_or_b32 v13, v15, s6, v13
	v_cmp_ne_u32_e32 vcc, 0, v11
	v_cndmask_b32_e32 v11, 0, v13, vcc
	s_brev_b32 s6, 1
	v_and_or_b32 v10, v10, s6, v11
	v_cvt_i32_f32_e32 v10, v10
.LBB191_2408:
	s_mov_b64 s[6:7], 0
.LBB191_2409:
	s_andn2_b64 vcc, exec, s[6:7]
	s_cbranch_vccnz .LBB191_2411
; %bb.2410:
	global_load_ubyte v10, v[8:9], off
	s_movk_i32 s6, 0x7f00
	s_brev_b32 s7, 16
	s_waitcnt vmcnt(0)
	v_lshlrev_b16_e32 v11, 8, v10
	v_lshlrev_b32_e32 v10, 25, v10
	v_lshrrev_b32_e32 v13, 4, v10
	v_and_or_b32 v15, v11, s6, 0.5
	v_or_b32_e32 v13, 0x70000000, v13
	v_add_f32_e32 v15, -0.5, v15
	v_mul_f32_e32 v13, 0x7800000, v13
	v_cmp_gt_u32_e32 vcc, s7, v10
	v_bfe_i32 v11, v11, 0, 16
	v_cndmask_b32_e32 v10, v13, v15, vcc
	s_brev_b32 s6, 1
	v_and_or_b32 v10, v11, s6, v10
	v_cvt_i32_f32_e32 v10, v10
.LBB191_2411:
	s_mov_b64 s[6:7], 0
	s_mov_b64 s[10:11], -1
.LBB191_2412:
	s_andn2_b64 vcc, exec, s[6:7]
	s_mov_b64 s[6:7], 0
	s_cbranch_vccnz .LBB191_2423
; %bb.2413:
	s_cmp_gt_i32 s18, 14
	s_cbranch_scc0 .LBB191_2416
; %bb.2414:
	s_cmp_eq_u32 s18, 15
	s_cbranch_scc0 .LBB191_2419
; %bb.2415:
	global_load_ushort v10, v[8:9], off
	s_mov_b64 s[2:3], 0
	s_mov_b64 s[10:11], -1
	s_waitcnt vmcnt(0)
	v_lshlrev_b32_e32 v10, 16, v10
	v_cvt_i32_f32_e32 v10, v10
	s_branch .LBB191_2420
.LBB191_2416:
	s_mov_b64 s[16:17], -1
                                        ; implicit-def: $vgpr10
	s_branch .LBB191_2421
.LBB191_2417:
	s_andn2_saveexec_b64 s[6:7], s[6:7]
	s_cbranch_execz .LBB191_2398
.LBB191_2418:
	v_cmp_ne_u16_e32 vcc, 0, v11
	s_andn2_b64 s[10:11], s[10:11], exec
	s_and_b64 s[16:17], vcc, exec
	s_or_b64 s[10:11], s[10:11], s[16:17]
	s_or_b64 exec, exec, s[6:7]
	v_mov_b32_e32 v10, 0
	s_and_saveexec_b64 s[6:7], s[10:11]
	s_cbranch_execnz .LBB191_2399
	s_branch .LBB191_2400
.LBB191_2419:
	s_mov_b64 s[2:3], -1
                                        ; implicit-def: $vgpr10
.LBB191_2420:
	s_mov_b64 s[16:17], 0
.LBB191_2421:
	s_and_b64 vcc, exec, s[16:17]
	s_cbranch_vccz .LBB191_2423
; %bb.2422:
	s_cmp_lg_u32 s18, 11
	s_mov_b64 s[6:7], -1
	s_cselect_b64 s[2:3], -1, 0
.LBB191_2423:
	s_and_b64 vcc, exec, s[2:3]
	s_cbranch_vccnz .LBB191_2488
; %bb.2424:
	s_andn2_b64 vcc, exec, s[6:7]
	s_cbranch_vccnz .LBB191_2426
.LBB191_2425:
	global_load_ubyte v10, v[8:9], off
	s_mov_b64 s[10:11], -1
	s_waitcnt vmcnt(0)
	v_cmp_ne_u16_e32 vcc, 0, v10
	v_cndmask_b32_e64 v10, 0, 1, vcc
.LBB191_2426:
	s_mov_b64 s[2:3], 0
.LBB191_2427:
	s_and_b64 vcc, exec, s[2:3]
	s_cbranch_vccz .LBB191_2476
; %bb.2428:
	s_and_b32 s6, 0xffff, s22
	s_cmp_lt_i32 s6, 5
	s_cbranch_scc1 .LBB191_2433
; %bb.2429:
	s_cmp_lt_i32 s6, 8
	s_cbranch_scc1 .LBB191_2434
; %bb.2430:
	;; [unrolled: 3-line block ×3, first 2 shown]
	s_cmp_gt_i32 s6, 9
	s_cbranch_scc0 .LBB191_2436
; %bb.2432:
	global_load_dwordx2 v[10:11], v[8:9], off
	s_mov_b64 s[2:3], 0
	s_waitcnt vmcnt(0)
	v_cvt_i32_f64_e32 v10, v[10:11]
	s_branch .LBB191_2437
.LBB191_2433:
	s_mov_b64 s[2:3], -1
                                        ; implicit-def: $vgpr10
	s_branch .LBB191_2455
.LBB191_2434:
	s_mov_b64 s[2:3], -1
                                        ; implicit-def: $vgpr10
	s_branch .LBB191_2443
.LBB191_2435:
	s_mov_b64 s[2:3], -1
                                        ; implicit-def: $vgpr10
	s_branch .LBB191_2440
.LBB191_2436:
	s_mov_b64 s[2:3], -1
                                        ; implicit-def: $vgpr10
.LBB191_2437:
	s_andn2_b64 vcc, exec, s[2:3]
	s_cbranch_vccnz .LBB191_2439
; %bb.2438:
	global_load_dword v10, v[8:9], off
	s_waitcnt vmcnt(0)
	v_cvt_i32_f32_e32 v10, v10
.LBB191_2439:
	s_mov_b64 s[2:3], 0
.LBB191_2440:
	s_andn2_b64 vcc, exec, s[2:3]
	s_cbranch_vccnz .LBB191_2442
; %bb.2441:
	global_load_dword v10, v[8:9], off
	s_waitcnt vmcnt(0)
	v_cvt_f32_f16_e32 v10, v10
	v_cvt_i32_f32_e32 v10, v10
.LBB191_2442:
	s_mov_b64 s[2:3], 0
.LBB191_2443:
	s_andn2_b64 vcc, exec, s[2:3]
	s_cbranch_vccnz .LBB191_2454
; %bb.2444:
	s_cmp_lt_i32 s6, 6
	s_cbranch_scc1 .LBB191_2447
; %bb.2445:
	s_cmp_gt_i32 s6, 6
	s_cbranch_scc0 .LBB191_2448
; %bb.2446:
	global_load_dwordx2 v[10:11], v[8:9], off
	s_mov_b64 s[2:3], 0
	s_waitcnt vmcnt(0)
	v_cvt_i32_f64_e32 v10, v[10:11]
	s_branch .LBB191_2449
.LBB191_2447:
	s_mov_b64 s[2:3], -1
                                        ; implicit-def: $vgpr10
	s_branch .LBB191_2452
.LBB191_2448:
	s_mov_b64 s[2:3], -1
                                        ; implicit-def: $vgpr10
.LBB191_2449:
	s_andn2_b64 vcc, exec, s[2:3]
	s_cbranch_vccnz .LBB191_2451
; %bb.2450:
	global_load_dword v10, v[8:9], off
	s_waitcnt vmcnt(0)
	v_cvt_i32_f32_e32 v10, v10
.LBB191_2451:
	s_mov_b64 s[2:3], 0
.LBB191_2452:
	s_andn2_b64 vcc, exec, s[2:3]
	s_cbranch_vccnz .LBB191_2454
; %bb.2453:
	global_load_ushort v10, v[8:9], off
	s_waitcnt vmcnt(0)
	v_cvt_f32_f16_e32 v10, v10
	v_cvt_i32_f32_e32 v10, v10
.LBB191_2454:
	s_mov_b64 s[2:3], 0
.LBB191_2455:
	s_andn2_b64 vcc, exec, s[2:3]
	s_cbranch_vccnz .LBB191_2475
; %bb.2456:
	s_cmp_lt_i32 s6, 2
	s_cbranch_scc1 .LBB191_2460
; %bb.2457:
	s_cmp_lt_i32 s6, 3
	s_cbranch_scc1 .LBB191_2461
; %bb.2458:
	s_cmp_gt_i32 s6, 3
	s_cbranch_scc0 .LBB191_2462
; %bb.2459:
	global_load_dword v10, v[8:9], off
	s_mov_b64 s[2:3], 0
	s_branch .LBB191_2463
.LBB191_2460:
	s_mov_b64 s[2:3], -1
                                        ; implicit-def: $vgpr10
	s_branch .LBB191_2469
.LBB191_2461:
	s_mov_b64 s[2:3], -1
                                        ; implicit-def: $vgpr10
	s_branch .LBB191_2466
.LBB191_2462:
	s_mov_b64 s[2:3], -1
                                        ; implicit-def: $vgpr10
.LBB191_2463:
	s_andn2_b64 vcc, exec, s[2:3]
	s_cbranch_vccnz .LBB191_2465
; %bb.2464:
	global_load_dword v10, v[8:9], off
.LBB191_2465:
	s_mov_b64 s[2:3], 0
.LBB191_2466:
	s_andn2_b64 vcc, exec, s[2:3]
	s_cbranch_vccnz .LBB191_2468
; %bb.2467:
	global_load_sshort v10, v[8:9], off
.LBB191_2468:
	s_mov_b64 s[2:3], 0
.LBB191_2469:
	s_andn2_b64 vcc, exec, s[2:3]
	s_cbranch_vccnz .LBB191_2475
; %bb.2470:
	s_cmp_gt_i32 s6, 0
	s_cbranch_scc0 .LBB191_2472
; %bb.2471:
	global_load_sbyte v10, v[8:9], off
	s_mov_b64 s[2:3], 0
	s_branch .LBB191_2473
.LBB191_2472:
	s_mov_b64 s[2:3], -1
                                        ; implicit-def: $vgpr10
.LBB191_2473:
	s_andn2_b64 vcc, exec, s[2:3]
	s_cbranch_vccnz .LBB191_2475
; %bb.2474:
	global_load_ubyte v10, v[8:9], off
.LBB191_2475:
	s_mov_b64 s[10:11], -1
.LBB191_2476:
	s_andn2_b64 vcc, exec, s[10:11]
	s_cbranch_vccnz .LBB191_3036
; %bb.2477:
	v_mov_b32_e32 v8, s1
	v_add_co_u32_e32 v7, vcc, s0, v7
	s_cmp_lt_i32 s21, 11
	v_addc_co_u32_e32 v8, vcc, 0, v8, vcc
	s_cbranch_scc1 .LBB191_2484
; %bb.2478:
	s_cmp_gt_i32 s21, 25
	s_mov_b64 s[2:3], 0
	s_cbranch_scc0 .LBB191_2485
; %bb.2479:
	s_cmp_gt_i32 s21, 28
	s_cbranch_scc0 .LBB191_2486
; %bb.2480:
	s_cmp_gt_i32 s21, 43
	;; [unrolled: 3-line block ×3, first 2 shown]
	s_cbranch_scc0 .LBB191_2489
; %bb.2482:
	s_cmp_eq_u32 s21, 46
	s_mov_b64 s[10:11], 0
	s_cbranch_scc0 .LBB191_2490
; %bb.2483:
	global_load_dword v9, v[7:8], off
	s_mov_b64 s[0:1], 0
	s_mov_b64 s[6:7], -1
	s_waitcnt vmcnt(0)
	v_lshlrev_b32_e32 v9, 16, v9
	v_cvt_i32_f32_e32 v9, v9
	s_branch .LBB191_2491
.LBB191_2484:
	s_mov_b64 s[0:1], -1
	s_mov_b64 s[6:7], 0
                                        ; implicit-def: $vgpr9
	s_branch .LBB191_2553
.LBB191_2485:
	s_mov_b64 s[10:11], -1
	s_mov_b64 s[6:7], 0
	s_mov_b64 s[0:1], 0
                                        ; implicit-def: $vgpr9
	s_branch .LBB191_2518
.LBB191_2486:
	s_mov_b64 s[10:11], -1
	s_mov_b64 s[6:7], 0
	s_mov_b64 s[0:1], 0
                                        ; implicit-def: $vgpr9
	s_branch .LBB191_2501
.LBB191_2487:
	s_mov_b64 s[10:11], -1
	s_mov_b64 s[6:7], 0
	s_mov_b64 s[0:1], 0
                                        ; implicit-def: $vgpr9
	s_branch .LBB191_2496
.LBB191_2488:
	s_trap 2
	s_or_b64 s[4:5], s[4:5], exec
	s_cbranch_execz .LBB191_2425
	s_branch .LBB191_2426
.LBB191_2489:
	s_mov_b64 s[10:11], -1
	s_mov_b64 s[6:7], 0
	s_mov_b64 s[0:1], 0
                                        ; implicit-def: $vgpr9
	s_branch .LBB191_2491
.LBB191_2490:
	s_mov_b64 s[0:1], -1
                                        ; implicit-def: $vgpr9
	s_mov_b64 s[6:7], 0
.LBB191_2491:
	s_and_b64 vcc, exec, s[10:11]
	s_cbranch_vccz .LBB191_2495
; %bb.2492:
	s_cmp_eq_u32 s21, 44
	s_cbranch_scc0 .LBB191_2494
; %bb.2493:
	global_load_ubyte v9, v[7:8], off
	s_mov_b64 s[0:1], 0
	s_mov_b64 s[6:7], -1
	s_waitcnt vmcnt(0)
	v_lshlrev_b32_e32 v11, 23, v9
	v_cvt_i32_f32_e32 v11, v11
	v_cmp_ne_u32_e32 vcc, 0, v9
	v_cndmask_b32_e32 v9, 0, v11, vcc
	s_branch .LBB191_2495
.LBB191_2494:
	s_mov_b64 s[0:1], -1
                                        ; implicit-def: $vgpr9
.LBB191_2495:
	s_mov_b64 s[10:11], 0
.LBB191_2496:
	s_and_b64 vcc, exec, s[10:11]
	s_cbranch_vccz .LBB191_2500
; %bb.2497:
	s_cmp_eq_u32 s21, 29
	s_cbranch_scc0 .LBB191_2499
; %bb.2498:
	global_load_dword v9, v[7:8], off
	s_mov_b64 s[0:1], 0
	s_mov_b64 s[6:7], -1
	s_branch .LBB191_2500
.LBB191_2499:
	s_mov_b64 s[0:1], -1
                                        ; implicit-def: $vgpr9
.LBB191_2500:
	s_mov_b64 s[10:11], 0
.LBB191_2501:
	s_and_b64 vcc, exec, s[10:11]
	s_cbranch_vccz .LBB191_2517
; %bb.2502:
	s_cmp_lt_i32 s21, 27
	s_cbranch_scc1 .LBB191_2505
; %bb.2503:
	s_cmp_gt_i32 s21, 27
	s_cbranch_scc0 .LBB191_2506
; %bb.2504:
	global_load_dword v9, v[7:8], off
	s_mov_b64 s[6:7], 0
	s_branch .LBB191_2507
.LBB191_2505:
	s_mov_b64 s[6:7], -1
                                        ; implicit-def: $vgpr9
	s_branch .LBB191_2510
.LBB191_2506:
	s_mov_b64 s[6:7], -1
                                        ; implicit-def: $vgpr9
.LBB191_2507:
	s_andn2_b64 vcc, exec, s[6:7]
	s_cbranch_vccnz .LBB191_2509
; %bb.2508:
	global_load_ushort v9, v[7:8], off
.LBB191_2509:
	s_mov_b64 s[6:7], 0
.LBB191_2510:
	s_andn2_b64 vcc, exec, s[6:7]
	s_cbranch_vccnz .LBB191_2516
; %bb.2511:
	global_load_ubyte v11, v[7:8], off
	s_movk_i32 s6, 0x7f
	s_mov_b64 s[10:11], 0
	s_waitcnt vmcnt(0)
	v_cmp_lt_i16_e32 vcc, s6, v11
	s_and_saveexec_b64 s[6:7], vcc
	s_xor_b64 s[6:7], exec, s[6:7]
	s_cbranch_execz .LBB191_2528
; %bb.2512:
	s_movk_i32 s10, 0x80
	v_cmp_ne_u16_e32 vcc, s10, v11
	s_and_b64 s[10:11], vcc, exec
	s_andn2_saveexec_b64 s[6:7], s[6:7]
	s_cbranch_execnz .LBB191_2529
.LBB191_2513:
	s_or_b64 exec, exec, s[6:7]
	v_mov_b32_e32 v9, 0
	s_and_saveexec_b64 s[6:7], s[10:11]
	s_cbranch_execz .LBB191_2515
.LBB191_2514:
	v_lshlrev_b32_e32 v9, 24, v11
	v_and_b32_e32 v11, 0xffff, v11
	v_and_b32_e32 v13, 7, v11
	v_ffbh_u32_e32 v17, v13
	v_min_u32_e32 v17, 32, v17
	v_subrev_u32_e32 v18, 28, v17
	v_bfe_u32 v15, v11, 3, 4
	v_lshlrev_b32_e32 v11, v18, v11
	v_sub_u32_e32 v17, 29, v17
	v_and_b32_e32 v11, 7, v11
	v_cmp_eq_u32_e32 vcc, 0, v15
	v_cndmask_b32_e32 v15, v15, v17, vcc
	v_cndmask_b32_e32 v11, v13, v11, vcc
	v_mov_b32_e32 v13, 0x3b800000
	v_lshlrev_b32_e32 v11, 20, v11
	v_and_b32_e32 v9, 0x80000000, v9
	v_lshl_add_u32 v13, v15, 23, v13
	v_or3_b32 v9, v9, v13, v11
	v_cvt_i32_f32_e32 v9, v9
.LBB191_2515:
	s_or_b64 exec, exec, s[6:7]
.LBB191_2516:
	s_mov_b64 s[6:7], -1
.LBB191_2517:
	s_mov_b64 s[10:11], 0
.LBB191_2518:
	s_and_b64 vcc, exec, s[10:11]
	s_cbranch_vccz .LBB191_2549
; %bb.2519:
	s_cmp_gt_i32 s21, 22
	s_cbranch_scc0 .LBB191_2527
; %bb.2520:
	s_cmp_lt_i32 s21, 24
	s_cbranch_scc1 .LBB191_2530
; %bb.2521:
	s_cmp_gt_i32 s21, 24
	s_cbranch_scc0 .LBB191_2531
; %bb.2522:
	global_load_ubyte v11, v[7:8], off
	s_movk_i32 s2, 0x7f
	s_mov_b64 s[6:7], 0
	s_waitcnt vmcnt(0)
	v_cmp_lt_i16_e32 vcc, s2, v11
	s_and_saveexec_b64 s[2:3], vcc
	s_xor_b64 s[2:3], exec, s[2:3]
	s_cbranch_execz .LBB191_2543
; %bb.2523:
	s_movk_i32 s6, 0x80
	v_cmp_ne_u16_e32 vcc, s6, v11
	s_and_b64 s[6:7], vcc, exec
	s_andn2_saveexec_b64 s[2:3], s[2:3]
	s_cbranch_execnz .LBB191_2544
.LBB191_2524:
	s_or_b64 exec, exec, s[2:3]
	v_mov_b32_e32 v9, 0
	s_and_saveexec_b64 s[2:3], s[6:7]
	s_cbranch_execz .LBB191_2526
.LBB191_2525:
	v_lshlrev_b32_e32 v9, 24, v11
	v_and_b32_e32 v11, 0xffff, v11
	v_and_b32_e32 v13, 3, v11
	v_ffbh_u32_e32 v17, v13
	v_min_u32_e32 v17, 32, v17
	v_subrev_u32_e32 v18, 29, v17
	v_bfe_u32 v15, v11, 2, 5
	v_lshlrev_b32_e32 v11, v18, v11
	v_sub_u32_e32 v17, 30, v17
	v_and_b32_e32 v11, 3, v11
	v_cmp_eq_u32_e32 vcc, 0, v15
	v_cndmask_b32_e32 v15, v15, v17, vcc
	v_cndmask_b32_e32 v11, v13, v11, vcc
	v_mov_b32_e32 v13, 0x37800000
	v_lshlrev_b32_e32 v11, 21, v11
	v_and_b32_e32 v9, 0x80000000, v9
	v_lshl_add_u32 v13, v15, 23, v13
	v_or3_b32 v9, v9, v13, v11
	v_cvt_i32_f32_e32 v9, v9
.LBB191_2526:
	s_or_b64 exec, exec, s[2:3]
	s_mov_b64 s[2:3], 0
	s_branch .LBB191_2532
.LBB191_2527:
	s_mov_b64 s[2:3], -1
                                        ; implicit-def: $vgpr9
	s_branch .LBB191_2538
.LBB191_2528:
	s_andn2_saveexec_b64 s[6:7], s[6:7]
	s_cbranch_execz .LBB191_2513
.LBB191_2529:
	v_cmp_ne_u16_e32 vcc, 0, v11
	s_andn2_b64 s[10:11], s[10:11], exec
	s_and_b64 s[16:17], vcc, exec
	s_or_b64 s[10:11], s[10:11], s[16:17]
	s_or_b64 exec, exec, s[6:7]
	v_mov_b32_e32 v9, 0
	s_and_saveexec_b64 s[6:7], s[10:11]
	s_cbranch_execnz .LBB191_2514
	s_branch .LBB191_2515
.LBB191_2530:
	s_mov_b64 s[2:3], -1
                                        ; implicit-def: $vgpr9
	s_branch .LBB191_2535
.LBB191_2531:
	s_mov_b64 s[2:3], -1
                                        ; implicit-def: $vgpr9
.LBB191_2532:
	s_and_b64 vcc, exec, s[2:3]
	s_cbranch_vccz .LBB191_2534
; %bb.2533:
	global_load_ubyte v9, v[7:8], off
	s_mov_b32 s2, 0x7f800000
	s_waitcnt vmcnt(0)
	v_lshlrev_b32_e32 v9, 24, v9
	v_and_b32_e32 v11, 0x7f000000, v9
	v_ffbh_u32_e32 v13, v11
	v_min_u32_e32 v13, 32, v13
	v_sub_u32_e64 v13, v13, 4 clamp
	v_lshlrev_b32_e32 v17, v13, v11
	v_lshlrev_b32_e32 v13, 23, v13
	v_lshrrev_b32_e32 v17, 4, v17
	v_add_u32_e32 v15, 0x1000000, v11
	v_sub_u32_e32 v13, v17, v13
	v_ashrrev_i32_e32 v15, 8, v15
	v_add_u32_e32 v13, 0x3c000000, v13
	v_and_or_b32 v13, v15, s2, v13
	v_cmp_ne_u32_e32 vcc, 0, v11
	v_cndmask_b32_e32 v11, 0, v13, vcc
	s_brev_b32 s2, 1
	v_and_or_b32 v9, v9, s2, v11
	v_cvt_i32_f32_e32 v9, v9
.LBB191_2534:
	s_mov_b64 s[2:3], 0
.LBB191_2535:
	s_andn2_b64 vcc, exec, s[2:3]
	s_cbranch_vccnz .LBB191_2537
; %bb.2536:
	global_load_ubyte v9, v[7:8], off
	s_movk_i32 s2, 0x7f00
	s_brev_b32 s3, 16
	s_waitcnt vmcnt(0)
	v_lshlrev_b16_e32 v11, 8, v9
	v_lshlrev_b32_e32 v9, 25, v9
	v_lshrrev_b32_e32 v13, 4, v9
	v_and_or_b32 v15, v11, s2, 0.5
	v_or_b32_e32 v13, 0x70000000, v13
	v_add_f32_e32 v15, -0.5, v15
	v_mul_f32_e32 v13, 0x7800000, v13
	v_cmp_gt_u32_e32 vcc, s3, v9
	v_bfe_i32 v11, v11, 0, 16
	v_cndmask_b32_e32 v9, v13, v15, vcc
	s_brev_b32 s2, 1
	v_and_or_b32 v9, v11, s2, v9
	v_cvt_i32_f32_e32 v9, v9
.LBB191_2537:
	s_mov_b64 s[2:3], 0
	s_mov_b64 s[6:7], -1
.LBB191_2538:
	s_andn2_b64 vcc, exec, s[2:3]
	s_mov_b64 s[2:3], 0
	s_cbranch_vccnz .LBB191_2549
; %bb.2539:
	s_cmp_gt_i32 s21, 14
	s_cbranch_scc0 .LBB191_2542
; %bb.2540:
	s_cmp_eq_u32 s21, 15
	s_cbranch_scc0 .LBB191_2545
; %bb.2541:
	global_load_ushort v9, v[7:8], off
	s_mov_b64 s[0:1], 0
	s_mov_b64 s[6:7], -1
	s_waitcnt vmcnt(0)
	v_lshlrev_b32_e32 v9, 16, v9
	v_cvt_i32_f32_e32 v9, v9
	s_branch .LBB191_2546
.LBB191_2542:
	s_mov_b64 s[10:11], -1
                                        ; implicit-def: $vgpr9
	s_branch .LBB191_2547
.LBB191_2543:
	s_andn2_saveexec_b64 s[2:3], s[2:3]
	s_cbranch_execz .LBB191_2524
.LBB191_2544:
	v_cmp_ne_u16_e32 vcc, 0, v11
	s_andn2_b64 s[6:7], s[6:7], exec
	s_and_b64 s[10:11], vcc, exec
	s_or_b64 s[6:7], s[6:7], s[10:11]
	s_or_b64 exec, exec, s[2:3]
	v_mov_b32_e32 v9, 0
	s_and_saveexec_b64 s[2:3], s[6:7]
	s_cbranch_execnz .LBB191_2525
	s_branch .LBB191_2526
.LBB191_2545:
	s_mov_b64 s[0:1], -1
                                        ; implicit-def: $vgpr9
.LBB191_2546:
	s_mov_b64 s[10:11], 0
.LBB191_2547:
	s_and_b64 vcc, exec, s[10:11]
	s_cbranch_vccz .LBB191_2549
; %bb.2548:
	s_cmp_lg_u32 s21, 11
	s_mov_b64 s[2:3], -1
	s_cselect_b64 s[0:1], -1, 0
.LBB191_2549:
	s_and_b64 vcc, exec, s[0:1]
	s_cbranch_vccnz .LBB191_3082
; %bb.2550:
	s_andn2_b64 vcc, exec, s[2:3]
	s_cbranch_vccnz .LBB191_2552
.LBB191_2551:
	global_load_ubyte v9, v[7:8], off
	s_mov_b64 s[6:7], -1
	s_waitcnt vmcnt(0)
	v_cmp_ne_u16_e32 vcc, 0, v9
	v_cndmask_b32_e64 v9, 0, 1, vcc
.LBB191_2552:
	s_mov_b64 s[0:1], 0
.LBB191_2553:
	s_and_b64 vcc, exec, s[0:1]
	s_cbranch_vccz .LBB191_2602
; %bb.2554:
	s_cmp_lt_i32 s21, 5
	s_cbranch_scc1 .LBB191_2559
; %bb.2555:
	s_cmp_lt_i32 s21, 8
	s_cbranch_scc1 .LBB191_2560
	;; [unrolled: 3-line block ×3, first 2 shown]
; %bb.2557:
	s_cmp_gt_i32 s21, 9
	s_cbranch_scc0 .LBB191_2562
; %bb.2558:
	global_load_dwordx2 v[17:18], v[7:8], off
	s_mov_b64 s[0:1], 0
	s_waitcnt vmcnt(0)
	v_cvt_i32_f64_e32 v9, v[17:18]
	s_branch .LBB191_2563
.LBB191_2559:
	s_mov_b64 s[0:1], -1
                                        ; implicit-def: $vgpr9
	s_branch .LBB191_2581
.LBB191_2560:
	s_mov_b64 s[0:1], -1
                                        ; implicit-def: $vgpr9
	s_branch .LBB191_2569
.LBB191_2561:
	s_mov_b64 s[0:1], -1
                                        ; implicit-def: $vgpr9
	s_branch .LBB191_2566
.LBB191_2562:
	s_mov_b64 s[0:1], -1
                                        ; implicit-def: $vgpr9
.LBB191_2563:
	s_andn2_b64 vcc, exec, s[0:1]
	s_cbranch_vccnz .LBB191_2565
; %bb.2564:
	global_load_dword v9, v[7:8], off
	s_waitcnt vmcnt(0)
	v_cvt_i32_f32_e32 v9, v9
.LBB191_2565:
	s_mov_b64 s[0:1], 0
.LBB191_2566:
	s_andn2_b64 vcc, exec, s[0:1]
	s_cbranch_vccnz .LBB191_2568
; %bb.2567:
	global_load_dword v9, v[7:8], off
	s_waitcnt vmcnt(0)
	v_cvt_f32_f16_e32 v9, v9
	v_cvt_i32_f32_e32 v9, v9
.LBB191_2568:
	s_mov_b64 s[0:1], 0
.LBB191_2569:
	s_andn2_b64 vcc, exec, s[0:1]
	s_cbranch_vccnz .LBB191_2580
; %bb.2570:
	s_cmp_lt_i32 s21, 6
	s_cbranch_scc1 .LBB191_2573
; %bb.2571:
	s_cmp_gt_i32 s21, 6
	s_cbranch_scc0 .LBB191_2574
; %bb.2572:
	global_load_dwordx2 v[17:18], v[7:8], off
	s_mov_b64 s[0:1], 0
	s_waitcnt vmcnt(0)
	v_cvt_i32_f64_e32 v9, v[17:18]
	s_branch .LBB191_2575
.LBB191_2573:
	s_mov_b64 s[0:1], -1
                                        ; implicit-def: $vgpr9
	s_branch .LBB191_2578
.LBB191_2574:
	s_mov_b64 s[0:1], -1
                                        ; implicit-def: $vgpr9
.LBB191_2575:
	s_andn2_b64 vcc, exec, s[0:1]
	s_cbranch_vccnz .LBB191_2577
; %bb.2576:
	global_load_dword v9, v[7:8], off
	s_waitcnt vmcnt(0)
	v_cvt_i32_f32_e32 v9, v9
.LBB191_2577:
	s_mov_b64 s[0:1], 0
.LBB191_2578:
	s_andn2_b64 vcc, exec, s[0:1]
	s_cbranch_vccnz .LBB191_2580
; %bb.2579:
	global_load_ushort v9, v[7:8], off
	s_waitcnt vmcnt(0)
	v_cvt_f32_f16_e32 v9, v9
	v_cvt_i32_f32_e32 v9, v9
.LBB191_2580:
	s_mov_b64 s[0:1], 0
.LBB191_2581:
	s_andn2_b64 vcc, exec, s[0:1]
	s_cbranch_vccnz .LBB191_2601
; %bb.2582:
	s_cmp_lt_i32 s21, 2
	s_cbranch_scc1 .LBB191_2586
; %bb.2583:
	s_cmp_lt_i32 s21, 3
	s_cbranch_scc1 .LBB191_2587
; %bb.2584:
	s_cmp_gt_i32 s21, 3
	s_cbranch_scc0 .LBB191_2588
; %bb.2585:
	global_load_dword v9, v[7:8], off
	s_mov_b64 s[0:1], 0
	s_branch .LBB191_2589
.LBB191_2586:
	s_mov_b64 s[0:1], -1
                                        ; implicit-def: $vgpr9
	s_branch .LBB191_2595
.LBB191_2587:
	s_mov_b64 s[0:1], -1
                                        ; implicit-def: $vgpr9
	s_branch .LBB191_2592
.LBB191_2588:
	s_mov_b64 s[0:1], -1
                                        ; implicit-def: $vgpr9
.LBB191_2589:
	s_andn2_b64 vcc, exec, s[0:1]
	s_cbranch_vccnz .LBB191_2591
; %bb.2590:
	global_load_dword v9, v[7:8], off
.LBB191_2591:
	s_mov_b64 s[0:1], 0
.LBB191_2592:
	s_andn2_b64 vcc, exec, s[0:1]
	s_cbranch_vccnz .LBB191_2594
; %bb.2593:
	global_load_sshort v9, v[7:8], off
.LBB191_2594:
	s_mov_b64 s[0:1], 0
.LBB191_2595:
	s_andn2_b64 vcc, exec, s[0:1]
	s_cbranch_vccnz .LBB191_2601
; %bb.2596:
	s_cmp_gt_i32 s21, 0
	s_cbranch_scc0 .LBB191_2598
; %bb.2597:
	global_load_sbyte v9, v[7:8], off
	s_mov_b64 s[0:1], 0
	s_branch .LBB191_2599
.LBB191_2598:
	s_mov_b64 s[0:1], -1
                                        ; implicit-def: $vgpr9
.LBB191_2599:
	s_andn2_b64 vcc, exec, s[0:1]
	s_cbranch_vccnz .LBB191_2601
; %bb.2600:
	global_load_ubyte v9, v[7:8], off
.LBB191_2601:
	s_mov_b64 s[6:7], -1
.LBB191_2602:
	s_andn2_b64 vcc, exec, s[6:7]
	s_cbranch_vccnz .LBB191_3036
; %bb.2603:
	s_waitcnt vmcnt(0)
	v_min_u32_e32 v5, 31, v5
	s_bfe_u32 s18, s20, 0x80008
	v_ashrrev_i32_e32 v5, v5, v1
	v_mov_b32_e32 v1, s9
	v_add_co_u32_e32 v7, vcc, s8, v6
	s_cmp_lt_i32 s18, 11
	v_addc_co_u32_e32 v8, vcc, 0, v1, vcc
	s_cbranch_scc1 .LBB191_2681
; %bb.2604:
	s_and_b32 s19, 0xffff, s18
	s_mov_b64 s[10:11], -1
	s_mov_b64 s[2:3], 0
	s_cmp_gt_i32 s19, 25
	s_mov_b64 s[6:7], 0
	s_mov_b64 s[0:1], 0
	s_cbranch_scc0 .LBB191_2637
; %bb.2605:
	s_cmp_gt_i32 s19, 28
	s_cbranch_scc0 .LBB191_2620
; %bb.2606:
	s_cmp_gt_i32 s19, 43
	;; [unrolled: 3-line block ×3, first 2 shown]
	s_cbranch_scc0 .LBB191_2610
; %bb.2608:
	s_mov_b64 s[0:1], -1
	s_mov_b64 s[10:11], 0
	s_cmp_eq_u32 s19, 46
	s_cbranch_scc0 .LBB191_2610
; %bb.2609:
	v_cvt_f32_i32_e32 v1, v5
	s_movk_i32 s6, 0x7fff
	s_mov_b64 s[0:1], 0
	v_bfe_u32 v6, v1, 16, 1
	v_add3_u32 v1, v1, v6, s6
	v_lshrrev_b32_e32 v1, 16, v1
	global_store_dword v[7:8], v1, off
	s_mov_b64 s[6:7], -1
.LBB191_2610:
	s_and_b64 vcc, exec, s[10:11]
	s_cbranch_vccz .LBB191_2615
; %bb.2611:
	s_cmp_eq_u32 s19, 44
	s_mov_b64 s[0:1], -1
	s_cbranch_scc0 .LBB191_2615
; %bb.2612:
	v_cvt_f32_i32_e32 v1, v5
	s_movk_i32 s0, 0xff
	v_mov_b32_e32 v11, 0xff
	v_bfe_u32 v6, v1, 23, 8
	v_cmp_ne_u32_e32 vcc, s0, v6
	s_and_saveexec_b64 s[6:7], vcc
; %bb.2613:
	s_mov_b32 s0, 0x3fffff
	v_lshrrev_b32_e32 v11, 23, v1
	v_and_b32_e32 v13, 0x400000, v1
	v_and_or_b32 v1, v1, s0, v6
	v_cmp_ne_u32_e32 vcc, 0, v13
	v_cmp_ne_u32_e64 s[0:1], 0, v1
	s_and_b64 s[0:1], vcc, s[0:1]
	v_cndmask_b32_e64 v1, 0, 1, s[0:1]
	v_add_u32_e32 v11, v11, v1
; %bb.2614:
	s_or_b64 exec, exec, s[6:7]
	s_mov_b64 s[0:1], 0
	s_mov_b64 s[6:7], -1
	global_store_byte v[7:8], v11, off
.LBB191_2615:
	s_mov_b64 s[10:11], 0
.LBB191_2616:
	s_and_b64 vcc, exec, s[10:11]
	s_cbranch_vccz .LBB191_2619
; %bb.2617:
	s_cmp_eq_u32 s19, 29
	s_mov_b64 s[0:1], -1
	s_cbranch_scc0 .LBB191_2619
; %bb.2618:
	v_ashrrev_i32_e32 v6, 31, v5
	global_store_dwordx2 v[7:8], v[5:6], off
	s_mov_b64 s[0:1], 0
	s_mov_b64 s[6:7], -1
.LBB191_2619:
	s_mov_b64 s[10:11], 0
.LBB191_2620:
	s_and_b64 vcc, exec, s[10:11]
	s_cbranch_vccz .LBB191_2636
; %bb.2621:
	s_cmp_lt_i32 s19, 27
	s_mov_b64 s[6:7], -1
	s_cbranch_scc1 .LBB191_2627
; %bb.2622:
	s_cmp_gt_i32 s19, 27
	s_cbranch_scc0 .LBB191_2624
; %bb.2623:
	s_mov_b64 s[6:7], 0
	global_store_dword v[7:8], v5, off
.LBB191_2624:
	s_andn2_b64 vcc, exec, s[6:7]
	s_cbranch_vccnz .LBB191_2626
; %bb.2625:
	global_store_short v[7:8], v5, off
.LBB191_2626:
	s_mov_b64 s[6:7], 0
.LBB191_2627:
	s_andn2_b64 vcc, exec, s[6:7]
	s_cbranch_vccnz .LBB191_2635
; %bb.2628:
	v_cvt_f32_i32_e32 v1, v5
	s_mov_b32 s6, 0x43800000
	v_mov_b32_e32 v11, 0x80
	v_and_b32_e32 v6, 0x7fffffff, v1
	v_cmp_gt_u32_e32 vcc, s6, v6
	s_and_saveexec_b64 s[6:7], vcc
	s_cbranch_execz .LBB191_2634
; %bb.2629:
	s_mov_b32 s10, 0x3bffffff
	v_cmp_lt_u32_e32 vcc, s10, v6
	s_mov_b64 s[10:11], 0
                                        ; implicit-def: $vgpr6
	s_and_saveexec_b64 s[16:17], vcc
	s_xor_b64 s[16:17], exec, s[16:17]
	s_cbranch_execz .LBB191_3083
; %bb.2630:
	v_bfe_u32 v6, v1, 20, 1
	s_mov_b32 s21, 0x487ffff
	v_add3_u32 v6, v1, v6, s21
	s_mov_b64 s[10:11], exec
	v_lshrrev_b32_e32 v6, 20, v6
	s_andn2_saveexec_b64 s[16:17], s[16:17]
	s_cbranch_execnz .LBB191_3084
.LBB191_2631:
	s_or_b64 exec, exec, s[16:17]
	v_mov_b32_e32 v11, 0
	s_and_saveexec_b64 s[16:17], s[10:11]
.LBB191_2632:
	v_lshrrev_b32_e32 v1, 24, v1
	s_movk_i32 s10, 0x80
	v_and_or_b32 v11, v1, s10, v6
.LBB191_2633:
	s_or_b64 exec, exec, s[16:17]
.LBB191_2634:
	s_or_b64 exec, exec, s[6:7]
	global_store_byte v[7:8], v11, off
.LBB191_2635:
	s_mov_b64 s[6:7], -1
.LBB191_2636:
	s_mov_b64 s[10:11], 0
.LBB191_2637:
	s_and_b64 vcc, exec, s[10:11]
	s_cbranch_vccz .LBB191_2677
; %bb.2638:
	s_cmp_gt_i32 s19, 22
	s_mov_b64 s[2:3], -1
	s_cbranch_scc0 .LBB191_2670
; %bb.2639:
	s_cmp_lt_i32 s19, 24
	s_cbranch_scc1 .LBB191_2659
; %bb.2640:
	s_cmp_gt_i32 s19, 24
	s_cbranch_scc0 .LBB191_2648
; %bb.2641:
	v_cvt_f32_i32_e32 v1, v5
	s_mov_b32 s2, 0x47800000
	v_mov_b32_e32 v11, 0x80
	v_and_b32_e32 v6, 0x7fffffff, v1
	v_cmp_gt_u32_e32 vcc, s2, v6
	s_and_saveexec_b64 s[2:3], vcc
	s_cbranch_execz .LBB191_2647
; %bb.2642:
	s_mov_b32 s6, 0x37ffffff
	v_cmp_lt_u32_e32 vcc, s6, v6
	s_mov_b64 s[6:7], 0
                                        ; implicit-def: $vgpr6
	s_and_saveexec_b64 s[10:11], vcc
	s_xor_b64 s[10:11], exec, s[10:11]
	s_cbranch_execz .LBB191_3086
; %bb.2643:
	v_bfe_u32 v6, v1, 21, 1
	s_mov_b32 s16, 0x88fffff
	v_add3_u32 v6, v1, v6, s16
	s_mov_b64 s[6:7], exec
	v_lshrrev_b32_e32 v6, 21, v6
	s_andn2_saveexec_b64 s[10:11], s[10:11]
	s_cbranch_execnz .LBB191_3087
.LBB191_2644:
	s_or_b64 exec, exec, s[10:11]
	v_mov_b32_e32 v11, 0
	s_and_saveexec_b64 s[10:11], s[6:7]
.LBB191_2645:
	v_lshrrev_b32_e32 v1, 24, v1
	s_movk_i32 s6, 0x80
	v_and_or_b32 v11, v1, s6, v6
.LBB191_2646:
	s_or_b64 exec, exec, s[10:11]
.LBB191_2647:
	s_or_b64 exec, exec, s[2:3]
	s_mov_b64 s[2:3], 0
	global_store_byte v[7:8], v11, off
.LBB191_2648:
	s_and_b64 vcc, exec, s[2:3]
	s_cbranch_vccz .LBB191_2658
; %bb.2649:
	v_cvt_f32_i32_e32 v1, v5
	s_mov_b32 s2, 0x43f00000
                                        ; implicit-def: $vgpr6
	v_and_b32_e32 v11, 0x7fffffff, v1
	v_cmp_gt_u32_e32 vcc, s2, v11
	s_and_saveexec_b64 s[2:3], vcc
	s_xor_b64 s[2:3], exec, s[2:3]
	s_cbranch_execz .LBB191_2655
; %bb.2650:
	s_mov_b32 s6, 0x3c7fffff
	v_cmp_lt_u32_e32 vcc, s6, v11
                                        ; implicit-def: $vgpr6
	s_and_saveexec_b64 s[6:7], vcc
	s_xor_b64 s[6:7], exec, s[6:7]
; %bb.2651:
	v_bfe_u32 v6, v1, 20, 1
	s_mov_b32 s10, 0x407ffff
	v_add3_u32 v6, v1, v6, s10
	v_lshrrev_b32_e32 v11, 20, v6
	v_and_b32_e32 v6, 0xff00000, v6
	s_mov_b32 s10, 0x7f00000
	v_mov_b32_e32 v13, 0x7e
	v_cmp_ne_u32_e32 vcc, s10, v6
	v_cndmask_b32_e32 v6, v13, v11, vcc
; %bb.2652:
	s_andn2_saveexec_b64 s[6:7], s[6:7]
; %bb.2653:
	s_mov_b32 s10, 0x46800000
	v_add_f32_e64 v6, |v1|, s10
; %bb.2654:
	s_or_b64 exec, exec, s[6:7]
                                        ; implicit-def: $vgpr11
.LBB191_2655:
	s_andn2_saveexec_b64 s[2:3], s[2:3]
; %bb.2656:
	s_mov_b32 s6, 0x7f800000
	v_mov_b32_e32 v6, 0x7e
	v_mov_b32_e32 v13, 0x7f
	v_cmp_lt_u32_e32 vcc, s6, v11
	v_cndmask_b32_e32 v6, v6, v13, vcc
; %bb.2657:
	s_or_b64 exec, exec, s[2:3]
	v_lshrrev_b32_e32 v1, 24, v1
	s_movk_i32 s2, 0x80
	v_and_or_b32 v1, v1, s2, v6
	global_store_byte v[7:8], v1, off
.LBB191_2658:
	s_mov_b64 s[2:3], 0
.LBB191_2659:
	s_andn2_b64 vcc, exec, s[2:3]
	s_cbranch_vccnz .LBB191_2669
; %bb.2660:
	v_cvt_f32_i32_e32 v1, v5
	s_mov_b32 s2, 0x47800000
                                        ; implicit-def: $vgpr6
	v_and_b32_e32 v11, 0x7fffffff, v1
	v_cmp_gt_u32_e32 vcc, s2, v11
	s_and_saveexec_b64 s[2:3], vcc
	s_xor_b64 s[2:3], exec, s[2:3]
	s_cbranch_execz .LBB191_2666
; %bb.2661:
	s_mov_b32 s6, 0x387fffff
	v_cmp_lt_u32_e32 vcc, s6, v11
                                        ; implicit-def: $vgpr6
	s_and_saveexec_b64 s[6:7], vcc
	s_xor_b64 s[6:7], exec, s[6:7]
; %bb.2662:
	v_bfe_u32 v6, v1, 21, 1
	s_mov_b32 s10, 0x80fffff
	v_add3_u32 v6, v1, v6, s10
	v_lshrrev_b32_e32 v6, 21, v6
; %bb.2663:
	s_andn2_saveexec_b64 s[6:7], s[6:7]
; %bb.2664:
	s_mov_b32 s10, 0x43000000
	v_add_f32_e64 v6, |v1|, s10
; %bb.2665:
	s_or_b64 exec, exec, s[6:7]
                                        ; implicit-def: $vgpr11
.LBB191_2666:
	s_andn2_saveexec_b64 s[2:3], s[2:3]
; %bb.2667:
	s_mov_b32 s6, 0x7f800000
	v_mov_b32_e32 v6, 0x7c
	v_mov_b32_e32 v13, 0x7f
	v_cmp_lt_u32_e32 vcc, s6, v11
	v_cndmask_b32_e32 v6, v6, v13, vcc
; %bb.2668:
	s_or_b64 exec, exec, s[2:3]
	v_lshrrev_b32_e32 v1, 24, v1
	s_movk_i32 s2, 0x80
	v_and_or_b32 v1, v1, s2, v6
	global_store_byte v[7:8], v1, off
.LBB191_2669:
	s_mov_b64 s[2:3], 0
	s_mov_b64 s[6:7], -1
.LBB191_2670:
	s_andn2_b64 vcc, exec, s[2:3]
	s_mov_b64 s[2:3], 0
	s_cbranch_vccnz .LBB191_2677
; %bb.2671:
	s_cmp_gt_i32 s19, 14
	s_mov_b64 s[10:11], -1
	s_cbranch_scc0 .LBB191_2675
; %bb.2672:
	s_cmp_eq_u32 s19, 15
	s_mov_b64 s[0:1], -1
	s_cbranch_scc0 .LBB191_2674
; %bb.2673:
	v_cvt_f32_i32_e32 v1, v5
	s_movk_i32 s2, 0x7fff
	s_mov_b64 s[0:1], 0
	s_mov_b64 s[6:7], -1
	v_bfe_u32 v6, v1, 16, 1
	v_add3_u32 v1, v1, v6, s2
	global_store_short_d16_hi v[7:8], v1, off
.LBB191_2674:
	s_mov_b64 s[10:11], 0
.LBB191_2675:
	s_mov_b64 s[2:3], 0
	s_and_b64 vcc, exec, s[10:11]
	s_cbranch_vccz .LBB191_2677
; %bb.2676:
	s_cmp_lg_u32 s19, 11
	s_mov_b64 s[2:3], -1
	s_cselect_b64 s[0:1], -1, 0
.LBB191_2677:
	s_and_b64 vcc, exec, s[0:1]
	s_cbranch_vccnz .LBB191_3085
; %bb.2678:
	s_andn2_b64 vcc, exec, s[2:3]
	s_cbranch_vccnz .LBB191_2680
.LBB191_2679:
	v_cmp_ne_u32_e32 vcc, 0, v5
	v_cndmask_b32_e64 v1, 0, 1, vcc
	s_mov_b64 s[6:7], -1
	global_store_byte v[7:8], v1, off
.LBB191_2680:
	s_mov_b64 s[0:1], 0
	s_branch .LBB191_2682
.LBB191_2681:
	s_mov_b64 s[0:1], -1
	s_mov_b64 s[6:7], 0
.LBB191_2682:
	s_and_b64 vcc, exec, s[0:1]
	s_cbranch_vccz .LBB191_2721
; %bb.2683:
	s_and_b32 s2, 0xffff, s18
	s_cmp_lt_i32 s2, 5
	s_mov_b64 s[0:1], -1
	s_cbranch_scc1 .LBB191_2704
; %bb.2684:
	s_cmp_lt_i32 s2, 8
	s_cbranch_scc1 .LBB191_2694
; %bb.2685:
	s_cmp_lt_i32 s2, 9
	s_cbranch_scc1 .LBB191_2691
; %bb.2686:
	s_cmp_gt_i32 s2, 9
	s_cbranch_scc0 .LBB191_2688
; %bb.2687:
	v_cvt_f64_i32_e32 v[17:18], v5
	v_mov_b32_e32 v19, 0
	v_mov_b32_e32 v20, v19
	s_mov_b64 s[0:1], 0
	global_store_dwordx4 v[7:8], v[17:20], off
.LBB191_2688:
	s_andn2_b64 vcc, exec, s[0:1]
	s_cbranch_vccnz .LBB191_2690
; %bb.2689:
	v_cvt_f32_i32_e32 v17, v5
	v_mov_b32_e32 v18, 0
	global_store_dwordx2 v[7:8], v[17:18], off
.LBB191_2690:
	s_mov_b64 s[0:1], 0
.LBB191_2691:
	s_andn2_b64 vcc, exec, s[0:1]
	s_cbranch_vccnz .LBB191_2693
; %bb.2692:
	v_cvt_f32_i32_e32 v1, v5
	v_cvt_f16_f32_e32 v1, v1
	global_store_dword v[7:8], v1, off
.LBB191_2693:
	s_mov_b64 s[0:1], 0
.LBB191_2694:
	s_andn2_b64 vcc, exec, s[0:1]
	s_cbranch_vccnz .LBB191_2703
; %bb.2695:
	s_cmp_lt_i32 s2, 6
	s_mov_b64 s[0:1], -1
	s_cbranch_scc1 .LBB191_2701
; %bb.2696:
	s_cmp_gt_i32 s2, 6
	s_cbranch_scc0 .LBB191_2698
; %bb.2697:
	v_cvt_f64_i32_e32 v[17:18], v5
	s_mov_b64 s[0:1], 0
	global_store_dwordx2 v[7:8], v[17:18], off
.LBB191_2698:
	s_andn2_b64 vcc, exec, s[0:1]
	s_cbranch_vccnz .LBB191_2700
; %bb.2699:
	v_cvt_f32_i32_e32 v1, v5
	global_store_dword v[7:8], v1, off
.LBB191_2700:
	s_mov_b64 s[0:1], 0
.LBB191_2701:
	s_andn2_b64 vcc, exec, s[0:1]
	s_cbranch_vccnz .LBB191_2703
; %bb.2702:
	v_cvt_f32_i32_e32 v1, v5
	v_cvt_f16_f32_e32 v1, v1
	global_store_short v[7:8], v1, off
.LBB191_2703:
	s_mov_b64 s[0:1], 0
.LBB191_2704:
	s_andn2_b64 vcc, exec, s[0:1]
	s_cbranch_vccnz .LBB191_2720
; %bb.2705:
	s_cmp_lt_i32 s2, 2
	s_mov_b64 s[0:1], -1
	s_cbranch_scc1 .LBB191_2715
; %bb.2706:
	s_cmp_lt_i32 s2, 3
	s_cbranch_scc1 .LBB191_2712
; %bb.2707:
	s_cmp_gt_i32 s2, 3
	s_cbranch_scc0 .LBB191_2709
; %bb.2708:
	v_ashrrev_i32_e32 v6, 31, v5
	global_store_dwordx2 v[7:8], v[5:6], off
	s_mov_b64 s[0:1], 0
.LBB191_2709:
	s_andn2_b64 vcc, exec, s[0:1]
	s_cbranch_vccnz .LBB191_2711
; %bb.2710:
	global_store_dword v[7:8], v5, off
.LBB191_2711:
	s_mov_b64 s[0:1], 0
.LBB191_2712:
	s_andn2_b64 vcc, exec, s[0:1]
	s_cbranch_vccnz .LBB191_2714
; %bb.2713:
	global_store_short v[7:8], v5, off
.LBB191_2714:
	s_mov_b64 s[0:1], 0
.LBB191_2715:
	s_andn2_b64 vcc, exec, s[0:1]
	s_cbranch_vccnz .LBB191_2720
; %bb.2716:
	s_cmp_gt_i32 s2, 0
	s_mov_b64 s[0:1], -1
	s_cbranch_scc0 .LBB191_2718
; %bb.2717:
	global_store_byte v[7:8], v5, off
	s_mov_b64 s[0:1], 0
.LBB191_2718:
	s_andn2_b64 vcc, exec, s[0:1]
	s_cbranch_vccnz .LBB191_2720
; %bb.2719:
	global_store_byte v[7:8], v5, off
.LBB191_2720:
	s_mov_b64 s[6:7], -1
.LBB191_2721:
	s_andn2_b64 vcc, exec, s[6:7]
	s_cbranch_vccnz .LBB191_3036
; %bb.2722:
	s_lshr_b32 s0, s20, 8
	v_min_u32_e32 v1, 31, v16
	s_and_b32 s18, s0, 0xff
	v_ashrrev_i32_e32 v3, v1, v3
	v_mov_b32_e32 v1, s9
	v_add_co_u32_e32 v5, vcc, s8, v4
	s_cmp_lt_i32 s18, 11
	v_addc_co_u32_e32 v6, vcc, 0, v1, vcc
	s_cbranch_scc1 .LBB191_2800
; %bb.2723:
	s_and_b32 s19, 0xffff, s18
	s_mov_b64 s[10:11], -1
	s_mov_b64 s[2:3], 0
	s_cmp_gt_i32 s19, 25
	s_mov_b64 s[6:7], 0
	s_mov_b64 s[0:1], 0
	s_cbranch_scc0 .LBB191_2756
; %bb.2724:
	s_cmp_gt_i32 s19, 28
	s_cbranch_scc0 .LBB191_2739
; %bb.2725:
	s_cmp_gt_i32 s19, 43
	s_cbranch_scc0 .LBB191_2735
; %bb.2726:
	s_cmp_gt_i32 s19, 45
	s_cbranch_scc0 .LBB191_2729
; %bb.2727:
	s_mov_b64 s[0:1], -1
	s_mov_b64 s[10:11], 0
	s_cmp_eq_u32 s19, 46
	s_cbranch_scc0 .LBB191_2729
; %bb.2728:
	v_cvt_f32_i32_e32 v1, v3
	s_movk_i32 s6, 0x7fff
	s_mov_b64 s[0:1], 0
	v_bfe_u32 v4, v1, 16, 1
	v_add3_u32 v1, v1, v4, s6
	v_lshrrev_b32_e32 v1, 16, v1
	global_store_dword v[5:6], v1, off
	s_mov_b64 s[6:7], -1
.LBB191_2729:
	s_and_b64 vcc, exec, s[10:11]
	s_cbranch_vccz .LBB191_2734
; %bb.2730:
	s_cmp_eq_u32 s19, 44
	s_mov_b64 s[0:1], -1
	s_cbranch_scc0 .LBB191_2734
; %bb.2731:
	v_cvt_f32_i32_e32 v1, v3
	s_movk_i32 s0, 0xff
	v_mov_b32_e32 v7, 0xff
	v_bfe_u32 v4, v1, 23, 8
	v_cmp_ne_u32_e32 vcc, s0, v4
	s_and_saveexec_b64 s[6:7], vcc
; %bb.2732:
	s_mov_b32 s0, 0x3fffff
	v_lshrrev_b32_e32 v7, 23, v1
	v_and_b32_e32 v8, 0x400000, v1
	v_and_or_b32 v1, v1, s0, v4
	v_cmp_ne_u32_e32 vcc, 0, v8
	v_cmp_ne_u32_e64 s[0:1], 0, v1
	s_and_b64 s[0:1], vcc, s[0:1]
	v_cndmask_b32_e64 v1, 0, 1, s[0:1]
	v_add_u32_e32 v7, v7, v1
; %bb.2733:
	s_or_b64 exec, exec, s[6:7]
	s_mov_b64 s[0:1], 0
	s_mov_b64 s[6:7], -1
	global_store_byte v[5:6], v7, off
.LBB191_2734:
	s_mov_b64 s[10:11], 0
.LBB191_2735:
	s_and_b64 vcc, exec, s[10:11]
	s_cbranch_vccz .LBB191_2738
; %bb.2736:
	s_cmp_eq_u32 s19, 29
	s_mov_b64 s[0:1], -1
	s_cbranch_scc0 .LBB191_2738
; %bb.2737:
	v_ashrrev_i32_e32 v4, 31, v3
	global_store_dwordx2 v[5:6], v[3:4], off
	s_mov_b64 s[0:1], 0
	s_mov_b64 s[6:7], -1
.LBB191_2738:
	s_mov_b64 s[10:11], 0
.LBB191_2739:
	s_and_b64 vcc, exec, s[10:11]
	s_cbranch_vccz .LBB191_2755
; %bb.2740:
	s_cmp_lt_i32 s19, 27
	s_mov_b64 s[6:7], -1
	s_cbranch_scc1 .LBB191_2746
; %bb.2741:
	s_cmp_gt_i32 s19, 27
	s_cbranch_scc0 .LBB191_2743
; %bb.2742:
	s_mov_b64 s[6:7], 0
	global_store_dword v[5:6], v3, off
.LBB191_2743:
	s_andn2_b64 vcc, exec, s[6:7]
	s_cbranch_vccnz .LBB191_2745
; %bb.2744:
	global_store_short v[5:6], v3, off
.LBB191_2745:
	s_mov_b64 s[6:7], 0
.LBB191_2746:
	s_andn2_b64 vcc, exec, s[6:7]
	s_cbranch_vccnz .LBB191_2754
; %bb.2747:
	v_cvt_f32_i32_e32 v1, v3
	s_mov_b32 s6, 0x43800000
	v_mov_b32_e32 v7, 0x80
	v_and_b32_e32 v4, 0x7fffffff, v1
	v_cmp_gt_u32_e32 vcc, s6, v4
	s_and_saveexec_b64 s[6:7], vcc
	s_cbranch_execz .LBB191_2753
; %bb.2748:
	s_mov_b32 s10, 0x3bffffff
	v_cmp_lt_u32_e32 vcc, s10, v4
	s_mov_b64 s[10:11], 0
                                        ; implicit-def: $vgpr4
	s_and_saveexec_b64 s[16:17], vcc
	s_xor_b64 s[16:17], exec, s[16:17]
	s_cbranch_execz .LBB191_3088
; %bb.2749:
	v_bfe_u32 v4, v1, 20, 1
	s_mov_b32 s20, 0x487ffff
	v_add3_u32 v4, v1, v4, s20
	s_mov_b64 s[10:11], exec
	v_lshrrev_b32_e32 v4, 20, v4
	s_andn2_saveexec_b64 s[16:17], s[16:17]
	s_cbranch_execnz .LBB191_3089
.LBB191_2750:
	s_or_b64 exec, exec, s[16:17]
	v_mov_b32_e32 v7, 0
	s_and_saveexec_b64 s[16:17], s[10:11]
.LBB191_2751:
	v_lshrrev_b32_e32 v1, 24, v1
	s_movk_i32 s10, 0x80
	v_and_or_b32 v7, v1, s10, v4
.LBB191_2752:
	s_or_b64 exec, exec, s[16:17]
.LBB191_2753:
	s_or_b64 exec, exec, s[6:7]
	global_store_byte v[5:6], v7, off
.LBB191_2754:
	s_mov_b64 s[6:7], -1
.LBB191_2755:
	s_mov_b64 s[10:11], 0
.LBB191_2756:
	s_and_b64 vcc, exec, s[10:11]
	s_cbranch_vccz .LBB191_2796
; %bb.2757:
	s_cmp_gt_i32 s19, 22
	s_mov_b64 s[2:3], -1
	s_cbranch_scc0 .LBB191_2789
; %bb.2758:
	s_cmp_lt_i32 s19, 24
	s_cbranch_scc1 .LBB191_2778
; %bb.2759:
	s_cmp_gt_i32 s19, 24
	s_cbranch_scc0 .LBB191_2767
; %bb.2760:
	v_cvt_f32_i32_e32 v1, v3
	s_mov_b32 s2, 0x47800000
	v_mov_b32_e32 v7, 0x80
	v_and_b32_e32 v4, 0x7fffffff, v1
	v_cmp_gt_u32_e32 vcc, s2, v4
	s_and_saveexec_b64 s[2:3], vcc
	s_cbranch_execz .LBB191_2766
; %bb.2761:
	s_mov_b32 s6, 0x37ffffff
	v_cmp_lt_u32_e32 vcc, s6, v4
	s_mov_b64 s[6:7], 0
                                        ; implicit-def: $vgpr4
	s_and_saveexec_b64 s[10:11], vcc
	s_xor_b64 s[10:11], exec, s[10:11]
	s_cbranch_execz .LBB191_3091
; %bb.2762:
	v_bfe_u32 v4, v1, 21, 1
	s_mov_b32 s16, 0x88fffff
	v_add3_u32 v4, v1, v4, s16
	s_mov_b64 s[6:7], exec
	v_lshrrev_b32_e32 v4, 21, v4
	s_andn2_saveexec_b64 s[10:11], s[10:11]
	s_cbranch_execnz .LBB191_3092
.LBB191_2763:
	s_or_b64 exec, exec, s[10:11]
	v_mov_b32_e32 v7, 0
	s_and_saveexec_b64 s[10:11], s[6:7]
.LBB191_2764:
	v_lshrrev_b32_e32 v1, 24, v1
	s_movk_i32 s6, 0x80
	v_and_or_b32 v7, v1, s6, v4
.LBB191_2765:
	s_or_b64 exec, exec, s[10:11]
.LBB191_2766:
	s_or_b64 exec, exec, s[2:3]
	s_mov_b64 s[2:3], 0
	global_store_byte v[5:6], v7, off
.LBB191_2767:
	s_and_b64 vcc, exec, s[2:3]
	s_cbranch_vccz .LBB191_2777
; %bb.2768:
	v_cvt_f32_i32_e32 v1, v3
	s_mov_b32 s2, 0x43f00000
                                        ; implicit-def: $vgpr4
	v_and_b32_e32 v7, 0x7fffffff, v1
	v_cmp_gt_u32_e32 vcc, s2, v7
	s_and_saveexec_b64 s[2:3], vcc
	s_xor_b64 s[2:3], exec, s[2:3]
	s_cbranch_execz .LBB191_2774
; %bb.2769:
	s_mov_b32 s6, 0x3c7fffff
	v_cmp_lt_u32_e32 vcc, s6, v7
                                        ; implicit-def: $vgpr4
	s_and_saveexec_b64 s[6:7], vcc
	s_xor_b64 s[6:7], exec, s[6:7]
; %bb.2770:
	v_bfe_u32 v4, v1, 20, 1
	s_mov_b32 s10, 0x407ffff
	v_add3_u32 v4, v1, v4, s10
	v_lshrrev_b32_e32 v7, 20, v4
	v_and_b32_e32 v4, 0xff00000, v4
	s_mov_b32 s10, 0x7f00000
	v_mov_b32_e32 v8, 0x7e
	v_cmp_ne_u32_e32 vcc, s10, v4
	v_cndmask_b32_e32 v4, v8, v7, vcc
; %bb.2771:
	s_andn2_saveexec_b64 s[6:7], s[6:7]
; %bb.2772:
	s_mov_b32 s10, 0x46800000
	v_add_f32_e64 v4, |v1|, s10
; %bb.2773:
	s_or_b64 exec, exec, s[6:7]
                                        ; implicit-def: $vgpr7
.LBB191_2774:
	s_andn2_saveexec_b64 s[2:3], s[2:3]
; %bb.2775:
	s_mov_b32 s6, 0x7f800000
	v_mov_b32_e32 v4, 0x7e
	v_mov_b32_e32 v8, 0x7f
	v_cmp_lt_u32_e32 vcc, s6, v7
	v_cndmask_b32_e32 v4, v4, v8, vcc
; %bb.2776:
	s_or_b64 exec, exec, s[2:3]
	v_lshrrev_b32_e32 v1, 24, v1
	s_movk_i32 s2, 0x80
	v_and_or_b32 v1, v1, s2, v4
	global_store_byte v[5:6], v1, off
.LBB191_2777:
	s_mov_b64 s[2:3], 0
.LBB191_2778:
	s_andn2_b64 vcc, exec, s[2:3]
	s_cbranch_vccnz .LBB191_2788
; %bb.2779:
	v_cvt_f32_i32_e32 v1, v3
	s_mov_b32 s2, 0x47800000
                                        ; implicit-def: $vgpr4
	v_and_b32_e32 v7, 0x7fffffff, v1
	v_cmp_gt_u32_e32 vcc, s2, v7
	s_and_saveexec_b64 s[2:3], vcc
	s_xor_b64 s[2:3], exec, s[2:3]
	s_cbranch_execz .LBB191_2785
; %bb.2780:
	s_mov_b32 s6, 0x387fffff
	v_cmp_lt_u32_e32 vcc, s6, v7
                                        ; implicit-def: $vgpr4
	s_and_saveexec_b64 s[6:7], vcc
	s_xor_b64 s[6:7], exec, s[6:7]
; %bb.2781:
	v_bfe_u32 v4, v1, 21, 1
	s_mov_b32 s10, 0x80fffff
	v_add3_u32 v4, v1, v4, s10
	v_lshrrev_b32_e32 v4, 21, v4
; %bb.2782:
	s_andn2_saveexec_b64 s[6:7], s[6:7]
; %bb.2783:
	s_mov_b32 s10, 0x43000000
	v_add_f32_e64 v4, |v1|, s10
; %bb.2784:
	s_or_b64 exec, exec, s[6:7]
                                        ; implicit-def: $vgpr7
.LBB191_2785:
	s_andn2_saveexec_b64 s[2:3], s[2:3]
; %bb.2786:
	s_mov_b32 s6, 0x7f800000
	v_mov_b32_e32 v4, 0x7c
	v_mov_b32_e32 v8, 0x7f
	v_cmp_lt_u32_e32 vcc, s6, v7
	v_cndmask_b32_e32 v4, v4, v8, vcc
; %bb.2787:
	s_or_b64 exec, exec, s[2:3]
	v_lshrrev_b32_e32 v1, 24, v1
	s_movk_i32 s2, 0x80
	v_and_or_b32 v1, v1, s2, v4
	global_store_byte v[5:6], v1, off
.LBB191_2788:
	s_mov_b64 s[2:3], 0
	s_mov_b64 s[6:7], -1
.LBB191_2789:
	s_andn2_b64 vcc, exec, s[2:3]
	s_mov_b64 s[2:3], 0
	s_cbranch_vccnz .LBB191_2796
; %bb.2790:
	s_cmp_gt_i32 s19, 14
	s_mov_b64 s[10:11], -1
	s_cbranch_scc0 .LBB191_2794
; %bb.2791:
	s_cmp_eq_u32 s19, 15
	s_mov_b64 s[0:1], -1
	s_cbranch_scc0 .LBB191_2793
; %bb.2792:
	v_cvt_f32_i32_e32 v1, v3
	s_movk_i32 s2, 0x7fff
	s_mov_b64 s[0:1], 0
	s_mov_b64 s[6:7], -1
	v_bfe_u32 v4, v1, 16, 1
	v_add3_u32 v1, v1, v4, s2
	global_store_short_d16_hi v[5:6], v1, off
.LBB191_2793:
	s_mov_b64 s[10:11], 0
.LBB191_2794:
	s_mov_b64 s[2:3], 0
	s_and_b64 vcc, exec, s[10:11]
	s_cbranch_vccz .LBB191_2796
; %bb.2795:
	s_cmp_lg_u32 s19, 11
	s_mov_b64 s[2:3], -1
	s_cselect_b64 s[0:1], -1, 0
.LBB191_2796:
	s_and_b64 vcc, exec, s[0:1]
	s_cbranch_vccnz .LBB191_3090
; %bb.2797:
	s_andn2_b64 vcc, exec, s[2:3]
	s_cbranch_vccnz .LBB191_2799
.LBB191_2798:
	v_cmp_ne_u32_e32 vcc, 0, v3
	v_cndmask_b32_e64 v1, 0, 1, vcc
	s_mov_b64 s[6:7], -1
	global_store_byte v[5:6], v1, off
.LBB191_2799:
	s_mov_b64 s[0:1], 0
	s_branch .LBB191_2801
.LBB191_2800:
	s_mov_b64 s[0:1], -1
	s_mov_b64 s[6:7], 0
.LBB191_2801:
	s_and_b64 vcc, exec, s[0:1]
	s_cbranch_vccz .LBB191_2840
; %bb.2802:
	s_and_b32 s2, 0xffff, s18
	s_cmp_lt_i32 s2, 5
	s_mov_b64 s[0:1], -1
	s_cbranch_scc1 .LBB191_2823
; %bb.2803:
	s_cmp_lt_i32 s2, 8
	s_cbranch_scc1 .LBB191_2813
; %bb.2804:
	s_cmp_lt_i32 s2, 9
	s_cbranch_scc1 .LBB191_2810
; %bb.2805:
	s_cmp_gt_i32 s2, 9
	s_cbranch_scc0 .LBB191_2807
; %bb.2806:
	v_cvt_f64_i32_e32 v[15:16], v3
	v_mov_b32_e32 v17, 0
	v_mov_b32_e32 v18, v17
	s_mov_b64 s[0:1], 0
	global_store_dwordx4 v[5:6], v[15:18], off
.LBB191_2807:
	s_andn2_b64 vcc, exec, s[0:1]
	s_cbranch_vccnz .LBB191_2809
; %bb.2808:
	v_cvt_f32_i32_e32 v7, v3
	v_mov_b32_e32 v8, 0
	global_store_dwordx2 v[5:6], v[7:8], off
.LBB191_2809:
	s_mov_b64 s[0:1], 0
.LBB191_2810:
	s_andn2_b64 vcc, exec, s[0:1]
	s_cbranch_vccnz .LBB191_2812
; %bb.2811:
	v_cvt_f32_i32_e32 v1, v3
	v_cvt_f16_f32_e32 v1, v1
	global_store_dword v[5:6], v1, off
.LBB191_2812:
	s_mov_b64 s[0:1], 0
.LBB191_2813:
	s_andn2_b64 vcc, exec, s[0:1]
	s_cbranch_vccnz .LBB191_2822
; %bb.2814:
	s_cmp_lt_i32 s2, 6
	s_mov_b64 s[0:1], -1
	s_cbranch_scc1 .LBB191_2820
; %bb.2815:
	s_cmp_gt_i32 s2, 6
	s_cbranch_scc0 .LBB191_2817
; %bb.2816:
	v_cvt_f64_i32_e32 v[7:8], v3
	s_mov_b64 s[0:1], 0
	global_store_dwordx2 v[5:6], v[7:8], off
.LBB191_2817:
	s_andn2_b64 vcc, exec, s[0:1]
	s_cbranch_vccnz .LBB191_2819
; %bb.2818:
	v_cvt_f32_i32_e32 v1, v3
	global_store_dword v[5:6], v1, off
.LBB191_2819:
	s_mov_b64 s[0:1], 0
.LBB191_2820:
	s_andn2_b64 vcc, exec, s[0:1]
	s_cbranch_vccnz .LBB191_2822
; %bb.2821:
	v_cvt_f32_i32_e32 v1, v3
	v_cvt_f16_f32_e32 v1, v1
	global_store_short v[5:6], v1, off
.LBB191_2822:
	s_mov_b64 s[0:1], 0
.LBB191_2823:
	s_andn2_b64 vcc, exec, s[0:1]
	s_cbranch_vccnz .LBB191_2839
; %bb.2824:
	s_cmp_lt_i32 s2, 2
	s_mov_b64 s[0:1], -1
	s_cbranch_scc1 .LBB191_2834
; %bb.2825:
	s_cmp_lt_i32 s2, 3
	s_cbranch_scc1 .LBB191_2831
; %bb.2826:
	s_cmp_gt_i32 s2, 3
	s_cbranch_scc0 .LBB191_2828
; %bb.2827:
	v_ashrrev_i32_e32 v4, 31, v3
	global_store_dwordx2 v[5:6], v[3:4], off
	s_mov_b64 s[0:1], 0
.LBB191_2828:
	s_andn2_b64 vcc, exec, s[0:1]
	s_cbranch_vccnz .LBB191_2830
; %bb.2829:
	global_store_dword v[5:6], v3, off
.LBB191_2830:
	s_mov_b64 s[0:1], 0
.LBB191_2831:
	s_andn2_b64 vcc, exec, s[0:1]
	s_cbranch_vccnz .LBB191_2833
; %bb.2832:
	global_store_short v[5:6], v3, off
.LBB191_2833:
	s_mov_b64 s[0:1], 0
.LBB191_2834:
	s_andn2_b64 vcc, exec, s[0:1]
	s_cbranch_vccnz .LBB191_2839
; %bb.2835:
	s_cmp_gt_i32 s2, 0
	s_mov_b64 s[0:1], -1
	s_cbranch_scc0 .LBB191_2837
; %bb.2836:
	global_store_byte v[5:6], v3, off
	s_mov_b64 s[0:1], 0
.LBB191_2837:
	s_andn2_b64 vcc, exec, s[0:1]
	s_cbranch_vccnz .LBB191_2839
; %bb.2838:
	global_store_byte v[5:6], v3, off
.LBB191_2839:
	s_mov_b64 s[6:7], -1
.LBB191_2840:
	s_andn2_b64 vcc, exec, s[6:7]
	s_cbranch_vccnz .LBB191_3036
; %bb.2841:
	v_min_u32_e32 v1, 31, v12
	v_mov_b32_e32 v4, s9
	v_add_co_u32_e32 v3, vcc, s8, v2
	v_ashrrev_i32_e32 v1, v1, v14
	s_cmp_lt_i32 s18, 11
	v_addc_co_u32_e32 v4, vcc, 0, v4, vcc
	s_cbranch_scc1 .LBB191_2919
; %bb.2842:
	s_and_b32 s19, 0xffff, s18
	s_mov_b64 s[10:11], -1
	s_mov_b64 s[2:3], 0
	s_cmp_gt_i32 s19, 25
	s_mov_b64 s[6:7], 0
	s_mov_b64 s[0:1], 0
	s_cbranch_scc0 .LBB191_2875
; %bb.2843:
	s_cmp_gt_i32 s19, 28
	s_cbranch_scc0 .LBB191_2858
; %bb.2844:
	s_cmp_gt_i32 s19, 43
	;; [unrolled: 3-line block ×3, first 2 shown]
	s_cbranch_scc0 .LBB191_2848
; %bb.2846:
	s_mov_b64 s[0:1], -1
	s_mov_b64 s[10:11], 0
	s_cmp_eq_u32 s19, 46
	s_cbranch_scc0 .LBB191_2848
; %bb.2847:
	v_cvt_f32_i32_e32 v2, v1
	s_movk_i32 s6, 0x7fff
	s_mov_b64 s[0:1], 0
	v_bfe_u32 v5, v2, 16, 1
	v_add3_u32 v2, v2, v5, s6
	v_lshrrev_b32_e32 v2, 16, v2
	global_store_dword v[3:4], v2, off
	s_mov_b64 s[6:7], -1
.LBB191_2848:
	s_and_b64 vcc, exec, s[10:11]
	s_cbranch_vccz .LBB191_2853
; %bb.2849:
	s_cmp_eq_u32 s19, 44
	s_mov_b64 s[0:1], -1
	s_cbranch_scc0 .LBB191_2853
; %bb.2850:
	v_cvt_f32_i32_e32 v2, v1
	s_movk_i32 s0, 0xff
	v_mov_b32_e32 v6, 0xff
	v_bfe_u32 v5, v2, 23, 8
	v_cmp_ne_u32_e32 vcc, s0, v5
	s_and_saveexec_b64 s[6:7], vcc
; %bb.2851:
	s_mov_b32 s0, 0x3fffff
	v_lshrrev_b32_e32 v6, 23, v2
	v_and_b32_e32 v7, 0x400000, v2
	v_and_or_b32 v2, v2, s0, v5
	v_cmp_ne_u32_e32 vcc, 0, v7
	v_cmp_ne_u32_e64 s[0:1], 0, v2
	s_and_b64 s[0:1], vcc, s[0:1]
	v_cndmask_b32_e64 v2, 0, 1, s[0:1]
	v_add_u32_e32 v6, v6, v2
; %bb.2852:
	s_or_b64 exec, exec, s[6:7]
	s_mov_b64 s[0:1], 0
	s_mov_b64 s[6:7], -1
	global_store_byte v[3:4], v6, off
.LBB191_2853:
	s_mov_b64 s[10:11], 0
.LBB191_2854:
	s_and_b64 vcc, exec, s[10:11]
	s_cbranch_vccz .LBB191_2857
; %bb.2855:
	s_cmp_eq_u32 s19, 29
	s_mov_b64 s[0:1], -1
	s_cbranch_scc0 .LBB191_2857
; %bb.2856:
	v_ashrrev_i32_e32 v2, 31, v1
	global_store_dwordx2 v[3:4], v[1:2], off
	s_mov_b64 s[0:1], 0
	s_mov_b64 s[6:7], -1
.LBB191_2857:
	s_mov_b64 s[10:11], 0
.LBB191_2858:
	s_and_b64 vcc, exec, s[10:11]
	s_cbranch_vccz .LBB191_2874
; %bb.2859:
	s_cmp_lt_i32 s19, 27
	s_mov_b64 s[6:7], -1
	s_cbranch_scc1 .LBB191_2865
; %bb.2860:
	s_cmp_gt_i32 s19, 27
	s_cbranch_scc0 .LBB191_2862
; %bb.2861:
	s_mov_b64 s[6:7], 0
	global_store_dword v[3:4], v1, off
.LBB191_2862:
	s_andn2_b64 vcc, exec, s[6:7]
	s_cbranch_vccnz .LBB191_2864
; %bb.2863:
	global_store_short v[3:4], v1, off
.LBB191_2864:
	s_mov_b64 s[6:7], 0
.LBB191_2865:
	s_andn2_b64 vcc, exec, s[6:7]
	s_cbranch_vccnz .LBB191_2873
; %bb.2866:
	v_cvt_f32_i32_e32 v2, v1
	s_mov_b32 s6, 0x43800000
	v_mov_b32_e32 v6, 0x80
	v_and_b32_e32 v5, 0x7fffffff, v2
	v_cmp_gt_u32_e32 vcc, s6, v5
	s_and_saveexec_b64 s[6:7], vcc
	s_cbranch_execz .LBB191_2872
; %bb.2867:
	s_mov_b32 s10, 0x3bffffff
	v_cmp_lt_u32_e32 vcc, s10, v5
	s_mov_b64 s[10:11], 0
                                        ; implicit-def: $vgpr5
	s_and_saveexec_b64 s[16:17], vcc
	s_xor_b64 s[16:17], exec, s[16:17]
	s_cbranch_execz .LBB191_3093
; %bb.2868:
	v_bfe_u32 v5, v2, 20, 1
	s_mov_b32 s20, 0x487ffff
	v_add3_u32 v5, v2, v5, s20
	s_mov_b64 s[10:11], exec
	v_lshrrev_b32_e32 v5, 20, v5
	s_andn2_saveexec_b64 s[16:17], s[16:17]
	s_cbranch_execnz .LBB191_3094
.LBB191_2869:
	s_or_b64 exec, exec, s[16:17]
	v_mov_b32_e32 v6, 0
	s_and_saveexec_b64 s[16:17], s[10:11]
.LBB191_2870:
	v_lshrrev_b32_e32 v2, 24, v2
	s_movk_i32 s10, 0x80
	v_and_or_b32 v6, v2, s10, v5
.LBB191_2871:
	s_or_b64 exec, exec, s[16:17]
.LBB191_2872:
	s_or_b64 exec, exec, s[6:7]
	global_store_byte v[3:4], v6, off
.LBB191_2873:
	s_mov_b64 s[6:7], -1
.LBB191_2874:
	s_mov_b64 s[10:11], 0
.LBB191_2875:
	s_and_b64 vcc, exec, s[10:11]
	s_cbranch_vccz .LBB191_2915
; %bb.2876:
	s_cmp_gt_i32 s19, 22
	s_mov_b64 s[2:3], -1
	s_cbranch_scc0 .LBB191_2908
; %bb.2877:
	s_cmp_lt_i32 s19, 24
	s_cbranch_scc1 .LBB191_2897
; %bb.2878:
	s_cmp_gt_i32 s19, 24
	s_cbranch_scc0 .LBB191_2886
; %bb.2879:
	v_cvt_f32_i32_e32 v2, v1
	s_mov_b32 s2, 0x47800000
	v_mov_b32_e32 v6, 0x80
	v_and_b32_e32 v5, 0x7fffffff, v2
	v_cmp_gt_u32_e32 vcc, s2, v5
	s_and_saveexec_b64 s[2:3], vcc
	s_cbranch_execz .LBB191_2885
; %bb.2880:
	s_mov_b32 s6, 0x37ffffff
	v_cmp_lt_u32_e32 vcc, s6, v5
	s_mov_b64 s[6:7], 0
                                        ; implicit-def: $vgpr5
	s_and_saveexec_b64 s[10:11], vcc
	s_xor_b64 s[10:11], exec, s[10:11]
	s_cbranch_execz .LBB191_3096
; %bb.2881:
	v_bfe_u32 v5, v2, 21, 1
	s_mov_b32 s16, 0x88fffff
	v_add3_u32 v5, v2, v5, s16
	s_mov_b64 s[6:7], exec
	v_lshrrev_b32_e32 v5, 21, v5
	s_andn2_saveexec_b64 s[10:11], s[10:11]
	s_cbranch_execnz .LBB191_3097
.LBB191_2882:
	s_or_b64 exec, exec, s[10:11]
	v_mov_b32_e32 v6, 0
	s_and_saveexec_b64 s[10:11], s[6:7]
.LBB191_2883:
	v_lshrrev_b32_e32 v2, 24, v2
	s_movk_i32 s6, 0x80
	v_and_or_b32 v6, v2, s6, v5
.LBB191_2884:
	s_or_b64 exec, exec, s[10:11]
.LBB191_2885:
	s_or_b64 exec, exec, s[2:3]
	s_mov_b64 s[2:3], 0
	global_store_byte v[3:4], v6, off
.LBB191_2886:
	s_and_b64 vcc, exec, s[2:3]
	s_cbranch_vccz .LBB191_2896
; %bb.2887:
	v_cvt_f32_i32_e32 v2, v1
	s_mov_b32 s2, 0x43f00000
                                        ; implicit-def: $vgpr5
	v_and_b32_e32 v6, 0x7fffffff, v2
	v_cmp_gt_u32_e32 vcc, s2, v6
	s_and_saveexec_b64 s[2:3], vcc
	s_xor_b64 s[2:3], exec, s[2:3]
	s_cbranch_execz .LBB191_2893
; %bb.2888:
	s_mov_b32 s6, 0x3c7fffff
	v_cmp_lt_u32_e32 vcc, s6, v6
                                        ; implicit-def: $vgpr5
	s_and_saveexec_b64 s[6:7], vcc
	s_xor_b64 s[6:7], exec, s[6:7]
; %bb.2889:
	v_bfe_u32 v5, v2, 20, 1
	s_mov_b32 s10, 0x407ffff
	v_add3_u32 v5, v2, v5, s10
	v_lshrrev_b32_e32 v6, 20, v5
	v_and_b32_e32 v5, 0xff00000, v5
	s_mov_b32 s10, 0x7f00000
	v_mov_b32_e32 v7, 0x7e
	v_cmp_ne_u32_e32 vcc, s10, v5
	v_cndmask_b32_e32 v5, v7, v6, vcc
; %bb.2890:
	s_andn2_saveexec_b64 s[6:7], s[6:7]
; %bb.2891:
	s_mov_b32 s10, 0x46800000
	v_add_f32_e64 v5, |v2|, s10
; %bb.2892:
	s_or_b64 exec, exec, s[6:7]
                                        ; implicit-def: $vgpr6
.LBB191_2893:
	s_andn2_saveexec_b64 s[2:3], s[2:3]
; %bb.2894:
	s_mov_b32 s6, 0x7f800000
	v_mov_b32_e32 v5, 0x7e
	v_mov_b32_e32 v7, 0x7f
	v_cmp_lt_u32_e32 vcc, s6, v6
	v_cndmask_b32_e32 v5, v5, v7, vcc
; %bb.2895:
	s_or_b64 exec, exec, s[2:3]
	v_lshrrev_b32_e32 v2, 24, v2
	s_movk_i32 s2, 0x80
	v_and_or_b32 v2, v2, s2, v5
	global_store_byte v[3:4], v2, off
.LBB191_2896:
	s_mov_b64 s[2:3], 0
.LBB191_2897:
	s_andn2_b64 vcc, exec, s[2:3]
	s_cbranch_vccnz .LBB191_2907
; %bb.2898:
	v_cvt_f32_i32_e32 v2, v1
	s_mov_b32 s2, 0x47800000
                                        ; implicit-def: $vgpr5
	v_and_b32_e32 v6, 0x7fffffff, v2
	v_cmp_gt_u32_e32 vcc, s2, v6
	s_and_saveexec_b64 s[2:3], vcc
	s_xor_b64 s[2:3], exec, s[2:3]
	s_cbranch_execz .LBB191_2904
; %bb.2899:
	s_mov_b32 s6, 0x387fffff
	v_cmp_lt_u32_e32 vcc, s6, v6
                                        ; implicit-def: $vgpr5
	s_and_saveexec_b64 s[6:7], vcc
	s_xor_b64 s[6:7], exec, s[6:7]
; %bb.2900:
	v_bfe_u32 v5, v2, 21, 1
	s_mov_b32 s10, 0x80fffff
	v_add3_u32 v5, v2, v5, s10
	v_lshrrev_b32_e32 v5, 21, v5
; %bb.2901:
	s_andn2_saveexec_b64 s[6:7], s[6:7]
; %bb.2902:
	s_mov_b32 s10, 0x43000000
	v_add_f32_e64 v5, |v2|, s10
; %bb.2903:
	s_or_b64 exec, exec, s[6:7]
                                        ; implicit-def: $vgpr6
.LBB191_2904:
	s_andn2_saveexec_b64 s[2:3], s[2:3]
; %bb.2905:
	s_mov_b32 s6, 0x7f800000
	v_mov_b32_e32 v5, 0x7c
	v_mov_b32_e32 v7, 0x7f
	v_cmp_lt_u32_e32 vcc, s6, v6
	v_cndmask_b32_e32 v5, v5, v7, vcc
; %bb.2906:
	s_or_b64 exec, exec, s[2:3]
	v_lshrrev_b32_e32 v2, 24, v2
	s_movk_i32 s2, 0x80
	v_and_or_b32 v2, v2, s2, v5
	global_store_byte v[3:4], v2, off
.LBB191_2907:
	s_mov_b64 s[2:3], 0
	s_mov_b64 s[6:7], -1
.LBB191_2908:
	s_andn2_b64 vcc, exec, s[2:3]
	s_mov_b64 s[2:3], 0
	s_cbranch_vccnz .LBB191_2915
; %bb.2909:
	s_cmp_gt_i32 s19, 14
	s_mov_b64 s[10:11], -1
	s_cbranch_scc0 .LBB191_2913
; %bb.2910:
	s_cmp_eq_u32 s19, 15
	s_mov_b64 s[0:1], -1
	s_cbranch_scc0 .LBB191_2912
; %bb.2911:
	v_cvt_f32_i32_e32 v2, v1
	s_movk_i32 s2, 0x7fff
	s_mov_b64 s[0:1], 0
	s_mov_b64 s[6:7], -1
	v_bfe_u32 v5, v2, 16, 1
	v_add3_u32 v2, v2, v5, s2
	global_store_short_d16_hi v[3:4], v2, off
.LBB191_2912:
	s_mov_b64 s[10:11], 0
.LBB191_2913:
	s_mov_b64 s[2:3], 0
	s_and_b64 vcc, exec, s[10:11]
	s_cbranch_vccz .LBB191_2915
; %bb.2914:
	s_cmp_lg_u32 s19, 11
	s_mov_b64 s[2:3], -1
	s_cselect_b64 s[0:1], -1, 0
.LBB191_2915:
	s_and_b64 vcc, exec, s[0:1]
	s_cbranch_vccnz .LBB191_3095
; %bb.2916:
	s_andn2_b64 vcc, exec, s[2:3]
	s_cbranch_vccnz .LBB191_2918
.LBB191_2917:
	v_cmp_ne_u32_e32 vcc, 0, v1
	v_cndmask_b32_e64 v2, 0, 1, vcc
	s_mov_b64 s[6:7], -1
	global_store_byte v[3:4], v2, off
.LBB191_2918:
	s_mov_b64 s[0:1], 0
	s_branch .LBB191_2920
.LBB191_2919:
	s_mov_b64 s[0:1], -1
	s_mov_b64 s[6:7], 0
.LBB191_2920:
	s_and_b64 vcc, exec, s[0:1]
	s_cbranch_vccz .LBB191_2959
; %bb.2921:
	s_and_b32 s2, 0xffff, s18
	s_cmp_lt_i32 s2, 5
	s_mov_b64 s[0:1], -1
	s_cbranch_scc1 .LBB191_2942
; %bb.2922:
	s_cmp_lt_i32 s2, 8
	s_cbranch_scc1 .LBB191_2932
; %bb.2923:
	s_cmp_lt_i32 s2, 9
	s_cbranch_scc1 .LBB191_2929
; %bb.2924:
	s_cmp_gt_i32 s2, 9
	s_cbranch_scc0 .LBB191_2926
; %bb.2925:
	v_cvt_f64_i32_e32 v[5:6], v1
	v_mov_b32_e32 v7, 0
	v_mov_b32_e32 v8, v7
	s_mov_b64 s[0:1], 0
	global_store_dwordx4 v[3:4], v[5:8], off
.LBB191_2926:
	s_andn2_b64 vcc, exec, s[0:1]
	s_cbranch_vccnz .LBB191_2928
; %bb.2927:
	v_cvt_f32_i32_e32 v5, v1
	v_mov_b32_e32 v6, 0
	global_store_dwordx2 v[3:4], v[5:6], off
.LBB191_2928:
	s_mov_b64 s[0:1], 0
.LBB191_2929:
	s_andn2_b64 vcc, exec, s[0:1]
	s_cbranch_vccnz .LBB191_2931
; %bb.2930:
	v_cvt_f32_i32_e32 v2, v1
	v_cvt_f16_f32_e32 v2, v2
	global_store_dword v[3:4], v2, off
.LBB191_2931:
	s_mov_b64 s[0:1], 0
.LBB191_2932:
	s_andn2_b64 vcc, exec, s[0:1]
	s_cbranch_vccnz .LBB191_2941
; %bb.2933:
	s_cmp_lt_i32 s2, 6
	s_mov_b64 s[0:1], -1
	s_cbranch_scc1 .LBB191_2939
; %bb.2934:
	s_cmp_gt_i32 s2, 6
	s_cbranch_scc0 .LBB191_2936
; %bb.2935:
	v_cvt_f64_i32_e32 v[5:6], v1
	s_mov_b64 s[0:1], 0
	global_store_dwordx2 v[3:4], v[5:6], off
.LBB191_2936:
	s_andn2_b64 vcc, exec, s[0:1]
	s_cbranch_vccnz .LBB191_2938
; %bb.2937:
	v_cvt_f32_i32_e32 v2, v1
	global_store_dword v[3:4], v2, off
.LBB191_2938:
	s_mov_b64 s[0:1], 0
.LBB191_2939:
	s_andn2_b64 vcc, exec, s[0:1]
	s_cbranch_vccnz .LBB191_2941
; %bb.2940:
	v_cvt_f32_i32_e32 v2, v1
	v_cvt_f16_f32_e32 v2, v2
	global_store_short v[3:4], v2, off
.LBB191_2941:
	s_mov_b64 s[0:1], 0
.LBB191_2942:
	s_andn2_b64 vcc, exec, s[0:1]
	s_cbranch_vccnz .LBB191_2958
; %bb.2943:
	s_cmp_lt_i32 s2, 2
	s_mov_b64 s[0:1], -1
	s_cbranch_scc1 .LBB191_2953
; %bb.2944:
	s_cmp_lt_i32 s2, 3
	s_cbranch_scc1 .LBB191_2950
; %bb.2945:
	s_cmp_gt_i32 s2, 3
	s_cbranch_scc0 .LBB191_2947
; %bb.2946:
	v_ashrrev_i32_e32 v2, 31, v1
	global_store_dwordx2 v[3:4], v[1:2], off
	s_mov_b64 s[0:1], 0
.LBB191_2947:
	s_andn2_b64 vcc, exec, s[0:1]
	s_cbranch_vccnz .LBB191_2949
; %bb.2948:
	global_store_dword v[3:4], v1, off
.LBB191_2949:
	s_mov_b64 s[0:1], 0
.LBB191_2950:
	s_andn2_b64 vcc, exec, s[0:1]
	s_cbranch_vccnz .LBB191_2952
; %bb.2951:
	global_store_short v[3:4], v1, off
.LBB191_2952:
	s_mov_b64 s[0:1], 0
.LBB191_2953:
	s_andn2_b64 vcc, exec, s[0:1]
	s_cbranch_vccnz .LBB191_2958
; %bb.2954:
	s_cmp_gt_i32 s2, 0
	s_mov_b64 s[0:1], -1
	s_cbranch_scc0 .LBB191_2956
; %bb.2955:
	global_store_byte v[3:4], v1, off
	s_mov_b64 s[0:1], 0
.LBB191_2956:
	s_andn2_b64 vcc, exec, s[0:1]
	s_cbranch_vccnz .LBB191_2958
; %bb.2957:
	global_store_byte v[3:4], v1, off
.LBB191_2958:
	s_mov_b64 s[6:7], -1
.LBB191_2959:
	s_andn2_b64 vcc, exec, s[6:7]
	s_cbranch_vccnz .LBB191_3036
; %bb.2960:
	v_min_u32_e32 v1, 31, v9
	v_ashrrev_i32_e32 v2, v1, v10
	v_mov_b32_e32 v1, s9
	v_add_co_u32_e32 v0, vcc, s8, v0
	s_cmp_lt_i32 s18, 11
	v_addc_co_u32_e32 v1, vcc, 0, v1, vcc
	s_cbranch_scc1 .LBB191_3081
; %bb.2961:
	s_and_b32 s16, 0xffff, s18
	s_mov_b64 s[6:7], -1
	s_mov_b64 s[2:3], 0
	s_cmp_gt_i32 s16, 25
	s_mov_b64 s[0:1], 0
	s_cbranch_scc0 .LBB191_2994
; %bb.2962:
	s_cmp_gt_i32 s16, 28
	s_cbranch_scc0 .LBB191_2978
; %bb.2963:
	s_cmp_gt_i32 s16, 43
	;; [unrolled: 3-line block ×3, first 2 shown]
	s_cbranch_scc0 .LBB191_2968
; %bb.2965:
	s_cmp_eq_u32 s16, 46
	s_mov_b64 s[0:1], -1
	s_cbranch_scc0 .LBB191_2967
; %bb.2966:
	v_cvt_f32_i32_e32 v3, v2
	s_movk_i32 s0, 0x7fff
	v_bfe_u32 v4, v3, 16, 1
	v_add3_u32 v3, v3, v4, s0
	v_lshrrev_b32_e32 v3, 16, v3
	global_store_dword v[0:1], v3, off
	s_mov_b64 s[0:1], 0
.LBB191_2967:
	s_mov_b64 s[6:7], 0
.LBB191_2968:
	s_and_b64 vcc, exec, s[6:7]
	s_cbranch_vccz .LBB191_2973
; %bb.2969:
	s_cmp_eq_u32 s16, 44
	s_mov_b64 s[0:1], -1
	s_cbranch_scc0 .LBB191_2973
; %bb.2970:
	v_cvt_f32_i32_e32 v3, v2
	s_movk_i32 s0, 0xff
	v_mov_b32_e32 v5, 0xff
	v_bfe_u32 v4, v3, 23, 8
	v_cmp_ne_u32_e32 vcc, s0, v4
	s_and_saveexec_b64 s[6:7], vcc
; %bb.2971:
	s_mov_b32 s0, 0x3fffff
	v_lshrrev_b32_e32 v5, 23, v3
	v_and_b32_e32 v6, 0x400000, v3
	v_and_or_b32 v3, v3, s0, v4
	v_cmp_ne_u32_e32 vcc, 0, v6
	v_cmp_ne_u32_e64 s[0:1], 0, v3
	s_and_b64 s[0:1], vcc, s[0:1]
	v_cndmask_b32_e64 v3, 0, 1, s[0:1]
	v_add_u32_e32 v5, v5, v3
; %bb.2972:
	s_or_b64 exec, exec, s[6:7]
	s_mov_b64 s[0:1], 0
	global_store_byte v[0:1], v5, off
.LBB191_2973:
	s_mov_b64 s[6:7], 0
.LBB191_2974:
	s_and_b64 vcc, exec, s[6:7]
	s_cbranch_vccz .LBB191_2977
; %bb.2975:
	s_cmp_eq_u32 s16, 29
	s_mov_b64 s[0:1], -1
	s_cbranch_scc0 .LBB191_2977
; %bb.2976:
	v_ashrrev_i32_e32 v3, 31, v2
	global_store_dwordx2 v[0:1], v[2:3], off
	s_mov_b64 s[0:1], 0
.LBB191_2977:
	s_mov_b64 s[6:7], 0
.LBB191_2978:
	s_and_b64 vcc, exec, s[6:7]
	s_cbranch_vccz .LBB191_2993
; %bb.2979:
	s_cmp_lt_i32 s16, 27
	s_mov_b64 s[6:7], -1
	s_cbranch_scc1 .LBB191_2985
; %bb.2980:
	s_cmp_gt_i32 s16, 27
	s_cbranch_scc0 .LBB191_2982
; %bb.2981:
	global_store_dword v[0:1], v2, off
	s_mov_b64 s[6:7], 0
.LBB191_2982:
	s_andn2_b64 vcc, exec, s[6:7]
	s_cbranch_vccnz .LBB191_2984
; %bb.2983:
	global_store_short v[0:1], v2, off
.LBB191_2984:
	s_mov_b64 s[6:7], 0
.LBB191_2985:
	s_andn2_b64 vcc, exec, s[6:7]
	s_cbranch_vccnz .LBB191_2993
; %bb.2986:
	v_cvt_f32_i32_e32 v3, v2
	s_mov_b32 s6, 0x43800000
	v_mov_b32_e32 v5, 0x80
	v_and_b32_e32 v4, 0x7fffffff, v3
	v_cmp_gt_u32_e32 vcc, s6, v4
	s_and_saveexec_b64 s[6:7], vcc
	s_cbranch_execz .LBB191_2992
; %bb.2987:
	s_mov_b32 s8, 0x3bffffff
	v_cmp_lt_u32_e32 vcc, s8, v4
	s_mov_b64 s[8:9], 0
                                        ; implicit-def: $vgpr4
	s_and_saveexec_b64 s[10:11], vcc
	s_xor_b64 s[10:11], exec, s[10:11]
	s_cbranch_execz .LBB191_3098
; %bb.2988:
	v_bfe_u32 v4, v3, 20, 1
	s_mov_b32 s17, 0x487ffff
	v_add3_u32 v4, v3, v4, s17
	s_mov_b64 s[8:9], exec
	v_lshrrev_b32_e32 v4, 20, v4
	s_andn2_saveexec_b64 s[10:11], s[10:11]
	s_cbranch_execnz .LBB191_3099
.LBB191_2989:
	s_or_b64 exec, exec, s[10:11]
	v_mov_b32_e32 v5, 0
	s_and_saveexec_b64 s[10:11], s[8:9]
.LBB191_2990:
	v_lshrrev_b32_e32 v3, 24, v3
	s_movk_i32 s8, 0x80
	v_and_or_b32 v5, v3, s8, v4
.LBB191_2991:
	s_or_b64 exec, exec, s[10:11]
.LBB191_2992:
	s_or_b64 exec, exec, s[6:7]
	global_store_byte v[0:1], v5, off
.LBB191_2993:
	s_mov_b64 s[6:7], 0
.LBB191_2994:
	s_and_b64 vcc, exec, s[6:7]
	s_cbranch_vccz .LBB191_3034
; %bb.2995:
	s_cmp_gt_i32 s16, 22
	s_mov_b64 s[2:3], -1
	s_cbranch_scc0 .LBB191_3027
; %bb.2996:
	s_cmp_lt_i32 s16, 24
	s_cbranch_scc1 .LBB191_3016
; %bb.2997:
	s_cmp_gt_i32 s16, 24
	s_cbranch_scc0 .LBB191_3005
; %bb.2998:
	v_cvt_f32_i32_e32 v3, v2
	s_mov_b32 s2, 0x47800000
	v_mov_b32_e32 v5, 0x80
	v_and_b32_e32 v4, 0x7fffffff, v3
	v_cmp_gt_u32_e32 vcc, s2, v4
	s_and_saveexec_b64 s[2:3], vcc
	s_cbranch_execz .LBB191_3004
; %bb.2999:
	s_mov_b32 s6, 0x37ffffff
	v_cmp_lt_u32_e32 vcc, s6, v4
	s_mov_b64 s[6:7], 0
                                        ; implicit-def: $vgpr4
	s_and_saveexec_b64 s[8:9], vcc
	s_xor_b64 s[8:9], exec, s[8:9]
	s_cbranch_execz .LBB191_3101
; %bb.3000:
	v_bfe_u32 v4, v3, 21, 1
	s_mov_b32 s10, 0x88fffff
	v_add3_u32 v4, v3, v4, s10
	s_mov_b64 s[6:7], exec
	v_lshrrev_b32_e32 v4, 21, v4
	s_andn2_saveexec_b64 s[8:9], s[8:9]
	s_cbranch_execnz .LBB191_3102
.LBB191_3001:
	s_or_b64 exec, exec, s[8:9]
	v_mov_b32_e32 v5, 0
	s_and_saveexec_b64 s[8:9], s[6:7]
.LBB191_3002:
	v_lshrrev_b32_e32 v3, 24, v3
	s_movk_i32 s6, 0x80
	v_and_or_b32 v5, v3, s6, v4
.LBB191_3003:
	s_or_b64 exec, exec, s[8:9]
.LBB191_3004:
	s_or_b64 exec, exec, s[2:3]
	s_mov_b64 s[2:3], 0
	global_store_byte v[0:1], v5, off
.LBB191_3005:
	s_and_b64 vcc, exec, s[2:3]
	s_cbranch_vccz .LBB191_3015
; %bb.3006:
	v_cvt_f32_i32_e32 v3, v2
	s_mov_b32 s2, 0x43f00000
                                        ; implicit-def: $vgpr4
	v_and_b32_e32 v5, 0x7fffffff, v3
	v_cmp_gt_u32_e32 vcc, s2, v5
	s_and_saveexec_b64 s[2:3], vcc
	s_xor_b64 s[2:3], exec, s[2:3]
	s_cbranch_execz .LBB191_3012
; %bb.3007:
	s_mov_b32 s6, 0x3c7fffff
	v_cmp_lt_u32_e32 vcc, s6, v5
                                        ; implicit-def: $vgpr4
	s_and_saveexec_b64 s[6:7], vcc
	s_xor_b64 s[6:7], exec, s[6:7]
; %bb.3008:
	v_bfe_u32 v4, v3, 20, 1
	s_mov_b32 s8, 0x407ffff
	v_add3_u32 v4, v3, v4, s8
	v_lshrrev_b32_e32 v5, 20, v4
	v_and_b32_e32 v4, 0xff00000, v4
	s_mov_b32 s8, 0x7f00000
	v_mov_b32_e32 v6, 0x7e
	v_cmp_ne_u32_e32 vcc, s8, v4
	v_cndmask_b32_e32 v4, v6, v5, vcc
; %bb.3009:
	s_andn2_saveexec_b64 s[6:7], s[6:7]
; %bb.3010:
	s_mov_b32 s8, 0x46800000
	v_add_f32_e64 v4, |v3|, s8
; %bb.3011:
	s_or_b64 exec, exec, s[6:7]
                                        ; implicit-def: $vgpr5
.LBB191_3012:
	s_andn2_saveexec_b64 s[2:3], s[2:3]
; %bb.3013:
	s_mov_b32 s6, 0x7f800000
	v_mov_b32_e32 v4, 0x7e
	v_mov_b32_e32 v6, 0x7f
	v_cmp_lt_u32_e32 vcc, s6, v5
	v_cndmask_b32_e32 v4, v4, v6, vcc
; %bb.3014:
	s_or_b64 exec, exec, s[2:3]
	v_lshrrev_b32_e32 v3, 24, v3
	s_movk_i32 s2, 0x80
	v_and_or_b32 v3, v3, s2, v4
	global_store_byte v[0:1], v3, off
.LBB191_3015:
	s_mov_b64 s[2:3], 0
.LBB191_3016:
	s_andn2_b64 vcc, exec, s[2:3]
	s_cbranch_vccnz .LBB191_3026
; %bb.3017:
	v_cvt_f32_i32_e32 v3, v2
	s_mov_b32 s2, 0x47800000
                                        ; implicit-def: $vgpr4
	v_and_b32_e32 v5, 0x7fffffff, v3
	v_cmp_gt_u32_e32 vcc, s2, v5
	s_and_saveexec_b64 s[2:3], vcc
	s_xor_b64 s[2:3], exec, s[2:3]
	s_cbranch_execz .LBB191_3023
; %bb.3018:
	s_mov_b32 s6, 0x387fffff
	v_cmp_lt_u32_e32 vcc, s6, v5
                                        ; implicit-def: $vgpr4
	s_and_saveexec_b64 s[6:7], vcc
	s_xor_b64 s[6:7], exec, s[6:7]
; %bb.3019:
	v_bfe_u32 v4, v3, 21, 1
	s_mov_b32 s8, 0x80fffff
	v_add3_u32 v4, v3, v4, s8
	v_lshrrev_b32_e32 v4, 21, v4
; %bb.3020:
	s_andn2_saveexec_b64 s[6:7], s[6:7]
; %bb.3021:
	s_mov_b32 s8, 0x43000000
	v_add_f32_e64 v4, |v3|, s8
; %bb.3022:
	s_or_b64 exec, exec, s[6:7]
                                        ; implicit-def: $vgpr5
.LBB191_3023:
	s_andn2_saveexec_b64 s[2:3], s[2:3]
; %bb.3024:
	s_mov_b32 s6, 0x7f800000
	v_mov_b32_e32 v4, 0x7c
	v_mov_b32_e32 v6, 0x7f
	v_cmp_lt_u32_e32 vcc, s6, v5
	v_cndmask_b32_e32 v4, v4, v6, vcc
; %bb.3025:
	s_or_b64 exec, exec, s[2:3]
	v_lshrrev_b32_e32 v3, 24, v3
	s_movk_i32 s2, 0x80
	v_and_or_b32 v3, v3, s2, v4
	global_store_byte v[0:1], v3, off
.LBB191_3026:
	s_mov_b64 s[2:3], 0
.LBB191_3027:
	s_andn2_b64 vcc, exec, s[2:3]
	s_mov_b64 s[2:3], 0
	s_cbranch_vccnz .LBB191_3034
; %bb.3028:
	s_cmp_gt_i32 s16, 14
	s_mov_b64 s[6:7], -1
	s_cbranch_scc0 .LBB191_3032
; %bb.3029:
	s_cmp_eq_u32 s16, 15
	s_mov_b64 s[0:1], -1
	s_cbranch_scc0 .LBB191_3031
; %bb.3030:
	v_cvt_f32_i32_e32 v3, v2
	s_movk_i32 s0, 0x7fff
	v_bfe_u32 v4, v3, 16, 1
	v_add3_u32 v3, v3, v4, s0
	global_store_short_d16_hi v[0:1], v3, off
	s_mov_b64 s[0:1], 0
.LBB191_3031:
	s_mov_b64 s[6:7], 0
.LBB191_3032:
	s_and_b64 vcc, exec, s[6:7]
	s_cbranch_vccz .LBB191_3034
; %bb.3033:
	s_cmp_lg_u32 s16, 11
	s_mov_b64 s[2:3], -1
	s_cselect_b64 s[0:1], -1, 0
.LBB191_3034:
	s_and_b64 vcc, exec, s[0:1]
	s_cbranch_vccnz .LBB191_3100
.LBB191_3035:
	s_mov_b64 s[0:1], 0
	s_branch .LBB191_3037
.LBB191_3036:
	s_mov_b64 s[0:1], 0
	s_mov_b64 s[2:3], 0
                                        ; implicit-def: $vgpr0_vgpr1
                                        ; implicit-def: $sgpr18
                                        ; implicit-def: $vgpr2
.LBB191_3037:
	s_and_b64 s[6:7], s[2:3], exec
	s_andn2_b64 s[2:3], s[12:13], exec
	s_and_b64 s[4:5], s[4:5], exec
	s_and_b64 s[0:1], s[0:1], exec
	s_or_b64 s[12:13], s[2:3], s[4:5]
.LBB191_3038:
	s_or_b64 exec, exec, s[14:15]
	s_and_saveexec_b64 s[2:3], s[12:13]
	s_cbranch_execz .LBB191_3041
; %bb.3039:
	; divergent unreachable
	s_or_b64 exec, exec, s[2:3]
	s_and_saveexec_b64 s[2:3], s[6:7]
	s_xor_b64 s[2:3], exec, s[2:3]
	s_cbranch_execnz .LBB191_3042
.LBB191_3040:
	s_or_b64 exec, exec, s[2:3]
	s_and_saveexec_b64 s[2:3], s[0:1]
	s_cbranch_execnz .LBB191_3043
	s_branch .LBB191_3080
.LBB191_3041:
	s_or_b64 exec, exec, s[2:3]
	s_and_saveexec_b64 s[2:3], s[6:7]
	s_xor_b64 s[2:3], exec, s[2:3]
	s_cbranch_execz .LBB191_3040
.LBB191_3042:
	v_cmp_ne_u32_e32 vcc, 0, v2
	s_waitcnt vmcnt(0)
	v_cndmask_b32_e64 v3, 0, 1, vcc
	global_store_byte v[0:1], v3, off
	s_or_b64 exec, exec, s[2:3]
	s_and_saveexec_b64 s[2:3], s[0:1]
	s_cbranch_execz .LBB191_3080
.LBB191_3043:
	s_sext_i32_i16 s2, s18
	s_cmp_lt_i32 s2, 5
	s_mov_b64 s[0:1], -1
	s_cbranch_scc1 .LBB191_3064
; %bb.3044:
	s_cmp_lt_i32 s2, 8
	s_cbranch_scc1 .LBB191_3054
; %bb.3045:
	s_cmp_lt_i32 s2, 9
	s_cbranch_scc1 .LBB191_3051
; %bb.3046:
	s_cmp_gt_i32 s2, 9
	s_cbranch_scc0 .LBB191_3048
; %bb.3047:
	s_waitcnt vmcnt(0)
	v_cvt_f64_i32_e32 v[3:4], v2
	v_mov_b32_e32 v5, 0
	v_mov_b32_e32 v6, v5
	s_mov_b64 s[0:1], 0
	global_store_dwordx4 v[0:1], v[3:6], off
.LBB191_3048:
	s_andn2_b64 vcc, exec, s[0:1]
	s_cbranch_vccnz .LBB191_3050
; %bb.3049:
	s_waitcnt vmcnt(0)
	v_cvt_f32_i32_e32 v3, v2
	v_mov_b32_e32 v4, 0
	global_store_dwordx2 v[0:1], v[3:4], off
.LBB191_3050:
	s_mov_b64 s[0:1], 0
.LBB191_3051:
	s_andn2_b64 vcc, exec, s[0:1]
	s_cbranch_vccnz .LBB191_3053
; %bb.3052:
	s_waitcnt vmcnt(0)
	v_cvt_f32_i32_e32 v3, v2
	v_cvt_f16_f32_e32 v3, v3
	global_store_dword v[0:1], v3, off
.LBB191_3053:
	s_mov_b64 s[0:1], 0
.LBB191_3054:
	s_andn2_b64 vcc, exec, s[0:1]
	s_cbranch_vccnz .LBB191_3063
; %bb.3055:
	s_sext_i32_i16 s2, s18
	s_cmp_lt_i32 s2, 6
	s_mov_b64 s[0:1], -1
	s_cbranch_scc1 .LBB191_3061
; %bb.3056:
	s_cmp_gt_i32 s2, 6
	s_cbranch_scc0 .LBB191_3058
; %bb.3057:
	s_waitcnt vmcnt(0)
	v_cvt_f64_i32_e32 v[3:4], v2
	s_mov_b64 s[0:1], 0
	global_store_dwordx2 v[0:1], v[3:4], off
.LBB191_3058:
	s_andn2_b64 vcc, exec, s[0:1]
	s_cbranch_vccnz .LBB191_3060
; %bb.3059:
	s_waitcnt vmcnt(0)
	v_cvt_f32_i32_e32 v3, v2
	global_store_dword v[0:1], v3, off
.LBB191_3060:
	s_mov_b64 s[0:1], 0
.LBB191_3061:
	s_andn2_b64 vcc, exec, s[0:1]
	s_cbranch_vccnz .LBB191_3063
; %bb.3062:
	s_waitcnt vmcnt(0)
	v_cvt_f32_i32_e32 v3, v2
	v_cvt_f16_f32_e32 v3, v3
	global_store_short v[0:1], v3, off
.LBB191_3063:
	s_mov_b64 s[0:1], 0
.LBB191_3064:
	s_andn2_b64 vcc, exec, s[0:1]
	s_cbranch_vccnz .LBB191_3080
; %bb.3065:
	s_sext_i32_i16 s2, s18
	s_cmp_lt_i32 s2, 2
	s_mov_b64 s[0:1], -1
	s_cbranch_scc1 .LBB191_3075
; %bb.3066:
	s_cmp_lt_i32 s2, 3
	s_cbranch_scc1 .LBB191_3072
; %bb.3067:
	s_cmp_gt_i32 s2, 3
	s_cbranch_scc0 .LBB191_3069
; %bb.3068:
	s_waitcnt vmcnt(0)
	v_ashrrev_i32_e32 v3, 31, v2
	global_store_dwordx2 v[0:1], v[2:3], off
	s_mov_b64 s[0:1], 0
.LBB191_3069:
	s_andn2_b64 vcc, exec, s[0:1]
	s_cbranch_vccnz .LBB191_3071
; %bb.3070:
	s_waitcnt vmcnt(0)
	global_store_dword v[0:1], v2, off
.LBB191_3071:
	s_mov_b64 s[0:1], 0
.LBB191_3072:
	s_andn2_b64 vcc, exec, s[0:1]
	s_cbranch_vccnz .LBB191_3074
; %bb.3073:
	s_waitcnt vmcnt(0)
	global_store_short v[0:1], v2, off
.LBB191_3074:
	s_mov_b64 s[0:1], 0
.LBB191_3075:
	s_andn2_b64 vcc, exec, s[0:1]
	s_cbranch_vccnz .LBB191_3080
; %bb.3076:
	s_sext_i32_i16 s0, s18
	s_cmp_gt_i32 s0, 0
	s_mov_b64 s[0:1], -1
	s_cbranch_scc0 .LBB191_3078
; %bb.3077:
	s_waitcnt vmcnt(0)
	global_store_byte v[0:1], v2, off
	s_mov_b64 s[0:1], 0
.LBB191_3078:
	s_andn2_b64 vcc, exec, s[0:1]
	s_cbranch_vccnz .LBB191_3080
; %bb.3079:
	s_waitcnt vmcnt(0)
	global_store_byte v[0:1], v2, off
	s_endpgm
.LBB191_3080:
	s_endpgm
.LBB191_3081:
	s_mov_b64 s[2:3], 0
	s_mov_b64 s[0:1], -1
	s_branch .LBB191_3037
.LBB191_3082:
	s_trap 2
	s_or_b64 s[4:5], s[4:5], exec
	s_cbranch_execz .LBB191_2551
	s_branch .LBB191_2552
.LBB191_3083:
	s_andn2_saveexec_b64 s[16:17], s[16:17]
	s_cbranch_execz .LBB191_2631
.LBB191_3084:
	s_mov_b32 s21, 0x46000000
	v_add_f32_e64 v6, |v1|, s21
	v_and_b32_e32 v6, 0xff, v6
	v_cmp_ne_u32_e32 vcc, 0, v6
	s_andn2_b64 s[10:11], s[10:11], exec
	s_and_b64 s[22:23], vcc, exec
	s_or_b64 s[10:11], s[10:11], s[22:23]
	s_or_b64 exec, exec, s[16:17]
	v_mov_b32_e32 v11, 0
	s_and_saveexec_b64 s[16:17], s[10:11]
	s_cbranch_execnz .LBB191_2632
	s_branch .LBB191_2633
.LBB191_3085:
	s_trap 2
	s_or_b64 s[4:5], s[4:5], exec
	s_cbranch_execz .LBB191_2679
	s_branch .LBB191_2680
.LBB191_3086:
	s_andn2_saveexec_b64 s[10:11], s[10:11]
	s_cbranch_execz .LBB191_2644
.LBB191_3087:
	s_mov_b32 s16, 0x42800000
	v_add_f32_e64 v6, |v1|, s16
	v_and_b32_e32 v6, 0xff, v6
	v_cmp_ne_u32_e32 vcc, 0, v6
	s_andn2_b64 s[6:7], s[6:7], exec
	s_and_b64 s[16:17], vcc, exec
	s_or_b64 s[6:7], s[6:7], s[16:17]
	s_or_b64 exec, exec, s[10:11]
	v_mov_b32_e32 v11, 0
	s_and_saveexec_b64 s[10:11], s[6:7]
	s_cbranch_execnz .LBB191_2645
	s_branch .LBB191_2646
.LBB191_3088:
	s_andn2_saveexec_b64 s[16:17], s[16:17]
	s_cbranch_execz .LBB191_2750
.LBB191_3089:
	s_mov_b32 s20, 0x46000000
	v_add_f32_e64 v4, |v1|, s20
	v_and_b32_e32 v4, 0xff, v4
	v_cmp_ne_u32_e32 vcc, 0, v4
	s_andn2_b64 s[10:11], s[10:11], exec
	s_and_b64 s[20:21], vcc, exec
	s_or_b64 s[10:11], s[10:11], s[20:21]
	s_or_b64 exec, exec, s[16:17]
	v_mov_b32_e32 v7, 0
	s_and_saveexec_b64 s[16:17], s[10:11]
	s_cbranch_execnz .LBB191_2751
	s_branch .LBB191_2752
.LBB191_3090:
	s_trap 2
	s_or_b64 s[4:5], s[4:5], exec
	s_cbranch_execz .LBB191_2798
	s_branch .LBB191_2799
.LBB191_3091:
	s_andn2_saveexec_b64 s[10:11], s[10:11]
	s_cbranch_execz .LBB191_2763
.LBB191_3092:
	s_mov_b32 s16, 0x42800000
	v_add_f32_e64 v4, |v1|, s16
	v_and_b32_e32 v4, 0xff, v4
	v_cmp_ne_u32_e32 vcc, 0, v4
	s_andn2_b64 s[6:7], s[6:7], exec
	s_and_b64 s[16:17], vcc, exec
	s_or_b64 s[6:7], s[6:7], s[16:17]
	s_or_b64 exec, exec, s[10:11]
	v_mov_b32_e32 v7, 0
	s_and_saveexec_b64 s[10:11], s[6:7]
	s_cbranch_execnz .LBB191_2764
	s_branch .LBB191_2765
.LBB191_3093:
	s_andn2_saveexec_b64 s[16:17], s[16:17]
	s_cbranch_execz .LBB191_2869
.LBB191_3094:
	s_mov_b32 s20, 0x46000000
	v_add_f32_e64 v5, |v2|, s20
	v_and_b32_e32 v5, 0xff, v5
	v_cmp_ne_u32_e32 vcc, 0, v5
	s_andn2_b64 s[10:11], s[10:11], exec
	s_and_b64 s[20:21], vcc, exec
	s_or_b64 s[10:11], s[10:11], s[20:21]
	s_or_b64 exec, exec, s[16:17]
	v_mov_b32_e32 v6, 0
	s_and_saveexec_b64 s[16:17], s[10:11]
	s_cbranch_execnz .LBB191_2870
	s_branch .LBB191_2871
.LBB191_3095:
	s_trap 2
	s_or_b64 s[4:5], s[4:5], exec
	s_cbranch_execz .LBB191_2917
	s_branch .LBB191_2918
.LBB191_3096:
	s_andn2_saveexec_b64 s[10:11], s[10:11]
	s_cbranch_execz .LBB191_2882
.LBB191_3097:
	s_mov_b32 s16, 0x42800000
	v_add_f32_e64 v5, |v2|, s16
	v_and_b32_e32 v5, 0xff, v5
	v_cmp_ne_u32_e32 vcc, 0, v5
	s_andn2_b64 s[6:7], s[6:7], exec
	s_and_b64 s[16:17], vcc, exec
	s_or_b64 s[6:7], s[6:7], s[16:17]
	s_or_b64 exec, exec, s[10:11]
	v_mov_b32_e32 v6, 0
	s_and_saveexec_b64 s[10:11], s[6:7]
	s_cbranch_execnz .LBB191_2883
	s_branch .LBB191_2884
.LBB191_3098:
	s_andn2_saveexec_b64 s[10:11], s[10:11]
	s_cbranch_execz .LBB191_2989
.LBB191_3099:
	s_mov_b32 s17, 0x46000000
	v_add_f32_e64 v4, |v3|, s17
	v_and_b32_e32 v4, 0xff, v4
	v_cmp_ne_u32_e32 vcc, 0, v4
	s_andn2_b64 s[8:9], s[8:9], exec
	s_and_b64 s[20:21], vcc, exec
	s_or_b64 s[8:9], s[8:9], s[20:21]
	s_or_b64 exec, exec, s[10:11]
	v_mov_b32_e32 v5, 0
	s_and_saveexec_b64 s[10:11], s[8:9]
	s_cbranch_execnz .LBB191_2990
	s_branch .LBB191_2991
.LBB191_3100:
	s_mov_b64 s[2:3], 0
	s_or_b64 s[4:5], s[4:5], exec
	s_trap 2
	s_branch .LBB191_3035
.LBB191_3101:
	s_andn2_saveexec_b64 s[8:9], s[8:9]
	s_cbranch_execz .LBB191_3001
.LBB191_3102:
	s_mov_b32 s10, 0x42800000
	v_add_f32_e64 v4, |v3|, s10
	v_and_b32_e32 v4, 0xff, v4
	v_cmp_ne_u32_e32 vcc, 0, v4
	s_andn2_b64 s[6:7], s[6:7], exec
	s_and_b64 s[10:11], vcc, exec
	s_or_b64 s[6:7], s[6:7], s[10:11]
	s_or_b64 exec, exec, s[8:9]
	v_mov_b32_e32 v5, 0
	s_and_saveexec_b64 s[8:9], s[6:7]
	s_cbranch_execnz .LBB191_3002
	s_branch .LBB191_3003
	.section	.rodata,"a",@progbits
	.p2align	6, 0x0
	.amdhsa_kernel _ZN2at6native32elementwise_kernel_manual_unrollILi128ELi4EZNS0_15gpu_kernel_implINS0_13BinaryFunctorIiiiZZZNS0_18rshift_kernel_cudaERNS_18TensorIteratorBaseEENKUlvE_clEvENKUlvE1_clEvEUliiE_EEEEvS5_RKT_EUlibE0_EEviT1_
		.amdhsa_group_segment_fixed_size 0
		.amdhsa_private_segment_fixed_size 0
		.amdhsa_kernarg_size 432
		.amdhsa_user_sgpr_count 6
		.amdhsa_user_sgpr_private_segment_buffer 1
		.amdhsa_user_sgpr_dispatch_ptr 0
		.amdhsa_user_sgpr_queue_ptr 0
		.amdhsa_user_sgpr_kernarg_segment_ptr 1
		.amdhsa_user_sgpr_dispatch_id 0
		.amdhsa_user_sgpr_flat_scratch_init 0
		.amdhsa_user_sgpr_private_segment_size 0
		.amdhsa_uses_dynamic_stack 0
		.amdhsa_system_sgpr_private_segment_wavefront_offset 0
		.amdhsa_system_sgpr_workgroup_id_x 1
		.amdhsa_system_sgpr_workgroup_id_y 0
		.amdhsa_system_sgpr_workgroup_id_z 0
		.amdhsa_system_sgpr_workgroup_info 0
		.amdhsa_system_vgpr_workitem_id 0
		.amdhsa_next_free_vgpr 24
		.amdhsa_next_free_sgpr 80
		.amdhsa_reserve_vcc 1
		.amdhsa_reserve_flat_scratch 0
		.amdhsa_float_round_mode_32 0
		.amdhsa_float_round_mode_16_64 0
		.amdhsa_float_denorm_mode_32 3
		.amdhsa_float_denorm_mode_16_64 3
		.amdhsa_dx10_clamp 1
		.amdhsa_ieee_mode 1
		.amdhsa_fp16_overflow 0
		.amdhsa_exception_fp_ieee_invalid_op 0
		.amdhsa_exception_fp_denorm_src 0
		.amdhsa_exception_fp_ieee_div_zero 0
		.amdhsa_exception_fp_ieee_overflow 0
		.amdhsa_exception_fp_ieee_underflow 0
		.amdhsa_exception_fp_ieee_inexact 0
		.amdhsa_exception_int_div_zero 0
	.end_amdhsa_kernel
	.section	.text._ZN2at6native32elementwise_kernel_manual_unrollILi128ELi4EZNS0_15gpu_kernel_implINS0_13BinaryFunctorIiiiZZZNS0_18rshift_kernel_cudaERNS_18TensorIteratorBaseEENKUlvE_clEvENKUlvE1_clEvEUliiE_EEEEvS5_RKT_EUlibE0_EEviT1_,"axG",@progbits,_ZN2at6native32elementwise_kernel_manual_unrollILi128ELi4EZNS0_15gpu_kernel_implINS0_13BinaryFunctorIiiiZZZNS0_18rshift_kernel_cudaERNS_18TensorIteratorBaseEENKUlvE_clEvENKUlvE1_clEvEUliiE_EEEEvS5_RKT_EUlibE0_EEviT1_,comdat
.Lfunc_end191:
	.size	_ZN2at6native32elementwise_kernel_manual_unrollILi128ELi4EZNS0_15gpu_kernel_implINS0_13BinaryFunctorIiiiZZZNS0_18rshift_kernel_cudaERNS_18TensorIteratorBaseEENKUlvE_clEvENKUlvE1_clEvEUliiE_EEEEvS5_RKT_EUlibE0_EEviT1_, .Lfunc_end191-_ZN2at6native32elementwise_kernel_manual_unrollILi128ELi4EZNS0_15gpu_kernel_implINS0_13BinaryFunctorIiiiZZZNS0_18rshift_kernel_cudaERNS_18TensorIteratorBaseEENKUlvE_clEvENKUlvE1_clEvEUliiE_EEEEvS5_RKT_EUlibE0_EEviT1_
                                        ; -- End function
	.set _ZN2at6native32elementwise_kernel_manual_unrollILi128ELi4EZNS0_15gpu_kernel_implINS0_13BinaryFunctorIiiiZZZNS0_18rshift_kernel_cudaERNS_18TensorIteratorBaseEENKUlvE_clEvENKUlvE1_clEvEUliiE_EEEEvS5_RKT_EUlibE0_EEviT1_.num_vgpr, 24
	.set _ZN2at6native32elementwise_kernel_manual_unrollILi128ELi4EZNS0_15gpu_kernel_implINS0_13BinaryFunctorIiiiZZZNS0_18rshift_kernel_cudaERNS_18TensorIteratorBaseEENKUlvE_clEvENKUlvE1_clEvEUliiE_EEEEvS5_RKT_EUlibE0_EEviT1_.num_agpr, 0
	.set _ZN2at6native32elementwise_kernel_manual_unrollILi128ELi4EZNS0_15gpu_kernel_implINS0_13BinaryFunctorIiiiZZZNS0_18rshift_kernel_cudaERNS_18TensorIteratorBaseEENKUlvE_clEvENKUlvE1_clEvEUliiE_EEEEvS5_RKT_EUlibE0_EEviT1_.numbered_sgpr, 80
	.set _ZN2at6native32elementwise_kernel_manual_unrollILi128ELi4EZNS0_15gpu_kernel_implINS0_13BinaryFunctorIiiiZZZNS0_18rshift_kernel_cudaERNS_18TensorIteratorBaseEENKUlvE_clEvENKUlvE1_clEvEUliiE_EEEEvS5_RKT_EUlibE0_EEviT1_.num_named_barrier, 0
	.set _ZN2at6native32elementwise_kernel_manual_unrollILi128ELi4EZNS0_15gpu_kernel_implINS0_13BinaryFunctorIiiiZZZNS0_18rshift_kernel_cudaERNS_18TensorIteratorBaseEENKUlvE_clEvENKUlvE1_clEvEUliiE_EEEEvS5_RKT_EUlibE0_EEviT1_.private_seg_size, 0
	.set _ZN2at6native32elementwise_kernel_manual_unrollILi128ELi4EZNS0_15gpu_kernel_implINS0_13BinaryFunctorIiiiZZZNS0_18rshift_kernel_cudaERNS_18TensorIteratorBaseEENKUlvE_clEvENKUlvE1_clEvEUliiE_EEEEvS5_RKT_EUlibE0_EEviT1_.uses_vcc, 1
	.set _ZN2at6native32elementwise_kernel_manual_unrollILi128ELi4EZNS0_15gpu_kernel_implINS0_13BinaryFunctorIiiiZZZNS0_18rshift_kernel_cudaERNS_18TensorIteratorBaseEENKUlvE_clEvENKUlvE1_clEvEUliiE_EEEEvS5_RKT_EUlibE0_EEviT1_.uses_flat_scratch, 0
	.set _ZN2at6native32elementwise_kernel_manual_unrollILi128ELi4EZNS0_15gpu_kernel_implINS0_13BinaryFunctorIiiiZZZNS0_18rshift_kernel_cudaERNS_18TensorIteratorBaseEENKUlvE_clEvENKUlvE1_clEvEUliiE_EEEEvS5_RKT_EUlibE0_EEviT1_.has_dyn_sized_stack, 0
	.set _ZN2at6native32elementwise_kernel_manual_unrollILi128ELi4EZNS0_15gpu_kernel_implINS0_13BinaryFunctorIiiiZZZNS0_18rshift_kernel_cudaERNS_18TensorIteratorBaseEENKUlvE_clEvENKUlvE1_clEvEUliiE_EEEEvS5_RKT_EUlibE0_EEviT1_.has_recursion, 0
	.set _ZN2at6native32elementwise_kernel_manual_unrollILi128ELi4EZNS0_15gpu_kernel_implINS0_13BinaryFunctorIiiiZZZNS0_18rshift_kernel_cudaERNS_18TensorIteratorBaseEENKUlvE_clEvENKUlvE1_clEvEUliiE_EEEEvS5_RKT_EUlibE0_EEviT1_.has_indirect_call, 0
	.section	.AMDGPU.csdata,"",@progbits
; Kernel info:
; codeLenInByte = 47772
; TotalNumSgprs: 84
; NumVgprs: 24
; ScratchSize: 0
; MemoryBound: 1
; FloatMode: 240
; IeeeMode: 1
; LDSByteSize: 0 bytes/workgroup (compile time only)
; SGPRBlocks: 10
; VGPRBlocks: 5
; NumSGPRsForWavesPerEU: 84
; NumVGPRsForWavesPerEU: 24
; Occupancy: 9
; WaveLimiterHint : 1
; COMPUTE_PGM_RSRC2:SCRATCH_EN: 0
; COMPUTE_PGM_RSRC2:USER_SGPR: 6
; COMPUTE_PGM_RSRC2:TRAP_HANDLER: 0
; COMPUTE_PGM_RSRC2:TGID_X_EN: 1
; COMPUTE_PGM_RSRC2:TGID_Y_EN: 0
; COMPUTE_PGM_RSRC2:TGID_Z_EN: 0
; COMPUTE_PGM_RSRC2:TIDIG_COMP_CNT: 0
	.section	.text._ZN2at6native29vectorized_elementwise_kernelILi16ENS0_13AUnaryFunctorIlllZZZNS0_18rshift_kernel_cudaERNS_18TensorIteratorBaseEENKUlvE_clEvENKUlvE2_clEvEUlllE_EESt5arrayIPcLm2EEEEviT0_T1_,"axG",@progbits,_ZN2at6native29vectorized_elementwise_kernelILi16ENS0_13AUnaryFunctorIlllZZZNS0_18rshift_kernel_cudaERNS_18TensorIteratorBaseEENKUlvE_clEvENKUlvE2_clEvEUlllE_EESt5arrayIPcLm2EEEEviT0_T1_,comdat
	.globl	_ZN2at6native29vectorized_elementwise_kernelILi16ENS0_13AUnaryFunctorIlllZZZNS0_18rshift_kernel_cudaERNS_18TensorIteratorBaseEENKUlvE_clEvENKUlvE2_clEvEUlllE_EESt5arrayIPcLm2EEEEviT0_T1_ ; -- Begin function _ZN2at6native29vectorized_elementwise_kernelILi16ENS0_13AUnaryFunctorIlllZZZNS0_18rshift_kernel_cudaERNS_18TensorIteratorBaseEENKUlvE_clEvENKUlvE2_clEvEUlllE_EESt5arrayIPcLm2EEEEviT0_T1_
	.p2align	8
	.type	_ZN2at6native29vectorized_elementwise_kernelILi16ENS0_13AUnaryFunctorIlllZZZNS0_18rshift_kernel_cudaERNS_18TensorIteratorBaseEENKUlvE_clEvENKUlvE2_clEvEUlllE_EESt5arrayIPcLm2EEEEviT0_T1_,@function
_ZN2at6native29vectorized_elementwise_kernelILi16ENS0_13AUnaryFunctorIlllZZZNS0_18rshift_kernel_cudaERNS_18TensorIteratorBaseEENKUlvE_clEvENKUlvE2_clEvEUlllE_EESt5arrayIPcLm2EEEEviT0_T1_: ; @_ZN2at6native29vectorized_elementwise_kernelILi16ENS0_13AUnaryFunctorIlllZZZNS0_18rshift_kernel_cudaERNS_18TensorIteratorBaseEENKUlvE_clEvENKUlvE2_clEvEUlllE_EESt5arrayIPcLm2EEEEviT0_T1_
; %bb.0:
	s_load_dword s0, s[4:5], 0x0
	s_load_dwordx4 s[8:11], s[4:5], 0x10
	s_load_dwordx2 s[12:13], s[4:5], 0x20
	s_lshl_b32 s2, s6, 10
	s_waitcnt lgkmcnt(0)
	s_sub_i32 s6, s0, s2
	s_cmpk_gt_i32 s6, 0x3ff
	s_mov_b64 s[0:1], -1
	s_cbranch_scc0 .LBB192_2
; %bb.1:
	s_ashr_i32 s3, s2, 31
	s_lshl_b64 s[0:1], s[2:3], 3
	s_add_u32 s4, s12, s0
	s_addc_u32 s5, s13, s1
	v_lshlrev_b32_e32 v9, 5, v0
	global_load_dwordx4 v[1:4], v9, s[4:5]
	global_load_dwordx4 v[5:8], v9, s[4:5] offset:16
	s_add_u32 s0, s10, s0
	s_addc_u32 s1, s11, s1
	s_waitcnt vmcnt(1)
	v_cmp_gt_u64_e32 vcc, 63, v[1:2]
	v_cndmask_b32_e32 v1, 63, v1, vcc
	v_cmp_gt_u64_e32 vcc, 63, v[3:4]
	v_ashrrev_i64 v[1:2], v1, s[8:9]
	v_cndmask_b32_e32 v3, 63, v3, vcc
	s_waitcnt vmcnt(0)
	v_cmp_gt_u64_e32 vcc, 63, v[5:6]
	v_ashrrev_i64 v[3:4], v3, s[8:9]
	v_cndmask_b32_e32 v5, 63, v5, vcc
	v_cmp_gt_u64_e32 vcc, 63, v[7:8]
	v_ashrrev_i64 v[5:6], v5, s[8:9]
	v_cndmask_b32_e32 v7, 63, v7, vcc
	v_ashrrev_i64 v[7:8], v7, s[8:9]
	global_store_dwordx4 v9, v[1:4], s[0:1]
	global_store_dwordx4 v9, v[5:8], s[0:1] offset:16
	s_mov_b64 s[0:1], 0
.LBB192_2:
	s_andn2_b64 vcc, exec, s[0:1]
	s_cbranch_vccnz .LBB192_16
; %bb.3:
	v_mov_b32_e32 v3, 0
	v_mov_b32_e32 v4, 0
	v_cmp_gt_i32_e32 vcc, s6, v0
	v_or_b32_e32 v1, s2, v0
	v_mov_b32_e32 v4, 0
	v_mov_b32_e32 v2, v0
	;; [unrolled: 1-line block ×3, first 2 shown]
	s_and_saveexec_b64 s[4:5], vcc
	s_cbranch_execz .LBB192_5
; %bb.4:
	v_mov_b32_e32 v2, 0
	v_lshlrev_b64 v[4:5], 3, v[1:2]
	v_mov_b32_e32 v2, s13
	v_add_co_u32_e64 v4, s[0:1], s12, v4
	v_addc_co_u32_e64 v5, s[0:1], v2, v5, s[0:1]
	global_load_dwordx2 v[4:5], v[4:5], off
	v_or_b32_e32 v2, 0x100, v0
	s_waitcnt vmcnt(0)
	v_cmp_gt_u64_e64 s[0:1], 63, v[4:5]
	v_cndmask_b32_e64 v4, 63, v4, s[0:1]
.LBB192_5:
	s_or_b64 exec, exec, s[4:5]
	v_cmp_gt_i32_e64 s[0:1], s6, v2
	s_and_saveexec_b64 s[4:5], s[0:1]
	s_cbranch_execz .LBB192_7
; %bb.6:
	v_add_u32_e32 v5, s2, v2
	v_mov_b32_e32 v6, 0
	v_lshlrev_b64 v[5:6], 3, v[5:6]
	v_mov_b32_e32 v3, s13
	v_add_co_u32_e64 v5, s[0:1], s12, v5
	v_addc_co_u32_e64 v6, s[0:1], v3, v6, s[0:1]
	global_load_dwordx2 v[5:6], v[5:6], off
	v_add_u32_e32 v2, 0x100, v2
	s_waitcnt vmcnt(0)
	v_cmp_gt_u64_e64 s[0:1], 63, v[5:6]
	v_cndmask_b32_e64 v3, 63, v5, s[0:1]
.LBB192_7:
	s_or_b64 exec, exec, s[4:5]
	v_mov_b32_e32 v7, 0
	v_mov_b32_e32 v5, 0
	v_cmp_gt_i32_e64 s[0:1], s6, v2
	v_mov_b32_e32 v8, 0
	v_mov_b32_e32 v6, 0
	s_and_saveexec_b64 s[4:5], s[0:1]
	s_cbranch_execz .LBB192_9
; %bb.8:
	v_add_u32_e32 v5, s2, v2
	v_mov_b32_e32 v6, 0
	v_lshlrev_b64 v[5:6], 3, v[5:6]
	v_mov_b32_e32 v8, s13
	v_add_co_u32_e64 v5, s[0:1], s12, v5
	v_addc_co_u32_e64 v6, s[0:1], v8, v6, s[0:1]
	global_load_dwordx2 v[5:6], v[5:6], off
	v_add_u32_e32 v2, 0x100, v2
	s_waitcnt vmcnt(0)
	v_cmp_gt_u64_e64 s[0:1], 63, v[5:6]
	v_cndmask_b32_e64 v5, 63, v5, s[0:1]
.LBB192_9:
	s_or_b64 exec, exec, s[4:5]
	v_cmp_gt_i32_e64 s[0:1], s6, v2
	s_and_saveexec_b64 s[4:5], s[0:1]
	s_cbranch_execz .LBB192_11
; %bb.10:
	v_add_u32_e32 v6, s2, v2
	v_mov_b32_e32 v7, 0
	v_lshlrev_b64 v[6:7], 3, v[6:7]
	v_mov_b32_e32 v2, s13
	v_add_co_u32_e64 v6, s[0:1], s12, v6
	v_addc_co_u32_e64 v7, s[0:1], v2, v7, s[0:1]
	global_load_dwordx2 v[6:7], v[6:7], off
	s_waitcnt vmcnt(0)
	v_cmp_gt_u64_e64 s[0:1], 63, v[6:7]
	v_cndmask_b32_e64 v7, 63, v6, s[0:1]
.LBB192_11:
	s_or_b64 exec, exec, s[4:5]
	v_ashrrev_i64 v[8:9], v4, s[8:9]
	v_or_b32_e32 v12, 0x100, v0
	v_ashrrev_i64 v[2:3], v3, s[8:9]
	v_cmp_gt_i32_e64 s[0:1], s6, v12
	v_cndmask_b32_e32 v11, 0, v9, vcc
	v_cndmask_b32_e32 v10, 0, v8, vcc
	v_cndmask_b32_e64 v9, 0, v3, s[0:1]
	v_cndmask_b32_e64 v8, 0, v2, s[0:1]
	v_or_b32_e32 v4, 0x200, v0
	v_ashrrev_i64 v[2:3], v5, s[8:9]
	v_cmp_gt_i32_e64 s[0:1], s6, v4
	v_cndmask_b32_e64 v6, 0, v3, s[0:1]
	v_cndmask_b32_e64 v5, 0, v2, s[0:1]
	v_or_b32_e32 v4, 0x300, v0
	v_ashrrev_i64 v[2:3], v7, s[8:9]
	v_cmp_gt_i32_e64 s[0:1], s6, v4
	v_cndmask_b32_e64 v4, 0, v3, s[0:1]
	v_cndmask_b32_e64 v3, 0, v2, s[0:1]
	s_and_saveexec_b64 s[0:1], vcc
	s_cbranch_execnz .LBB192_17
; %bb.12:
	s_or_b64 exec, exec, s[0:1]
	v_cmp_gt_i32_e32 vcc, s6, v0
	s_and_saveexec_b64 s[0:1], vcc
	s_cbranch_execnz .LBB192_18
.LBB192_13:
	s_or_b64 exec, exec, s[0:1]
	v_cmp_gt_i32_e32 vcc, s6, v0
	s_and_saveexec_b64 s[0:1], vcc
	s_cbranch_execnz .LBB192_19
.LBB192_14:
	s_or_b64 exec, exec, s[0:1]
	v_cmp_gt_i32_e32 vcc, s6, v0
	s_and_saveexec_b64 s[0:1], vcc
	s_cbranch_execz .LBB192_16
.LBB192_15:
	v_add_u32_e32 v0, s2, v0
	v_mov_b32_e32 v1, 0
	v_lshlrev_b64 v[0:1], 3, v[0:1]
	v_mov_b32_e32 v2, s11
	v_add_co_u32_e32 v0, vcc, s10, v0
	v_addc_co_u32_e32 v1, vcc, v2, v1, vcc
	global_store_dwordx2 v[0:1], v[3:4], off
.LBB192_16:
	s_endpgm
.LBB192_17:
	v_mov_b32_e32 v2, 0
	v_lshlrev_b64 v[0:1], 3, v[1:2]
	v_mov_b32_e32 v2, s11
	v_add_co_u32_e32 v0, vcc, s10, v0
	v_addc_co_u32_e32 v1, vcc, v2, v1, vcc
	global_store_dwordx2 v[0:1], v[10:11], off
	v_mov_b32_e32 v0, v12
	s_or_b64 exec, exec, s[0:1]
	v_cmp_gt_i32_e32 vcc, s6, v0
	s_and_saveexec_b64 s[0:1], vcc
	s_cbranch_execz .LBB192_13
.LBB192_18:
	v_add_u32_e32 v1, s2, v0
	v_mov_b32_e32 v2, 0
	v_lshlrev_b64 v[1:2], 3, v[1:2]
	v_mov_b32_e32 v7, s11
	v_add_co_u32_e32 v1, vcc, s10, v1
	v_addc_co_u32_e32 v2, vcc, v7, v2, vcc
	v_add_u32_e32 v0, 0x100, v0
	global_store_dwordx2 v[1:2], v[8:9], off
	s_or_b64 exec, exec, s[0:1]
	v_cmp_gt_i32_e32 vcc, s6, v0
	s_and_saveexec_b64 s[0:1], vcc
	s_cbranch_execz .LBB192_14
.LBB192_19:
	v_add_u32_e32 v1, s2, v0
	v_mov_b32_e32 v2, 0
	v_lshlrev_b64 v[1:2], 3, v[1:2]
	v_mov_b32_e32 v7, s11
	v_add_co_u32_e32 v1, vcc, s10, v1
	v_addc_co_u32_e32 v2, vcc, v7, v2, vcc
	v_add_u32_e32 v0, 0x100, v0
	global_store_dwordx2 v[1:2], v[5:6], off
	s_or_b64 exec, exec, s[0:1]
	v_cmp_gt_i32_e32 vcc, s6, v0
	s_and_saveexec_b64 s[0:1], vcc
	s_cbranch_execnz .LBB192_15
	s_branch .LBB192_16
	.section	.rodata,"a",@progbits
	.p2align	6, 0x0
	.amdhsa_kernel _ZN2at6native29vectorized_elementwise_kernelILi16ENS0_13AUnaryFunctorIlllZZZNS0_18rshift_kernel_cudaERNS_18TensorIteratorBaseEENKUlvE_clEvENKUlvE2_clEvEUlllE_EESt5arrayIPcLm2EEEEviT0_T1_
		.amdhsa_group_segment_fixed_size 0
		.amdhsa_private_segment_fixed_size 0
		.amdhsa_kernarg_size 40
		.amdhsa_user_sgpr_count 6
		.amdhsa_user_sgpr_private_segment_buffer 1
		.amdhsa_user_sgpr_dispatch_ptr 0
		.amdhsa_user_sgpr_queue_ptr 0
		.amdhsa_user_sgpr_kernarg_segment_ptr 1
		.amdhsa_user_sgpr_dispatch_id 0
		.amdhsa_user_sgpr_flat_scratch_init 0
		.amdhsa_user_sgpr_private_segment_size 0
		.amdhsa_uses_dynamic_stack 0
		.amdhsa_system_sgpr_private_segment_wavefront_offset 0
		.amdhsa_system_sgpr_workgroup_id_x 1
		.amdhsa_system_sgpr_workgroup_id_y 0
		.amdhsa_system_sgpr_workgroup_id_z 0
		.amdhsa_system_sgpr_workgroup_info 0
		.amdhsa_system_vgpr_workitem_id 0
		.amdhsa_next_free_vgpr 13
		.amdhsa_next_free_sgpr 14
		.amdhsa_reserve_vcc 1
		.amdhsa_reserve_flat_scratch 0
		.amdhsa_float_round_mode_32 0
		.amdhsa_float_round_mode_16_64 0
		.amdhsa_float_denorm_mode_32 3
		.amdhsa_float_denorm_mode_16_64 3
		.amdhsa_dx10_clamp 1
		.amdhsa_ieee_mode 1
		.amdhsa_fp16_overflow 0
		.amdhsa_exception_fp_ieee_invalid_op 0
		.amdhsa_exception_fp_denorm_src 0
		.amdhsa_exception_fp_ieee_div_zero 0
		.amdhsa_exception_fp_ieee_overflow 0
		.amdhsa_exception_fp_ieee_underflow 0
		.amdhsa_exception_fp_ieee_inexact 0
		.amdhsa_exception_int_div_zero 0
	.end_amdhsa_kernel
	.section	.text._ZN2at6native29vectorized_elementwise_kernelILi16ENS0_13AUnaryFunctorIlllZZZNS0_18rshift_kernel_cudaERNS_18TensorIteratorBaseEENKUlvE_clEvENKUlvE2_clEvEUlllE_EESt5arrayIPcLm2EEEEviT0_T1_,"axG",@progbits,_ZN2at6native29vectorized_elementwise_kernelILi16ENS0_13AUnaryFunctorIlllZZZNS0_18rshift_kernel_cudaERNS_18TensorIteratorBaseEENKUlvE_clEvENKUlvE2_clEvEUlllE_EESt5arrayIPcLm2EEEEviT0_T1_,comdat
.Lfunc_end192:
	.size	_ZN2at6native29vectorized_elementwise_kernelILi16ENS0_13AUnaryFunctorIlllZZZNS0_18rshift_kernel_cudaERNS_18TensorIteratorBaseEENKUlvE_clEvENKUlvE2_clEvEUlllE_EESt5arrayIPcLm2EEEEviT0_T1_, .Lfunc_end192-_ZN2at6native29vectorized_elementwise_kernelILi16ENS0_13AUnaryFunctorIlllZZZNS0_18rshift_kernel_cudaERNS_18TensorIteratorBaseEENKUlvE_clEvENKUlvE2_clEvEUlllE_EESt5arrayIPcLm2EEEEviT0_T1_
                                        ; -- End function
	.set _ZN2at6native29vectorized_elementwise_kernelILi16ENS0_13AUnaryFunctorIlllZZZNS0_18rshift_kernel_cudaERNS_18TensorIteratorBaseEENKUlvE_clEvENKUlvE2_clEvEUlllE_EESt5arrayIPcLm2EEEEviT0_T1_.num_vgpr, 13
	.set _ZN2at6native29vectorized_elementwise_kernelILi16ENS0_13AUnaryFunctorIlllZZZNS0_18rshift_kernel_cudaERNS_18TensorIteratorBaseEENKUlvE_clEvENKUlvE2_clEvEUlllE_EESt5arrayIPcLm2EEEEviT0_T1_.num_agpr, 0
	.set _ZN2at6native29vectorized_elementwise_kernelILi16ENS0_13AUnaryFunctorIlllZZZNS0_18rshift_kernel_cudaERNS_18TensorIteratorBaseEENKUlvE_clEvENKUlvE2_clEvEUlllE_EESt5arrayIPcLm2EEEEviT0_T1_.numbered_sgpr, 14
	.set _ZN2at6native29vectorized_elementwise_kernelILi16ENS0_13AUnaryFunctorIlllZZZNS0_18rshift_kernel_cudaERNS_18TensorIteratorBaseEENKUlvE_clEvENKUlvE2_clEvEUlllE_EESt5arrayIPcLm2EEEEviT0_T1_.num_named_barrier, 0
	.set _ZN2at6native29vectorized_elementwise_kernelILi16ENS0_13AUnaryFunctorIlllZZZNS0_18rshift_kernel_cudaERNS_18TensorIteratorBaseEENKUlvE_clEvENKUlvE2_clEvEUlllE_EESt5arrayIPcLm2EEEEviT0_T1_.private_seg_size, 0
	.set _ZN2at6native29vectorized_elementwise_kernelILi16ENS0_13AUnaryFunctorIlllZZZNS0_18rshift_kernel_cudaERNS_18TensorIteratorBaseEENKUlvE_clEvENKUlvE2_clEvEUlllE_EESt5arrayIPcLm2EEEEviT0_T1_.uses_vcc, 1
	.set _ZN2at6native29vectorized_elementwise_kernelILi16ENS0_13AUnaryFunctorIlllZZZNS0_18rshift_kernel_cudaERNS_18TensorIteratorBaseEENKUlvE_clEvENKUlvE2_clEvEUlllE_EESt5arrayIPcLm2EEEEviT0_T1_.uses_flat_scratch, 0
	.set _ZN2at6native29vectorized_elementwise_kernelILi16ENS0_13AUnaryFunctorIlllZZZNS0_18rshift_kernel_cudaERNS_18TensorIteratorBaseEENKUlvE_clEvENKUlvE2_clEvEUlllE_EESt5arrayIPcLm2EEEEviT0_T1_.has_dyn_sized_stack, 0
	.set _ZN2at6native29vectorized_elementwise_kernelILi16ENS0_13AUnaryFunctorIlllZZZNS0_18rshift_kernel_cudaERNS_18TensorIteratorBaseEENKUlvE_clEvENKUlvE2_clEvEUlllE_EESt5arrayIPcLm2EEEEviT0_T1_.has_recursion, 0
	.set _ZN2at6native29vectorized_elementwise_kernelILi16ENS0_13AUnaryFunctorIlllZZZNS0_18rshift_kernel_cudaERNS_18TensorIteratorBaseEENKUlvE_clEvENKUlvE2_clEvEUlllE_EESt5arrayIPcLm2EEEEviT0_T1_.has_indirect_call, 0
	.section	.AMDGPU.csdata,"",@progbits
; Kernel info:
; codeLenInByte = 992
; TotalNumSgprs: 18
; NumVgprs: 13
; ScratchSize: 0
; MemoryBound: 0
; FloatMode: 240
; IeeeMode: 1
; LDSByteSize: 0 bytes/workgroup (compile time only)
; SGPRBlocks: 2
; VGPRBlocks: 3
; NumSGPRsForWavesPerEU: 18
; NumVGPRsForWavesPerEU: 13
; Occupancy: 10
; WaveLimiterHint : 0
; COMPUTE_PGM_RSRC2:SCRATCH_EN: 0
; COMPUTE_PGM_RSRC2:USER_SGPR: 6
; COMPUTE_PGM_RSRC2:TRAP_HANDLER: 0
; COMPUTE_PGM_RSRC2:TGID_X_EN: 1
; COMPUTE_PGM_RSRC2:TGID_Y_EN: 0
; COMPUTE_PGM_RSRC2:TGID_Z_EN: 0
; COMPUTE_PGM_RSRC2:TIDIG_COMP_CNT: 0
	.section	.text._ZN2at6native29vectorized_elementwise_kernelILi8ENS0_13AUnaryFunctorIlllZZZNS0_18rshift_kernel_cudaERNS_18TensorIteratorBaseEENKUlvE_clEvENKUlvE2_clEvEUlllE_EESt5arrayIPcLm2EEEEviT0_T1_,"axG",@progbits,_ZN2at6native29vectorized_elementwise_kernelILi8ENS0_13AUnaryFunctorIlllZZZNS0_18rshift_kernel_cudaERNS_18TensorIteratorBaseEENKUlvE_clEvENKUlvE2_clEvEUlllE_EESt5arrayIPcLm2EEEEviT0_T1_,comdat
	.globl	_ZN2at6native29vectorized_elementwise_kernelILi8ENS0_13AUnaryFunctorIlllZZZNS0_18rshift_kernel_cudaERNS_18TensorIteratorBaseEENKUlvE_clEvENKUlvE2_clEvEUlllE_EESt5arrayIPcLm2EEEEviT0_T1_ ; -- Begin function _ZN2at6native29vectorized_elementwise_kernelILi8ENS0_13AUnaryFunctorIlllZZZNS0_18rshift_kernel_cudaERNS_18TensorIteratorBaseEENKUlvE_clEvENKUlvE2_clEvEUlllE_EESt5arrayIPcLm2EEEEviT0_T1_
	.p2align	8
	.type	_ZN2at6native29vectorized_elementwise_kernelILi8ENS0_13AUnaryFunctorIlllZZZNS0_18rshift_kernel_cudaERNS_18TensorIteratorBaseEENKUlvE_clEvENKUlvE2_clEvEUlllE_EESt5arrayIPcLm2EEEEviT0_T1_,@function
_ZN2at6native29vectorized_elementwise_kernelILi8ENS0_13AUnaryFunctorIlllZZZNS0_18rshift_kernel_cudaERNS_18TensorIteratorBaseEENKUlvE_clEvENKUlvE2_clEvEUlllE_EESt5arrayIPcLm2EEEEviT0_T1_: ; @_ZN2at6native29vectorized_elementwise_kernelILi8ENS0_13AUnaryFunctorIlllZZZNS0_18rshift_kernel_cudaERNS_18TensorIteratorBaseEENKUlvE_clEvENKUlvE2_clEvEUlllE_EESt5arrayIPcLm2EEEEviT0_T1_
; %bb.0:
	s_load_dword s0, s[4:5], 0x0
	s_load_dwordx4 s[8:11], s[4:5], 0x10
	s_load_dwordx2 s[12:13], s[4:5], 0x20
	s_lshl_b32 s2, s6, 10
	s_waitcnt lgkmcnt(0)
	s_sub_i32 s6, s0, s2
	s_cmpk_gt_i32 s6, 0x3ff
	s_mov_b64 s[0:1], -1
	s_cbranch_scc0 .LBB193_2
; %bb.1:
	s_ashr_i32 s3, s2, 31
	s_lshl_b64 s[0:1], s[2:3], 3
	s_add_u32 s4, s12, s0
	s_addc_u32 s5, s13, s1
	v_lshlrev_b32_e32 v9, 5, v0
	global_load_dwordx4 v[1:4], v9, s[4:5]
	global_load_dwordx4 v[5:8], v9, s[4:5] offset:16
	s_add_u32 s0, s10, s0
	s_addc_u32 s1, s11, s1
	s_waitcnt vmcnt(1)
	v_cmp_gt_u64_e32 vcc, 63, v[1:2]
	v_cndmask_b32_e32 v1, 63, v1, vcc
	v_cmp_gt_u64_e32 vcc, 63, v[3:4]
	v_ashrrev_i64 v[1:2], v1, s[8:9]
	v_cndmask_b32_e32 v3, 63, v3, vcc
	s_waitcnt vmcnt(0)
	v_cmp_gt_u64_e32 vcc, 63, v[5:6]
	v_ashrrev_i64 v[3:4], v3, s[8:9]
	v_cndmask_b32_e32 v5, 63, v5, vcc
	v_cmp_gt_u64_e32 vcc, 63, v[7:8]
	v_ashrrev_i64 v[5:6], v5, s[8:9]
	v_cndmask_b32_e32 v7, 63, v7, vcc
	v_ashrrev_i64 v[7:8], v7, s[8:9]
	global_store_dwordx4 v9, v[1:4], s[0:1]
	global_store_dwordx4 v9, v[5:8], s[0:1] offset:16
	s_mov_b64 s[0:1], 0
.LBB193_2:
	s_andn2_b64 vcc, exec, s[0:1]
	s_cbranch_vccnz .LBB193_16
; %bb.3:
	v_mov_b32_e32 v3, 0
	v_mov_b32_e32 v4, 0
	v_cmp_gt_i32_e32 vcc, s6, v0
	v_or_b32_e32 v1, s2, v0
	v_mov_b32_e32 v4, 0
	v_mov_b32_e32 v2, v0
	;; [unrolled: 1-line block ×3, first 2 shown]
	s_and_saveexec_b64 s[4:5], vcc
	s_cbranch_execz .LBB193_5
; %bb.4:
	v_mov_b32_e32 v2, 0
	v_lshlrev_b64 v[4:5], 3, v[1:2]
	v_mov_b32_e32 v2, s13
	v_add_co_u32_e64 v4, s[0:1], s12, v4
	v_addc_co_u32_e64 v5, s[0:1], v2, v5, s[0:1]
	global_load_dwordx2 v[4:5], v[4:5], off
	v_or_b32_e32 v2, 0x100, v0
	s_waitcnt vmcnt(0)
	v_cmp_gt_u64_e64 s[0:1], 63, v[4:5]
	v_cndmask_b32_e64 v4, 63, v4, s[0:1]
.LBB193_5:
	s_or_b64 exec, exec, s[4:5]
	v_cmp_gt_i32_e64 s[0:1], s6, v2
	s_and_saveexec_b64 s[4:5], s[0:1]
	s_cbranch_execz .LBB193_7
; %bb.6:
	v_add_u32_e32 v5, s2, v2
	v_mov_b32_e32 v6, 0
	v_lshlrev_b64 v[5:6], 3, v[5:6]
	v_mov_b32_e32 v3, s13
	v_add_co_u32_e64 v5, s[0:1], s12, v5
	v_addc_co_u32_e64 v6, s[0:1], v3, v6, s[0:1]
	global_load_dwordx2 v[5:6], v[5:6], off
	v_add_u32_e32 v2, 0x100, v2
	s_waitcnt vmcnt(0)
	v_cmp_gt_u64_e64 s[0:1], 63, v[5:6]
	v_cndmask_b32_e64 v3, 63, v5, s[0:1]
.LBB193_7:
	s_or_b64 exec, exec, s[4:5]
	v_mov_b32_e32 v7, 0
	v_mov_b32_e32 v5, 0
	v_cmp_gt_i32_e64 s[0:1], s6, v2
	v_mov_b32_e32 v8, 0
	v_mov_b32_e32 v6, 0
	s_and_saveexec_b64 s[4:5], s[0:1]
	s_cbranch_execz .LBB193_9
; %bb.8:
	v_add_u32_e32 v5, s2, v2
	v_mov_b32_e32 v6, 0
	v_lshlrev_b64 v[5:6], 3, v[5:6]
	v_mov_b32_e32 v8, s13
	v_add_co_u32_e64 v5, s[0:1], s12, v5
	v_addc_co_u32_e64 v6, s[0:1], v8, v6, s[0:1]
	global_load_dwordx2 v[5:6], v[5:6], off
	v_add_u32_e32 v2, 0x100, v2
	s_waitcnt vmcnt(0)
	v_cmp_gt_u64_e64 s[0:1], 63, v[5:6]
	v_cndmask_b32_e64 v5, 63, v5, s[0:1]
.LBB193_9:
	s_or_b64 exec, exec, s[4:5]
	v_cmp_gt_i32_e64 s[0:1], s6, v2
	s_and_saveexec_b64 s[4:5], s[0:1]
	s_cbranch_execz .LBB193_11
; %bb.10:
	v_add_u32_e32 v6, s2, v2
	v_mov_b32_e32 v7, 0
	v_lshlrev_b64 v[6:7], 3, v[6:7]
	v_mov_b32_e32 v2, s13
	v_add_co_u32_e64 v6, s[0:1], s12, v6
	v_addc_co_u32_e64 v7, s[0:1], v2, v7, s[0:1]
	global_load_dwordx2 v[6:7], v[6:7], off
	s_waitcnt vmcnt(0)
	v_cmp_gt_u64_e64 s[0:1], 63, v[6:7]
	v_cndmask_b32_e64 v7, 63, v6, s[0:1]
.LBB193_11:
	s_or_b64 exec, exec, s[4:5]
	v_ashrrev_i64 v[8:9], v4, s[8:9]
	v_or_b32_e32 v12, 0x100, v0
	v_ashrrev_i64 v[2:3], v3, s[8:9]
	v_cmp_gt_i32_e64 s[0:1], s6, v12
	v_cndmask_b32_e32 v11, 0, v9, vcc
	v_cndmask_b32_e32 v10, 0, v8, vcc
	v_cndmask_b32_e64 v9, 0, v3, s[0:1]
	v_cndmask_b32_e64 v8, 0, v2, s[0:1]
	v_or_b32_e32 v4, 0x200, v0
	v_ashrrev_i64 v[2:3], v5, s[8:9]
	v_cmp_gt_i32_e64 s[0:1], s6, v4
	v_cndmask_b32_e64 v6, 0, v3, s[0:1]
	v_cndmask_b32_e64 v5, 0, v2, s[0:1]
	v_or_b32_e32 v4, 0x300, v0
	v_ashrrev_i64 v[2:3], v7, s[8:9]
	v_cmp_gt_i32_e64 s[0:1], s6, v4
	v_cndmask_b32_e64 v4, 0, v3, s[0:1]
	v_cndmask_b32_e64 v3, 0, v2, s[0:1]
	s_and_saveexec_b64 s[0:1], vcc
	s_cbranch_execnz .LBB193_17
; %bb.12:
	s_or_b64 exec, exec, s[0:1]
	v_cmp_gt_i32_e32 vcc, s6, v0
	s_and_saveexec_b64 s[0:1], vcc
	s_cbranch_execnz .LBB193_18
.LBB193_13:
	s_or_b64 exec, exec, s[0:1]
	v_cmp_gt_i32_e32 vcc, s6, v0
	s_and_saveexec_b64 s[0:1], vcc
	s_cbranch_execnz .LBB193_19
.LBB193_14:
	s_or_b64 exec, exec, s[0:1]
	v_cmp_gt_i32_e32 vcc, s6, v0
	s_and_saveexec_b64 s[0:1], vcc
	s_cbranch_execz .LBB193_16
.LBB193_15:
	v_add_u32_e32 v0, s2, v0
	v_mov_b32_e32 v1, 0
	v_lshlrev_b64 v[0:1], 3, v[0:1]
	v_mov_b32_e32 v2, s11
	v_add_co_u32_e32 v0, vcc, s10, v0
	v_addc_co_u32_e32 v1, vcc, v2, v1, vcc
	global_store_dwordx2 v[0:1], v[3:4], off
.LBB193_16:
	s_endpgm
.LBB193_17:
	v_mov_b32_e32 v2, 0
	v_lshlrev_b64 v[0:1], 3, v[1:2]
	v_mov_b32_e32 v2, s11
	v_add_co_u32_e32 v0, vcc, s10, v0
	v_addc_co_u32_e32 v1, vcc, v2, v1, vcc
	global_store_dwordx2 v[0:1], v[10:11], off
	v_mov_b32_e32 v0, v12
	s_or_b64 exec, exec, s[0:1]
	v_cmp_gt_i32_e32 vcc, s6, v0
	s_and_saveexec_b64 s[0:1], vcc
	s_cbranch_execz .LBB193_13
.LBB193_18:
	v_add_u32_e32 v1, s2, v0
	v_mov_b32_e32 v2, 0
	v_lshlrev_b64 v[1:2], 3, v[1:2]
	v_mov_b32_e32 v7, s11
	v_add_co_u32_e32 v1, vcc, s10, v1
	v_addc_co_u32_e32 v2, vcc, v7, v2, vcc
	v_add_u32_e32 v0, 0x100, v0
	global_store_dwordx2 v[1:2], v[8:9], off
	s_or_b64 exec, exec, s[0:1]
	v_cmp_gt_i32_e32 vcc, s6, v0
	s_and_saveexec_b64 s[0:1], vcc
	s_cbranch_execz .LBB193_14
.LBB193_19:
	v_add_u32_e32 v1, s2, v0
	v_mov_b32_e32 v2, 0
	v_lshlrev_b64 v[1:2], 3, v[1:2]
	v_mov_b32_e32 v7, s11
	v_add_co_u32_e32 v1, vcc, s10, v1
	v_addc_co_u32_e32 v2, vcc, v7, v2, vcc
	v_add_u32_e32 v0, 0x100, v0
	global_store_dwordx2 v[1:2], v[5:6], off
	s_or_b64 exec, exec, s[0:1]
	v_cmp_gt_i32_e32 vcc, s6, v0
	s_and_saveexec_b64 s[0:1], vcc
	s_cbranch_execnz .LBB193_15
	s_branch .LBB193_16
	.section	.rodata,"a",@progbits
	.p2align	6, 0x0
	.amdhsa_kernel _ZN2at6native29vectorized_elementwise_kernelILi8ENS0_13AUnaryFunctorIlllZZZNS0_18rshift_kernel_cudaERNS_18TensorIteratorBaseEENKUlvE_clEvENKUlvE2_clEvEUlllE_EESt5arrayIPcLm2EEEEviT0_T1_
		.amdhsa_group_segment_fixed_size 0
		.amdhsa_private_segment_fixed_size 0
		.amdhsa_kernarg_size 40
		.amdhsa_user_sgpr_count 6
		.amdhsa_user_sgpr_private_segment_buffer 1
		.amdhsa_user_sgpr_dispatch_ptr 0
		.amdhsa_user_sgpr_queue_ptr 0
		.amdhsa_user_sgpr_kernarg_segment_ptr 1
		.amdhsa_user_sgpr_dispatch_id 0
		.amdhsa_user_sgpr_flat_scratch_init 0
		.amdhsa_user_sgpr_private_segment_size 0
		.amdhsa_uses_dynamic_stack 0
		.amdhsa_system_sgpr_private_segment_wavefront_offset 0
		.amdhsa_system_sgpr_workgroup_id_x 1
		.amdhsa_system_sgpr_workgroup_id_y 0
		.amdhsa_system_sgpr_workgroup_id_z 0
		.amdhsa_system_sgpr_workgroup_info 0
		.amdhsa_system_vgpr_workitem_id 0
		.amdhsa_next_free_vgpr 13
		.amdhsa_next_free_sgpr 14
		.amdhsa_reserve_vcc 1
		.amdhsa_reserve_flat_scratch 0
		.amdhsa_float_round_mode_32 0
		.amdhsa_float_round_mode_16_64 0
		.amdhsa_float_denorm_mode_32 3
		.amdhsa_float_denorm_mode_16_64 3
		.amdhsa_dx10_clamp 1
		.amdhsa_ieee_mode 1
		.amdhsa_fp16_overflow 0
		.amdhsa_exception_fp_ieee_invalid_op 0
		.amdhsa_exception_fp_denorm_src 0
		.amdhsa_exception_fp_ieee_div_zero 0
		.amdhsa_exception_fp_ieee_overflow 0
		.amdhsa_exception_fp_ieee_underflow 0
		.amdhsa_exception_fp_ieee_inexact 0
		.amdhsa_exception_int_div_zero 0
	.end_amdhsa_kernel
	.section	.text._ZN2at6native29vectorized_elementwise_kernelILi8ENS0_13AUnaryFunctorIlllZZZNS0_18rshift_kernel_cudaERNS_18TensorIteratorBaseEENKUlvE_clEvENKUlvE2_clEvEUlllE_EESt5arrayIPcLm2EEEEviT0_T1_,"axG",@progbits,_ZN2at6native29vectorized_elementwise_kernelILi8ENS0_13AUnaryFunctorIlllZZZNS0_18rshift_kernel_cudaERNS_18TensorIteratorBaseEENKUlvE_clEvENKUlvE2_clEvEUlllE_EESt5arrayIPcLm2EEEEviT0_T1_,comdat
.Lfunc_end193:
	.size	_ZN2at6native29vectorized_elementwise_kernelILi8ENS0_13AUnaryFunctorIlllZZZNS0_18rshift_kernel_cudaERNS_18TensorIteratorBaseEENKUlvE_clEvENKUlvE2_clEvEUlllE_EESt5arrayIPcLm2EEEEviT0_T1_, .Lfunc_end193-_ZN2at6native29vectorized_elementwise_kernelILi8ENS0_13AUnaryFunctorIlllZZZNS0_18rshift_kernel_cudaERNS_18TensorIteratorBaseEENKUlvE_clEvENKUlvE2_clEvEUlllE_EESt5arrayIPcLm2EEEEviT0_T1_
                                        ; -- End function
	.set _ZN2at6native29vectorized_elementwise_kernelILi8ENS0_13AUnaryFunctorIlllZZZNS0_18rshift_kernel_cudaERNS_18TensorIteratorBaseEENKUlvE_clEvENKUlvE2_clEvEUlllE_EESt5arrayIPcLm2EEEEviT0_T1_.num_vgpr, 13
	.set _ZN2at6native29vectorized_elementwise_kernelILi8ENS0_13AUnaryFunctorIlllZZZNS0_18rshift_kernel_cudaERNS_18TensorIteratorBaseEENKUlvE_clEvENKUlvE2_clEvEUlllE_EESt5arrayIPcLm2EEEEviT0_T1_.num_agpr, 0
	.set _ZN2at6native29vectorized_elementwise_kernelILi8ENS0_13AUnaryFunctorIlllZZZNS0_18rshift_kernel_cudaERNS_18TensorIteratorBaseEENKUlvE_clEvENKUlvE2_clEvEUlllE_EESt5arrayIPcLm2EEEEviT0_T1_.numbered_sgpr, 14
	.set _ZN2at6native29vectorized_elementwise_kernelILi8ENS0_13AUnaryFunctorIlllZZZNS0_18rshift_kernel_cudaERNS_18TensorIteratorBaseEENKUlvE_clEvENKUlvE2_clEvEUlllE_EESt5arrayIPcLm2EEEEviT0_T1_.num_named_barrier, 0
	.set _ZN2at6native29vectorized_elementwise_kernelILi8ENS0_13AUnaryFunctorIlllZZZNS0_18rshift_kernel_cudaERNS_18TensorIteratorBaseEENKUlvE_clEvENKUlvE2_clEvEUlllE_EESt5arrayIPcLm2EEEEviT0_T1_.private_seg_size, 0
	.set _ZN2at6native29vectorized_elementwise_kernelILi8ENS0_13AUnaryFunctorIlllZZZNS0_18rshift_kernel_cudaERNS_18TensorIteratorBaseEENKUlvE_clEvENKUlvE2_clEvEUlllE_EESt5arrayIPcLm2EEEEviT0_T1_.uses_vcc, 1
	.set _ZN2at6native29vectorized_elementwise_kernelILi8ENS0_13AUnaryFunctorIlllZZZNS0_18rshift_kernel_cudaERNS_18TensorIteratorBaseEENKUlvE_clEvENKUlvE2_clEvEUlllE_EESt5arrayIPcLm2EEEEviT0_T1_.uses_flat_scratch, 0
	.set _ZN2at6native29vectorized_elementwise_kernelILi8ENS0_13AUnaryFunctorIlllZZZNS0_18rshift_kernel_cudaERNS_18TensorIteratorBaseEENKUlvE_clEvENKUlvE2_clEvEUlllE_EESt5arrayIPcLm2EEEEviT0_T1_.has_dyn_sized_stack, 0
	.set _ZN2at6native29vectorized_elementwise_kernelILi8ENS0_13AUnaryFunctorIlllZZZNS0_18rshift_kernel_cudaERNS_18TensorIteratorBaseEENKUlvE_clEvENKUlvE2_clEvEUlllE_EESt5arrayIPcLm2EEEEviT0_T1_.has_recursion, 0
	.set _ZN2at6native29vectorized_elementwise_kernelILi8ENS0_13AUnaryFunctorIlllZZZNS0_18rshift_kernel_cudaERNS_18TensorIteratorBaseEENKUlvE_clEvENKUlvE2_clEvEUlllE_EESt5arrayIPcLm2EEEEviT0_T1_.has_indirect_call, 0
	.section	.AMDGPU.csdata,"",@progbits
; Kernel info:
; codeLenInByte = 992
; TotalNumSgprs: 18
; NumVgprs: 13
; ScratchSize: 0
; MemoryBound: 0
; FloatMode: 240
; IeeeMode: 1
; LDSByteSize: 0 bytes/workgroup (compile time only)
; SGPRBlocks: 2
; VGPRBlocks: 3
; NumSGPRsForWavesPerEU: 18
; NumVGPRsForWavesPerEU: 13
; Occupancy: 10
; WaveLimiterHint : 0
; COMPUTE_PGM_RSRC2:SCRATCH_EN: 0
; COMPUTE_PGM_RSRC2:USER_SGPR: 6
; COMPUTE_PGM_RSRC2:TRAP_HANDLER: 0
; COMPUTE_PGM_RSRC2:TGID_X_EN: 1
; COMPUTE_PGM_RSRC2:TGID_Y_EN: 0
; COMPUTE_PGM_RSRC2:TGID_Z_EN: 0
; COMPUTE_PGM_RSRC2:TIDIG_COMP_CNT: 0
	.section	.text._ZN2at6native29vectorized_elementwise_kernelILi4ENS0_13AUnaryFunctorIlllZZZNS0_18rshift_kernel_cudaERNS_18TensorIteratorBaseEENKUlvE_clEvENKUlvE2_clEvEUlllE_EESt5arrayIPcLm2EEEEviT0_T1_,"axG",@progbits,_ZN2at6native29vectorized_elementwise_kernelILi4ENS0_13AUnaryFunctorIlllZZZNS0_18rshift_kernel_cudaERNS_18TensorIteratorBaseEENKUlvE_clEvENKUlvE2_clEvEUlllE_EESt5arrayIPcLm2EEEEviT0_T1_,comdat
	.globl	_ZN2at6native29vectorized_elementwise_kernelILi4ENS0_13AUnaryFunctorIlllZZZNS0_18rshift_kernel_cudaERNS_18TensorIteratorBaseEENKUlvE_clEvENKUlvE2_clEvEUlllE_EESt5arrayIPcLm2EEEEviT0_T1_ ; -- Begin function _ZN2at6native29vectorized_elementwise_kernelILi4ENS0_13AUnaryFunctorIlllZZZNS0_18rshift_kernel_cudaERNS_18TensorIteratorBaseEENKUlvE_clEvENKUlvE2_clEvEUlllE_EESt5arrayIPcLm2EEEEviT0_T1_
	.p2align	8
	.type	_ZN2at6native29vectorized_elementwise_kernelILi4ENS0_13AUnaryFunctorIlllZZZNS0_18rshift_kernel_cudaERNS_18TensorIteratorBaseEENKUlvE_clEvENKUlvE2_clEvEUlllE_EESt5arrayIPcLm2EEEEviT0_T1_,@function
_ZN2at6native29vectorized_elementwise_kernelILi4ENS0_13AUnaryFunctorIlllZZZNS0_18rshift_kernel_cudaERNS_18TensorIteratorBaseEENKUlvE_clEvENKUlvE2_clEvEUlllE_EESt5arrayIPcLm2EEEEviT0_T1_: ; @_ZN2at6native29vectorized_elementwise_kernelILi4ENS0_13AUnaryFunctorIlllZZZNS0_18rshift_kernel_cudaERNS_18TensorIteratorBaseEENKUlvE_clEvENKUlvE2_clEvEUlllE_EESt5arrayIPcLm2EEEEviT0_T1_
; %bb.0:
	s_load_dword s0, s[4:5], 0x0
	s_load_dwordx4 s[8:11], s[4:5], 0x10
	s_load_dwordx2 s[12:13], s[4:5], 0x20
	s_lshl_b32 s2, s6, 10
	s_waitcnt lgkmcnt(0)
	s_sub_i32 s6, s0, s2
	s_cmpk_gt_i32 s6, 0x3ff
	s_mov_b64 s[0:1], -1
	s_cbranch_scc0 .LBB194_2
; %bb.1:
	s_ashr_i32 s3, s2, 31
	s_lshl_b64 s[0:1], s[2:3], 3
	s_add_u32 s4, s12, s0
	s_addc_u32 s5, s13, s1
	v_lshlrev_b32_e32 v9, 5, v0
	global_load_dwordx4 v[1:4], v9, s[4:5]
	global_load_dwordx4 v[5:8], v9, s[4:5] offset:16
	s_add_u32 s0, s10, s0
	s_addc_u32 s1, s11, s1
	s_waitcnt vmcnt(1)
	v_cmp_gt_u64_e32 vcc, 63, v[1:2]
	v_cndmask_b32_e32 v1, 63, v1, vcc
	v_cmp_gt_u64_e32 vcc, 63, v[3:4]
	v_ashrrev_i64 v[1:2], v1, s[8:9]
	v_cndmask_b32_e32 v3, 63, v3, vcc
	s_waitcnt vmcnt(0)
	v_cmp_gt_u64_e32 vcc, 63, v[5:6]
	v_ashrrev_i64 v[3:4], v3, s[8:9]
	v_cndmask_b32_e32 v5, 63, v5, vcc
	v_cmp_gt_u64_e32 vcc, 63, v[7:8]
	v_ashrrev_i64 v[5:6], v5, s[8:9]
	v_cndmask_b32_e32 v7, 63, v7, vcc
	v_ashrrev_i64 v[7:8], v7, s[8:9]
	global_store_dwordx4 v9, v[1:4], s[0:1]
	global_store_dwordx4 v9, v[5:8], s[0:1] offset:16
	s_mov_b64 s[0:1], 0
.LBB194_2:
	s_andn2_b64 vcc, exec, s[0:1]
	s_cbranch_vccnz .LBB194_16
; %bb.3:
	v_mov_b32_e32 v3, 0
	v_mov_b32_e32 v4, 0
	v_cmp_gt_i32_e32 vcc, s6, v0
	v_or_b32_e32 v1, s2, v0
	v_mov_b32_e32 v4, 0
	v_mov_b32_e32 v2, v0
	;; [unrolled: 1-line block ×3, first 2 shown]
	s_and_saveexec_b64 s[4:5], vcc
	s_cbranch_execz .LBB194_5
; %bb.4:
	v_mov_b32_e32 v2, 0
	v_lshlrev_b64 v[4:5], 3, v[1:2]
	v_mov_b32_e32 v2, s13
	v_add_co_u32_e64 v4, s[0:1], s12, v4
	v_addc_co_u32_e64 v5, s[0:1], v2, v5, s[0:1]
	global_load_dwordx2 v[4:5], v[4:5], off
	v_or_b32_e32 v2, 0x100, v0
	s_waitcnt vmcnt(0)
	v_cmp_gt_u64_e64 s[0:1], 63, v[4:5]
	v_cndmask_b32_e64 v4, 63, v4, s[0:1]
.LBB194_5:
	s_or_b64 exec, exec, s[4:5]
	v_cmp_gt_i32_e64 s[0:1], s6, v2
	s_and_saveexec_b64 s[4:5], s[0:1]
	s_cbranch_execz .LBB194_7
; %bb.6:
	v_add_u32_e32 v5, s2, v2
	v_mov_b32_e32 v6, 0
	v_lshlrev_b64 v[5:6], 3, v[5:6]
	v_mov_b32_e32 v3, s13
	v_add_co_u32_e64 v5, s[0:1], s12, v5
	v_addc_co_u32_e64 v6, s[0:1], v3, v6, s[0:1]
	global_load_dwordx2 v[5:6], v[5:6], off
	v_add_u32_e32 v2, 0x100, v2
	s_waitcnt vmcnt(0)
	v_cmp_gt_u64_e64 s[0:1], 63, v[5:6]
	v_cndmask_b32_e64 v3, 63, v5, s[0:1]
.LBB194_7:
	s_or_b64 exec, exec, s[4:5]
	v_mov_b32_e32 v7, 0
	v_mov_b32_e32 v5, 0
	v_cmp_gt_i32_e64 s[0:1], s6, v2
	v_mov_b32_e32 v8, 0
	v_mov_b32_e32 v6, 0
	s_and_saveexec_b64 s[4:5], s[0:1]
	s_cbranch_execz .LBB194_9
; %bb.8:
	v_add_u32_e32 v5, s2, v2
	v_mov_b32_e32 v6, 0
	v_lshlrev_b64 v[5:6], 3, v[5:6]
	v_mov_b32_e32 v8, s13
	v_add_co_u32_e64 v5, s[0:1], s12, v5
	v_addc_co_u32_e64 v6, s[0:1], v8, v6, s[0:1]
	global_load_dwordx2 v[5:6], v[5:6], off
	v_add_u32_e32 v2, 0x100, v2
	s_waitcnt vmcnt(0)
	v_cmp_gt_u64_e64 s[0:1], 63, v[5:6]
	v_cndmask_b32_e64 v5, 63, v5, s[0:1]
.LBB194_9:
	s_or_b64 exec, exec, s[4:5]
	v_cmp_gt_i32_e64 s[0:1], s6, v2
	s_and_saveexec_b64 s[4:5], s[0:1]
	s_cbranch_execz .LBB194_11
; %bb.10:
	v_add_u32_e32 v6, s2, v2
	v_mov_b32_e32 v7, 0
	v_lshlrev_b64 v[6:7], 3, v[6:7]
	v_mov_b32_e32 v2, s13
	v_add_co_u32_e64 v6, s[0:1], s12, v6
	v_addc_co_u32_e64 v7, s[0:1], v2, v7, s[0:1]
	global_load_dwordx2 v[6:7], v[6:7], off
	s_waitcnt vmcnt(0)
	v_cmp_gt_u64_e64 s[0:1], 63, v[6:7]
	v_cndmask_b32_e64 v7, 63, v6, s[0:1]
.LBB194_11:
	s_or_b64 exec, exec, s[4:5]
	v_ashrrev_i64 v[8:9], v4, s[8:9]
	v_or_b32_e32 v12, 0x100, v0
	v_ashrrev_i64 v[2:3], v3, s[8:9]
	v_cmp_gt_i32_e64 s[0:1], s6, v12
	v_cndmask_b32_e32 v11, 0, v9, vcc
	v_cndmask_b32_e32 v10, 0, v8, vcc
	v_cndmask_b32_e64 v9, 0, v3, s[0:1]
	v_cndmask_b32_e64 v8, 0, v2, s[0:1]
	v_or_b32_e32 v4, 0x200, v0
	v_ashrrev_i64 v[2:3], v5, s[8:9]
	v_cmp_gt_i32_e64 s[0:1], s6, v4
	v_cndmask_b32_e64 v6, 0, v3, s[0:1]
	v_cndmask_b32_e64 v5, 0, v2, s[0:1]
	v_or_b32_e32 v4, 0x300, v0
	v_ashrrev_i64 v[2:3], v7, s[8:9]
	v_cmp_gt_i32_e64 s[0:1], s6, v4
	v_cndmask_b32_e64 v4, 0, v3, s[0:1]
	v_cndmask_b32_e64 v3, 0, v2, s[0:1]
	s_and_saveexec_b64 s[0:1], vcc
	s_cbranch_execnz .LBB194_17
; %bb.12:
	s_or_b64 exec, exec, s[0:1]
	v_cmp_gt_i32_e32 vcc, s6, v0
	s_and_saveexec_b64 s[0:1], vcc
	s_cbranch_execnz .LBB194_18
.LBB194_13:
	s_or_b64 exec, exec, s[0:1]
	v_cmp_gt_i32_e32 vcc, s6, v0
	s_and_saveexec_b64 s[0:1], vcc
	s_cbranch_execnz .LBB194_19
.LBB194_14:
	s_or_b64 exec, exec, s[0:1]
	v_cmp_gt_i32_e32 vcc, s6, v0
	s_and_saveexec_b64 s[0:1], vcc
	s_cbranch_execz .LBB194_16
.LBB194_15:
	v_add_u32_e32 v0, s2, v0
	v_mov_b32_e32 v1, 0
	v_lshlrev_b64 v[0:1], 3, v[0:1]
	v_mov_b32_e32 v2, s11
	v_add_co_u32_e32 v0, vcc, s10, v0
	v_addc_co_u32_e32 v1, vcc, v2, v1, vcc
	global_store_dwordx2 v[0:1], v[3:4], off
.LBB194_16:
	s_endpgm
.LBB194_17:
	v_mov_b32_e32 v2, 0
	v_lshlrev_b64 v[0:1], 3, v[1:2]
	v_mov_b32_e32 v2, s11
	v_add_co_u32_e32 v0, vcc, s10, v0
	v_addc_co_u32_e32 v1, vcc, v2, v1, vcc
	global_store_dwordx2 v[0:1], v[10:11], off
	v_mov_b32_e32 v0, v12
	s_or_b64 exec, exec, s[0:1]
	v_cmp_gt_i32_e32 vcc, s6, v0
	s_and_saveexec_b64 s[0:1], vcc
	s_cbranch_execz .LBB194_13
.LBB194_18:
	v_add_u32_e32 v1, s2, v0
	v_mov_b32_e32 v2, 0
	v_lshlrev_b64 v[1:2], 3, v[1:2]
	v_mov_b32_e32 v7, s11
	v_add_co_u32_e32 v1, vcc, s10, v1
	v_addc_co_u32_e32 v2, vcc, v7, v2, vcc
	v_add_u32_e32 v0, 0x100, v0
	global_store_dwordx2 v[1:2], v[8:9], off
	s_or_b64 exec, exec, s[0:1]
	v_cmp_gt_i32_e32 vcc, s6, v0
	s_and_saveexec_b64 s[0:1], vcc
	s_cbranch_execz .LBB194_14
.LBB194_19:
	v_add_u32_e32 v1, s2, v0
	v_mov_b32_e32 v2, 0
	v_lshlrev_b64 v[1:2], 3, v[1:2]
	v_mov_b32_e32 v7, s11
	v_add_co_u32_e32 v1, vcc, s10, v1
	v_addc_co_u32_e32 v2, vcc, v7, v2, vcc
	v_add_u32_e32 v0, 0x100, v0
	global_store_dwordx2 v[1:2], v[5:6], off
	s_or_b64 exec, exec, s[0:1]
	v_cmp_gt_i32_e32 vcc, s6, v0
	s_and_saveexec_b64 s[0:1], vcc
	s_cbranch_execnz .LBB194_15
	s_branch .LBB194_16
	.section	.rodata,"a",@progbits
	.p2align	6, 0x0
	.amdhsa_kernel _ZN2at6native29vectorized_elementwise_kernelILi4ENS0_13AUnaryFunctorIlllZZZNS0_18rshift_kernel_cudaERNS_18TensorIteratorBaseEENKUlvE_clEvENKUlvE2_clEvEUlllE_EESt5arrayIPcLm2EEEEviT0_T1_
		.amdhsa_group_segment_fixed_size 0
		.amdhsa_private_segment_fixed_size 0
		.amdhsa_kernarg_size 40
		.amdhsa_user_sgpr_count 6
		.amdhsa_user_sgpr_private_segment_buffer 1
		.amdhsa_user_sgpr_dispatch_ptr 0
		.amdhsa_user_sgpr_queue_ptr 0
		.amdhsa_user_sgpr_kernarg_segment_ptr 1
		.amdhsa_user_sgpr_dispatch_id 0
		.amdhsa_user_sgpr_flat_scratch_init 0
		.amdhsa_user_sgpr_private_segment_size 0
		.amdhsa_uses_dynamic_stack 0
		.amdhsa_system_sgpr_private_segment_wavefront_offset 0
		.amdhsa_system_sgpr_workgroup_id_x 1
		.amdhsa_system_sgpr_workgroup_id_y 0
		.amdhsa_system_sgpr_workgroup_id_z 0
		.amdhsa_system_sgpr_workgroup_info 0
		.amdhsa_system_vgpr_workitem_id 0
		.amdhsa_next_free_vgpr 13
		.amdhsa_next_free_sgpr 14
		.amdhsa_reserve_vcc 1
		.amdhsa_reserve_flat_scratch 0
		.amdhsa_float_round_mode_32 0
		.amdhsa_float_round_mode_16_64 0
		.amdhsa_float_denorm_mode_32 3
		.amdhsa_float_denorm_mode_16_64 3
		.amdhsa_dx10_clamp 1
		.amdhsa_ieee_mode 1
		.amdhsa_fp16_overflow 0
		.amdhsa_exception_fp_ieee_invalid_op 0
		.amdhsa_exception_fp_denorm_src 0
		.amdhsa_exception_fp_ieee_div_zero 0
		.amdhsa_exception_fp_ieee_overflow 0
		.amdhsa_exception_fp_ieee_underflow 0
		.amdhsa_exception_fp_ieee_inexact 0
		.amdhsa_exception_int_div_zero 0
	.end_amdhsa_kernel
	.section	.text._ZN2at6native29vectorized_elementwise_kernelILi4ENS0_13AUnaryFunctorIlllZZZNS0_18rshift_kernel_cudaERNS_18TensorIteratorBaseEENKUlvE_clEvENKUlvE2_clEvEUlllE_EESt5arrayIPcLm2EEEEviT0_T1_,"axG",@progbits,_ZN2at6native29vectorized_elementwise_kernelILi4ENS0_13AUnaryFunctorIlllZZZNS0_18rshift_kernel_cudaERNS_18TensorIteratorBaseEENKUlvE_clEvENKUlvE2_clEvEUlllE_EESt5arrayIPcLm2EEEEviT0_T1_,comdat
.Lfunc_end194:
	.size	_ZN2at6native29vectorized_elementwise_kernelILi4ENS0_13AUnaryFunctorIlllZZZNS0_18rshift_kernel_cudaERNS_18TensorIteratorBaseEENKUlvE_clEvENKUlvE2_clEvEUlllE_EESt5arrayIPcLm2EEEEviT0_T1_, .Lfunc_end194-_ZN2at6native29vectorized_elementwise_kernelILi4ENS0_13AUnaryFunctorIlllZZZNS0_18rshift_kernel_cudaERNS_18TensorIteratorBaseEENKUlvE_clEvENKUlvE2_clEvEUlllE_EESt5arrayIPcLm2EEEEviT0_T1_
                                        ; -- End function
	.set _ZN2at6native29vectorized_elementwise_kernelILi4ENS0_13AUnaryFunctorIlllZZZNS0_18rshift_kernel_cudaERNS_18TensorIteratorBaseEENKUlvE_clEvENKUlvE2_clEvEUlllE_EESt5arrayIPcLm2EEEEviT0_T1_.num_vgpr, 13
	.set _ZN2at6native29vectorized_elementwise_kernelILi4ENS0_13AUnaryFunctorIlllZZZNS0_18rshift_kernel_cudaERNS_18TensorIteratorBaseEENKUlvE_clEvENKUlvE2_clEvEUlllE_EESt5arrayIPcLm2EEEEviT0_T1_.num_agpr, 0
	.set _ZN2at6native29vectorized_elementwise_kernelILi4ENS0_13AUnaryFunctorIlllZZZNS0_18rshift_kernel_cudaERNS_18TensorIteratorBaseEENKUlvE_clEvENKUlvE2_clEvEUlllE_EESt5arrayIPcLm2EEEEviT0_T1_.numbered_sgpr, 14
	.set _ZN2at6native29vectorized_elementwise_kernelILi4ENS0_13AUnaryFunctorIlllZZZNS0_18rshift_kernel_cudaERNS_18TensorIteratorBaseEENKUlvE_clEvENKUlvE2_clEvEUlllE_EESt5arrayIPcLm2EEEEviT0_T1_.num_named_barrier, 0
	.set _ZN2at6native29vectorized_elementwise_kernelILi4ENS0_13AUnaryFunctorIlllZZZNS0_18rshift_kernel_cudaERNS_18TensorIteratorBaseEENKUlvE_clEvENKUlvE2_clEvEUlllE_EESt5arrayIPcLm2EEEEviT0_T1_.private_seg_size, 0
	.set _ZN2at6native29vectorized_elementwise_kernelILi4ENS0_13AUnaryFunctorIlllZZZNS0_18rshift_kernel_cudaERNS_18TensorIteratorBaseEENKUlvE_clEvENKUlvE2_clEvEUlllE_EESt5arrayIPcLm2EEEEviT0_T1_.uses_vcc, 1
	.set _ZN2at6native29vectorized_elementwise_kernelILi4ENS0_13AUnaryFunctorIlllZZZNS0_18rshift_kernel_cudaERNS_18TensorIteratorBaseEENKUlvE_clEvENKUlvE2_clEvEUlllE_EESt5arrayIPcLm2EEEEviT0_T1_.uses_flat_scratch, 0
	.set _ZN2at6native29vectorized_elementwise_kernelILi4ENS0_13AUnaryFunctorIlllZZZNS0_18rshift_kernel_cudaERNS_18TensorIteratorBaseEENKUlvE_clEvENKUlvE2_clEvEUlllE_EESt5arrayIPcLm2EEEEviT0_T1_.has_dyn_sized_stack, 0
	.set _ZN2at6native29vectorized_elementwise_kernelILi4ENS0_13AUnaryFunctorIlllZZZNS0_18rshift_kernel_cudaERNS_18TensorIteratorBaseEENKUlvE_clEvENKUlvE2_clEvEUlllE_EESt5arrayIPcLm2EEEEviT0_T1_.has_recursion, 0
	.set _ZN2at6native29vectorized_elementwise_kernelILi4ENS0_13AUnaryFunctorIlllZZZNS0_18rshift_kernel_cudaERNS_18TensorIteratorBaseEENKUlvE_clEvENKUlvE2_clEvEUlllE_EESt5arrayIPcLm2EEEEviT0_T1_.has_indirect_call, 0
	.section	.AMDGPU.csdata,"",@progbits
; Kernel info:
; codeLenInByte = 992
; TotalNumSgprs: 18
; NumVgprs: 13
; ScratchSize: 0
; MemoryBound: 0
; FloatMode: 240
; IeeeMode: 1
; LDSByteSize: 0 bytes/workgroup (compile time only)
; SGPRBlocks: 2
; VGPRBlocks: 3
; NumSGPRsForWavesPerEU: 18
; NumVGPRsForWavesPerEU: 13
; Occupancy: 10
; WaveLimiterHint : 0
; COMPUTE_PGM_RSRC2:SCRATCH_EN: 0
; COMPUTE_PGM_RSRC2:USER_SGPR: 6
; COMPUTE_PGM_RSRC2:TRAP_HANDLER: 0
; COMPUTE_PGM_RSRC2:TGID_X_EN: 1
; COMPUTE_PGM_RSRC2:TGID_Y_EN: 0
; COMPUTE_PGM_RSRC2:TGID_Z_EN: 0
; COMPUTE_PGM_RSRC2:TIDIG_COMP_CNT: 0
	.section	.text._ZN2at6native29vectorized_elementwise_kernelILi2ENS0_13AUnaryFunctorIlllZZZNS0_18rshift_kernel_cudaERNS_18TensorIteratorBaseEENKUlvE_clEvENKUlvE2_clEvEUlllE_EESt5arrayIPcLm2EEEEviT0_T1_,"axG",@progbits,_ZN2at6native29vectorized_elementwise_kernelILi2ENS0_13AUnaryFunctorIlllZZZNS0_18rshift_kernel_cudaERNS_18TensorIteratorBaseEENKUlvE_clEvENKUlvE2_clEvEUlllE_EESt5arrayIPcLm2EEEEviT0_T1_,comdat
	.globl	_ZN2at6native29vectorized_elementwise_kernelILi2ENS0_13AUnaryFunctorIlllZZZNS0_18rshift_kernel_cudaERNS_18TensorIteratorBaseEENKUlvE_clEvENKUlvE2_clEvEUlllE_EESt5arrayIPcLm2EEEEviT0_T1_ ; -- Begin function _ZN2at6native29vectorized_elementwise_kernelILi2ENS0_13AUnaryFunctorIlllZZZNS0_18rshift_kernel_cudaERNS_18TensorIteratorBaseEENKUlvE_clEvENKUlvE2_clEvEUlllE_EESt5arrayIPcLm2EEEEviT0_T1_
	.p2align	8
	.type	_ZN2at6native29vectorized_elementwise_kernelILi2ENS0_13AUnaryFunctorIlllZZZNS0_18rshift_kernel_cudaERNS_18TensorIteratorBaseEENKUlvE_clEvENKUlvE2_clEvEUlllE_EESt5arrayIPcLm2EEEEviT0_T1_,@function
_ZN2at6native29vectorized_elementwise_kernelILi2ENS0_13AUnaryFunctorIlllZZZNS0_18rshift_kernel_cudaERNS_18TensorIteratorBaseEENKUlvE_clEvENKUlvE2_clEvEUlllE_EESt5arrayIPcLm2EEEEviT0_T1_: ; @_ZN2at6native29vectorized_elementwise_kernelILi2ENS0_13AUnaryFunctorIlllZZZNS0_18rshift_kernel_cudaERNS_18TensorIteratorBaseEENKUlvE_clEvENKUlvE2_clEvEUlllE_EESt5arrayIPcLm2EEEEviT0_T1_
; %bb.0:
	s_load_dword s0, s[4:5], 0x0
	s_load_dwordx4 s[8:11], s[4:5], 0x10
	s_load_dwordx2 s[12:13], s[4:5], 0x20
	s_lshl_b32 s2, s6, 10
	s_waitcnt lgkmcnt(0)
	s_sub_i32 s6, s0, s2
	s_cmpk_gt_i32 s6, 0x3ff
	s_mov_b64 s[0:1], -1
	s_cbranch_scc0 .LBB195_2
; %bb.1:
	s_ashr_i32 s3, s2, 31
	s_lshl_b64 s[0:1], s[2:3], 3
	s_add_u32 s4, s12, s0
	s_addc_u32 s5, s13, s1
	v_lshlrev_b32_e32 v11, 4, v0
	v_mov_b32_e32 v1, s5
	v_add_co_u32_e32 v5, vcc, s4, v11
	v_addc_co_u32_e32 v6, vcc, 0, v1, vcc
	global_load_dwordx4 v[1:4], v11, s[4:5]
	v_add_co_u32_e32 v5, vcc, 0x1000, v5
	v_addc_co_u32_e32 v6, vcc, 0, v6, vcc
	global_load_dwordx4 v[5:8], v[5:6], off
	s_add_u32 s0, s10, s0
	s_addc_u32 s1, s11, s1
	v_mov_b32_e32 v9, s1
	v_add_co_u32_e32 v10, vcc, s0, v11
	v_addc_co_u32_e32 v12, vcc, 0, v9, vcc
	v_add_co_u32_e32 v9, vcc, 0x1000, v10
	v_addc_co_u32_e32 v10, vcc, 0, v12, vcc
	s_waitcnt vmcnt(1)
	v_cmp_gt_u64_e32 vcc, 63, v[1:2]
	v_cndmask_b32_e32 v1, 63, v1, vcc
	v_cmp_gt_u64_e32 vcc, 63, v[3:4]
	v_ashrrev_i64 v[1:2], v1, s[8:9]
	v_cndmask_b32_e32 v3, 63, v3, vcc
	s_waitcnt vmcnt(0)
	v_cmp_gt_u64_e32 vcc, 63, v[5:6]
	v_ashrrev_i64 v[3:4], v3, s[8:9]
	v_cndmask_b32_e32 v5, 63, v5, vcc
	v_cmp_gt_u64_e32 vcc, 63, v[7:8]
	v_ashrrev_i64 v[5:6], v5, s[8:9]
	v_cndmask_b32_e32 v7, 63, v7, vcc
	v_ashrrev_i64 v[7:8], v7, s[8:9]
	global_store_dwordx4 v11, v[1:4], s[0:1]
	global_store_dwordx4 v[9:10], v[5:8], off
	s_mov_b64 s[0:1], 0
.LBB195_2:
	s_andn2_b64 vcc, exec, s[0:1]
	s_cbranch_vccnz .LBB195_16
; %bb.3:
	v_mov_b32_e32 v3, 0
	v_mov_b32_e32 v4, 0
	v_cmp_gt_i32_e32 vcc, s6, v0
	v_or_b32_e32 v1, s2, v0
	v_mov_b32_e32 v4, 0
	v_mov_b32_e32 v2, v0
	;; [unrolled: 1-line block ×3, first 2 shown]
	s_and_saveexec_b64 s[4:5], vcc
	s_cbranch_execz .LBB195_5
; %bb.4:
	v_mov_b32_e32 v2, 0
	v_lshlrev_b64 v[4:5], 3, v[1:2]
	v_mov_b32_e32 v2, s13
	v_add_co_u32_e64 v4, s[0:1], s12, v4
	v_addc_co_u32_e64 v5, s[0:1], v2, v5, s[0:1]
	global_load_dwordx2 v[4:5], v[4:5], off
	v_or_b32_e32 v2, 0x100, v0
	s_waitcnt vmcnt(0)
	v_cmp_gt_u64_e64 s[0:1], 63, v[4:5]
	v_cndmask_b32_e64 v4, 63, v4, s[0:1]
.LBB195_5:
	s_or_b64 exec, exec, s[4:5]
	v_cmp_gt_i32_e64 s[0:1], s6, v2
	s_and_saveexec_b64 s[4:5], s[0:1]
	s_cbranch_execz .LBB195_7
; %bb.6:
	v_add_u32_e32 v5, s2, v2
	v_mov_b32_e32 v6, 0
	v_lshlrev_b64 v[5:6], 3, v[5:6]
	v_mov_b32_e32 v3, s13
	v_add_co_u32_e64 v5, s[0:1], s12, v5
	v_addc_co_u32_e64 v6, s[0:1], v3, v6, s[0:1]
	global_load_dwordx2 v[5:6], v[5:6], off
	v_add_u32_e32 v2, 0x100, v2
	s_waitcnt vmcnt(0)
	v_cmp_gt_u64_e64 s[0:1], 63, v[5:6]
	v_cndmask_b32_e64 v3, 63, v5, s[0:1]
.LBB195_7:
	s_or_b64 exec, exec, s[4:5]
	v_mov_b32_e32 v7, 0
	v_mov_b32_e32 v5, 0
	v_cmp_gt_i32_e64 s[0:1], s6, v2
	v_mov_b32_e32 v8, 0
	v_mov_b32_e32 v6, 0
	s_and_saveexec_b64 s[4:5], s[0:1]
	s_cbranch_execz .LBB195_9
; %bb.8:
	v_add_u32_e32 v5, s2, v2
	v_mov_b32_e32 v6, 0
	v_lshlrev_b64 v[5:6], 3, v[5:6]
	v_mov_b32_e32 v8, s13
	v_add_co_u32_e64 v5, s[0:1], s12, v5
	v_addc_co_u32_e64 v6, s[0:1], v8, v6, s[0:1]
	global_load_dwordx2 v[5:6], v[5:6], off
	v_add_u32_e32 v2, 0x100, v2
	s_waitcnt vmcnt(0)
	v_cmp_gt_u64_e64 s[0:1], 63, v[5:6]
	v_cndmask_b32_e64 v5, 63, v5, s[0:1]
.LBB195_9:
	s_or_b64 exec, exec, s[4:5]
	v_cmp_gt_i32_e64 s[0:1], s6, v2
	s_and_saveexec_b64 s[4:5], s[0:1]
	s_cbranch_execz .LBB195_11
; %bb.10:
	v_add_u32_e32 v6, s2, v2
	v_mov_b32_e32 v7, 0
	v_lshlrev_b64 v[6:7], 3, v[6:7]
	v_mov_b32_e32 v2, s13
	v_add_co_u32_e64 v6, s[0:1], s12, v6
	v_addc_co_u32_e64 v7, s[0:1], v2, v7, s[0:1]
	global_load_dwordx2 v[6:7], v[6:7], off
	s_waitcnt vmcnt(0)
	v_cmp_gt_u64_e64 s[0:1], 63, v[6:7]
	v_cndmask_b32_e64 v7, 63, v6, s[0:1]
.LBB195_11:
	s_or_b64 exec, exec, s[4:5]
	v_ashrrev_i64 v[8:9], v4, s[8:9]
	v_or_b32_e32 v12, 0x100, v0
	v_ashrrev_i64 v[2:3], v3, s[8:9]
	v_cmp_gt_i32_e64 s[0:1], s6, v12
	v_cndmask_b32_e32 v11, 0, v9, vcc
	v_cndmask_b32_e32 v10, 0, v8, vcc
	v_cndmask_b32_e64 v9, 0, v3, s[0:1]
	v_cndmask_b32_e64 v8, 0, v2, s[0:1]
	v_or_b32_e32 v4, 0x200, v0
	v_ashrrev_i64 v[2:3], v5, s[8:9]
	v_cmp_gt_i32_e64 s[0:1], s6, v4
	v_cndmask_b32_e64 v6, 0, v3, s[0:1]
	v_cndmask_b32_e64 v5, 0, v2, s[0:1]
	v_or_b32_e32 v4, 0x300, v0
	v_ashrrev_i64 v[2:3], v7, s[8:9]
	v_cmp_gt_i32_e64 s[0:1], s6, v4
	v_cndmask_b32_e64 v4, 0, v3, s[0:1]
	v_cndmask_b32_e64 v3, 0, v2, s[0:1]
	s_and_saveexec_b64 s[0:1], vcc
	s_cbranch_execnz .LBB195_17
; %bb.12:
	s_or_b64 exec, exec, s[0:1]
	v_cmp_gt_i32_e32 vcc, s6, v0
	s_and_saveexec_b64 s[0:1], vcc
	s_cbranch_execnz .LBB195_18
.LBB195_13:
	s_or_b64 exec, exec, s[0:1]
	v_cmp_gt_i32_e32 vcc, s6, v0
	s_and_saveexec_b64 s[0:1], vcc
	s_cbranch_execnz .LBB195_19
.LBB195_14:
	s_or_b64 exec, exec, s[0:1]
	v_cmp_gt_i32_e32 vcc, s6, v0
	s_and_saveexec_b64 s[0:1], vcc
	s_cbranch_execz .LBB195_16
.LBB195_15:
	v_add_u32_e32 v0, s2, v0
	v_mov_b32_e32 v1, 0
	v_lshlrev_b64 v[0:1], 3, v[0:1]
	v_mov_b32_e32 v2, s11
	v_add_co_u32_e32 v0, vcc, s10, v0
	v_addc_co_u32_e32 v1, vcc, v2, v1, vcc
	global_store_dwordx2 v[0:1], v[3:4], off
.LBB195_16:
	s_endpgm
.LBB195_17:
	v_mov_b32_e32 v2, 0
	v_lshlrev_b64 v[0:1], 3, v[1:2]
	v_mov_b32_e32 v2, s11
	v_add_co_u32_e32 v0, vcc, s10, v0
	v_addc_co_u32_e32 v1, vcc, v2, v1, vcc
	global_store_dwordx2 v[0:1], v[10:11], off
	v_mov_b32_e32 v0, v12
	s_or_b64 exec, exec, s[0:1]
	v_cmp_gt_i32_e32 vcc, s6, v0
	s_and_saveexec_b64 s[0:1], vcc
	s_cbranch_execz .LBB195_13
.LBB195_18:
	v_add_u32_e32 v1, s2, v0
	v_mov_b32_e32 v2, 0
	v_lshlrev_b64 v[1:2], 3, v[1:2]
	v_mov_b32_e32 v7, s11
	v_add_co_u32_e32 v1, vcc, s10, v1
	v_addc_co_u32_e32 v2, vcc, v7, v2, vcc
	v_add_u32_e32 v0, 0x100, v0
	global_store_dwordx2 v[1:2], v[8:9], off
	s_or_b64 exec, exec, s[0:1]
	v_cmp_gt_i32_e32 vcc, s6, v0
	s_and_saveexec_b64 s[0:1], vcc
	s_cbranch_execz .LBB195_14
.LBB195_19:
	v_add_u32_e32 v1, s2, v0
	v_mov_b32_e32 v2, 0
	v_lshlrev_b64 v[1:2], 3, v[1:2]
	v_mov_b32_e32 v7, s11
	v_add_co_u32_e32 v1, vcc, s10, v1
	v_addc_co_u32_e32 v2, vcc, v7, v2, vcc
	v_add_u32_e32 v0, 0x100, v0
	global_store_dwordx2 v[1:2], v[5:6], off
	s_or_b64 exec, exec, s[0:1]
	v_cmp_gt_i32_e32 vcc, s6, v0
	s_and_saveexec_b64 s[0:1], vcc
	s_cbranch_execnz .LBB195_15
	s_branch .LBB195_16
	.section	.rodata,"a",@progbits
	.p2align	6, 0x0
	.amdhsa_kernel _ZN2at6native29vectorized_elementwise_kernelILi2ENS0_13AUnaryFunctorIlllZZZNS0_18rshift_kernel_cudaERNS_18TensorIteratorBaseEENKUlvE_clEvENKUlvE2_clEvEUlllE_EESt5arrayIPcLm2EEEEviT0_T1_
		.amdhsa_group_segment_fixed_size 0
		.amdhsa_private_segment_fixed_size 0
		.amdhsa_kernarg_size 40
		.amdhsa_user_sgpr_count 6
		.amdhsa_user_sgpr_private_segment_buffer 1
		.amdhsa_user_sgpr_dispatch_ptr 0
		.amdhsa_user_sgpr_queue_ptr 0
		.amdhsa_user_sgpr_kernarg_segment_ptr 1
		.amdhsa_user_sgpr_dispatch_id 0
		.amdhsa_user_sgpr_flat_scratch_init 0
		.amdhsa_user_sgpr_private_segment_size 0
		.amdhsa_uses_dynamic_stack 0
		.amdhsa_system_sgpr_private_segment_wavefront_offset 0
		.amdhsa_system_sgpr_workgroup_id_x 1
		.amdhsa_system_sgpr_workgroup_id_y 0
		.amdhsa_system_sgpr_workgroup_id_z 0
		.amdhsa_system_sgpr_workgroup_info 0
		.amdhsa_system_vgpr_workitem_id 0
		.amdhsa_next_free_vgpr 13
		.amdhsa_next_free_sgpr 14
		.amdhsa_reserve_vcc 1
		.amdhsa_reserve_flat_scratch 0
		.amdhsa_float_round_mode_32 0
		.amdhsa_float_round_mode_16_64 0
		.amdhsa_float_denorm_mode_32 3
		.amdhsa_float_denorm_mode_16_64 3
		.amdhsa_dx10_clamp 1
		.amdhsa_ieee_mode 1
		.amdhsa_fp16_overflow 0
		.amdhsa_exception_fp_ieee_invalid_op 0
		.amdhsa_exception_fp_denorm_src 0
		.amdhsa_exception_fp_ieee_div_zero 0
		.amdhsa_exception_fp_ieee_overflow 0
		.amdhsa_exception_fp_ieee_underflow 0
		.amdhsa_exception_fp_ieee_inexact 0
		.amdhsa_exception_int_div_zero 0
	.end_amdhsa_kernel
	.section	.text._ZN2at6native29vectorized_elementwise_kernelILi2ENS0_13AUnaryFunctorIlllZZZNS0_18rshift_kernel_cudaERNS_18TensorIteratorBaseEENKUlvE_clEvENKUlvE2_clEvEUlllE_EESt5arrayIPcLm2EEEEviT0_T1_,"axG",@progbits,_ZN2at6native29vectorized_elementwise_kernelILi2ENS0_13AUnaryFunctorIlllZZZNS0_18rshift_kernel_cudaERNS_18TensorIteratorBaseEENKUlvE_clEvENKUlvE2_clEvEUlllE_EESt5arrayIPcLm2EEEEviT0_T1_,comdat
.Lfunc_end195:
	.size	_ZN2at6native29vectorized_elementwise_kernelILi2ENS0_13AUnaryFunctorIlllZZZNS0_18rshift_kernel_cudaERNS_18TensorIteratorBaseEENKUlvE_clEvENKUlvE2_clEvEUlllE_EESt5arrayIPcLm2EEEEviT0_T1_, .Lfunc_end195-_ZN2at6native29vectorized_elementwise_kernelILi2ENS0_13AUnaryFunctorIlllZZZNS0_18rshift_kernel_cudaERNS_18TensorIteratorBaseEENKUlvE_clEvENKUlvE2_clEvEUlllE_EESt5arrayIPcLm2EEEEviT0_T1_
                                        ; -- End function
	.set _ZN2at6native29vectorized_elementwise_kernelILi2ENS0_13AUnaryFunctorIlllZZZNS0_18rshift_kernel_cudaERNS_18TensorIteratorBaseEENKUlvE_clEvENKUlvE2_clEvEUlllE_EESt5arrayIPcLm2EEEEviT0_T1_.num_vgpr, 13
	.set _ZN2at6native29vectorized_elementwise_kernelILi2ENS0_13AUnaryFunctorIlllZZZNS0_18rshift_kernel_cudaERNS_18TensorIteratorBaseEENKUlvE_clEvENKUlvE2_clEvEUlllE_EESt5arrayIPcLm2EEEEviT0_T1_.num_agpr, 0
	.set _ZN2at6native29vectorized_elementwise_kernelILi2ENS0_13AUnaryFunctorIlllZZZNS0_18rshift_kernel_cudaERNS_18TensorIteratorBaseEENKUlvE_clEvENKUlvE2_clEvEUlllE_EESt5arrayIPcLm2EEEEviT0_T1_.numbered_sgpr, 14
	.set _ZN2at6native29vectorized_elementwise_kernelILi2ENS0_13AUnaryFunctorIlllZZZNS0_18rshift_kernel_cudaERNS_18TensorIteratorBaseEENKUlvE_clEvENKUlvE2_clEvEUlllE_EESt5arrayIPcLm2EEEEviT0_T1_.num_named_barrier, 0
	.set _ZN2at6native29vectorized_elementwise_kernelILi2ENS0_13AUnaryFunctorIlllZZZNS0_18rshift_kernel_cudaERNS_18TensorIteratorBaseEENKUlvE_clEvENKUlvE2_clEvEUlllE_EESt5arrayIPcLm2EEEEviT0_T1_.private_seg_size, 0
	.set _ZN2at6native29vectorized_elementwise_kernelILi2ENS0_13AUnaryFunctorIlllZZZNS0_18rshift_kernel_cudaERNS_18TensorIteratorBaseEENKUlvE_clEvENKUlvE2_clEvEUlllE_EESt5arrayIPcLm2EEEEviT0_T1_.uses_vcc, 1
	.set _ZN2at6native29vectorized_elementwise_kernelILi2ENS0_13AUnaryFunctorIlllZZZNS0_18rshift_kernel_cudaERNS_18TensorIteratorBaseEENKUlvE_clEvENKUlvE2_clEvEUlllE_EESt5arrayIPcLm2EEEEviT0_T1_.uses_flat_scratch, 0
	.set _ZN2at6native29vectorized_elementwise_kernelILi2ENS0_13AUnaryFunctorIlllZZZNS0_18rshift_kernel_cudaERNS_18TensorIteratorBaseEENKUlvE_clEvENKUlvE2_clEvEUlllE_EESt5arrayIPcLm2EEEEviT0_T1_.has_dyn_sized_stack, 0
	.set _ZN2at6native29vectorized_elementwise_kernelILi2ENS0_13AUnaryFunctorIlllZZZNS0_18rshift_kernel_cudaERNS_18TensorIteratorBaseEENKUlvE_clEvENKUlvE2_clEvEUlllE_EESt5arrayIPcLm2EEEEviT0_T1_.has_recursion, 0
	.set _ZN2at6native29vectorized_elementwise_kernelILi2ENS0_13AUnaryFunctorIlllZZZNS0_18rshift_kernel_cudaERNS_18TensorIteratorBaseEENKUlvE_clEvENKUlvE2_clEvEUlllE_EESt5arrayIPcLm2EEEEviT0_T1_.has_indirect_call, 0
	.section	.AMDGPU.csdata,"",@progbits
; Kernel info:
; codeLenInByte = 1040
; TotalNumSgprs: 18
; NumVgprs: 13
; ScratchSize: 0
; MemoryBound: 0
; FloatMode: 240
; IeeeMode: 1
; LDSByteSize: 0 bytes/workgroup (compile time only)
; SGPRBlocks: 2
; VGPRBlocks: 3
; NumSGPRsForWavesPerEU: 18
; NumVGPRsForWavesPerEU: 13
; Occupancy: 10
; WaveLimiterHint : 1
; COMPUTE_PGM_RSRC2:SCRATCH_EN: 0
; COMPUTE_PGM_RSRC2:USER_SGPR: 6
; COMPUTE_PGM_RSRC2:TRAP_HANDLER: 0
; COMPUTE_PGM_RSRC2:TGID_X_EN: 1
; COMPUTE_PGM_RSRC2:TGID_Y_EN: 0
; COMPUTE_PGM_RSRC2:TGID_Z_EN: 0
; COMPUTE_PGM_RSRC2:TIDIG_COMP_CNT: 0
	.section	.text._ZN2at6native27unrolled_elementwise_kernelINS0_13AUnaryFunctorIlllZZZNS0_18rshift_kernel_cudaERNS_18TensorIteratorBaseEENKUlvE_clEvENKUlvE2_clEvEUlllE_EESt5arrayIPcLm2EELi4E23TrivialOffsetCalculatorILi1EjESD_NS0_6memory15LoadWithoutCastENSE_16StoreWithoutCastEEEviT_T0_T2_T3_T4_T5_,"axG",@progbits,_ZN2at6native27unrolled_elementwise_kernelINS0_13AUnaryFunctorIlllZZZNS0_18rshift_kernel_cudaERNS_18TensorIteratorBaseEENKUlvE_clEvENKUlvE2_clEvEUlllE_EESt5arrayIPcLm2EELi4E23TrivialOffsetCalculatorILi1EjESD_NS0_6memory15LoadWithoutCastENSE_16StoreWithoutCastEEEviT_T0_T2_T3_T4_T5_,comdat
	.globl	_ZN2at6native27unrolled_elementwise_kernelINS0_13AUnaryFunctorIlllZZZNS0_18rshift_kernel_cudaERNS_18TensorIteratorBaseEENKUlvE_clEvENKUlvE2_clEvEUlllE_EESt5arrayIPcLm2EELi4E23TrivialOffsetCalculatorILi1EjESD_NS0_6memory15LoadWithoutCastENSE_16StoreWithoutCastEEEviT_T0_T2_T3_T4_T5_ ; -- Begin function _ZN2at6native27unrolled_elementwise_kernelINS0_13AUnaryFunctorIlllZZZNS0_18rshift_kernel_cudaERNS_18TensorIteratorBaseEENKUlvE_clEvENKUlvE2_clEvEUlllE_EESt5arrayIPcLm2EELi4E23TrivialOffsetCalculatorILi1EjESD_NS0_6memory15LoadWithoutCastENSE_16StoreWithoutCastEEEviT_T0_T2_T3_T4_T5_
	.p2align	8
	.type	_ZN2at6native27unrolled_elementwise_kernelINS0_13AUnaryFunctorIlllZZZNS0_18rshift_kernel_cudaERNS_18TensorIteratorBaseEENKUlvE_clEvENKUlvE2_clEvEUlllE_EESt5arrayIPcLm2EELi4E23TrivialOffsetCalculatorILi1EjESD_NS0_6memory15LoadWithoutCastENSE_16StoreWithoutCastEEEviT_T0_T2_T3_T4_T5_,@function
_ZN2at6native27unrolled_elementwise_kernelINS0_13AUnaryFunctorIlllZZZNS0_18rshift_kernel_cudaERNS_18TensorIteratorBaseEENKUlvE_clEvENKUlvE2_clEvEUlllE_EESt5arrayIPcLm2EELi4E23TrivialOffsetCalculatorILi1EjESD_NS0_6memory15LoadWithoutCastENSE_16StoreWithoutCastEEEviT_T0_T2_T3_T4_T5_: ; @_ZN2at6native27unrolled_elementwise_kernelINS0_13AUnaryFunctorIlllZZZNS0_18rshift_kernel_cudaERNS_18TensorIteratorBaseEENKUlvE_clEvENKUlvE2_clEvEUlllE_EESt5arrayIPcLm2EELi4E23TrivialOffsetCalculatorILi1EjESD_NS0_6memory15LoadWithoutCastENSE_16StoreWithoutCastEEEviT_T0_T2_T3_T4_T5_
; %bb.0:
	s_load_dword s0, s[4:5], 0x0
	s_load_dwordx2 s[2:3], s[4:5], 0x20
	s_lshl_b32 s12, s6, 10
	v_mov_b32_e32 v3, 0
	v_mov_b32_e32 v4, 0
	s_waitcnt lgkmcnt(0)
	s_sub_i32 s13, s0, s12
	v_cmp_gt_i32_e32 vcc, s13, v0
	v_or_b32_e32 v1, s12, v0
	v_mov_b32_e32 v4, 0
	v_mov_b32_e32 v2, v0
	;; [unrolled: 1-line block ×3, first 2 shown]
	s_and_saveexec_b64 s[6:7], vcc
	s_cbranch_execz .LBB196_2
; %bb.1:
	v_mov_b32_e32 v2, 0
	v_lshlrev_b64 v[4:5], 3, v[1:2]
	v_mov_b32_e32 v2, s3
	v_add_co_u32_e64 v4, s[0:1], s2, v4
	v_addc_co_u32_e64 v5, s[0:1], v2, v5, s[0:1]
	global_load_dwordx2 v[4:5], v[4:5], off
	v_or_b32_e32 v2, 0x100, v0
	s_waitcnt vmcnt(0)
	v_cmp_gt_u64_e64 s[0:1], 63, v[4:5]
	v_cndmask_b32_e64 v4, 63, v4, s[0:1]
.LBB196_2:
	s_or_b64 exec, exec, s[6:7]
	s_load_dwordx4 s[8:11], s[4:5], 0x10
	v_cmp_gt_i32_e64 s[0:1], s13, v2
	s_and_saveexec_b64 s[4:5], s[0:1]
	s_cbranch_execz .LBB196_4
; %bb.3:
	v_add_u32_e32 v5, s12, v2
	v_mov_b32_e32 v6, 0
	v_lshlrev_b64 v[5:6], 3, v[5:6]
	v_mov_b32_e32 v3, s3
	v_add_co_u32_e64 v5, s[0:1], s2, v5
	v_addc_co_u32_e64 v6, s[0:1], v3, v6, s[0:1]
	global_load_dwordx2 v[5:6], v[5:6], off
	v_add_u32_e32 v2, 0x100, v2
	s_waitcnt vmcnt(0)
	v_cmp_gt_u64_e64 s[0:1], 63, v[5:6]
	v_cndmask_b32_e64 v3, 63, v5, s[0:1]
.LBB196_4:
	s_or_b64 exec, exec, s[4:5]
	v_mov_b32_e32 v7, 0
	v_mov_b32_e32 v5, 0
	v_cmp_gt_i32_e64 s[0:1], s13, v2
	v_mov_b32_e32 v8, 0
	v_mov_b32_e32 v6, 0
	s_and_saveexec_b64 s[4:5], s[0:1]
	s_cbranch_execz .LBB196_6
; %bb.5:
	v_add_u32_e32 v5, s12, v2
	v_mov_b32_e32 v6, 0
	v_lshlrev_b64 v[5:6], 3, v[5:6]
	v_mov_b32_e32 v8, s3
	v_add_co_u32_e64 v5, s[0:1], s2, v5
	v_addc_co_u32_e64 v6, s[0:1], v8, v6, s[0:1]
	global_load_dwordx2 v[5:6], v[5:6], off
	v_add_u32_e32 v2, 0x100, v2
	s_waitcnt vmcnt(0)
	v_cmp_gt_u64_e64 s[0:1], 63, v[5:6]
	v_cndmask_b32_e64 v5, 63, v5, s[0:1]
.LBB196_6:
	s_or_b64 exec, exec, s[4:5]
	v_cmp_gt_i32_e64 s[0:1], s13, v2
	s_and_saveexec_b64 s[4:5], s[0:1]
	s_cbranch_execz .LBB196_8
; %bb.7:
	v_add_u32_e32 v6, s12, v2
	v_mov_b32_e32 v7, 0
	v_lshlrev_b64 v[6:7], 3, v[6:7]
	v_mov_b32_e32 v2, s3
	v_add_co_u32_e64 v6, s[0:1], s2, v6
	v_addc_co_u32_e64 v7, s[0:1], v2, v7, s[0:1]
	global_load_dwordx2 v[6:7], v[6:7], off
	s_waitcnt vmcnt(0)
	v_cmp_gt_u64_e64 s[0:1], 63, v[6:7]
	v_cndmask_b32_e64 v7, 63, v6, s[0:1]
.LBB196_8:
	s_or_b64 exec, exec, s[4:5]
	s_waitcnt lgkmcnt(0)
	v_ashrrev_i64 v[8:9], v4, s[8:9]
	v_or_b32_e32 v12, 0x100, v0
	v_ashrrev_i64 v[2:3], v3, s[8:9]
	v_cmp_gt_i32_e64 s[0:1], s13, v12
	v_cndmask_b32_e32 v11, 0, v9, vcc
	v_cndmask_b32_e32 v10, 0, v8, vcc
	v_cndmask_b32_e64 v9, 0, v3, s[0:1]
	v_cndmask_b32_e64 v8, 0, v2, s[0:1]
	v_or_b32_e32 v4, 0x200, v0
	v_ashrrev_i64 v[2:3], v5, s[8:9]
	v_cmp_gt_i32_e64 s[0:1], s13, v4
	v_cndmask_b32_e64 v6, 0, v3, s[0:1]
	v_cndmask_b32_e64 v5, 0, v2, s[0:1]
	v_or_b32_e32 v4, 0x300, v0
	v_ashrrev_i64 v[2:3], v7, s[8:9]
	v_cmp_gt_i32_e64 s[0:1], s13, v4
	v_cndmask_b32_e64 v4, 0, v3, s[0:1]
	v_cndmask_b32_e64 v3, 0, v2, s[0:1]
	s_and_saveexec_b64 s[0:1], vcc
	s_cbranch_execnz .LBB196_13
; %bb.9:
	s_or_b64 exec, exec, s[0:1]
	v_cmp_gt_i32_e32 vcc, s13, v0
	s_and_saveexec_b64 s[0:1], vcc
	s_cbranch_execnz .LBB196_14
.LBB196_10:
	s_or_b64 exec, exec, s[0:1]
	v_cmp_gt_i32_e32 vcc, s13, v0
	s_and_saveexec_b64 s[0:1], vcc
	s_cbranch_execnz .LBB196_15
.LBB196_11:
	s_or_b64 exec, exec, s[0:1]
	v_cmp_gt_i32_e32 vcc, s13, v0
	s_and_saveexec_b64 s[0:1], vcc
	s_cbranch_execnz .LBB196_16
.LBB196_12:
	s_endpgm
.LBB196_13:
	v_mov_b32_e32 v2, 0
	v_lshlrev_b64 v[0:1], 3, v[1:2]
	v_mov_b32_e32 v2, s11
	v_add_co_u32_e32 v0, vcc, s10, v0
	v_addc_co_u32_e32 v1, vcc, v2, v1, vcc
	global_store_dwordx2 v[0:1], v[10:11], off
	v_mov_b32_e32 v0, v12
	s_or_b64 exec, exec, s[0:1]
	v_cmp_gt_i32_e32 vcc, s13, v0
	s_and_saveexec_b64 s[0:1], vcc
	s_cbranch_execz .LBB196_10
.LBB196_14:
	v_add_u32_e32 v2, 0x100, v0
	v_add_u32_e32 v0, s12, v0
	v_mov_b32_e32 v1, 0
	v_lshlrev_b64 v[0:1], 3, v[0:1]
	v_mov_b32_e32 v7, s11
	v_add_co_u32_e32 v0, vcc, s10, v0
	v_addc_co_u32_e32 v1, vcc, v7, v1, vcc
	global_store_dwordx2 v[0:1], v[8:9], off
	v_mov_b32_e32 v0, v2
	s_or_b64 exec, exec, s[0:1]
	v_cmp_gt_i32_e32 vcc, s13, v0
	s_and_saveexec_b64 s[0:1], vcc
	s_cbranch_execz .LBB196_11
.LBB196_15:
	v_add_u32_e32 v2, 0x100, v0
	v_add_u32_e32 v0, s12, v0
	v_mov_b32_e32 v1, 0
	v_lshlrev_b64 v[0:1], 3, v[0:1]
	v_mov_b32_e32 v7, s11
	v_add_co_u32_e32 v0, vcc, s10, v0
	v_addc_co_u32_e32 v1, vcc, v7, v1, vcc
	global_store_dwordx2 v[0:1], v[5:6], off
	v_mov_b32_e32 v0, v2
	s_or_b64 exec, exec, s[0:1]
	v_cmp_gt_i32_e32 vcc, s13, v0
	s_and_saveexec_b64 s[0:1], vcc
	s_cbranch_execz .LBB196_12
.LBB196_16:
	v_add_u32_e32 v0, s12, v0
	v_mov_b32_e32 v1, 0
	v_lshlrev_b64 v[0:1], 3, v[0:1]
	v_mov_b32_e32 v2, s11
	v_add_co_u32_e32 v0, vcc, s10, v0
	v_addc_co_u32_e32 v1, vcc, v2, v1, vcc
	global_store_dwordx2 v[0:1], v[3:4], off
	s_endpgm
	.section	.rodata,"a",@progbits
	.p2align	6, 0x0
	.amdhsa_kernel _ZN2at6native27unrolled_elementwise_kernelINS0_13AUnaryFunctorIlllZZZNS0_18rshift_kernel_cudaERNS_18TensorIteratorBaseEENKUlvE_clEvENKUlvE2_clEvEUlllE_EESt5arrayIPcLm2EELi4E23TrivialOffsetCalculatorILi1EjESD_NS0_6memory15LoadWithoutCastENSE_16StoreWithoutCastEEEviT_T0_T2_T3_T4_T5_
		.amdhsa_group_segment_fixed_size 0
		.amdhsa_private_segment_fixed_size 0
		.amdhsa_kernarg_size 44
		.amdhsa_user_sgpr_count 6
		.amdhsa_user_sgpr_private_segment_buffer 1
		.amdhsa_user_sgpr_dispatch_ptr 0
		.amdhsa_user_sgpr_queue_ptr 0
		.amdhsa_user_sgpr_kernarg_segment_ptr 1
		.amdhsa_user_sgpr_dispatch_id 0
		.amdhsa_user_sgpr_flat_scratch_init 0
		.amdhsa_user_sgpr_private_segment_size 0
		.amdhsa_uses_dynamic_stack 0
		.amdhsa_system_sgpr_private_segment_wavefront_offset 0
		.amdhsa_system_sgpr_workgroup_id_x 1
		.amdhsa_system_sgpr_workgroup_id_y 0
		.amdhsa_system_sgpr_workgroup_id_z 0
		.amdhsa_system_sgpr_workgroup_info 0
		.amdhsa_system_vgpr_workitem_id 0
		.amdhsa_next_free_vgpr 13
		.amdhsa_next_free_sgpr 14
		.amdhsa_reserve_vcc 1
		.amdhsa_reserve_flat_scratch 0
		.amdhsa_float_round_mode_32 0
		.amdhsa_float_round_mode_16_64 0
		.amdhsa_float_denorm_mode_32 3
		.amdhsa_float_denorm_mode_16_64 3
		.amdhsa_dx10_clamp 1
		.amdhsa_ieee_mode 1
		.amdhsa_fp16_overflow 0
		.amdhsa_exception_fp_ieee_invalid_op 0
		.amdhsa_exception_fp_denorm_src 0
		.amdhsa_exception_fp_ieee_div_zero 0
		.amdhsa_exception_fp_ieee_overflow 0
		.amdhsa_exception_fp_ieee_underflow 0
		.amdhsa_exception_fp_ieee_inexact 0
		.amdhsa_exception_int_div_zero 0
	.end_amdhsa_kernel
	.section	.text._ZN2at6native27unrolled_elementwise_kernelINS0_13AUnaryFunctorIlllZZZNS0_18rshift_kernel_cudaERNS_18TensorIteratorBaseEENKUlvE_clEvENKUlvE2_clEvEUlllE_EESt5arrayIPcLm2EELi4E23TrivialOffsetCalculatorILi1EjESD_NS0_6memory15LoadWithoutCastENSE_16StoreWithoutCastEEEviT_T0_T2_T3_T4_T5_,"axG",@progbits,_ZN2at6native27unrolled_elementwise_kernelINS0_13AUnaryFunctorIlllZZZNS0_18rshift_kernel_cudaERNS_18TensorIteratorBaseEENKUlvE_clEvENKUlvE2_clEvEUlllE_EESt5arrayIPcLm2EELi4E23TrivialOffsetCalculatorILi1EjESD_NS0_6memory15LoadWithoutCastENSE_16StoreWithoutCastEEEviT_T0_T2_T3_T4_T5_,comdat
.Lfunc_end196:
	.size	_ZN2at6native27unrolled_elementwise_kernelINS0_13AUnaryFunctorIlllZZZNS0_18rshift_kernel_cudaERNS_18TensorIteratorBaseEENKUlvE_clEvENKUlvE2_clEvEUlllE_EESt5arrayIPcLm2EELi4E23TrivialOffsetCalculatorILi1EjESD_NS0_6memory15LoadWithoutCastENSE_16StoreWithoutCastEEEviT_T0_T2_T3_T4_T5_, .Lfunc_end196-_ZN2at6native27unrolled_elementwise_kernelINS0_13AUnaryFunctorIlllZZZNS0_18rshift_kernel_cudaERNS_18TensorIteratorBaseEENKUlvE_clEvENKUlvE2_clEvEUlllE_EESt5arrayIPcLm2EELi4E23TrivialOffsetCalculatorILi1EjESD_NS0_6memory15LoadWithoutCastENSE_16StoreWithoutCastEEEviT_T0_T2_T3_T4_T5_
                                        ; -- End function
	.set _ZN2at6native27unrolled_elementwise_kernelINS0_13AUnaryFunctorIlllZZZNS0_18rshift_kernel_cudaERNS_18TensorIteratorBaseEENKUlvE_clEvENKUlvE2_clEvEUlllE_EESt5arrayIPcLm2EELi4E23TrivialOffsetCalculatorILi1EjESD_NS0_6memory15LoadWithoutCastENSE_16StoreWithoutCastEEEviT_T0_T2_T3_T4_T5_.num_vgpr, 13
	.set _ZN2at6native27unrolled_elementwise_kernelINS0_13AUnaryFunctorIlllZZZNS0_18rshift_kernel_cudaERNS_18TensorIteratorBaseEENKUlvE_clEvENKUlvE2_clEvEUlllE_EESt5arrayIPcLm2EELi4E23TrivialOffsetCalculatorILi1EjESD_NS0_6memory15LoadWithoutCastENSE_16StoreWithoutCastEEEviT_T0_T2_T3_T4_T5_.num_agpr, 0
	.set _ZN2at6native27unrolled_elementwise_kernelINS0_13AUnaryFunctorIlllZZZNS0_18rshift_kernel_cudaERNS_18TensorIteratorBaseEENKUlvE_clEvENKUlvE2_clEvEUlllE_EESt5arrayIPcLm2EELi4E23TrivialOffsetCalculatorILi1EjESD_NS0_6memory15LoadWithoutCastENSE_16StoreWithoutCastEEEviT_T0_T2_T3_T4_T5_.numbered_sgpr, 14
	.set _ZN2at6native27unrolled_elementwise_kernelINS0_13AUnaryFunctorIlllZZZNS0_18rshift_kernel_cudaERNS_18TensorIteratorBaseEENKUlvE_clEvENKUlvE2_clEvEUlllE_EESt5arrayIPcLm2EELi4E23TrivialOffsetCalculatorILi1EjESD_NS0_6memory15LoadWithoutCastENSE_16StoreWithoutCastEEEviT_T0_T2_T3_T4_T5_.num_named_barrier, 0
	.set _ZN2at6native27unrolled_elementwise_kernelINS0_13AUnaryFunctorIlllZZZNS0_18rshift_kernel_cudaERNS_18TensorIteratorBaseEENKUlvE_clEvENKUlvE2_clEvEUlllE_EESt5arrayIPcLm2EELi4E23TrivialOffsetCalculatorILi1EjESD_NS0_6memory15LoadWithoutCastENSE_16StoreWithoutCastEEEviT_T0_T2_T3_T4_T5_.private_seg_size, 0
	.set _ZN2at6native27unrolled_elementwise_kernelINS0_13AUnaryFunctorIlllZZZNS0_18rshift_kernel_cudaERNS_18TensorIteratorBaseEENKUlvE_clEvENKUlvE2_clEvEUlllE_EESt5arrayIPcLm2EELi4E23TrivialOffsetCalculatorILi1EjESD_NS0_6memory15LoadWithoutCastENSE_16StoreWithoutCastEEEviT_T0_T2_T3_T4_T5_.uses_vcc, 1
	.set _ZN2at6native27unrolled_elementwise_kernelINS0_13AUnaryFunctorIlllZZZNS0_18rshift_kernel_cudaERNS_18TensorIteratorBaseEENKUlvE_clEvENKUlvE2_clEvEUlllE_EESt5arrayIPcLm2EELi4E23TrivialOffsetCalculatorILi1EjESD_NS0_6memory15LoadWithoutCastENSE_16StoreWithoutCastEEEviT_T0_T2_T3_T4_T5_.uses_flat_scratch, 0
	.set _ZN2at6native27unrolled_elementwise_kernelINS0_13AUnaryFunctorIlllZZZNS0_18rshift_kernel_cudaERNS_18TensorIteratorBaseEENKUlvE_clEvENKUlvE2_clEvEUlllE_EESt5arrayIPcLm2EELi4E23TrivialOffsetCalculatorILi1EjESD_NS0_6memory15LoadWithoutCastENSE_16StoreWithoutCastEEEviT_T0_T2_T3_T4_T5_.has_dyn_sized_stack, 0
	.set _ZN2at6native27unrolled_elementwise_kernelINS0_13AUnaryFunctorIlllZZZNS0_18rshift_kernel_cudaERNS_18TensorIteratorBaseEENKUlvE_clEvENKUlvE2_clEvEUlllE_EESt5arrayIPcLm2EELi4E23TrivialOffsetCalculatorILi1EjESD_NS0_6memory15LoadWithoutCastENSE_16StoreWithoutCastEEEviT_T0_T2_T3_T4_T5_.has_recursion, 0
	.set _ZN2at6native27unrolled_elementwise_kernelINS0_13AUnaryFunctorIlllZZZNS0_18rshift_kernel_cudaERNS_18TensorIteratorBaseEENKUlvE_clEvENKUlvE2_clEvEUlllE_EESt5arrayIPcLm2EELi4E23TrivialOffsetCalculatorILi1EjESD_NS0_6memory15LoadWithoutCastENSE_16StoreWithoutCastEEEviT_T0_T2_T3_T4_T5_.has_indirect_call, 0
	.section	.AMDGPU.csdata,"",@progbits
; Kernel info:
; codeLenInByte = 848
; TotalNumSgprs: 18
; NumVgprs: 13
; ScratchSize: 0
; MemoryBound: 0
; FloatMode: 240
; IeeeMode: 1
; LDSByteSize: 0 bytes/workgroup (compile time only)
; SGPRBlocks: 2
; VGPRBlocks: 3
; NumSGPRsForWavesPerEU: 18
; NumVGPRsForWavesPerEU: 13
; Occupancy: 10
; WaveLimiterHint : 0
; COMPUTE_PGM_RSRC2:SCRATCH_EN: 0
; COMPUTE_PGM_RSRC2:USER_SGPR: 6
; COMPUTE_PGM_RSRC2:TRAP_HANDLER: 0
; COMPUTE_PGM_RSRC2:TGID_X_EN: 1
; COMPUTE_PGM_RSRC2:TGID_Y_EN: 0
; COMPUTE_PGM_RSRC2:TGID_Z_EN: 0
; COMPUTE_PGM_RSRC2:TIDIG_COMP_CNT: 0
	.section	.text._ZN2at6native32elementwise_kernel_manual_unrollILi128ELi4EZNS0_22gpu_kernel_impl_nocastINS0_13AUnaryFunctorIlllZZZNS0_18rshift_kernel_cudaERNS_18TensorIteratorBaseEENKUlvE_clEvENKUlvE2_clEvEUlllE_EEEEvS5_RKT_EUlibE_EEviT1_,"axG",@progbits,_ZN2at6native32elementwise_kernel_manual_unrollILi128ELi4EZNS0_22gpu_kernel_impl_nocastINS0_13AUnaryFunctorIlllZZZNS0_18rshift_kernel_cudaERNS_18TensorIteratorBaseEENKUlvE_clEvENKUlvE2_clEvEUlllE_EEEEvS5_RKT_EUlibE_EEviT1_,comdat
	.globl	_ZN2at6native32elementwise_kernel_manual_unrollILi128ELi4EZNS0_22gpu_kernel_impl_nocastINS0_13AUnaryFunctorIlllZZZNS0_18rshift_kernel_cudaERNS_18TensorIteratorBaseEENKUlvE_clEvENKUlvE2_clEvEUlllE_EEEEvS5_RKT_EUlibE_EEviT1_ ; -- Begin function _ZN2at6native32elementwise_kernel_manual_unrollILi128ELi4EZNS0_22gpu_kernel_impl_nocastINS0_13AUnaryFunctorIlllZZZNS0_18rshift_kernel_cudaERNS_18TensorIteratorBaseEENKUlvE_clEvENKUlvE2_clEvEUlllE_EEEEvS5_RKT_EUlibE_EEviT1_
	.p2align	8
	.type	_ZN2at6native32elementwise_kernel_manual_unrollILi128ELi4EZNS0_22gpu_kernel_impl_nocastINS0_13AUnaryFunctorIlllZZZNS0_18rshift_kernel_cudaERNS_18TensorIteratorBaseEENKUlvE_clEvENKUlvE2_clEvEUlllE_EEEEvS5_RKT_EUlibE_EEviT1_,@function
_ZN2at6native32elementwise_kernel_manual_unrollILi128ELi4EZNS0_22gpu_kernel_impl_nocastINS0_13AUnaryFunctorIlllZZZNS0_18rshift_kernel_cudaERNS_18TensorIteratorBaseEENKUlvE_clEvENKUlvE2_clEvEUlllE_EEEEvS5_RKT_EUlibE_EEviT1_: ; @_ZN2at6native32elementwise_kernel_manual_unrollILi128ELi4EZNS0_22gpu_kernel_impl_nocastINS0_13AUnaryFunctorIlllZZZNS0_18rshift_kernel_cudaERNS_18TensorIteratorBaseEENKUlvE_clEvENKUlvE2_clEvEUlllE_EEEEvS5_RKT_EUlibE_EEviT1_
; %bb.0:
	s_load_dword s57, s[4:5], 0x0
	s_load_dword s33, s[4:5], 0x8
	s_add_u32 s34, s4, 8
	s_addc_u32 s35, s5, 0
	v_lshl_or_b32 v7, s6, 9, v0
	v_or_b32_e32 v13, 0x180, v7
	s_waitcnt lgkmcnt(0)
	s_add_i32 s56, s33, -1
	s_cmp_gt_u32 s56, 1
	v_cmp_le_i32_e32 vcc, s57, v13
	s_cselect_b64 s[36:37], -1, 0
	s_and_saveexec_b64 s[0:1], vcc
	s_xor_b64 s[38:39], exec, s[0:1]
	s_cbranch_execz .LBB197_7
; %bb.1:
	s_load_dwordx4 s[24:27], s[34:35], 0x4
	s_load_dwordx2 s[42:43], s[34:35], 0x14
	s_load_dwordx4 s[20:23], s[34:35], 0xc4
	s_load_dwordx4 s[16:19], s[34:35], 0x148
	s_load_dwordx2 s[40:41], s[34:35], 0x160
	s_cmp_lg_u32 s33, 0
	s_cselect_b64 s[48:49], -1, 0
	s_add_u32 s46, s34, 0xc4
	s_addc_u32 s47, s35, 0
	s_min_u32 s58, s56, 15
	s_cmp_gt_u32 s33, 1
	s_cselect_b64 s[44:45], -1, 0
	v_cmp_gt_i32_e32 vcc, s57, v7
	s_and_saveexec_b64 s[50:51], vcc
	s_cbranch_execz .LBB197_14
; %bb.2:
	s_andn2_b64 vcc, exec, s[36:37]
	s_cbranch_vccnz .LBB197_21
; %bb.3:
	s_andn2_b64 vcc, exec, s[48:49]
	s_cbranch_vccnz .LBB197_73
; %bb.4:
	s_add_i32 s60, s58, 1
	s_cmp_eq_u32 s56, 2
	s_cbranch_scc1 .LBB197_75
; %bb.5:
	s_and_b32 s59, s60, 28
	v_mov_b32_e32 v2, 0
	s_mov_b32 s61, 0
	s_mov_b64 s[52:53], s[34:35]
	s_mov_b64 s[54:55], s[46:47]
	v_mov_b32_e32 v0, 0
	v_mov_b32_e32 v1, v7
.LBB197_6:                              ; =>This Inner Loop Header: Depth=1
	s_load_dwordx8 s[8:15], s[52:53], 0x4
	s_load_dwordx4 s[28:31], s[52:53], 0x24
	s_load_dwordx8 s[0:7], s[54:55], 0x0
	s_add_u32 s52, s52, 48
	s_addc_u32 s53, s53, 0
	s_waitcnt lgkmcnt(0)
	v_mul_hi_u32 v3, s9, v1
	s_add_i32 s61, s61, 4
	s_add_u32 s54, s54, 32
	s_addc_u32 s55, s55, 0
	v_add_u32_e32 v3, v1, v3
	v_lshrrev_b32_e32 v3, s10, v3
	v_mul_lo_u32 v4, v3, s8
	v_mul_hi_u32 v5, s12, v3
	s_cmp_lg_u32 s59, s61
	v_sub_u32_e32 v1, v1, v4
	v_add_u32_e32 v4, v3, v5
	v_mul_lo_u32 v5, v1, s0
	v_mul_lo_u32 v6, v1, s1
	v_lshrrev_b32_e32 v1, s13, v4
	v_mul_lo_u32 v4, v1, s11
	v_mul_hi_u32 v8, s15, v1
	v_sub_u32_e32 v3, v3, v4
	v_add_u32_e32 v4, v1, v8
	v_lshrrev_b32_e32 v4, s28, v4
	v_mul_hi_u32 v9, s30, v4
	v_mul_lo_u32 v10, v4, s14
	v_mul_lo_u32 v8, v3, s2
	;; [unrolled: 1-line block ×3, first 2 shown]
	v_sub_u32_e32 v10, v1, v10
	v_add_u32_e32 v1, v4, v9
	v_lshrrev_b32_e32 v1, s31, v1
	v_mul_lo_u32 v9, v1, s29
	v_mul_lo_u32 v11, v10, s4
	;; [unrolled: 1-line block ×3, first 2 shown]
	v_add3_u32 v0, v5, v0, v8
	v_sub_u32_e32 v4, v4, v9
	v_mul_lo_u32 v9, v4, s6
	v_mul_lo_u32 v4, v4, s7
	v_add3_u32 v2, v6, v2, v3
	v_add3_u32 v0, v11, v0, v9
	;; [unrolled: 1-line block ×3, first 2 shown]
	s_cbranch_scc1 .LBB197_6
	s_branch .LBB197_76
.LBB197_7:
	s_andn2_saveexec_b64 s[0:1], s[38:39]
	s_cbranch_execz .LBB197_101
.LBB197_8:
	v_cndmask_b32_e64 v0, 0, 1, s[36:37]
	v_cmp_ne_u32_e64 s[0:1], 1, v0
	s_andn2_b64 vcc, exec, s[36:37]
	s_cbranch_vccnz .LBB197_20
; %bb.9:
	s_cmp_lg_u32 s33, 0
	s_waitcnt lgkmcnt(0)
	s_mov_b32 s26, 0
	s_cbranch_scc0 .LBB197_23
; %bb.10:
	s_min_u32 s27, s56, 15
	s_add_i32 s27, s27, 1
	s_cmp_eq_u32 s56, 2
	s_cbranch_scc1 .LBB197_24
; %bb.11:
	s_and_b32 s26, s27, 28
	s_add_u32 s2, s34, 0xc4
	s_addc_u32 s3, s35, 0
	v_mov_b32_e32 v2, 0
	s_mov_b32 s28, 0
	s_mov_b64 s[24:25], s[34:35]
	v_mov_b32_e32 v0, 0
	v_mov_b32_e32 v1, v7
.LBB197_12:                             ; =>This Inner Loop Header: Depth=1
	s_load_dwordx8 s[12:19], s[24:25], 0x4
	s_load_dwordx4 s[20:23], s[24:25], 0x24
	s_load_dwordx8 s[4:11], s[2:3], 0x0
	s_add_u32 s24, s24, 48
	s_addc_u32 s25, s25, 0
	s_waitcnt lgkmcnt(0)
	v_mul_hi_u32 v3, s13, v1
	s_add_i32 s28, s28, 4
	s_add_u32 s2, s2, 32
	s_addc_u32 s3, s3, 0
	v_add_u32_e32 v3, v1, v3
	v_lshrrev_b32_e32 v3, s14, v3
	v_mul_lo_u32 v4, v3, s12
	v_mul_hi_u32 v5, s16, v3
	s_cmp_lg_u32 s26, s28
	v_sub_u32_e32 v1, v1, v4
	v_add_u32_e32 v4, v3, v5
	v_mul_lo_u32 v5, v1, s4
	v_mul_lo_u32 v6, v1, s5
	v_lshrrev_b32_e32 v1, s17, v4
	v_mul_lo_u32 v4, v1, s15
	v_mul_hi_u32 v8, s19, v1
	v_sub_u32_e32 v3, v3, v4
	v_add_u32_e32 v4, v1, v8
	v_lshrrev_b32_e32 v4, s20, v4
	v_mul_hi_u32 v9, s22, v4
	v_mul_lo_u32 v10, v4, s18
	v_mul_lo_u32 v8, v3, s6
	;; [unrolled: 1-line block ×3, first 2 shown]
	v_sub_u32_e32 v10, v1, v10
	v_add_u32_e32 v1, v4, v9
	v_lshrrev_b32_e32 v1, s23, v1
	v_mul_lo_u32 v9, v1, s21
	v_mul_lo_u32 v11, v10, s8
	;; [unrolled: 1-line block ×3, first 2 shown]
	v_add3_u32 v0, v5, v0, v8
	v_sub_u32_e32 v4, v4, v9
	v_mul_lo_u32 v9, v4, s10
	v_mul_lo_u32 v4, v4, s11
	v_add3_u32 v2, v6, v2, v3
	v_add3_u32 v0, v11, v0, v9
	;; [unrolled: 1-line block ×3, first 2 shown]
	s_cbranch_scc1 .LBB197_12
; %bb.13:
	s_and_b32 s6, s27, 3
	s_cmp_eq_u32 s6, 0
	s_cbranch_scc0 .LBB197_25
	s_branch .LBB197_27
.LBB197_14:
	s_or_b64 exec, exec, s[50:51]
	v_cmp_gt_i32_e32 vcc, s57, v7
	s_and_saveexec_b64 s[50:51], vcc
	s_cbranch_execz .LBB197_83
.LBB197_15:
	s_andn2_b64 vcc, exec, s[36:37]
	s_cbranch_vccnz .LBB197_22
; %bb.16:
	s_andn2_b64 vcc, exec, s[48:49]
	s_cbranch_vccnz .LBB197_74
; %bb.17:
	s_add_i32 s60, s58, 1
	s_cmp_eq_u32 s56, 2
	s_cbranch_scc1 .LBB197_91
; %bb.18:
	s_and_b32 s59, s60, 28
	v_mov_b32_e32 v2, 0
	s_mov_b32 s61, 0
	s_mov_b64 s[52:53], s[34:35]
	s_mov_b64 s[54:55], s[46:47]
	v_mov_b32_e32 v0, 0
	v_mov_b32_e32 v1, v7
.LBB197_19:                             ; =>This Inner Loop Header: Depth=1
	s_load_dwordx8 s[8:15], s[52:53], 0x4
	s_load_dwordx4 s[28:31], s[52:53], 0x24
	s_load_dwordx8 s[0:7], s[54:55], 0x0
	s_add_u32 s52, s52, 48
	s_addc_u32 s53, s53, 0
	s_waitcnt lgkmcnt(0)
	v_mul_hi_u32 v3, s9, v1
	s_add_i32 s61, s61, 4
	s_add_u32 s54, s54, 32
	s_addc_u32 s55, s55, 0
	v_add_u32_e32 v3, v1, v3
	v_lshrrev_b32_e32 v3, s10, v3
	v_mul_lo_u32 v4, v3, s8
	v_mul_hi_u32 v5, s12, v3
	s_cmp_eq_u32 s59, s61
	v_sub_u32_e32 v1, v1, v4
	v_add_u32_e32 v4, v3, v5
	v_mul_lo_u32 v5, v1, s0
	v_mul_lo_u32 v6, v1, s1
	v_lshrrev_b32_e32 v1, s13, v4
	v_mul_lo_u32 v4, v1, s11
	v_mul_hi_u32 v8, s15, v1
	v_sub_u32_e32 v3, v3, v4
	v_add_u32_e32 v4, v1, v8
	v_lshrrev_b32_e32 v4, s28, v4
	v_mul_hi_u32 v9, s30, v4
	v_mul_lo_u32 v10, v4, s14
	v_mul_lo_u32 v8, v3, s2
	;; [unrolled: 1-line block ×3, first 2 shown]
	v_sub_u32_e32 v10, v1, v10
	v_add_u32_e32 v1, v4, v9
	v_lshrrev_b32_e32 v1, s31, v1
	v_mul_lo_u32 v9, v1, s29
	v_mul_lo_u32 v11, v10, s4
	;; [unrolled: 1-line block ×3, first 2 shown]
	v_add3_u32 v0, v5, v0, v8
	v_sub_u32_e32 v4, v4, v9
	v_mul_lo_u32 v9, v4, s6
	v_mul_lo_u32 v4, v4, s7
	v_add3_u32 v2, v6, v2, v3
	v_add3_u32 v0, v11, v0, v9
	;; [unrolled: 1-line block ×3, first 2 shown]
	s_cbranch_scc0 .LBB197_19
	s_branch .LBB197_92
.LBB197_20:
                                        ; implicit-def: $vgpr0
                                        ; implicit-def: $vgpr2
	s_branch .LBB197_28
.LBB197_21:
                                        ; implicit-def: $vgpr0
                                        ; implicit-def: $vgpr2
	s_branch .LBB197_80
.LBB197_22:
                                        ; implicit-def: $vgpr0
                                        ; implicit-def: $vgpr2
	s_branch .LBB197_96
.LBB197_23:
	v_mov_b32_e32 v0, 0
	v_mov_b32_e32 v2, 0
	s_branch .LBB197_27
.LBB197_24:
	v_mov_b32_e32 v0, 0
	v_mov_b32_e32 v2, 0
	;; [unrolled: 1-line block ×3, first 2 shown]
	s_and_b32 s6, s27, 3
	s_cmp_eq_u32 s6, 0
	s_cbranch_scc1 .LBB197_27
.LBB197_25:
	s_lshl_b32 s2, s26, 3
	s_add_u32 s2, s34, s2
	s_addc_u32 s3, s35, 0
	s_add_u32 s2, s2, 0xc4
	s_addc_u32 s3, s3, 0
	s_mul_i32 s4, s26, 12
	s_add_u32 s4, s34, s4
	s_addc_u32 s5, s35, 0
.LBB197_26:                             ; =>This Inner Loop Header: Depth=1
	s_load_dwordx2 s[8:9], s[4:5], 0x4
	s_load_dword s7, s[4:5], 0xc
	s_load_dwordx2 s[10:11], s[2:3], 0x0
	s_add_u32 s4, s4, 12
	s_addc_u32 s5, s5, 0
	s_waitcnt lgkmcnt(0)
	v_mul_hi_u32 v4, s9, v1
	s_add_u32 s2, s2, 8
	s_addc_u32 s3, s3, 0
	s_add_i32 s6, s6, -1
	v_add_u32_e32 v4, v1, v4
	v_lshrrev_b32_e32 v4, s7, v4
	v_mul_lo_u32 v5, v4, s8
	s_cmp_lg_u32 s6, 0
	v_sub_u32_e32 v5, v1, v5
	v_mad_u64_u32 v[0:1], s[8:9], v5, s10, v[0:1]
	v_mad_u64_u32 v[2:3], s[8:9], v5, s11, v[2:3]
	v_mov_b32_e32 v1, v4
	s_cbranch_scc1 .LBB197_26
.LBB197_27:
	s_cbranch_execnz .LBB197_30
.LBB197_28:
	s_load_dwordx4 s[4:7], s[34:35], 0x4
	s_load_dwordx2 s[2:3], s[34:35], 0xc4
	s_cmp_lt_u32 s33, 2
	s_waitcnt lgkmcnt(0)
	v_mul_hi_u32 v0, s5, v7
	v_add_u32_e32 v0, v7, v0
	v_lshrrev_b32_e32 v1, s6, v0
	v_mul_lo_u32 v0, v1, s4
	v_sub_u32_e32 v2, v7, v0
	v_mul_lo_u32 v0, v2, s2
	v_mul_lo_u32 v2, v2, s3
	s_cbranch_scc1 .LBB197_30
; %bb.29:
	s_load_dwordx4 s[4:7], s[34:35], 0x10
	s_load_dwordx2 s[2:3], s[34:35], 0xcc
	s_waitcnt lgkmcnt(0)
	v_mul_hi_u32 v3, s5, v1
	v_add_u32_e32 v3, v1, v3
	v_lshrrev_b32_e32 v3, s6, v3
	v_mul_lo_u32 v3, v3, s4
	v_sub_u32_e32 v3, v1, v3
	v_mad_u64_u32 v[0:1], s[4:5], v3, s2, v[0:1]
	v_mad_u64_u32 v[2:3], s[2:3], v3, s3, v[2:3]
.LBB197_30:
	s_and_b64 vcc, exec, s[0:1]
	v_add_u32_e32 v1, 0x80, v7
	s_cbranch_vccnz .LBB197_36
; %bb.31:
	s_cmp_lg_u32 s33, 0
	s_waitcnt lgkmcnt(0)
	s_mov_b32 s26, 0
	s_cbranch_scc0 .LBB197_37
; %bb.32:
	s_min_u32 s27, s56, 15
	s_add_i32 s27, s27, 1
	s_cmp_eq_u32 s56, 2
	s_cbranch_scc1 .LBB197_38
; %bb.33:
	s_and_b32 s26, s27, 28
	s_add_u32 s2, s34, 0xc4
	s_addc_u32 s3, s35, 0
	v_mov_b32_e32 v5, 0
	s_mov_b32 s28, 0
	s_mov_b64 s[24:25], s[34:35]
	v_mov_b32_e32 v3, 0
	v_mov_b32_e32 v4, v1
.LBB197_34:                             ; =>This Inner Loop Header: Depth=1
	s_load_dwordx8 s[12:19], s[24:25], 0x4
	s_load_dwordx4 s[20:23], s[24:25], 0x24
	s_load_dwordx8 s[4:11], s[2:3], 0x0
	s_add_u32 s24, s24, 48
	s_addc_u32 s25, s25, 0
	s_waitcnt lgkmcnt(0)
	v_mul_hi_u32 v6, s13, v4
	s_add_i32 s28, s28, 4
	s_add_u32 s2, s2, 32
	s_addc_u32 s3, s3, 0
	v_add_u32_e32 v6, v4, v6
	v_lshrrev_b32_e32 v6, s14, v6
	v_mul_lo_u32 v8, v6, s12
	v_mul_hi_u32 v9, s16, v6
	s_cmp_lg_u32 s26, s28
	v_sub_u32_e32 v4, v4, v8
	v_add_u32_e32 v8, v6, v9
	v_mul_lo_u32 v9, v4, s4
	v_mul_lo_u32 v10, v4, s5
	v_lshrrev_b32_e32 v4, s17, v8
	v_mul_lo_u32 v8, v4, s15
	v_mul_hi_u32 v11, s19, v4
	v_sub_u32_e32 v6, v6, v8
	v_add_u32_e32 v8, v4, v11
	v_lshrrev_b32_e32 v8, s20, v8
	v_mul_hi_u32 v12, s22, v8
	v_mul_lo_u32 v14, v8, s18
	v_mul_lo_u32 v11, v6, s6
	;; [unrolled: 1-line block ×3, first 2 shown]
	v_sub_u32_e32 v14, v4, v14
	v_add_u32_e32 v4, v8, v12
	v_lshrrev_b32_e32 v4, s23, v4
	v_mul_lo_u32 v12, v4, s21
	v_mul_lo_u32 v15, v14, s8
	v_mul_lo_u32 v14, v14, s9
	v_add3_u32 v3, v9, v3, v11
	v_sub_u32_e32 v8, v8, v12
	v_mul_lo_u32 v12, v8, s10
	v_mul_lo_u32 v8, v8, s11
	v_add3_u32 v5, v10, v5, v6
	v_add3_u32 v3, v15, v3, v12
	;; [unrolled: 1-line block ×3, first 2 shown]
	s_cbranch_scc1 .LBB197_34
; %bb.35:
	s_and_b32 s6, s27, 3
	s_cmp_eq_u32 s6, 0
	s_cbranch_scc0 .LBB197_39
	s_branch .LBB197_41
.LBB197_36:
                                        ; implicit-def: $vgpr3
                                        ; implicit-def: $vgpr5
	s_branch .LBB197_42
.LBB197_37:
	v_mov_b32_e32 v3, 0
	v_mov_b32_e32 v5, 0
	s_branch .LBB197_41
.LBB197_38:
	v_mov_b32_e32 v3, 0
	v_mov_b32_e32 v5, 0
	;; [unrolled: 1-line block ×3, first 2 shown]
	s_and_b32 s6, s27, 3
	s_cmp_eq_u32 s6, 0
	s_cbranch_scc1 .LBB197_41
.LBB197_39:
	s_lshl_b32 s2, s26, 3
	s_add_u32 s2, s34, s2
	s_addc_u32 s3, s35, 0
	s_add_u32 s2, s2, 0xc4
	s_addc_u32 s3, s3, 0
	s_mul_i32 s4, s26, 12
	s_add_u32 s4, s34, s4
	s_addc_u32 s5, s35, 0
.LBB197_40:                             ; =>This Inner Loop Header: Depth=1
	s_load_dwordx2 s[8:9], s[4:5], 0x4
	s_load_dword s7, s[4:5], 0xc
	s_load_dwordx2 s[10:11], s[2:3], 0x0
	s_add_u32 s4, s4, 12
	s_addc_u32 s5, s5, 0
	s_waitcnt lgkmcnt(0)
	v_mul_hi_u32 v8, s9, v4
	s_add_u32 s2, s2, 8
	s_addc_u32 s3, s3, 0
	s_add_i32 s6, s6, -1
	v_add_u32_e32 v8, v4, v8
	v_lshrrev_b32_e32 v8, s7, v8
	v_mul_lo_u32 v9, v8, s8
	s_cmp_lg_u32 s6, 0
	v_sub_u32_e32 v9, v4, v9
	v_mad_u64_u32 v[3:4], s[8:9], v9, s10, v[3:4]
	v_mad_u64_u32 v[5:6], s[8:9], v9, s11, v[5:6]
	v_mov_b32_e32 v4, v8
	s_cbranch_scc1 .LBB197_40
.LBB197_41:
	s_cbranch_execnz .LBB197_44
.LBB197_42:
	s_load_dwordx4 s[4:7], s[34:35], 0x4
	s_load_dwordx2 s[2:3], s[34:35], 0xc4
	s_cmp_lt_u32 s33, 2
	s_waitcnt lgkmcnt(0)
	v_mul_hi_u32 v3, s5, v1
	v_add_u32_e32 v3, v1, v3
	v_lshrrev_b32_e32 v4, s6, v3
	v_mul_lo_u32 v3, v4, s4
	v_sub_u32_e32 v1, v1, v3
	v_mul_lo_u32 v3, v1, s2
	v_mul_lo_u32 v5, v1, s3
	s_cbranch_scc1 .LBB197_44
; %bb.43:
	s_load_dwordx4 s[4:7], s[34:35], 0x10
	s_load_dwordx2 s[2:3], s[34:35], 0xcc
	s_waitcnt lgkmcnt(0)
	v_mul_hi_u32 v1, s5, v4
	v_add_u32_e32 v1, v4, v1
	v_lshrrev_b32_e32 v1, s6, v1
	v_mul_lo_u32 v1, v1, s4
	v_sub_u32_e32 v1, v4, v1
	v_mad_u64_u32 v[3:4], s[4:5], v1, s2, v[3:4]
	v_mad_u64_u32 v[5:6], s[2:3], v1, s3, v[5:6]
.LBB197_44:
	s_and_b64 vcc, exec, s[0:1]
	v_add_u32_e32 v1, 0x100, v7
	s_cbranch_vccnz .LBB197_50
; %bb.45:
	s_cmp_lg_u32 s33, 0
	s_waitcnt lgkmcnt(0)
	s_mov_b32 s26, 0
	s_cbranch_scc0 .LBB197_51
; %bb.46:
	s_min_u32 s27, s56, 15
	s_add_i32 s27, s27, 1
	s_cmp_eq_u32 s56, 2
	s_cbranch_scc1 .LBB197_52
; %bb.47:
	s_and_b32 s26, s27, 28
	s_add_u32 s2, s34, 0xc4
	s_addc_u32 s3, s35, 0
	v_mov_b32_e32 v8, 0
	s_mov_b32 s28, 0
	s_mov_b64 s[24:25], s[34:35]
	v_mov_b32_e32 v6, 0
	v_mov_b32_e32 v4, v1
.LBB197_48:                             ; =>This Inner Loop Header: Depth=1
	s_load_dwordx8 s[12:19], s[24:25], 0x4
	s_load_dwordx4 s[20:23], s[24:25], 0x24
	s_load_dwordx8 s[4:11], s[2:3], 0x0
	s_add_u32 s24, s24, 48
	s_addc_u32 s25, s25, 0
	s_waitcnt lgkmcnt(0)
	v_mul_hi_u32 v7, s13, v4
	s_add_i32 s28, s28, 4
	s_add_u32 s2, s2, 32
	s_addc_u32 s3, s3, 0
	v_add_u32_e32 v7, v4, v7
	v_lshrrev_b32_e32 v7, s14, v7
	v_mul_lo_u32 v9, v7, s12
	v_mul_hi_u32 v10, s16, v7
	s_cmp_lg_u32 s26, s28
	v_sub_u32_e32 v4, v4, v9
	v_add_u32_e32 v9, v7, v10
	v_mul_lo_u32 v10, v4, s4
	v_mul_lo_u32 v11, v4, s5
	v_lshrrev_b32_e32 v4, s17, v9
	v_mul_lo_u32 v9, v4, s15
	v_mul_hi_u32 v12, s19, v4
	v_sub_u32_e32 v7, v7, v9
	v_add_u32_e32 v9, v4, v12
	v_lshrrev_b32_e32 v9, s20, v9
	v_mul_hi_u32 v14, s22, v9
	v_mul_lo_u32 v15, v9, s18
	v_mul_lo_u32 v12, v7, s6
	;; [unrolled: 1-line block ×3, first 2 shown]
	v_sub_u32_e32 v15, v4, v15
	v_add_u32_e32 v4, v9, v14
	v_lshrrev_b32_e32 v4, s23, v4
	v_mul_lo_u32 v14, v4, s21
	v_mul_lo_u32 v16, v15, s8
	;; [unrolled: 1-line block ×3, first 2 shown]
	v_add3_u32 v6, v10, v6, v12
	v_sub_u32_e32 v9, v9, v14
	v_mul_lo_u32 v14, v9, s10
	v_mul_lo_u32 v9, v9, s11
	v_add3_u32 v7, v11, v8, v7
	v_add3_u32 v6, v16, v6, v14
	;; [unrolled: 1-line block ×3, first 2 shown]
	s_cbranch_scc1 .LBB197_48
; %bb.49:
	s_and_b32 s6, s27, 3
	s_cmp_eq_u32 s6, 0
	s_cbranch_scc0 .LBB197_53
	s_branch .LBB197_55
.LBB197_50:
                                        ; implicit-def: $vgpr6
                                        ; implicit-def: $vgpr8
	s_branch .LBB197_56
.LBB197_51:
	v_mov_b32_e32 v6, 0
	v_mov_b32_e32 v8, 0
	s_branch .LBB197_55
.LBB197_52:
	v_mov_b32_e32 v6, 0
	v_mov_b32_e32 v8, 0
	;; [unrolled: 1-line block ×3, first 2 shown]
	s_and_b32 s6, s27, 3
	s_cmp_eq_u32 s6, 0
	s_cbranch_scc1 .LBB197_55
.LBB197_53:
	s_lshl_b32 s2, s26, 3
	s_add_u32 s2, s34, s2
	s_addc_u32 s3, s35, 0
	s_add_u32 s2, s2, 0xc4
	s_addc_u32 s3, s3, 0
	s_mul_i32 s4, s26, 12
	s_add_u32 s4, s34, s4
	s_addc_u32 s5, s35, 0
.LBB197_54:                             ; =>This Inner Loop Header: Depth=1
	s_load_dwordx2 s[8:9], s[4:5], 0x4
	s_load_dword s7, s[4:5], 0xc
	s_load_dwordx2 s[10:11], s[2:3], 0x0
	s_add_u32 s4, s4, 12
	s_addc_u32 s5, s5, 0
	s_waitcnt lgkmcnt(0)
	v_mul_hi_u32 v7, s9, v4
	s_add_u32 s2, s2, 8
	s_addc_u32 s3, s3, 0
	s_add_i32 s6, s6, -1
	v_add_u32_e32 v7, v4, v7
	v_lshrrev_b32_e32 v10, s7, v7
	v_mul_lo_u32 v7, v10, s8
	s_cmp_lg_u32 s6, 0
	v_sub_u32_e32 v4, v4, v7
	v_mad_u64_u32 v[6:7], s[8:9], v4, s10, v[6:7]
	v_mad_u64_u32 v[8:9], s[8:9], v4, s11, v[8:9]
	v_mov_b32_e32 v4, v10
	s_cbranch_scc1 .LBB197_54
.LBB197_55:
	s_cbranch_execnz .LBB197_58
.LBB197_56:
	s_load_dwordx4 s[4:7], s[34:35], 0x4
	s_load_dwordx2 s[2:3], s[34:35], 0xc4
	s_cmp_lt_u32 s33, 2
	s_waitcnt lgkmcnt(0)
	v_mul_hi_u32 v4, s5, v1
	v_add_u32_e32 v4, v1, v4
	v_lshrrev_b32_e32 v4, s6, v4
	v_mul_lo_u32 v6, v4, s4
	v_sub_u32_e32 v1, v1, v6
	v_mul_lo_u32 v6, v1, s2
	v_mul_lo_u32 v8, v1, s3
	s_cbranch_scc1 .LBB197_58
; %bb.57:
	s_load_dwordx4 s[4:7], s[34:35], 0x10
	s_load_dwordx2 s[2:3], s[34:35], 0xcc
	s_waitcnt lgkmcnt(0)
	v_mul_hi_u32 v1, s5, v4
	v_add_u32_e32 v1, v4, v1
	v_lshrrev_b32_e32 v1, s6, v1
	v_mul_lo_u32 v1, v1, s4
	v_sub_u32_e32 v1, v4, v1
	v_mad_u64_u32 v[6:7], s[4:5], v1, s2, v[6:7]
	v_mad_u64_u32 v[8:9], s[2:3], v1, s3, v[8:9]
.LBB197_58:
	s_and_b64 vcc, exec, s[0:1]
	s_cbranch_vccnz .LBB197_64
; %bb.59:
	s_cmp_lg_u32 s33, 0
	s_waitcnt lgkmcnt(0)
	s_mov_b32 s24, 0
	s_cbranch_scc0 .LBB197_65
; %bb.60:
	s_min_u32 s25, s56, 15
	s_add_i32 s25, s25, 1
	s_cmp_eq_u32 s56, 2
	s_cbranch_scc1 .LBB197_66
; %bb.61:
	s_and_b32 s24, s25, 28
	s_add_u32 s20, s34, 0xc4
	s_addc_u32 s21, s35, 0
	v_mov_b32_e32 v11, 0
	s_mov_b32 s26, 0
	s_mov_b64 s[22:23], s[34:35]
	v_mov_b32_e32 v9, 0
	v_mov_b32_e32 v1, v13
.LBB197_62:                             ; =>This Inner Loop Header: Depth=1
	s_load_dwordx8 s[8:15], s[22:23], 0x4
	s_load_dwordx4 s[16:19], s[22:23], 0x24
	s_load_dwordx8 s[0:7], s[20:21], 0x0
	s_add_u32 s22, s22, 48
	s_addc_u32 s23, s23, 0
	s_waitcnt lgkmcnt(0)
	v_mul_hi_u32 v4, s9, v1
	s_add_i32 s26, s26, 4
	s_add_u32 s20, s20, 32
	s_addc_u32 s21, s21, 0
	v_add_u32_e32 v4, v1, v4
	v_lshrrev_b32_e32 v4, s10, v4
	v_mul_lo_u32 v7, v4, s8
	v_mul_hi_u32 v10, s12, v4
	s_cmp_lg_u32 s24, s26
	v_sub_u32_e32 v1, v1, v7
	v_add_u32_e32 v7, v4, v10
	v_mul_lo_u32 v10, v1, s0
	v_mul_lo_u32 v12, v1, s1
	v_lshrrev_b32_e32 v1, s13, v7
	v_mul_lo_u32 v7, v1, s11
	v_mul_hi_u32 v14, s15, v1
	v_sub_u32_e32 v4, v4, v7
	v_add_u32_e32 v7, v1, v14
	v_lshrrev_b32_e32 v7, s16, v7
	v_mul_hi_u32 v15, s18, v7
	v_mul_lo_u32 v16, v7, s14
	v_mul_lo_u32 v14, v4, s2
	v_mul_lo_u32 v4, v4, s3
	v_sub_u32_e32 v16, v1, v16
	v_add_u32_e32 v1, v7, v15
	v_lshrrev_b32_e32 v1, s19, v1
	v_mul_lo_u32 v15, v1, s17
	v_mul_lo_u32 v17, v16, s4
	;; [unrolled: 1-line block ×3, first 2 shown]
	v_add3_u32 v9, v10, v9, v14
	v_sub_u32_e32 v7, v7, v15
	v_mul_lo_u32 v15, v7, s6
	v_mul_lo_u32 v7, v7, s7
	v_add3_u32 v4, v12, v11, v4
	v_add3_u32 v9, v17, v9, v15
	;; [unrolled: 1-line block ×3, first 2 shown]
	s_cbranch_scc1 .LBB197_62
; %bb.63:
	s_and_b32 s4, s25, 3
	s_cmp_eq_u32 s4, 0
	s_cbranch_scc0 .LBB197_67
	s_branch .LBB197_69
.LBB197_64:
                                        ; implicit-def: $vgpr9
                                        ; implicit-def: $vgpr11
	s_branch .LBB197_70
.LBB197_65:
	v_mov_b32_e32 v9, 0
	v_mov_b32_e32 v11, 0
	s_branch .LBB197_69
.LBB197_66:
	v_mov_b32_e32 v9, 0
	v_mov_b32_e32 v11, 0
	;; [unrolled: 1-line block ×3, first 2 shown]
	s_and_b32 s4, s25, 3
	s_cmp_eq_u32 s4, 0
	s_cbranch_scc1 .LBB197_69
.LBB197_67:
	s_lshl_b32 s0, s24, 3
	s_add_u32 s0, s34, s0
	s_addc_u32 s1, s35, 0
	s_add_u32 s0, s0, 0xc4
	s_addc_u32 s1, s1, 0
	s_mul_i32 s2, s24, 12
	s_add_u32 s2, s34, s2
	s_addc_u32 s3, s35, 0
.LBB197_68:                             ; =>This Inner Loop Header: Depth=1
	s_load_dwordx2 s[6:7], s[2:3], 0x4
	s_load_dword s5, s[2:3], 0xc
	s_load_dwordx2 s[8:9], s[0:1], 0x0
	s_add_u32 s2, s2, 12
	s_addc_u32 s3, s3, 0
	s_waitcnt lgkmcnt(0)
	v_mul_hi_u32 v4, s7, v1
	s_add_u32 s0, s0, 8
	s_addc_u32 s1, s1, 0
	s_add_i32 s4, s4, -1
	v_add_u32_e32 v4, v1, v4
	v_lshrrev_b32_e32 v4, s5, v4
	v_mul_lo_u32 v7, v4, s6
	s_cmp_lg_u32 s4, 0
	v_sub_u32_e32 v1, v1, v7
	v_mad_u64_u32 v[9:10], s[6:7], v1, s8, v[9:10]
	v_mad_u64_u32 v[11:12], s[6:7], v1, s9, v[11:12]
	v_mov_b32_e32 v1, v4
	s_cbranch_scc1 .LBB197_68
.LBB197_69:
	s_cbranch_execnz .LBB197_72
.LBB197_70:
	s_load_dwordx4 s[0:3], s[34:35], 0x4
	s_load_dwordx2 s[4:5], s[34:35], 0xc4
	s_cmp_lt_u32 s33, 2
	s_waitcnt lgkmcnt(0)
	v_mul_hi_u32 v1, s1, v13
	v_add_u32_e32 v1, v13, v1
	v_lshrrev_b32_e32 v1, s2, v1
	v_mul_lo_u32 v4, v1, s0
	v_sub_u32_e32 v4, v13, v4
	v_mul_lo_u32 v9, v4, s4
	v_mul_lo_u32 v11, v4, s5
	s_cbranch_scc1 .LBB197_72
; %bb.71:
	s_load_dwordx4 s[0:3], s[34:35], 0x10
	s_load_dwordx2 s[4:5], s[34:35], 0xcc
	s_waitcnt lgkmcnt(0)
	v_mul_hi_u32 v4, s1, v1
	v_add_u32_e32 v4, v1, v4
	v_lshrrev_b32_e32 v4, s2, v4
	v_mul_lo_u32 v4, v4, s0
	v_sub_u32_e32 v1, v1, v4
	v_mad_u64_u32 v[9:10], s[0:1], v1, s4, v[9:10]
	v_mad_u64_u32 v[11:12], s[0:1], v1, s5, v[11:12]
.LBB197_72:
	s_load_dwordx4 s[0:3], s[34:35], 0x148
	s_load_dwordx2 s[4:5], s[34:35], 0x160
	s_waitcnt lgkmcnt(0)
	global_load_dwordx2 v[12:13], v2, s[2:3]
	global_load_dwordx2 v[14:15], v5, s[2:3]
	;; [unrolled: 1-line block ×4, first 2 shown]
	s_waitcnt vmcnt(3)
	v_cmp_gt_u64_e32 vcc, 63, v[12:13]
	v_cndmask_b32_e32 v1, 63, v12, vcc
	s_waitcnt vmcnt(2)
	v_cmp_gt_u64_e32 vcc, 63, v[14:15]
	v_ashrrev_i64 v[1:2], v1, s[4:5]
	v_cndmask_b32_e32 v4, 63, v14, vcc
	s_waitcnt vmcnt(1)
	v_cmp_gt_u64_e32 vcc, 63, v[16:17]
	v_ashrrev_i64 v[4:5], v4, s[4:5]
	;; [unrolled: 4-line block ×3, first 2 shown]
	v_cndmask_b32_e32 v10, 63, v18, vcc
	v_ashrrev_i64 v[10:11], v10, s[4:5]
	global_store_dwordx2 v0, v[1:2], s[0:1]
	global_store_dwordx2 v3, v[4:5], s[0:1]
	;; [unrolled: 1-line block ×4, first 2 shown]
	s_endpgm
.LBB197_73:
	v_mov_b32_e32 v0, 0
	v_mov_b32_e32 v2, 0
	s_branch .LBB197_79
.LBB197_74:
	v_mov_b32_e32 v0, 0
	v_mov_b32_e32 v2, 0
	s_branch .LBB197_95
.LBB197_75:
	s_mov_b32 s59, 0
	v_mov_b32_e32 v0, 0
	v_mov_b32_e32 v2, 0
	;; [unrolled: 1-line block ×3, first 2 shown]
.LBB197_76:
	s_and_b32 s4, s60, 3
	s_cmp_eq_u32 s4, 0
	s_cbranch_scc1 .LBB197_79
; %bb.77:
	s_lshl_b32 s0, s59, 3
	s_add_u32 s0, s34, s0
	s_addc_u32 s1, s35, 0
	s_add_u32 s0, s0, 0xc4
	s_addc_u32 s1, s1, 0
	s_mul_i32 s2, s59, 12
	s_add_u32 s2, s34, s2
	s_addc_u32 s3, s35, 0
.LBB197_78:                             ; =>This Inner Loop Header: Depth=1
	s_load_dwordx2 s[6:7], s[2:3], 0x4
	s_load_dword s5, s[2:3], 0xc
	s_load_dwordx2 s[8:9], s[0:1], 0x0
	s_add_u32 s2, s2, 12
	s_addc_u32 s3, s3, 0
	s_waitcnt lgkmcnt(0)
	v_mul_hi_u32 v3, s7, v1
	s_add_u32 s0, s0, 8
	s_addc_u32 s1, s1, 0
	s_add_i32 s4, s4, -1
	v_add_u32_e32 v3, v1, v3
	v_lshrrev_b32_e32 v4, s5, v3
	v_mul_lo_u32 v3, v4, s6
	s_cmp_lg_u32 s4, 0
	v_sub_u32_e32 v3, v1, v3
	v_mad_u64_u32 v[0:1], s[6:7], v3, s8, v[0:1]
	v_mad_u64_u32 v[2:3], s[6:7], v3, s9, v[2:3]
	v_mov_b32_e32 v1, v4
	s_cbranch_scc1 .LBB197_78
.LBB197_79:
	s_cbranch_execnz .LBB197_82
.LBB197_80:
	s_waitcnt lgkmcnt(0)
	v_mul_hi_u32 v0, s25, v7
	s_andn2_b64 vcc, exec, s[44:45]
	v_add_u32_e32 v0, v7, v0
	v_lshrrev_b32_e32 v1, s26, v0
	v_mul_lo_u32 v0, v1, s24
	v_sub_u32_e32 v2, v7, v0
	v_mul_lo_u32 v0, v2, s20
	v_mul_lo_u32 v2, v2, s21
	s_cbranch_vccnz .LBB197_82
; %bb.81:
	v_mul_hi_u32 v3, s42, v1
	v_add_u32_e32 v3, v1, v3
	v_lshrrev_b32_e32 v3, s43, v3
	v_mul_lo_u32 v3, v3, s27
	v_sub_u32_e32 v3, v1, v3
	v_mad_u64_u32 v[0:1], s[0:1], v3, s22, v[0:1]
	v_mad_u64_u32 v[2:3], s[0:1], v3, s23, v[2:3]
.LBB197_82:
	s_waitcnt lgkmcnt(0)
	global_load_dwordx2 v[1:2], v2, s[18:19]
	v_add_u32_e32 v7, 0x80, v7
	s_waitcnt vmcnt(0)
	v_cmp_gt_u64_e32 vcc, 63, v[1:2]
	v_cndmask_b32_e32 v1, 63, v1, vcc
	v_ashrrev_i64 v[1:2], v1, s[40:41]
	global_store_dwordx2 v0, v[1:2], s[16:17]
	s_or_b64 exec, exec, s[50:51]
	v_cmp_gt_i32_e32 vcc, s57, v7
	s_and_saveexec_b64 s[50:51], vcc
	s_cbranch_execnz .LBB197_15
.LBB197_83:
	s_or_b64 exec, exec, s[50:51]
	v_cmp_gt_i32_e32 vcc, s57, v7
	s_and_saveexec_b64 s[50:51], vcc
	s_cbranch_execz .LBB197_99
.LBB197_84:
	s_andn2_b64 vcc, exec, s[36:37]
	s_cbranch_vccnz .LBB197_89
; %bb.85:
	s_andn2_b64 vcc, exec, s[48:49]
	s_cbranch_vccnz .LBB197_90
; %bb.86:
	s_add_i32 s60, s58, 1
	s_cmp_eq_u32 s56, 2
	s_cbranch_scc1 .LBB197_102
; %bb.87:
	s_and_b32 s59, s60, 28
	v_mov_b32_e32 v2, 0
	s_mov_b32 s61, 0
	s_mov_b64 s[52:53], s[34:35]
	s_mov_b64 s[54:55], s[46:47]
	v_mov_b32_e32 v0, 0
	v_mov_b32_e32 v1, v7
.LBB197_88:                             ; =>This Inner Loop Header: Depth=1
	s_load_dwordx8 s[8:15], s[52:53], 0x4
	s_load_dwordx4 s[28:31], s[52:53], 0x24
	s_load_dwordx8 s[0:7], s[54:55], 0x0
	s_add_u32 s52, s52, 48
	s_addc_u32 s53, s53, 0
	s_waitcnt lgkmcnt(0)
	v_mul_hi_u32 v3, s9, v1
	s_add_i32 s61, s61, 4
	s_add_u32 s54, s54, 32
	s_addc_u32 s55, s55, 0
	v_add_u32_e32 v3, v1, v3
	v_lshrrev_b32_e32 v3, s10, v3
	v_mul_lo_u32 v4, v3, s8
	v_mul_hi_u32 v5, s12, v3
	s_cmp_eq_u32 s59, s61
	v_sub_u32_e32 v1, v1, v4
	v_add_u32_e32 v4, v3, v5
	v_mul_lo_u32 v5, v1, s0
	v_mul_lo_u32 v6, v1, s1
	v_lshrrev_b32_e32 v1, s13, v4
	v_mul_lo_u32 v4, v1, s11
	v_mul_hi_u32 v8, s15, v1
	v_sub_u32_e32 v3, v3, v4
	v_add_u32_e32 v4, v1, v8
	v_lshrrev_b32_e32 v4, s28, v4
	v_mul_hi_u32 v9, s30, v4
	v_mul_lo_u32 v10, v4, s14
	v_mul_lo_u32 v8, v3, s2
	;; [unrolled: 1-line block ×3, first 2 shown]
	v_sub_u32_e32 v10, v1, v10
	v_add_u32_e32 v1, v4, v9
	v_lshrrev_b32_e32 v1, s31, v1
	v_mul_lo_u32 v9, v1, s29
	v_mul_lo_u32 v11, v10, s4
	v_mul_lo_u32 v10, v10, s5
	v_add3_u32 v0, v5, v0, v8
	v_sub_u32_e32 v4, v4, v9
	v_mul_lo_u32 v9, v4, s6
	v_mul_lo_u32 v4, v4, s7
	v_add3_u32 v2, v6, v2, v3
	v_add3_u32 v0, v11, v0, v9
	;; [unrolled: 1-line block ×3, first 2 shown]
	s_cbranch_scc0 .LBB197_88
	s_branch .LBB197_103
.LBB197_89:
                                        ; implicit-def: $vgpr0
                                        ; implicit-def: $vgpr2
	s_branch .LBB197_107
.LBB197_90:
	v_mov_b32_e32 v0, 0
	v_mov_b32_e32 v2, 0
	s_branch .LBB197_106
.LBB197_91:
	s_mov_b32 s59, 0
	v_mov_b32_e32 v0, 0
	v_mov_b32_e32 v2, 0
	v_mov_b32_e32 v1, v7
.LBB197_92:
	s_and_b32 s4, s60, 3
	s_cmp_eq_u32 s4, 0
	s_cbranch_scc1 .LBB197_95
; %bb.93:
	s_lshl_b32 s0, s59, 3
	s_add_u32 s0, s34, s0
	s_addc_u32 s1, s35, 0
	s_add_u32 s0, s0, 0xc4
	s_addc_u32 s1, s1, 0
	s_mul_i32 s2, s59, 12
	s_add_u32 s2, s34, s2
	s_addc_u32 s3, s35, 0
.LBB197_94:                             ; =>This Inner Loop Header: Depth=1
	s_load_dwordx2 s[6:7], s[2:3], 0x4
	s_load_dword s5, s[2:3], 0xc
	s_load_dwordx2 s[8:9], s[0:1], 0x0
	s_add_u32 s2, s2, 12
	s_addc_u32 s3, s3, 0
	s_waitcnt lgkmcnt(0)
	v_mul_hi_u32 v3, s7, v1
	s_add_u32 s0, s0, 8
	s_addc_u32 s1, s1, 0
	s_add_i32 s4, s4, -1
	v_add_u32_e32 v3, v1, v3
	v_lshrrev_b32_e32 v4, s5, v3
	v_mul_lo_u32 v3, v4, s6
	s_cmp_lg_u32 s4, 0
	v_sub_u32_e32 v3, v1, v3
	v_mad_u64_u32 v[0:1], s[6:7], v3, s8, v[0:1]
	v_mad_u64_u32 v[2:3], s[6:7], v3, s9, v[2:3]
	v_mov_b32_e32 v1, v4
	s_cbranch_scc1 .LBB197_94
.LBB197_95:
	s_cbranch_execnz .LBB197_98
.LBB197_96:
	s_waitcnt lgkmcnt(0)
	v_mul_hi_u32 v0, s25, v7
	s_andn2_b64 vcc, exec, s[44:45]
	v_add_u32_e32 v0, v7, v0
	v_lshrrev_b32_e32 v1, s26, v0
	v_mul_lo_u32 v0, v1, s24
	v_sub_u32_e32 v2, v7, v0
	v_mul_lo_u32 v0, v2, s20
	v_mul_lo_u32 v2, v2, s21
	s_cbranch_vccnz .LBB197_98
; %bb.97:
	v_mul_hi_u32 v3, s42, v1
	v_add_u32_e32 v3, v1, v3
	v_lshrrev_b32_e32 v3, s43, v3
	v_mul_lo_u32 v3, v3, s27
	v_sub_u32_e32 v3, v1, v3
	v_mad_u64_u32 v[0:1], s[0:1], v3, s22, v[0:1]
	v_mad_u64_u32 v[2:3], s[0:1], v3, s23, v[2:3]
.LBB197_98:
	s_waitcnt lgkmcnt(0)
	global_load_dwordx2 v[1:2], v2, s[18:19]
	v_add_u32_e32 v7, 0x80, v7
	s_waitcnt vmcnt(0)
	v_cmp_gt_u64_e32 vcc, 63, v[1:2]
	v_cndmask_b32_e32 v1, 63, v1, vcc
	v_ashrrev_i64 v[1:2], v1, s[40:41]
	global_store_dwordx2 v0, v[1:2], s[16:17]
	s_or_b64 exec, exec, s[50:51]
	v_cmp_gt_i32_e32 vcc, s57, v7
	s_and_saveexec_b64 s[50:51], vcc
	s_cbranch_execnz .LBB197_84
.LBB197_99:
	s_or_b64 exec, exec, s[50:51]
	v_cmp_gt_i32_e32 vcc, s57, v7
	s_and_saveexec_b64 s[50:51], vcc
	s_cbranch_execnz .LBB197_110
.LBB197_100:
	s_or_b64 exec, exec, s[50:51]
                                        ; implicit-def: $vgpr13
                                        ; implicit-def: $vgpr7
	s_andn2_saveexec_b64 s[0:1], s[38:39]
	s_cbranch_execnz .LBB197_8
.LBB197_101:
	s_endpgm
.LBB197_102:
	s_mov_b32 s59, 0
	v_mov_b32_e32 v0, 0
	v_mov_b32_e32 v2, 0
	;; [unrolled: 1-line block ×3, first 2 shown]
.LBB197_103:
	s_and_b32 s4, s60, 3
	s_cmp_eq_u32 s4, 0
	s_cbranch_scc1 .LBB197_106
; %bb.104:
	s_lshl_b32 s0, s59, 3
	s_add_u32 s0, s34, s0
	s_addc_u32 s1, s35, 0
	s_add_u32 s0, s0, 0xc4
	s_addc_u32 s1, s1, 0
	s_mul_i32 s2, s59, 12
	s_add_u32 s2, s34, s2
	s_addc_u32 s3, s35, 0
.LBB197_105:                            ; =>This Inner Loop Header: Depth=1
	s_load_dwordx2 s[6:7], s[2:3], 0x4
	s_load_dword s5, s[2:3], 0xc
	s_load_dwordx2 s[8:9], s[0:1], 0x0
	s_add_u32 s2, s2, 12
	s_addc_u32 s3, s3, 0
	s_waitcnt lgkmcnt(0)
	v_mul_hi_u32 v3, s7, v1
	s_add_u32 s0, s0, 8
	s_addc_u32 s1, s1, 0
	s_add_i32 s4, s4, -1
	v_add_u32_e32 v3, v1, v3
	v_lshrrev_b32_e32 v4, s5, v3
	v_mul_lo_u32 v3, v4, s6
	s_cmp_lg_u32 s4, 0
	v_sub_u32_e32 v3, v1, v3
	v_mad_u64_u32 v[0:1], s[6:7], v3, s8, v[0:1]
	v_mad_u64_u32 v[2:3], s[6:7], v3, s9, v[2:3]
	v_mov_b32_e32 v1, v4
	s_cbranch_scc1 .LBB197_105
.LBB197_106:
	s_cbranch_execnz .LBB197_109
.LBB197_107:
	s_waitcnt lgkmcnt(0)
	v_mul_hi_u32 v0, s25, v7
	s_andn2_b64 vcc, exec, s[44:45]
	v_add_u32_e32 v0, v7, v0
	v_lshrrev_b32_e32 v1, s26, v0
	v_mul_lo_u32 v0, v1, s24
	v_sub_u32_e32 v2, v7, v0
	v_mul_lo_u32 v0, v2, s20
	v_mul_lo_u32 v2, v2, s21
	s_cbranch_vccnz .LBB197_109
; %bb.108:
	v_mul_hi_u32 v3, s42, v1
	v_add_u32_e32 v3, v1, v3
	v_lshrrev_b32_e32 v3, s43, v3
	v_mul_lo_u32 v3, v3, s27
	v_sub_u32_e32 v3, v1, v3
	v_mad_u64_u32 v[0:1], s[0:1], v3, s22, v[0:1]
	v_mad_u64_u32 v[2:3], s[0:1], v3, s23, v[2:3]
.LBB197_109:
	s_waitcnt lgkmcnt(0)
	global_load_dwordx2 v[1:2], v2, s[18:19]
	v_add_u32_e32 v7, 0x80, v7
	s_waitcnt vmcnt(0)
	v_cmp_gt_u64_e32 vcc, 63, v[1:2]
	v_cndmask_b32_e32 v1, 63, v1, vcc
	v_ashrrev_i64 v[1:2], v1, s[40:41]
	global_store_dwordx2 v0, v[1:2], s[16:17]
	s_or_b64 exec, exec, s[50:51]
	v_cmp_gt_i32_e32 vcc, s57, v7
	s_and_saveexec_b64 s[50:51], vcc
	s_cbranch_execz .LBB197_100
.LBB197_110:
	s_andn2_b64 vcc, exec, s[36:37]
	s_cbranch_vccnz .LBB197_115
; %bb.111:
	s_andn2_b64 vcc, exec, s[48:49]
	s_cbranch_vccnz .LBB197_116
; %bb.112:
	s_add_i32 s58, s58, 1
	s_cmp_eq_u32 s56, 2
	s_cbranch_scc1 .LBB197_117
; %bb.113:
	s_and_b32 s52, s58, 28
	v_mov_b32_e32 v2, 0
	s_mov_b32 s53, 0
	s_mov_b64 s[48:49], s[34:35]
	v_mov_b32_e32 v0, 0
	v_mov_b32_e32 v1, v7
.LBB197_114:                            ; =>This Inner Loop Header: Depth=1
	s_load_dwordx8 s[8:15], s[48:49], 0x4
	s_load_dwordx4 s[28:31], s[48:49], 0x24
	s_load_dwordx8 s[0:7], s[46:47], 0x0
	s_add_u32 s48, s48, 48
	s_addc_u32 s49, s49, 0
	s_waitcnt lgkmcnt(0)
	v_mul_hi_u32 v3, s9, v1
	s_add_i32 s53, s53, 4
	s_add_u32 s46, s46, 32
	s_addc_u32 s47, s47, 0
	v_add_u32_e32 v3, v1, v3
	v_lshrrev_b32_e32 v3, s10, v3
	v_mul_lo_u32 v4, v3, s8
	v_mul_hi_u32 v5, s12, v3
	s_cmp_eq_u32 s52, s53
	v_sub_u32_e32 v1, v1, v4
	v_add_u32_e32 v4, v3, v5
	v_mul_lo_u32 v5, v1, s0
	v_mul_lo_u32 v6, v1, s1
	v_lshrrev_b32_e32 v1, s13, v4
	v_mul_lo_u32 v4, v1, s11
	v_mul_hi_u32 v8, s15, v1
	v_sub_u32_e32 v3, v3, v4
	v_add_u32_e32 v4, v1, v8
	v_lshrrev_b32_e32 v4, s28, v4
	v_mul_hi_u32 v9, s30, v4
	v_mul_lo_u32 v10, v4, s14
	v_mul_lo_u32 v8, v3, s2
	;; [unrolled: 1-line block ×3, first 2 shown]
	v_sub_u32_e32 v10, v1, v10
	v_add_u32_e32 v1, v4, v9
	v_lshrrev_b32_e32 v1, s31, v1
	v_mul_lo_u32 v9, v1, s29
	v_mul_lo_u32 v11, v10, s4
	v_mul_lo_u32 v10, v10, s5
	v_add3_u32 v0, v5, v0, v8
	v_sub_u32_e32 v4, v4, v9
	v_mul_lo_u32 v9, v4, s6
	v_mul_lo_u32 v4, v4, s7
	v_add3_u32 v2, v6, v2, v3
	v_add3_u32 v0, v11, v0, v9
	;; [unrolled: 1-line block ×3, first 2 shown]
	s_cbranch_scc0 .LBB197_114
	s_branch .LBB197_118
.LBB197_115:
                                        ; implicit-def: $vgpr0
                                        ; implicit-def: $vgpr2
	s_branch .LBB197_122
.LBB197_116:
	v_mov_b32_e32 v0, 0
	v_mov_b32_e32 v2, 0
	s_branch .LBB197_121
.LBB197_117:
	s_mov_b32 s52, 0
	v_mov_b32_e32 v0, 0
	v_mov_b32_e32 v2, 0
	;; [unrolled: 1-line block ×3, first 2 shown]
.LBB197_118:
	s_and_b32 s4, s58, 3
	s_cmp_eq_u32 s4, 0
	s_cbranch_scc1 .LBB197_121
; %bb.119:
	s_lshl_b32 s0, s52, 3
	s_add_u32 s0, s34, s0
	s_addc_u32 s1, s35, 0
	s_add_u32 s0, s0, 0xc4
	s_addc_u32 s1, s1, 0
	s_mul_i32 s2, s52, 12
	s_add_u32 s2, s34, s2
	s_addc_u32 s3, s35, 0
.LBB197_120:                            ; =>This Inner Loop Header: Depth=1
	s_load_dwordx2 s[6:7], s[2:3], 0x4
	s_load_dword s5, s[2:3], 0xc
	s_load_dwordx2 s[8:9], s[0:1], 0x0
	s_add_u32 s2, s2, 12
	s_addc_u32 s3, s3, 0
	s_waitcnt lgkmcnt(0)
	v_mul_hi_u32 v3, s7, v1
	s_add_u32 s0, s0, 8
	s_addc_u32 s1, s1, 0
	s_add_i32 s4, s4, -1
	v_add_u32_e32 v3, v1, v3
	v_lshrrev_b32_e32 v4, s5, v3
	v_mul_lo_u32 v3, v4, s6
	s_cmp_lg_u32 s4, 0
	v_sub_u32_e32 v3, v1, v3
	v_mad_u64_u32 v[0:1], s[6:7], v3, s8, v[0:1]
	v_mad_u64_u32 v[2:3], s[6:7], v3, s9, v[2:3]
	v_mov_b32_e32 v1, v4
	s_cbranch_scc1 .LBB197_120
.LBB197_121:
	s_cbranch_execnz .LBB197_124
.LBB197_122:
	s_waitcnt lgkmcnt(0)
	v_mul_hi_u32 v0, s25, v7
	s_andn2_b64 vcc, exec, s[44:45]
	v_add_u32_e32 v0, v7, v0
	v_lshrrev_b32_e32 v1, s26, v0
	v_mul_lo_u32 v0, v1, s24
	v_sub_u32_e32 v2, v7, v0
	v_mul_lo_u32 v0, v2, s20
	v_mul_lo_u32 v2, v2, s21
	s_cbranch_vccnz .LBB197_124
; %bb.123:
	v_mul_hi_u32 v3, s42, v1
	v_add_u32_e32 v3, v1, v3
	v_lshrrev_b32_e32 v3, s43, v3
	v_mul_lo_u32 v3, v3, s27
	v_sub_u32_e32 v3, v1, v3
	v_mad_u64_u32 v[0:1], s[0:1], v3, s22, v[0:1]
	v_mad_u64_u32 v[2:3], s[0:1], v3, s23, v[2:3]
.LBB197_124:
	s_waitcnt lgkmcnt(0)
	global_load_dwordx2 v[1:2], v2, s[18:19]
	s_waitcnt vmcnt(0)
	v_cmp_gt_u64_e32 vcc, 63, v[1:2]
	v_cndmask_b32_e32 v1, 63, v1, vcc
	v_ashrrev_i64 v[1:2], v1, s[40:41]
	global_store_dwordx2 v0, v[1:2], s[16:17]
	s_or_b64 exec, exec, s[50:51]
                                        ; implicit-def: $vgpr13
                                        ; implicit-def: $vgpr7
	s_andn2_saveexec_b64 s[0:1], s[38:39]
	s_cbranch_execz .LBB197_101
	s_branch .LBB197_8
	.section	.rodata,"a",@progbits
	.p2align	6, 0x0
	.amdhsa_kernel _ZN2at6native32elementwise_kernel_manual_unrollILi128ELi4EZNS0_22gpu_kernel_impl_nocastINS0_13AUnaryFunctorIlllZZZNS0_18rshift_kernel_cudaERNS_18TensorIteratorBaseEENKUlvE_clEvENKUlvE2_clEvEUlllE_EEEEvS5_RKT_EUlibE_EEviT1_
		.amdhsa_group_segment_fixed_size 0
		.amdhsa_private_segment_fixed_size 0
		.amdhsa_kernarg_size 368
		.amdhsa_user_sgpr_count 6
		.amdhsa_user_sgpr_private_segment_buffer 1
		.amdhsa_user_sgpr_dispatch_ptr 0
		.amdhsa_user_sgpr_queue_ptr 0
		.amdhsa_user_sgpr_kernarg_segment_ptr 1
		.amdhsa_user_sgpr_dispatch_id 0
		.amdhsa_user_sgpr_flat_scratch_init 0
		.amdhsa_user_sgpr_private_segment_size 0
		.amdhsa_uses_dynamic_stack 0
		.amdhsa_system_sgpr_private_segment_wavefront_offset 0
		.amdhsa_system_sgpr_workgroup_id_x 1
		.amdhsa_system_sgpr_workgroup_id_y 0
		.amdhsa_system_sgpr_workgroup_id_z 0
		.amdhsa_system_sgpr_workgroup_info 0
		.amdhsa_system_vgpr_workitem_id 0
		.amdhsa_next_free_vgpr 20
		.amdhsa_next_free_sgpr 62
		.amdhsa_reserve_vcc 1
		.amdhsa_reserve_flat_scratch 0
		.amdhsa_float_round_mode_32 0
		.amdhsa_float_round_mode_16_64 0
		.amdhsa_float_denorm_mode_32 3
		.amdhsa_float_denorm_mode_16_64 3
		.amdhsa_dx10_clamp 1
		.amdhsa_ieee_mode 1
		.amdhsa_fp16_overflow 0
		.amdhsa_exception_fp_ieee_invalid_op 0
		.amdhsa_exception_fp_denorm_src 0
		.amdhsa_exception_fp_ieee_div_zero 0
		.amdhsa_exception_fp_ieee_overflow 0
		.amdhsa_exception_fp_ieee_underflow 0
		.amdhsa_exception_fp_ieee_inexact 0
		.amdhsa_exception_int_div_zero 0
	.end_amdhsa_kernel
	.section	.text._ZN2at6native32elementwise_kernel_manual_unrollILi128ELi4EZNS0_22gpu_kernel_impl_nocastINS0_13AUnaryFunctorIlllZZZNS0_18rshift_kernel_cudaERNS_18TensorIteratorBaseEENKUlvE_clEvENKUlvE2_clEvEUlllE_EEEEvS5_RKT_EUlibE_EEviT1_,"axG",@progbits,_ZN2at6native32elementwise_kernel_manual_unrollILi128ELi4EZNS0_22gpu_kernel_impl_nocastINS0_13AUnaryFunctorIlllZZZNS0_18rshift_kernel_cudaERNS_18TensorIteratorBaseEENKUlvE_clEvENKUlvE2_clEvEUlllE_EEEEvS5_RKT_EUlibE_EEviT1_,comdat
.Lfunc_end197:
	.size	_ZN2at6native32elementwise_kernel_manual_unrollILi128ELi4EZNS0_22gpu_kernel_impl_nocastINS0_13AUnaryFunctorIlllZZZNS0_18rshift_kernel_cudaERNS_18TensorIteratorBaseEENKUlvE_clEvENKUlvE2_clEvEUlllE_EEEEvS5_RKT_EUlibE_EEviT1_, .Lfunc_end197-_ZN2at6native32elementwise_kernel_manual_unrollILi128ELi4EZNS0_22gpu_kernel_impl_nocastINS0_13AUnaryFunctorIlllZZZNS0_18rshift_kernel_cudaERNS_18TensorIteratorBaseEENKUlvE_clEvENKUlvE2_clEvEUlllE_EEEEvS5_RKT_EUlibE_EEviT1_
                                        ; -- End function
	.set _ZN2at6native32elementwise_kernel_manual_unrollILi128ELi4EZNS0_22gpu_kernel_impl_nocastINS0_13AUnaryFunctorIlllZZZNS0_18rshift_kernel_cudaERNS_18TensorIteratorBaseEENKUlvE_clEvENKUlvE2_clEvEUlllE_EEEEvS5_RKT_EUlibE_EEviT1_.num_vgpr, 20
	.set _ZN2at6native32elementwise_kernel_manual_unrollILi128ELi4EZNS0_22gpu_kernel_impl_nocastINS0_13AUnaryFunctorIlllZZZNS0_18rshift_kernel_cudaERNS_18TensorIteratorBaseEENKUlvE_clEvENKUlvE2_clEvEUlllE_EEEEvS5_RKT_EUlibE_EEviT1_.num_agpr, 0
	.set _ZN2at6native32elementwise_kernel_manual_unrollILi128ELi4EZNS0_22gpu_kernel_impl_nocastINS0_13AUnaryFunctorIlllZZZNS0_18rshift_kernel_cudaERNS_18TensorIteratorBaseEENKUlvE_clEvENKUlvE2_clEvEUlllE_EEEEvS5_RKT_EUlibE_EEviT1_.numbered_sgpr, 62
	.set _ZN2at6native32elementwise_kernel_manual_unrollILi128ELi4EZNS0_22gpu_kernel_impl_nocastINS0_13AUnaryFunctorIlllZZZNS0_18rshift_kernel_cudaERNS_18TensorIteratorBaseEENKUlvE_clEvENKUlvE2_clEvEUlllE_EEEEvS5_RKT_EUlibE_EEviT1_.num_named_barrier, 0
	.set _ZN2at6native32elementwise_kernel_manual_unrollILi128ELi4EZNS0_22gpu_kernel_impl_nocastINS0_13AUnaryFunctorIlllZZZNS0_18rshift_kernel_cudaERNS_18TensorIteratorBaseEENKUlvE_clEvENKUlvE2_clEvEUlllE_EEEEvS5_RKT_EUlibE_EEviT1_.private_seg_size, 0
	.set _ZN2at6native32elementwise_kernel_manual_unrollILi128ELi4EZNS0_22gpu_kernel_impl_nocastINS0_13AUnaryFunctorIlllZZZNS0_18rshift_kernel_cudaERNS_18TensorIteratorBaseEENKUlvE_clEvENKUlvE2_clEvEUlllE_EEEEvS5_RKT_EUlibE_EEviT1_.uses_vcc, 1
	.set _ZN2at6native32elementwise_kernel_manual_unrollILi128ELi4EZNS0_22gpu_kernel_impl_nocastINS0_13AUnaryFunctorIlllZZZNS0_18rshift_kernel_cudaERNS_18TensorIteratorBaseEENKUlvE_clEvENKUlvE2_clEvEUlllE_EEEEvS5_RKT_EUlibE_EEviT1_.uses_flat_scratch, 0
	.set _ZN2at6native32elementwise_kernel_manual_unrollILi128ELi4EZNS0_22gpu_kernel_impl_nocastINS0_13AUnaryFunctorIlllZZZNS0_18rshift_kernel_cudaERNS_18TensorIteratorBaseEENKUlvE_clEvENKUlvE2_clEvEUlllE_EEEEvS5_RKT_EUlibE_EEviT1_.has_dyn_sized_stack, 0
	.set _ZN2at6native32elementwise_kernel_manual_unrollILi128ELi4EZNS0_22gpu_kernel_impl_nocastINS0_13AUnaryFunctorIlllZZZNS0_18rshift_kernel_cudaERNS_18TensorIteratorBaseEENKUlvE_clEvENKUlvE2_clEvEUlllE_EEEEvS5_RKT_EUlibE_EEviT1_.has_recursion, 0
	.set _ZN2at6native32elementwise_kernel_manual_unrollILi128ELi4EZNS0_22gpu_kernel_impl_nocastINS0_13AUnaryFunctorIlllZZZNS0_18rshift_kernel_cudaERNS_18TensorIteratorBaseEENKUlvE_clEvENKUlvE2_clEvEUlllE_EEEEvS5_RKT_EUlibE_EEviT1_.has_indirect_call, 0
	.section	.AMDGPU.csdata,"",@progbits
; Kernel info:
; codeLenInByte = 5824
; TotalNumSgprs: 66
; NumVgprs: 20
; ScratchSize: 0
; MemoryBound: 0
; FloatMode: 240
; IeeeMode: 1
; LDSByteSize: 0 bytes/workgroup (compile time only)
; SGPRBlocks: 8
; VGPRBlocks: 4
; NumSGPRsForWavesPerEU: 66
; NumVGPRsForWavesPerEU: 20
; Occupancy: 10
; WaveLimiterHint : 1
; COMPUTE_PGM_RSRC2:SCRATCH_EN: 0
; COMPUTE_PGM_RSRC2:USER_SGPR: 6
; COMPUTE_PGM_RSRC2:TRAP_HANDLER: 0
; COMPUTE_PGM_RSRC2:TGID_X_EN: 1
; COMPUTE_PGM_RSRC2:TGID_Y_EN: 0
; COMPUTE_PGM_RSRC2:TGID_Z_EN: 0
; COMPUTE_PGM_RSRC2:TIDIG_COMP_CNT: 0
	.section	.text._ZN2at6native32elementwise_kernel_manual_unrollILi128ELi4EZNS0_15gpu_kernel_implINS0_13AUnaryFunctorIlllZZZNS0_18rshift_kernel_cudaERNS_18TensorIteratorBaseEENKUlvE_clEvENKUlvE2_clEvEUlllE_EEEEvS5_RKT_EUlibE_EEviT1_,"axG",@progbits,_ZN2at6native32elementwise_kernel_manual_unrollILi128ELi4EZNS0_15gpu_kernel_implINS0_13AUnaryFunctorIlllZZZNS0_18rshift_kernel_cudaERNS_18TensorIteratorBaseEENKUlvE_clEvENKUlvE2_clEvEUlllE_EEEEvS5_RKT_EUlibE_EEviT1_,comdat
	.globl	_ZN2at6native32elementwise_kernel_manual_unrollILi128ELi4EZNS0_15gpu_kernel_implINS0_13AUnaryFunctorIlllZZZNS0_18rshift_kernel_cudaERNS_18TensorIteratorBaseEENKUlvE_clEvENKUlvE2_clEvEUlllE_EEEEvS5_RKT_EUlibE_EEviT1_ ; -- Begin function _ZN2at6native32elementwise_kernel_manual_unrollILi128ELi4EZNS0_15gpu_kernel_implINS0_13AUnaryFunctorIlllZZZNS0_18rshift_kernel_cudaERNS_18TensorIteratorBaseEENKUlvE_clEvENKUlvE2_clEvEUlllE_EEEEvS5_RKT_EUlibE_EEviT1_
	.p2align	8
	.type	_ZN2at6native32elementwise_kernel_manual_unrollILi128ELi4EZNS0_15gpu_kernel_implINS0_13AUnaryFunctorIlllZZZNS0_18rshift_kernel_cudaERNS_18TensorIteratorBaseEENKUlvE_clEvENKUlvE2_clEvEUlllE_EEEEvS5_RKT_EUlibE_EEviT1_,@function
_ZN2at6native32elementwise_kernel_manual_unrollILi128ELi4EZNS0_15gpu_kernel_implINS0_13AUnaryFunctorIlllZZZNS0_18rshift_kernel_cudaERNS_18TensorIteratorBaseEENKUlvE_clEvENKUlvE2_clEvEUlllE_EEEEvS5_RKT_EUlibE_EEviT1_: ; @_ZN2at6native32elementwise_kernel_manual_unrollILi128ELi4EZNS0_15gpu_kernel_implINS0_13AUnaryFunctorIlllZZZNS0_18rshift_kernel_cudaERNS_18TensorIteratorBaseEENKUlvE_clEvENKUlvE2_clEvEUlllE_EEEEvS5_RKT_EUlibE_EEviT1_
; %bb.0:
	s_load_dword s33, s[4:5], 0x30
	s_load_dwordx2 s[12:13], s[4:5], 0x18
	s_load_dwordx2 s[2:3], s[4:5], 0x28
	s_load_dword s40, s[4:5], 0x0
	s_load_dwordx4 s[8:11], s[4:5], 0x8
	v_lshl_or_b32 v10, s6, 9, v0
	v_or_b32_e32 v0, 0x180, v10
	s_waitcnt lgkmcnt(0)
	s_bfe_u32 s44, s33, 0x80008
	v_cmp_le_i32_e32 vcc, s40, v0
	s_mov_b64 s[4:5], 0
	s_mov_b64 s[14:15], 0
	s_and_saveexec_b64 s[0:1], vcc
	s_xor_b64 s[6:7], exec, s[0:1]
	s_cbranch_execz .LBB198_1011
; %bb.1:
	v_cmp_gt_i32_e32 vcc, s40, v10
	s_mov_b64 s[20:21], -1
	s_mov_b64 s[22:23], 0
	s_mov_b64 s[16:17], 0
	s_and_saveexec_b64 s[18:19], vcc
	s_cbranch_execz .LBB198_248
; %bb.2:
	v_mul_lo_u32 v0, v10, s13
	v_mov_b32_e32 v1, s11
	s_and_b32 s20, 0xffff, s44
	s_cmp_lt_i32 s20, 11
	v_ashrrev_i32_e32 v2, 31, v0
	v_add_co_u32_e32 v0, vcc, s10, v0
	v_addc_co_u32_e32 v1, vcc, v1, v2, vcc
	s_cbranch_scc1 .LBB198_9
; %bb.3:
	s_cmp_gt_i32 s20, 25
	s_cbranch_scc0 .LBB198_18
; %bb.4:
	s_cmp_gt_i32 s20, 28
	s_cbranch_scc0 .LBB198_22
	;; [unrolled: 3-line block ×4, first 2 shown]
; %bb.7:
	s_cmp_eq_u32 s20, 46
	s_cbranch_scc0 .LBB198_28
; %bb.8:
	global_load_dword v2, v[0:1], off
	s_mov_b32 s0, 0x2f800000
	s_mov_b32 s1, 0xcf800000
	s_waitcnt vmcnt(0)
	v_lshlrev_b32_e32 v2, 16, v2
	v_trunc_f32_e32 v2, v2
	v_mul_f32_e64 v3, |v2|, s0
	v_floor_f32_e32 v3, v3
	v_fma_f32 v4, v3, s1, |v2|
	v_cvt_u32_f32_e32 v4, v4
	v_cvt_u32_f32_e32 v3, v3
	v_ashrrev_i32_e32 v5, 31, v2
	s_mov_b64 s[0:1], -1
	v_xor_b32_e32 v2, v4, v5
	v_xor_b32_e32 v3, v3, v5
	v_sub_co_u32_e32 v2, vcc, v2, v5
	v_subb_co_u32_e32 v3, vcc, v3, v5, vcc
	s_branch .LBB198_30
.LBB198_9:
                                        ; implicit-def: $vgpr2_vgpr3
	s_mov_b64 s[0:1], 0
	s_cbranch_execnz .LBB198_199
.LBB198_10:
	s_andn2_b64 vcc, exec, s[0:1]
	s_cbranch_vccnz .LBB198_246
.LBB198_11:
	v_mul_lo_u32 v4, v10, s12
	s_waitcnt vmcnt(0)
	v_cmp_gt_u64_e32 vcc, 63, v[2:3]
	v_mov_b32_e32 v5, s9
	v_cndmask_b32_e32 v0, 63, v2, vcc
	v_ashrrev_i64 v[0:1], v0, s[2:3]
	v_ashrrev_i32_e32 v3, 31, v4
	s_and_b32 s26, s33, 0xff
	v_add_co_u32_e32 v2, vcc, s8, v4
	s_cmp_lt_i32 s26, 11
	v_addc_co_u32_e32 v3, vcc, v5, v3, vcc
	s_cbranch_scc1 .LBB198_19
; %bb.12:
	s_and_b32 s27, 0xffff, s26
	s_cmp_gt_i32 s27, 25
	s_cbranch_scc0 .LBB198_23
; %bb.13:
	s_cmp_gt_i32 s27, 28
	s_cbranch_scc0 .LBB198_25
; %bb.14:
	;; [unrolled: 3-line block ×4, first 2 shown]
	s_mov_b64 s[20:21], 0
	s_mov_b64 s[0:1], -1
	s_cmp_eq_u32 s27, 46
	s_mov_b64 s[14:15], 0
	s_cbranch_scc0 .LBB198_34
; %bb.17:
	v_xor_b32_e32 v5, v0, v1
	v_ffbh_i32_e32 v4, v1
	v_ashrrev_i32_e32 v5, 31, v5
	v_add_u32_e32 v4, -1, v4
	v_add_u32_e32 v5, 32, v5
	v_min_u32_e32 v6, v4, v5
	v_lshlrev_b64 v[4:5], v6, v[0:1]
	s_movk_i32 s0, 0x7fff
	v_min_u32_e32 v4, 1, v4
	v_or_b32_e32 v4, v5, v4
	v_cvt_f32_i32_e32 v4, v4
	v_sub_u32_e32 v5, 32, v6
	s_mov_b64 s[14:15], -1
	v_ldexp_f32 v4, v4, v5
	v_bfe_u32 v5, v4, 16, 1
	v_add3_u32 v4, v4, v5, s0
	v_lshrrev_b32_e32 v4, 16, v4
	global_store_dword v[2:3], v4, off
	s_mov_b64 s[0:1], 0
	s_branch .LBB198_34
.LBB198_18:
	s_mov_b64 s[0:1], 0
                                        ; implicit-def: $vgpr2_vgpr3
	s_cbranch_execnz .LBB198_168
	s_branch .LBB198_198
.LBB198_19:
	s_mov_b64 s[0:1], 0
	s_mov_b64 s[14:15], 0
	s_cbranch_execnz .LBB198_103
.LBB198_20:
	s_andn2_b64 vcc, exec, s[14:15]
	s_cbranch_vccnz .LBB198_141
.LBB198_21:
	v_add_u32_e32 v10, 0x80, v10
	s_mov_b64 s[20:21], -1
	s_branch .LBB198_247
.LBB198_22:
	s_mov_b64 s[14:15], -1
	s_mov_b64 s[0:1], 0
                                        ; implicit-def: $vgpr2_vgpr3
	s_branch .LBB198_149
.LBB198_23:
	s_mov_b64 s[20:21], -1
	s_mov_b64 s[0:1], 0
	s_mov_b64 s[14:15], 0
	s_branch .LBB198_61
.LBB198_24:
	s_mov_b64 s[14:15], -1
	s_mov_b64 s[0:1], 0
                                        ; implicit-def: $vgpr2_vgpr3
	s_branch .LBB198_144
.LBB198_25:
	s_mov_b64 s[20:21], -1
	s_mov_b64 s[0:1], 0
	s_mov_b64 s[14:15], 0
	s_branch .LBB198_44
.LBB198_26:
	s_mov_b64 s[14:15], -1
	s_branch .LBB198_29
.LBB198_27:
	s_mov_b64 s[20:21], -1
	s_mov_b64 s[0:1], 0
	s_mov_b64 s[14:15], 0
	s_branch .LBB198_40
.LBB198_28:
	s_mov_b64 s[16:17], -1
.LBB198_29:
	s_mov_b64 s[0:1], 0
                                        ; implicit-def: $vgpr2_vgpr3
.LBB198_30:
	s_and_b64 vcc, exec, s[14:15]
	s_cbranch_vccz .LBB198_143
; %bb.31:
	s_cmp_eq_u32 s20, 44
	s_cbranch_scc0 .LBB198_142
; %bb.32:
	global_load_ubyte v2, v[0:1], off
	s_mov_b32 s0, 0x2f800000
	s_mov_b32 s1, 0xcf800000
	s_mov_b64 s[16:17], 0
	s_waitcnt vmcnt(0)
	v_lshlrev_b32_e32 v3, 23, v2
	v_trunc_f32_e32 v3, v3
	v_mul_f32_e64 v4, |v3|, s0
	v_floor_f32_e32 v4, v4
	v_fma_f32 v5, v4, s1, |v3|
	v_cvt_u32_f32_e32 v5, v5
	v_cvt_u32_f32_e32 v4, v4
	v_ashrrev_i32_e32 v3, 31, v3
	s_mov_b64 s[0:1], -1
	v_xor_b32_e32 v5, v5, v3
	v_xor_b32_e32 v4, v4, v3
	v_sub_co_u32_e32 v5, vcc, v5, v3
	v_subb_co_u32_e32 v3, vcc, v4, v3, vcc
	v_cmp_ne_u32_e32 vcc, 0, v2
	v_cndmask_b32_e32 v3, 0, v3, vcc
	v_cndmask_b32_e32 v2, 0, v5, vcc
	s_branch .LBB198_143
.LBB198_33:
	s_mov_b64 s[20:21], -1
	s_mov_b64 s[0:1], 0
	s_mov_b64 s[14:15], 0
.LBB198_34:
	s_and_b64 vcc, exec, s[20:21]
	s_cbranch_vccz .LBB198_39
; %bb.35:
	s_cmp_eq_u32 s27, 44
	s_mov_b64 s[0:1], -1
	s_cbranch_scc0 .LBB198_39
; %bb.36:
	v_xor_b32_e32 v5, v0, v1
	v_ffbh_i32_e32 v4, v1
	v_ashrrev_i32_e32 v5, 31, v5
	v_add_u32_e32 v4, -1, v4
	v_add_u32_e32 v5, 32, v5
	v_min_u32_e32 v6, v4, v5
	v_lshlrev_b64 v[4:5], v6, v[0:1]
	s_movk_i32 s0, 0xff
	v_min_u32_e32 v4, 1, v4
	v_or_b32_e32 v4, v5, v4
	v_cvt_f32_i32_e32 v4, v4
	v_sub_u32_e32 v5, 32, v6
	v_mov_b32_e32 v6, 0xff
	v_ldexp_f32 v4, v4, v5
	v_bfe_u32 v5, v4, 23, 8
	v_cmp_ne_u32_e32 vcc, s0, v5
	s_and_saveexec_b64 s[14:15], vcc
; %bb.37:
	s_mov_b32 s0, 0x3fffff
	v_lshrrev_b32_e32 v6, 23, v4
	v_and_b32_e32 v7, 0x400000, v4
	v_and_or_b32 v4, v4, s0, v5
	v_cmp_ne_u32_e32 vcc, 0, v7
	v_cmp_ne_u32_e64 s[0:1], 0, v4
	s_and_b64 s[0:1], vcc, s[0:1]
	v_cndmask_b32_e64 v4, 0, 1, s[0:1]
	v_add_u32_e32 v6, v6, v4
; %bb.38:
	s_or_b64 exec, exec, s[14:15]
	s_mov_b64 s[14:15], -1
	s_mov_b64 s[0:1], 0
	global_store_byte v[2:3], v6, off
.LBB198_39:
	s_mov_b64 s[20:21], 0
.LBB198_40:
	s_and_b64 vcc, exec, s[20:21]
	s_cbranch_vccz .LBB198_43
; %bb.41:
	s_cmp_eq_u32 s27, 29
	s_mov_b64 s[0:1], -1
	s_cbranch_scc0 .LBB198_43
; %bb.42:
	global_store_dwordx2 v[2:3], v[0:1], off
	s_mov_b64 s[14:15], -1
	s_mov_b64 s[0:1], 0
.LBB198_43:
	s_mov_b64 s[20:21], 0
.LBB198_44:
	s_and_b64 vcc, exec, s[20:21]
	s_cbranch_vccz .LBB198_60
; %bb.45:
	s_cmp_lt_i32 s27, 27
	s_mov_b64 s[14:15], -1
	s_cbranch_scc1 .LBB198_51
; %bb.46:
	s_cmp_gt_i32 s27, 27
	s_cbranch_scc0 .LBB198_48
; %bb.47:
	s_mov_b64 s[14:15], 0
	global_store_dword v[2:3], v0, off
.LBB198_48:
	s_andn2_b64 vcc, exec, s[14:15]
	s_cbranch_vccnz .LBB198_50
; %bb.49:
	global_store_short v[2:3], v0, off
.LBB198_50:
	s_mov_b64 s[14:15], 0
.LBB198_51:
	s_andn2_b64 vcc, exec, s[14:15]
	s_cbranch_vccnz .LBB198_59
; %bb.52:
	v_xor_b32_e32 v5, v0, v1
	v_ffbh_i32_e32 v4, v1
	v_ashrrev_i32_e32 v5, 31, v5
	v_add_u32_e32 v4, -1, v4
	v_add_u32_e32 v5, 32, v5
	v_min_u32_e32 v6, v4, v5
	v_lshlrev_b64 v[4:5], v6, v[0:1]
	s_mov_b32 s14, 0x43800000
	v_min_u32_e32 v4, 1, v4
	v_or_b32_e32 v4, v5, v4
	v_cvt_f32_i32_e32 v4, v4
	v_sub_u32_e32 v5, 32, v6
	v_mov_b32_e32 v6, 0x80
	v_ldexp_f32 v4, v4, v5
	v_and_b32_e32 v5, 0x7fffffff, v4
	v_cmp_gt_u32_e32 vcc, s14, v5
	s_and_saveexec_b64 s[14:15], vcc
	s_cbranch_execz .LBB198_58
; %bb.53:
	s_mov_b32 s20, 0x3bffffff
	v_cmp_lt_u32_e32 vcc, s20, v5
	s_mov_b64 s[20:21], 0
                                        ; implicit-def: $vgpr5
	s_and_saveexec_b64 s[24:25], vcc
	s_xor_b64 s[24:25], exec, s[24:25]
	s_cbranch_execz .LBB198_275
; %bb.54:
	v_bfe_u32 v5, v4, 20, 1
	s_mov_b32 s28, 0x487ffff
	v_add3_u32 v5, v4, v5, s28
	s_mov_b64 s[20:21], exec
	v_lshrrev_b32_e32 v5, 20, v5
	s_andn2_saveexec_b64 s[24:25], s[24:25]
	s_cbranch_execnz .LBB198_276
.LBB198_55:
	s_or_b64 exec, exec, s[24:25]
	v_mov_b32_e32 v6, 0
	s_and_saveexec_b64 s[24:25], s[20:21]
.LBB198_56:
	v_lshrrev_b32_e32 v4, 24, v4
	s_movk_i32 s20, 0x80
	v_and_or_b32 v6, v4, s20, v5
.LBB198_57:
	s_or_b64 exec, exec, s[24:25]
.LBB198_58:
	s_or_b64 exec, exec, s[14:15]
	global_store_byte v[2:3], v6, off
.LBB198_59:
	s_mov_b64 s[14:15], -1
.LBB198_60:
	s_mov_b64 s[20:21], 0
.LBB198_61:
	s_and_b64 vcc, exec, s[20:21]
	s_cbranch_vccz .LBB198_102
; %bb.62:
	s_cmp_gt_i32 s27, 22
	s_mov_b64 s[20:21], -1
	s_cbranch_scc0 .LBB198_94
; %bb.63:
	s_cmp_lt_i32 s27, 24
	s_mov_b64 s[14:15], -1
	s_cbranch_scc1 .LBB198_83
; %bb.64:
	s_cmp_gt_i32 s27, 24
	s_cbranch_scc0 .LBB198_72
; %bb.65:
	v_xor_b32_e32 v5, v0, v1
	v_ffbh_i32_e32 v4, v1
	v_ashrrev_i32_e32 v5, 31, v5
	v_add_u32_e32 v4, -1, v4
	v_add_u32_e32 v5, 32, v5
	v_min_u32_e32 v6, v4, v5
	v_lshlrev_b64 v[4:5], v6, v[0:1]
	s_mov_b32 s14, 0x47800000
	v_min_u32_e32 v4, 1, v4
	v_or_b32_e32 v4, v5, v4
	v_cvt_f32_i32_e32 v4, v4
	v_sub_u32_e32 v5, 32, v6
	v_mov_b32_e32 v6, 0x80
	v_ldexp_f32 v4, v4, v5
	v_and_b32_e32 v5, 0x7fffffff, v4
	v_cmp_gt_u32_e32 vcc, s14, v5
	s_and_saveexec_b64 s[14:15], vcc
	s_cbranch_execz .LBB198_71
; %bb.66:
	s_mov_b32 s20, 0x37ffffff
	v_cmp_lt_u32_e32 vcc, s20, v5
	s_mov_b64 s[20:21], 0
                                        ; implicit-def: $vgpr5
	s_and_saveexec_b64 s[24:25], vcc
	s_xor_b64 s[24:25], exec, s[24:25]
	s_cbranch_execz .LBB198_279
; %bb.67:
	v_bfe_u32 v5, v4, 21, 1
	s_mov_b32 s28, 0x88fffff
	v_add3_u32 v5, v4, v5, s28
	s_mov_b64 s[20:21], exec
	v_lshrrev_b32_e32 v5, 21, v5
	s_andn2_saveexec_b64 s[24:25], s[24:25]
	s_cbranch_execnz .LBB198_280
.LBB198_68:
	s_or_b64 exec, exec, s[24:25]
	v_mov_b32_e32 v6, 0
	s_and_saveexec_b64 s[24:25], s[20:21]
.LBB198_69:
	v_lshrrev_b32_e32 v4, 24, v4
	s_movk_i32 s20, 0x80
	v_and_or_b32 v6, v4, s20, v5
.LBB198_70:
	s_or_b64 exec, exec, s[24:25]
.LBB198_71:
	s_or_b64 exec, exec, s[14:15]
	s_mov_b64 s[14:15], 0
	global_store_byte v[2:3], v6, off
.LBB198_72:
	s_and_b64 vcc, exec, s[14:15]
	s_cbranch_vccz .LBB198_82
; %bb.73:
	v_xor_b32_e32 v5, v0, v1
	v_ffbh_i32_e32 v4, v1
	v_ashrrev_i32_e32 v5, 31, v5
	v_add_u32_e32 v4, -1, v4
	v_add_u32_e32 v5, 32, v5
	v_min_u32_e32 v6, v4, v5
	v_lshlrev_b64 v[4:5], v6, v[0:1]
	s_mov_b32 s14, 0x43f00000
	v_min_u32_e32 v4, 1, v4
	v_or_b32_e32 v4, v5, v4
	v_cvt_f32_i32_e32 v4, v4
	v_sub_u32_e32 v5, 32, v6
	v_ldexp_f32 v4, v4, v5
	v_and_b32_e32 v6, 0x7fffffff, v4
	v_cmp_gt_u32_e32 vcc, s14, v6
                                        ; implicit-def: $vgpr5
	s_and_saveexec_b64 s[14:15], vcc
	s_xor_b64 s[14:15], exec, s[14:15]
	s_cbranch_execz .LBB198_79
; %bb.74:
	s_mov_b32 s20, 0x3c7fffff
	v_cmp_lt_u32_e32 vcc, s20, v6
                                        ; implicit-def: $vgpr5
	s_and_saveexec_b64 s[20:21], vcc
	s_xor_b64 s[20:21], exec, s[20:21]
; %bb.75:
	v_bfe_u32 v5, v4, 20, 1
	s_mov_b32 s24, 0x407ffff
	v_add3_u32 v5, v4, v5, s24
	v_lshrrev_b32_e32 v6, 20, v5
	v_and_b32_e32 v5, 0xff00000, v5
	s_mov_b32 s24, 0x7f00000
	v_mov_b32_e32 v7, 0x7e
	v_cmp_ne_u32_e32 vcc, s24, v5
	v_cndmask_b32_e32 v5, v7, v6, vcc
; %bb.76:
	s_andn2_saveexec_b64 s[20:21], s[20:21]
; %bb.77:
	s_mov_b32 s24, 0x46800000
	v_add_f32_e64 v5, |v4|, s24
; %bb.78:
	s_or_b64 exec, exec, s[20:21]
                                        ; implicit-def: $vgpr6
.LBB198_79:
	s_andn2_saveexec_b64 s[14:15], s[14:15]
; %bb.80:
	s_mov_b32 s20, 0x7f800000
	v_mov_b32_e32 v5, 0x7e
	v_mov_b32_e32 v7, 0x7f
	v_cmp_lt_u32_e32 vcc, s20, v6
	v_cndmask_b32_e32 v5, v5, v7, vcc
; %bb.81:
	s_or_b64 exec, exec, s[14:15]
	v_lshrrev_b32_e32 v4, 24, v4
	s_movk_i32 s14, 0x80
	v_and_or_b32 v4, v4, s14, v5
	global_store_byte v[2:3], v4, off
.LBB198_82:
	s_mov_b64 s[14:15], 0
.LBB198_83:
	s_andn2_b64 vcc, exec, s[14:15]
	s_cbranch_vccnz .LBB198_93
; %bb.84:
	v_xor_b32_e32 v5, v0, v1
	v_ffbh_i32_e32 v4, v1
	v_ashrrev_i32_e32 v5, 31, v5
	v_add_u32_e32 v4, -1, v4
	v_add_u32_e32 v5, 32, v5
	v_min_u32_e32 v6, v4, v5
	v_lshlrev_b64 v[4:5], v6, v[0:1]
	s_mov_b32 s14, 0x47800000
	v_min_u32_e32 v4, 1, v4
	v_or_b32_e32 v4, v5, v4
	v_cvt_f32_i32_e32 v4, v4
	v_sub_u32_e32 v5, 32, v6
	v_ldexp_f32 v4, v4, v5
	v_and_b32_e32 v6, 0x7fffffff, v4
	v_cmp_gt_u32_e32 vcc, s14, v6
                                        ; implicit-def: $vgpr5
	s_and_saveexec_b64 s[14:15], vcc
	s_xor_b64 s[14:15], exec, s[14:15]
	s_cbranch_execz .LBB198_90
; %bb.85:
	s_mov_b32 s20, 0x387fffff
	v_cmp_lt_u32_e32 vcc, s20, v6
                                        ; implicit-def: $vgpr5
	s_and_saveexec_b64 s[20:21], vcc
	s_xor_b64 s[20:21], exec, s[20:21]
; %bb.86:
	v_bfe_u32 v5, v4, 21, 1
	s_mov_b32 s24, 0x80fffff
	v_add3_u32 v5, v4, v5, s24
	v_lshrrev_b32_e32 v5, 21, v5
; %bb.87:
	s_andn2_saveexec_b64 s[20:21], s[20:21]
; %bb.88:
	s_mov_b32 s24, 0x43000000
	v_add_f32_e64 v5, |v4|, s24
; %bb.89:
	s_or_b64 exec, exec, s[20:21]
                                        ; implicit-def: $vgpr6
.LBB198_90:
	s_andn2_saveexec_b64 s[14:15], s[14:15]
; %bb.91:
	s_mov_b32 s20, 0x7f800000
	v_mov_b32_e32 v5, 0x7c
	v_mov_b32_e32 v7, 0x7f
	v_cmp_lt_u32_e32 vcc, s20, v6
	v_cndmask_b32_e32 v5, v5, v7, vcc
; %bb.92:
	s_or_b64 exec, exec, s[14:15]
	v_lshrrev_b32_e32 v4, 24, v4
	s_movk_i32 s14, 0x80
	v_and_or_b32 v4, v4, s14, v5
	global_store_byte v[2:3], v4, off
.LBB198_93:
	s_mov_b64 s[20:21], 0
	s_mov_b64 s[14:15], -1
.LBB198_94:
	s_andn2_b64 vcc, exec, s[20:21]
	s_cbranch_vccnz .LBB198_102
; %bb.95:
	s_cmp_gt_i32 s27, 14
	s_mov_b64 s[20:21], -1
	s_cbranch_scc0 .LBB198_99
; %bb.96:
	s_cmp_eq_u32 s27, 15
	s_mov_b64 s[0:1], -1
	s_cbranch_scc0 .LBB198_98
; %bb.97:
	v_xor_b32_e32 v5, v0, v1
	v_ffbh_i32_e32 v4, v1
	v_ashrrev_i32_e32 v5, 31, v5
	v_add_u32_e32 v4, -1, v4
	v_add_u32_e32 v5, 32, v5
	v_min_u32_e32 v6, v4, v5
	v_lshlrev_b64 v[4:5], v6, v[0:1]
	s_movk_i32 s0, 0x7fff
	v_min_u32_e32 v4, 1, v4
	v_or_b32_e32 v4, v5, v4
	v_cvt_f32_i32_e32 v4, v4
	v_sub_u32_e32 v5, 32, v6
	s_mov_b64 s[14:15], -1
	v_ldexp_f32 v4, v4, v5
	v_bfe_u32 v5, v4, 16, 1
	v_add3_u32 v4, v4, v5, s0
	global_store_short_d16_hi v[2:3], v4, off
	s_mov_b64 s[0:1], 0
.LBB198_98:
	s_mov_b64 s[20:21], 0
.LBB198_99:
	s_and_b64 vcc, exec, s[20:21]
	s_cbranch_vccz .LBB198_102
; %bb.100:
	s_cmp_eq_u32 s27, 11
	s_mov_b64 s[0:1], -1
	s_cbranch_scc0 .LBB198_102
; %bb.101:
	v_cmp_ne_u64_e32 vcc, 0, v[0:1]
	s_mov_b64 s[0:1], 0
	v_cndmask_b32_e64 v4, 0, 1, vcc
	s_mov_b64 s[14:15], -1
	global_store_byte v[2:3], v4, off
.LBB198_102:
	s_branch .LBB198_20
.LBB198_103:
	s_and_b32 s20, 0xffff, s26
	s_cmp_lt_i32 s20, 5
	s_mov_b64 s[14:15], -1
	s_cbranch_scc1 .LBB198_124
; %bb.104:
	s_cmp_lt_i32 s20, 8
	s_cbranch_scc1 .LBB198_114
; %bb.105:
	s_cmp_lt_i32 s20, 9
	s_cbranch_scc1 .LBB198_111
; %bb.106:
	s_cmp_gt_i32 s20, 9
	s_cbranch_scc0 .LBB198_108
; %bb.107:
	v_cvt_f64_i32_e32 v[4:5], v1
	v_cvt_f64_u32_e32 v[6:7], v0
	s_mov_b64 s[14:15], 0
	v_ldexp_f64 v[4:5], v[4:5], 32
	v_add_f64 v[4:5], v[4:5], v[6:7]
	v_mov_b32_e32 v6, 0
	v_mov_b32_e32 v7, v6
	global_store_dwordx4 v[2:3], v[4:7], off
.LBB198_108:
	s_andn2_b64 vcc, exec, s[14:15]
	s_cbranch_vccnz .LBB198_110
; %bb.109:
	v_xor_b32_e32 v5, v0, v1
	v_ffbh_i32_e32 v4, v1
	v_ashrrev_i32_e32 v5, 31, v5
	v_add_u32_e32 v4, -1, v4
	v_add_u32_e32 v5, 32, v5
	v_min_u32_e32 v6, v4, v5
	v_lshlrev_b64 v[4:5], v6, v[0:1]
	v_min_u32_e32 v4, 1, v4
	v_or_b32_e32 v4, v5, v4
	v_cvt_f32_i32_e32 v4, v4
	v_sub_u32_e32 v5, 32, v6
	v_ldexp_f32 v4, v4, v5
	v_mov_b32_e32 v5, 0
	global_store_dwordx2 v[2:3], v[4:5], off
.LBB198_110:
	s_mov_b64 s[14:15], 0
.LBB198_111:
	s_andn2_b64 vcc, exec, s[14:15]
	s_cbranch_vccnz .LBB198_113
; %bb.112:
	v_xor_b32_e32 v5, v0, v1
	v_ffbh_i32_e32 v4, v1
	v_ashrrev_i32_e32 v5, 31, v5
	v_add_u32_e32 v4, -1, v4
	v_add_u32_e32 v5, 32, v5
	v_min_u32_e32 v6, v4, v5
	v_lshlrev_b64 v[4:5], v6, v[0:1]
	v_min_u32_e32 v4, 1, v4
	v_or_b32_e32 v4, v5, v4
	v_cvt_f32_i32_e32 v4, v4
	v_sub_u32_e32 v5, 32, v6
	v_ldexp_f32 v4, v4, v5
	v_cvt_f16_f32_e32 v4, v4
	global_store_dword v[2:3], v4, off
.LBB198_113:
	s_mov_b64 s[14:15], 0
.LBB198_114:
	s_andn2_b64 vcc, exec, s[14:15]
	s_cbranch_vccnz .LBB198_123
; %bb.115:
	s_cmp_lt_i32 s20, 6
	s_mov_b64 s[14:15], -1
	s_cbranch_scc1 .LBB198_121
; %bb.116:
	s_cmp_gt_i32 s20, 6
	s_cbranch_scc0 .LBB198_118
; %bb.117:
	v_cvt_f64_i32_e32 v[4:5], v1
	v_cvt_f64_u32_e32 v[6:7], v0
	s_mov_b64 s[14:15], 0
	v_ldexp_f64 v[4:5], v[4:5], 32
	v_add_f64 v[4:5], v[4:5], v[6:7]
	global_store_dwordx2 v[2:3], v[4:5], off
.LBB198_118:
	s_andn2_b64 vcc, exec, s[14:15]
	s_cbranch_vccnz .LBB198_120
; %bb.119:
	v_xor_b32_e32 v5, v0, v1
	v_ffbh_i32_e32 v4, v1
	v_ashrrev_i32_e32 v5, 31, v5
	v_add_u32_e32 v4, -1, v4
	v_add_u32_e32 v5, 32, v5
	v_min_u32_e32 v6, v4, v5
	v_lshlrev_b64 v[4:5], v6, v[0:1]
	v_min_u32_e32 v4, 1, v4
	v_or_b32_e32 v4, v5, v4
	v_cvt_f32_i32_e32 v4, v4
	v_sub_u32_e32 v5, 32, v6
	v_ldexp_f32 v4, v4, v5
	global_store_dword v[2:3], v4, off
.LBB198_120:
	s_mov_b64 s[14:15], 0
.LBB198_121:
	s_andn2_b64 vcc, exec, s[14:15]
	s_cbranch_vccnz .LBB198_123
; %bb.122:
	v_xor_b32_e32 v5, v0, v1
	v_ffbh_i32_e32 v4, v1
	v_ashrrev_i32_e32 v5, 31, v5
	v_add_u32_e32 v4, -1, v4
	v_add_u32_e32 v5, 32, v5
	v_min_u32_e32 v6, v4, v5
	v_lshlrev_b64 v[4:5], v6, v[0:1]
	v_min_u32_e32 v4, 1, v4
	v_or_b32_e32 v4, v5, v4
	v_cvt_f32_i32_e32 v4, v4
	v_sub_u32_e32 v5, 32, v6
	v_ldexp_f32 v4, v4, v5
	v_cvt_f16_f32_e32 v4, v4
	global_store_short v[2:3], v4, off
.LBB198_123:
	s_mov_b64 s[14:15], 0
.LBB198_124:
	s_andn2_b64 vcc, exec, s[14:15]
	s_cbranch_vccnz .LBB198_140
; %bb.125:
	s_cmp_lt_i32 s20, 2
	s_mov_b64 s[14:15], -1
	s_cbranch_scc1 .LBB198_135
; %bb.126:
	s_cmp_lt_i32 s20, 3
	s_cbranch_scc1 .LBB198_132
; %bb.127:
	s_cmp_gt_i32 s20, 3
	s_cbranch_scc0 .LBB198_129
; %bb.128:
	global_store_dwordx2 v[2:3], v[0:1], off
	s_mov_b64 s[14:15], 0
.LBB198_129:
	s_andn2_b64 vcc, exec, s[14:15]
	s_cbranch_vccnz .LBB198_131
; %bb.130:
	global_store_dword v[2:3], v0, off
.LBB198_131:
	s_mov_b64 s[14:15], 0
.LBB198_132:
	s_andn2_b64 vcc, exec, s[14:15]
	s_cbranch_vccnz .LBB198_134
; %bb.133:
	global_store_short v[2:3], v0, off
.LBB198_134:
	s_mov_b64 s[14:15], 0
.LBB198_135:
	s_andn2_b64 vcc, exec, s[14:15]
	s_cbranch_vccnz .LBB198_140
; %bb.136:
	s_cmp_gt_i32 s20, 0
	s_mov_b64 s[14:15], -1
	s_cbranch_scc0 .LBB198_138
; %bb.137:
	global_store_byte v[2:3], v0, off
	s_mov_b64 s[14:15], 0
.LBB198_138:
	s_andn2_b64 vcc, exec, s[14:15]
	s_cbranch_vccnz .LBB198_140
; %bb.139:
	global_store_byte v[2:3], v0, off
.LBB198_140:
	s_branch .LBB198_21
.LBB198_141:
	s_mov_b64 s[20:21], 0
                                        ; implicit-def: $vgpr10
	s_branch .LBB198_247
.LBB198_142:
	s_mov_b64 s[16:17], -1
                                        ; implicit-def: $vgpr2_vgpr3
.LBB198_143:
	s_mov_b64 s[14:15], 0
.LBB198_144:
	s_and_b64 vcc, exec, s[14:15]
	s_cbranch_vccz .LBB198_148
; %bb.145:
	s_cmp_eq_u32 s20, 29
	s_cbranch_scc0 .LBB198_147
; %bb.146:
	global_load_dwordx2 v[2:3], v[0:1], off
	s_mov_b64 s[0:1], -1
	s_mov_b64 s[16:17], 0
	s_branch .LBB198_148
.LBB198_147:
	s_mov_b64 s[16:17], -1
                                        ; implicit-def: $vgpr2_vgpr3
.LBB198_148:
	s_mov_b64 s[14:15], 0
.LBB198_149:
	s_and_b64 vcc, exec, s[14:15]
	s_cbranch_vccz .LBB198_167
; %bb.150:
	s_cmp_lt_i32 s20, 27
	s_cbranch_scc1 .LBB198_153
; %bb.151:
	s_cmp_gt_i32 s20, 27
	s_cbranch_scc0 .LBB198_154
; %bb.152:
	global_load_dword v2, v[0:1], off
	s_waitcnt vmcnt(1)
	v_mov_b32_e32 v3, 0
	s_mov_b64 s[0:1], 0
	s_branch .LBB198_155
.LBB198_153:
	s_mov_b64 s[0:1], -1
                                        ; implicit-def: $vgpr2_vgpr3
	s_branch .LBB198_158
.LBB198_154:
	s_mov_b64 s[0:1], -1
                                        ; implicit-def: $vgpr2_vgpr3
.LBB198_155:
	s_andn2_b64 vcc, exec, s[0:1]
	s_cbranch_vccnz .LBB198_157
; %bb.156:
	global_load_ushort v2, v[0:1], off
	s_mov_b32 s0, 0
	s_waitcnt vmcnt(1)
	v_mov_b32_e32 v3, s0
	s_waitcnt vmcnt(0)
	v_and_b32_e32 v2, 0xffff, v2
.LBB198_157:
	s_mov_b64 s[0:1], 0
.LBB198_158:
	s_andn2_b64 vcc, exec, s[0:1]
	s_cbranch_vccnz .LBB198_166
; %bb.159:
	global_load_ubyte v4, v[0:1], off
	s_movk_i32 s0, 0x7f
	s_mov_b64 s[14:15], 0
	s_waitcnt vmcnt(0)
	v_cmp_lt_i16_e32 vcc, s0, v4
	s_and_saveexec_b64 s[0:1], vcc
	s_xor_b64 s[0:1], exec, s[0:1]
; %bb.160:
	s_movk_i32 s14, 0x80
	v_cmp_ne_u16_e32 vcc, s14, v4
	s_and_b64 s[14:15], vcc, exec
; %bb.161:
	s_andn2_saveexec_b64 s[0:1], s[0:1]
; %bb.162:
	v_cmp_ne_u16_e32 vcc, 0, v4
	s_andn2_b64 s[14:15], s[14:15], exec
	s_and_b64 s[24:25], vcc, exec
	s_or_b64 s[14:15], s[14:15], s[24:25]
; %bb.163:
	s_or_b64 exec, exec, s[0:1]
	v_mov_b32_e32 v2, 0
	v_mov_b32_e32 v3, 0
	s_and_saveexec_b64 s[0:1], s[14:15]
	s_cbranch_execz .LBB198_165
; %bb.164:
	v_and_b32_e32 v3, 0xffff, v4
	v_lshlrev_b32_e32 v2, 24, v4
	v_and_b32_e32 v4, 7, v3
	v_ffbh_u32_e32 v6, v4
	v_min_u32_e32 v6, 32, v6
	v_subrev_u32_e32 v7, 28, v6
	v_bfe_u32 v5, v3, 3, 4
	v_lshlrev_b32_e32 v3, v7, v3
	v_sub_u32_e32 v6, 29, v6
	v_and_b32_e32 v3, 7, v3
	v_cmp_eq_u32_e32 vcc, 0, v5
	v_cndmask_b32_e32 v5, v5, v6, vcc
	v_cndmask_b32_e32 v3, v4, v3, vcc
	v_mov_b32_e32 v4, 0x3b800000
	v_lshlrev_b32_e32 v3, 20, v3
	v_and_b32_e32 v2, 0x80000000, v2
	v_lshl_add_u32 v4, v5, 23, v4
	v_or3_b32 v2, v2, v4, v3
	v_trunc_f32_e32 v2, v2
	s_mov_b32 s14, 0x2f800000
	v_mul_f32_e64 v3, |v2|, s14
	v_floor_f32_e32 v3, v3
	s_mov_b32 s14, 0xcf800000
	v_fma_f32 v4, v3, s14, |v2|
	v_cvt_u32_f32_e32 v4, v4
	v_cvt_u32_f32_e32 v3, v3
	v_ashrrev_i32_e32 v5, 31, v2
	v_xor_b32_e32 v2, v4, v5
	v_xor_b32_e32 v3, v3, v5
	v_sub_co_u32_e32 v2, vcc, v2, v5
	v_subb_co_u32_e32 v3, vcc, v3, v5, vcc
.LBB198_165:
	s_or_b64 exec, exec, s[0:1]
.LBB198_166:
	s_mov_b64 s[0:1], -1
.LBB198_167:
	s_branch .LBB198_198
.LBB198_168:
	s_cmp_gt_i32 s20, 22
	s_cbranch_scc0 .LBB198_178
; %bb.169:
	s_cmp_lt_i32 s20, 24
	s_cbranch_scc1 .LBB198_179
; %bb.170:
	s_cmp_gt_i32 s20, 24
	s_cbranch_scc0 .LBB198_180
; %bb.171:
	global_load_ubyte v4, v[0:1], off
	s_movk_i32 s0, 0x7f
	s_mov_b64 s[14:15], 0
	s_waitcnt vmcnt(0)
	v_cmp_lt_i16_e32 vcc, s0, v4
	s_and_saveexec_b64 s[0:1], vcc
	s_xor_b64 s[0:1], exec, s[0:1]
; %bb.172:
	s_movk_i32 s14, 0x80
	v_cmp_ne_u16_e32 vcc, s14, v4
	s_and_b64 s[14:15], vcc, exec
; %bb.173:
	s_andn2_saveexec_b64 s[0:1], s[0:1]
; %bb.174:
	v_cmp_ne_u16_e32 vcc, 0, v4
	s_andn2_b64 s[14:15], s[14:15], exec
	s_and_b64 s[24:25], vcc, exec
	s_or_b64 s[14:15], s[14:15], s[24:25]
; %bb.175:
	s_or_b64 exec, exec, s[0:1]
	v_mov_b32_e32 v2, 0
	v_mov_b32_e32 v3, 0
	s_and_saveexec_b64 s[0:1], s[14:15]
	s_cbranch_execz .LBB198_177
; %bb.176:
	v_and_b32_e32 v3, 0xffff, v4
	v_lshlrev_b32_e32 v2, 24, v4
	v_and_b32_e32 v4, 3, v3
	v_ffbh_u32_e32 v6, v4
	v_min_u32_e32 v6, 32, v6
	v_subrev_u32_e32 v7, 29, v6
	v_bfe_u32 v5, v3, 2, 5
	v_lshlrev_b32_e32 v3, v7, v3
	v_sub_u32_e32 v6, 30, v6
	v_and_b32_e32 v3, 3, v3
	v_cmp_eq_u32_e32 vcc, 0, v5
	v_cndmask_b32_e32 v5, v5, v6, vcc
	v_cndmask_b32_e32 v3, v4, v3, vcc
	v_mov_b32_e32 v4, 0x37800000
	v_lshlrev_b32_e32 v3, 21, v3
	v_and_b32_e32 v2, 0x80000000, v2
	v_lshl_add_u32 v4, v5, 23, v4
	v_or3_b32 v2, v2, v4, v3
	v_trunc_f32_e32 v2, v2
	s_mov_b32 s14, 0x2f800000
	v_mul_f32_e64 v3, |v2|, s14
	v_floor_f32_e32 v3, v3
	s_mov_b32 s14, 0xcf800000
	v_fma_f32 v4, v3, s14, |v2|
	v_cvt_u32_f32_e32 v4, v4
	v_cvt_u32_f32_e32 v3, v3
	v_ashrrev_i32_e32 v5, 31, v2
	v_xor_b32_e32 v2, v4, v5
	v_xor_b32_e32 v3, v3, v5
	v_sub_co_u32_e32 v2, vcc, v2, v5
	v_subb_co_u32_e32 v3, vcc, v3, v5, vcc
.LBB198_177:
	s_or_b64 exec, exec, s[0:1]
	s_mov_b64 s[0:1], 0
	s_branch .LBB198_181
.LBB198_178:
	s_mov_b64 s[14:15], -1
                                        ; implicit-def: $vgpr2_vgpr3
	s_branch .LBB198_187
.LBB198_179:
	s_mov_b64 s[0:1], -1
                                        ; implicit-def: $vgpr2_vgpr3
	s_branch .LBB198_184
.LBB198_180:
	s_mov_b64 s[0:1], -1
                                        ; implicit-def: $vgpr2_vgpr3
.LBB198_181:
	s_and_b64 vcc, exec, s[0:1]
	s_cbranch_vccz .LBB198_183
; %bb.182:
	global_load_ubyte v2, v[0:1], off
	s_mov_b32 s0, 0x7f800000
	s_brev_b32 s1, 1
	s_mov_b32 s14, 0x2f800000
	s_mov_b32 s15, 0xcf800000
	s_waitcnt vmcnt(0)
	v_lshlrev_b32_e32 v2, 24, v2
	v_and_b32_e32 v3, 0x7f000000, v2
	v_ffbh_u32_e32 v4, v3
	v_min_u32_e32 v4, 32, v4
	v_sub_u32_e64 v4, v4, 4 clamp
	v_lshlrev_b32_e32 v6, v4, v3
	v_lshlrev_b32_e32 v4, 23, v4
	v_lshrrev_b32_e32 v6, 4, v6
	v_add_u32_e32 v5, 0x1000000, v3
	v_sub_u32_e32 v4, v6, v4
	v_ashrrev_i32_e32 v5, 8, v5
	v_add_u32_e32 v4, 0x3c000000, v4
	v_and_or_b32 v4, v5, s0, v4
	v_cmp_ne_u32_e32 vcc, 0, v3
	v_cndmask_b32_e32 v3, 0, v4, vcc
	v_and_or_b32 v2, v2, s1, v3
	v_trunc_f32_e32 v2, v2
	v_mul_f32_e64 v3, |v2|, s14
	v_floor_f32_e32 v3, v3
	v_fma_f32 v4, v3, s15, |v2|
	v_cvt_u32_f32_e32 v4, v4
	v_cvt_u32_f32_e32 v3, v3
	v_ashrrev_i32_e32 v5, 31, v2
	v_xor_b32_e32 v2, v4, v5
	v_xor_b32_e32 v3, v3, v5
	v_sub_co_u32_e32 v2, vcc, v2, v5
	v_subb_co_u32_e32 v3, vcc, v3, v5, vcc
.LBB198_183:
	s_mov_b64 s[0:1], 0
.LBB198_184:
	s_andn2_b64 vcc, exec, s[0:1]
	s_cbranch_vccnz .LBB198_186
; %bb.185:
	global_load_ubyte v2, v[0:1], off
	s_movk_i32 s0, 0x7f00
	s_brev_b32 s1, 16
	s_brev_b32 s14, 1
	s_mov_b32 s15, 0x2f800000
	s_mov_b32 s21, 0xcf800000
	s_waitcnt vmcnt(0)
	v_lshlrev_b16_e32 v3, 8, v2
	v_lshlrev_b32_e32 v2, 25, v2
	v_lshrrev_b32_e32 v4, 4, v2
	v_and_or_b32 v5, v3, s0, 0.5
	v_or_b32_e32 v4, 0x70000000, v4
	v_add_f32_e32 v5, -0.5, v5
	v_mul_f32_e32 v4, 0x7800000, v4
	v_cmp_gt_u32_e32 vcc, s1, v2
	v_bfe_i32 v3, v3, 0, 16
	v_cndmask_b32_e32 v2, v4, v5, vcc
	v_and_or_b32 v2, v3, s14, v2
	v_trunc_f32_e32 v2, v2
	v_mul_f32_e64 v3, |v2|, s15
	v_floor_f32_e32 v3, v3
	v_fma_f32 v4, v3, s21, |v2|
	v_cvt_u32_f32_e32 v4, v4
	v_cvt_u32_f32_e32 v3, v3
	v_ashrrev_i32_e32 v5, 31, v2
	v_xor_b32_e32 v2, v4, v5
	v_xor_b32_e32 v3, v3, v5
	v_sub_co_u32_e32 v2, vcc, v2, v5
	v_subb_co_u32_e32 v3, vcc, v3, v5, vcc
.LBB198_186:
	s_mov_b64 s[14:15], 0
	s_mov_b64 s[0:1], -1
.LBB198_187:
	s_andn2_b64 vcc, exec, s[14:15]
	s_cbranch_vccnz .LBB198_198
; %bb.188:
	s_cmp_gt_i32 s20, 14
	s_cbranch_scc0 .LBB198_191
; %bb.189:
	s_cmp_eq_u32 s20, 15
	s_cbranch_scc0 .LBB198_192
; %bb.190:
	global_load_ushort v2, v[0:1], off
	s_mov_b32 s0, 0x2f800000
	s_mov_b32 s1, 0xcf800000
	s_mov_b64 s[16:17], 0
	s_waitcnt vmcnt(0)
	v_lshlrev_b32_e32 v2, 16, v2
	v_trunc_f32_e32 v2, v2
	v_mul_f32_e64 v3, |v2|, s0
	v_floor_f32_e32 v3, v3
	v_fma_f32 v4, v3, s1, |v2|
	v_cvt_u32_f32_e32 v4, v4
	v_cvt_u32_f32_e32 v3, v3
	v_ashrrev_i32_e32 v5, 31, v2
	s_mov_b64 s[0:1], -1
	v_xor_b32_e32 v2, v4, v5
	v_xor_b32_e32 v3, v3, v5
	v_sub_co_u32_e32 v2, vcc, v2, v5
	v_subb_co_u32_e32 v3, vcc, v3, v5, vcc
	s_branch .LBB198_193
.LBB198_191:
	s_mov_b64 s[14:15], -1
                                        ; implicit-def: $vgpr2_vgpr3
	s_branch .LBB198_194
.LBB198_192:
	s_mov_b64 s[16:17], -1
                                        ; implicit-def: $vgpr2_vgpr3
.LBB198_193:
	s_mov_b64 s[14:15], 0
.LBB198_194:
	s_and_b64 vcc, exec, s[14:15]
	s_cbranch_vccz .LBB198_198
; %bb.195:
	s_cmp_eq_u32 s20, 11
	s_cbranch_scc0 .LBB198_197
; %bb.196:
	global_load_ubyte v2, v[0:1], off
	s_mov_b32 s14, 0
	s_mov_b64 s[0:1], -1
	s_waitcnt vmcnt(1)
	v_mov_b32_e32 v3, s14
	s_mov_b64 s[16:17], 0
	s_waitcnt vmcnt(0)
	v_cmp_ne_u16_e32 vcc, 0, v2
	v_cndmask_b32_e64 v2, 0, 1, vcc
	s_branch .LBB198_198
.LBB198_197:
	s_mov_b64 s[16:17], -1
                                        ; implicit-def: $vgpr2_vgpr3
.LBB198_198:
	s_branch .LBB198_10
.LBB198_199:
	s_cmp_lt_i32 s20, 5
	s_cbranch_scc1 .LBB198_204
; %bb.200:
	s_cmp_lt_i32 s20, 8
	s_cbranch_scc1 .LBB198_205
; %bb.201:
	;; [unrolled: 3-line block ×3, first 2 shown]
	s_cmp_gt_i32 s20, 9
	s_cbranch_scc0 .LBB198_207
; %bb.203:
	global_load_dwordx2 v[2:3], v[0:1], off
	s_movk_i32 s0, 0xffe0
	s_waitcnt vmcnt(0)
	v_trunc_f64_e32 v[2:3], v[2:3]
	v_ldexp_f64 v[4:5], v[2:3], s0
	s_mov_b32 s0, 0
	s_mov_b32 s1, 0xc1f00000
	v_floor_f64_e32 v[4:5], v[4:5]
	v_fma_f64 v[6:7], v[4:5], s[0:1], v[2:3]
	v_cvt_i32_f64_e32 v3, v[4:5]
	s_mov_b64 s[0:1], 0
	v_cvt_u32_f64_e32 v2, v[6:7]
	s_branch .LBB198_208
.LBB198_204:
                                        ; implicit-def: $vgpr2_vgpr3
	s_branch .LBB198_226
.LBB198_205:
	s_mov_b64 s[0:1], -1
                                        ; implicit-def: $vgpr2_vgpr3
	s_branch .LBB198_214
.LBB198_206:
	s_mov_b64 s[0:1], -1
                                        ; implicit-def: $vgpr2_vgpr3
	s_branch .LBB198_211
.LBB198_207:
	s_mov_b64 s[0:1], -1
                                        ; implicit-def: $vgpr2_vgpr3
.LBB198_208:
	s_andn2_b64 vcc, exec, s[0:1]
	s_cbranch_vccnz .LBB198_210
; %bb.209:
	global_load_dword v2, v[0:1], off
	s_mov_b32 s0, 0x2f800000
	s_mov_b32 s1, 0xcf800000
	s_waitcnt vmcnt(0)
	v_trunc_f32_e32 v2, v2
	v_mul_f32_e64 v3, |v2|, s0
	v_floor_f32_e32 v3, v3
	v_cvt_u32_f32_e32 v4, v3
	v_fma_f32 v3, v3, s1, |v2|
	v_cvt_u32_f32_e32 v3, v3
	v_ashrrev_i32_e32 v5, 31, v2
	v_xor_b32_e32 v4, v4, v5
	v_xor_b32_e32 v2, v3, v5
	v_sub_co_u32_e32 v2, vcc, v2, v5
	v_subb_co_u32_e32 v3, vcc, v4, v5, vcc
.LBB198_210:
	s_mov_b64 s[0:1], 0
.LBB198_211:
	s_andn2_b64 vcc, exec, s[0:1]
	s_cbranch_vccnz .LBB198_213
; %bb.212:
	global_load_dword v2, v[0:1], off
	s_waitcnt vmcnt(0)
	v_cvt_f32_f16_e32 v2, v2
	v_cvt_i32_f32_e32 v2, v2
	v_ashrrev_i32_e32 v3, 31, v2
.LBB198_213:
	s_mov_b64 s[0:1], 0
.LBB198_214:
	s_andn2_b64 vcc, exec, s[0:1]
	s_cbranch_vccnz .LBB198_225
; %bb.215:
	s_cmp_lt_i32 s20, 6
	s_cbranch_scc1 .LBB198_218
; %bb.216:
	s_cmp_gt_i32 s20, 6
	s_cbranch_scc0 .LBB198_219
; %bb.217:
	global_load_dwordx2 v[2:3], v[0:1], off
	s_movk_i32 s0, 0xffe0
	s_waitcnt vmcnt(0)
	v_trunc_f64_e32 v[2:3], v[2:3]
	v_ldexp_f64 v[4:5], v[2:3], s0
	s_mov_b32 s0, 0
	s_mov_b32 s1, 0xc1f00000
	v_floor_f64_e32 v[4:5], v[4:5]
	v_fma_f64 v[6:7], v[4:5], s[0:1], v[2:3]
	v_cvt_i32_f64_e32 v3, v[4:5]
	s_mov_b64 s[0:1], 0
	v_cvt_u32_f64_e32 v2, v[6:7]
	s_branch .LBB198_220
.LBB198_218:
	s_mov_b64 s[0:1], -1
                                        ; implicit-def: $vgpr2_vgpr3
	s_branch .LBB198_223
.LBB198_219:
	s_mov_b64 s[0:1], -1
                                        ; implicit-def: $vgpr2_vgpr3
.LBB198_220:
	s_andn2_b64 vcc, exec, s[0:1]
	s_cbranch_vccnz .LBB198_222
; %bb.221:
	global_load_dword v2, v[0:1], off
	s_mov_b32 s0, 0x2f800000
	s_mov_b32 s1, 0xcf800000
	s_waitcnt vmcnt(0)
	v_trunc_f32_e32 v2, v2
	v_mul_f32_e64 v3, |v2|, s0
	v_floor_f32_e32 v3, v3
	v_cvt_u32_f32_e32 v4, v3
	v_fma_f32 v3, v3, s1, |v2|
	v_cvt_u32_f32_e32 v3, v3
	v_ashrrev_i32_e32 v5, 31, v2
	v_xor_b32_e32 v4, v4, v5
	v_xor_b32_e32 v2, v3, v5
	v_sub_co_u32_e32 v2, vcc, v2, v5
	v_subb_co_u32_e32 v3, vcc, v4, v5, vcc
.LBB198_222:
	s_mov_b64 s[0:1], 0
.LBB198_223:
	s_andn2_b64 vcc, exec, s[0:1]
	s_cbranch_vccnz .LBB198_225
; %bb.224:
	global_load_ushort v2, v[0:1], off
	s_waitcnt vmcnt(0)
	v_cvt_f32_f16_e32 v2, v2
	v_cvt_i32_f32_e32 v2, v2
	v_ashrrev_i32_e32 v3, 31, v2
.LBB198_225:
	s_cbranch_execnz .LBB198_245
.LBB198_226:
	s_cmp_lt_i32 s20, 2
	s_cbranch_scc1 .LBB198_230
; %bb.227:
	s_cmp_lt_i32 s20, 3
	s_cbranch_scc1 .LBB198_231
; %bb.228:
	s_cmp_gt_i32 s20, 3
	s_cbranch_scc0 .LBB198_232
; %bb.229:
	global_load_dwordx2 v[2:3], v[0:1], off
	s_mov_b64 s[0:1], 0
	s_branch .LBB198_233
.LBB198_230:
	s_mov_b64 s[0:1], -1
                                        ; implicit-def: $vgpr2_vgpr3
	s_branch .LBB198_239
.LBB198_231:
	s_mov_b64 s[0:1], -1
                                        ; implicit-def: $vgpr2_vgpr3
	s_branch .LBB198_236
.LBB198_232:
	s_mov_b64 s[0:1], -1
                                        ; implicit-def: $vgpr2_vgpr3
.LBB198_233:
	s_andn2_b64 vcc, exec, s[0:1]
	s_cbranch_vccnz .LBB198_235
; %bb.234:
	global_load_dword v2, v[0:1], off
	s_waitcnt vmcnt(0)
	v_ashrrev_i32_e32 v3, 31, v2
.LBB198_235:
	s_mov_b64 s[0:1], 0
.LBB198_236:
	s_andn2_b64 vcc, exec, s[0:1]
	s_cbranch_vccnz .LBB198_238
; %bb.237:
	global_load_ushort v2, v[0:1], off
	s_waitcnt vmcnt(0)
	v_bfe_i32 v2, v2, 0, 16
	v_ashrrev_i32_e32 v3, 31, v2
.LBB198_238:
	s_mov_b64 s[0:1], 0
.LBB198_239:
	s_andn2_b64 vcc, exec, s[0:1]
	s_cbranch_vccnz .LBB198_245
; %bb.240:
	s_cmp_gt_i32 s20, 0
	s_cbranch_scc0 .LBB198_242
; %bb.241:
	global_load_sbyte v2, v[0:1], off
	s_mov_b64 s[0:1], 0
	s_waitcnt vmcnt(0)
	v_bfe_i32 v2, v2, 0, 16
	v_ashrrev_i32_e32 v3, 31, v2
	s_branch .LBB198_243
.LBB198_242:
	s_mov_b64 s[0:1], -1
                                        ; implicit-def: $vgpr2_vgpr3
.LBB198_243:
	s_andn2_b64 vcc, exec, s[0:1]
	s_cbranch_vccnz .LBB198_245
; %bb.244:
	global_load_ubyte v0, v[0:1], off
	s_mov_b32 s0, 0
	s_waitcnt vmcnt(1)
	v_mov_b32_e32 v3, s0
	s_waitcnt vmcnt(0)
	v_and_b32_e32 v2, 0xffff, v0
.LBB198_245:
	s_branch .LBB198_11
.LBB198_246:
	s_mov_b64 s[0:1], 0
                                        ; implicit-def: $vgpr10
	s_mov_b64 s[20:21], 0
.LBB198_247:
	s_and_b64 s[14:15], s[0:1], exec
	s_and_b64 s[16:17], s[16:17], exec
	s_orn2_b64 s[20:21], s[20:21], exec
.LBB198_248:
	s_or_b64 exec, exec, s[18:19]
	s_mov_b64 s[24:25], 0
	s_mov_b64 s[0:1], 0
                                        ; implicit-def: $vgpr0_vgpr1
                                        ; implicit-def: $vgpr4_vgpr5
	s_and_saveexec_b64 s[18:19], s[20:21]
	s_cbranch_execz .LBB198_257
; %bb.249:
	v_cmp_gt_i32_e32 vcc, s40, v10
	s_mov_b64 s[0:1], -1
	s_mov_b64 s[20:21], s[16:17]
	s_mov_b64 s[22:23], s[14:15]
	s_and_saveexec_b64 s[24:25], vcc
	s_cbranch_execz .LBB198_505
; %bb.250:
	v_mul_lo_u32 v0, v10, s13
	v_mov_b32_e32 v1, s11
	s_and_b32 s26, 0xffff, s44
	s_cmp_lt_i32 s26, 11
	s_waitcnt vmcnt(0)
	v_ashrrev_i32_e32 v2, 31, v0
	v_add_co_u32_e32 v0, vcc, s10, v0
	v_addc_co_u32_e32 v1, vcc, v1, v2, vcc
	s_cbranch_scc1 .LBB198_260
; %bb.251:
	s_cmp_gt_i32 s26, 25
	s_cbranch_scc0 .LBB198_269
; %bb.252:
	s_cmp_gt_i32 s26, 28
	s_cbranch_scc0 .LBB198_271
	;; [unrolled: 3-line block ×4, first 2 shown]
; %bb.255:
	s_cmp_eq_u32 s26, 46
	s_mov_b64 s[22:23], 0
	s_cbranch_scc0 .LBB198_281
; %bb.256:
	global_load_dword v2, v[0:1], off
	s_mov_b32 s0, 0x2f800000
	s_mov_b32 s1, 0xcf800000
	s_mov_b64 s[20:21], 0
	s_waitcnt vmcnt(0)
	v_lshlrev_b32_e32 v2, 16, v2
	v_trunc_f32_e32 v2, v2
	v_mul_f32_e64 v3, |v2|, s0
	v_floor_f32_e32 v3, v3
	v_fma_f32 v4, v3, s1, |v2|
	v_cvt_u32_f32_e32 v4, v4
	v_cvt_u32_f32_e32 v3, v3
	v_ashrrev_i32_e32 v5, 31, v2
	s_mov_b64 s[0:1], -1
	v_xor_b32_e32 v2, v4, v5
	v_xor_b32_e32 v3, v3, v5
	v_sub_co_u32_e32 v2, vcc, v2, v5
	v_subb_co_u32_e32 v3, vcc, v3, v5, vcc
	s_branch .LBB198_282
.LBB198_257:
	s_or_b64 exec, exec, s[18:19]
	s_mov_b64 s[18:19], 0
	s_and_saveexec_b64 s[20:21], s[16:17]
	s_cbranch_execnz .LBB198_843
.LBB198_258:
	s_or_b64 exec, exec, s[20:21]
	s_and_saveexec_b64 s[16:17], s[22:23]
	s_xor_b64 s[16:17], exec, s[16:17]
	s_cbranch_execz .LBB198_844
.LBB198_259:
	global_load_ubyte v2, v[0:1], off
	s_mov_b32 s20, 0
	s_waitcnt vmcnt(1)
	v_mov_b32_e32 v5, s20
	s_or_b64 s[0:1], s[0:1], exec
	s_waitcnt vmcnt(0)
	v_cmp_ne_u16_e32 vcc, 0, v2
	v_cndmask_b32_e64 v4, 0, 1, vcc
	s_or_b64 exec, exec, s[16:17]
	s_and_saveexec_b64 s[16:17], s[24:25]
	s_cbranch_execz .LBB198_890
	s_branch .LBB198_845
.LBB198_260:
	s_mov_b64 s[0:1], 0
                                        ; implicit-def: $vgpr2_vgpr3
	s_mov_b64 s[20:21], s[16:17]
	s_cbranch_execnz .LBB198_455
.LBB198_261:
	s_andn2_b64 vcc, exec, s[0:1]
	s_cbranch_vccnz .LBB198_503
.LBB198_262:
	v_mul_lo_u32 v4, v10, s12
	s_waitcnt vmcnt(0)
	v_cmp_gt_u64_e32 vcc, 63, v[2:3]
	v_mov_b32_e32 v5, s9
	v_cndmask_b32_e32 v0, 63, v2, vcc
	v_ashrrev_i64 v[0:1], v0, s[2:3]
	v_ashrrev_i32_e32 v3, 31, v4
	s_and_b32 s30, s33, 0xff
	v_add_co_u32_e32 v2, vcc, s8, v4
	s_cmp_lt_i32 s30, 11
	v_addc_co_u32_e32 v3, vcc, v5, v3, vcc
	s_cbranch_scc1 .LBB198_270
; %bb.263:
	s_and_b32 s31, 0xffff, s30
	s_cmp_gt_i32 s31, 25
	s_cbranch_scc0 .LBB198_272
; %bb.264:
	s_cmp_gt_i32 s31, 28
	s_cbranch_scc0 .LBB198_274
; %bb.265:
	;; [unrolled: 3-line block ×4, first 2 shown]
	s_mov_b64 s[26:27], 0
	s_mov_b64 s[0:1], -1
	s_cmp_eq_u32 s31, 46
	s_mov_b64 s[22:23], 0
	s_cbranch_scc0 .LBB198_286
; %bb.268:
	v_xor_b32_e32 v5, v0, v1
	v_ffbh_i32_e32 v4, v1
	v_ashrrev_i32_e32 v5, 31, v5
	v_add_u32_e32 v4, -1, v4
	v_add_u32_e32 v5, 32, v5
	v_min_u32_e32 v6, v4, v5
	v_lshlrev_b64 v[4:5], v6, v[0:1]
	s_movk_i32 s0, 0x7fff
	v_min_u32_e32 v4, 1, v4
	v_or_b32_e32 v4, v5, v4
	v_cvt_f32_i32_e32 v4, v4
	v_sub_u32_e32 v5, 32, v6
	s_mov_b64 s[22:23], -1
	v_ldexp_f32 v4, v4, v5
	v_bfe_u32 v5, v4, 16, 1
	v_add3_u32 v4, v4, v5, s0
	v_lshrrev_b32_e32 v4, 16, v4
	global_store_dword v[2:3], v4, off
	s_mov_b64 s[0:1], 0
	s_branch .LBB198_286
.LBB198_269:
	s_mov_b64 s[22:23], -1
	s_mov_b64 s[0:1], 0
	s_mov_b64 s[20:21], s[16:17]
                                        ; implicit-def: $vgpr2_vgpr3
	s_branch .LBB198_423
.LBB198_270:
	s_mov_b64 s[26:27], -1
	s_mov_b64 s[22:23], 0
	s_mov_b64 s[0:1], s[14:15]
	s_branch .LBB198_355
.LBB198_271:
	s_mov_b64 s[22:23], -1
	s_mov_b64 s[0:1], 0
	s_mov_b64 s[20:21], s[16:17]
                                        ; implicit-def: $vgpr2_vgpr3
	s_branch .LBB198_404
.LBB198_272:
	s_mov_b64 s[26:27], -1
	s_mov_b64 s[22:23], 0
	s_mov_b64 s[0:1], s[14:15]
	s_branch .LBB198_313
.LBB198_273:
	s_mov_b64 s[22:23], -1
	s_mov_b64 s[0:1], 0
	s_mov_b64 s[20:21], s[16:17]
                                        ; implicit-def: $vgpr2_vgpr3
	s_branch .LBB198_399
.LBB198_274:
	s_mov_b64 s[26:27], -1
	s_mov_b64 s[22:23], 0
	s_mov_b64 s[0:1], s[14:15]
	s_branch .LBB198_296
.LBB198_275:
	s_andn2_saveexec_b64 s[24:25], s[24:25]
	s_cbranch_execz .LBB198_55
.LBB198_276:
	s_mov_b32 s28, 0x46000000
	v_add_f32_e64 v5, |v4|, s28
	v_and_b32_e32 v5, 0xff, v5
	v_cmp_ne_u32_e32 vcc, 0, v5
	s_andn2_b64 s[20:21], s[20:21], exec
	s_and_b64 s[28:29], vcc, exec
	s_or_b64 s[20:21], s[20:21], s[28:29]
	s_or_b64 exec, exec, s[24:25]
	v_mov_b32_e32 v6, 0
	s_and_saveexec_b64 s[24:25], s[20:21]
	s_cbranch_execnz .LBB198_56
	s_branch .LBB198_57
.LBB198_277:
	s_mov_b64 s[22:23], -1
	s_mov_b64 s[0:1], 0
	s_mov_b64 s[20:21], s[16:17]
                                        ; implicit-def: $vgpr2_vgpr3
	s_branch .LBB198_282
.LBB198_278:
	s_mov_b64 s[26:27], -1
	s_mov_b64 s[22:23], 0
	s_mov_b64 s[0:1], s[14:15]
	s_branch .LBB198_292
.LBB198_279:
	s_andn2_saveexec_b64 s[24:25], s[24:25]
	s_cbranch_execz .LBB198_68
.LBB198_280:
	s_mov_b32 s28, 0x42800000
	v_add_f32_e64 v5, |v4|, s28
	v_and_b32_e32 v5, 0xff, v5
	v_cmp_ne_u32_e32 vcc, 0, v5
	s_andn2_b64 s[20:21], s[20:21], exec
	s_and_b64 s[28:29], vcc, exec
	s_or_b64 s[20:21], s[20:21], s[28:29]
	s_or_b64 exec, exec, s[24:25]
	v_mov_b32_e32 v6, 0
	s_and_saveexec_b64 s[24:25], s[20:21]
	s_cbranch_execnz .LBB198_69
	s_branch .LBB198_70
.LBB198_281:
	s_mov_b64 s[20:21], -1
                                        ; implicit-def: $vgpr2_vgpr3
	s_mov_b64 s[0:1], 0
.LBB198_282:
	s_and_b64 vcc, exec, s[22:23]
	s_cbranch_vccz .LBB198_398
; %bb.283:
	s_cmp_eq_u32 s26, 44
	s_cbranch_scc0 .LBB198_397
; %bb.284:
	global_load_ubyte v2, v[0:1], off
	s_mov_b32 s0, 0x2f800000
	s_mov_b32 s1, 0xcf800000
	s_mov_b64 s[20:21], 0
	s_waitcnt vmcnt(0)
	v_lshlrev_b32_e32 v3, 23, v2
	v_trunc_f32_e32 v3, v3
	v_mul_f32_e64 v4, |v3|, s0
	v_floor_f32_e32 v4, v4
	v_fma_f32 v5, v4, s1, |v3|
	v_cvt_u32_f32_e32 v5, v5
	v_cvt_u32_f32_e32 v4, v4
	v_ashrrev_i32_e32 v3, 31, v3
	s_mov_b64 s[0:1], -1
	v_xor_b32_e32 v5, v5, v3
	v_xor_b32_e32 v4, v4, v3
	v_sub_co_u32_e32 v5, vcc, v5, v3
	v_subb_co_u32_e32 v3, vcc, v4, v3, vcc
	v_cmp_ne_u32_e32 vcc, 0, v2
	v_cndmask_b32_e32 v3, 0, v3, vcc
	v_cndmask_b32_e32 v2, 0, v5, vcc
	s_branch .LBB198_398
.LBB198_285:
	s_mov_b64 s[26:27], -1
	s_mov_b64 s[22:23], 0
	s_mov_b64 s[0:1], s[14:15]
.LBB198_286:
	s_and_b64 vcc, exec, s[26:27]
	s_cbranch_vccz .LBB198_291
; %bb.287:
	s_cmp_eq_u32 s31, 44
	s_mov_b64 s[0:1], -1
	s_cbranch_scc0 .LBB198_291
; %bb.288:
	v_xor_b32_e32 v5, v0, v1
	v_ffbh_i32_e32 v4, v1
	v_ashrrev_i32_e32 v5, 31, v5
	v_add_u32_e32 v4, -1, v4
	v_add_u32_e32 v5, 32, v5
	v_min_u32_e32 v6, v4, v5
	v_lshlrev_b64 v[4:5], v6, v[0:1]
	s_movk_i32 s0, 0xff
	v_min_u32_e32 v4, 1, v4
	v_or_b32_e32 v4, v5, v4
	v_cvt_f32_i32_e32 v4, v4
	v_sub_u32_e32 v5, 32, v6
	v_mov_b32_e32 v6, 0xff
	v_ldexp_f32 v4, v4, v5
	v_bfe_u32 v5, v4, 23, 8
	v_cmp_ne_u32_e32 vcc, s0, v5
	s_and_saveexec_b64 s[22:23], vcc
; %bb.289:
	s_mov_b32 s0, 0x3fffff
	v_lshrrev_b32_e32 v6, 23, v4
	v_and_b32_e32 v7, 0x400000, v4
	v_and_or_b32 v4, v4, s0, v5
	v_cmp_ne_u32_e32 vcc, 0, v7
	v_cmp_ne_u32_e64 s[0:1], 0, v4
	s_and_b64 s[0:1], vcc, s[0:1]
	v_cndmask_b32_e64 v4, 0, 1, s[0:1]
	v_add_u32_e32 v6, v6, v4
; %bb.290:
	s_or_b64 exec, exec, s[22:23]
	s_mov_b64 s[22:23], -1
	s_mov_b64 s[0:1], 0
	global_store_byte v[2:3], v6, off
.LBB198_291:
	s_mov_b64 s[26:27], 0
.LBB198_292:
	s_and_b64 vcc, exec, s[26:27]
	s_cbranch_vccz .LBB198_295
; %bb.293:
	s_cmp_eq_u32 s31, 29
	s_mov_b64 s[0:1], -1
	s_cbranch_scc0 .LBB198_295
; %bb.294:
	global_store_dwordx2 v[2:3], v[0:1], off
	s_mov_b64 s[22:23], -1
	s_mov_b64 s[0:1], 0
.LBB198_295:
	s_mov_b64 s[26:27], 0
.LBB198_296:
	s_and_b64 vcc, exec, s[26:27]
	s_cbranch_vccz .LBB198_312
; %bb.297:
	s_cmp_lt_i32 s31, 27
	s_mov_b64 s[22:23], -1
	s_cbranch_scc1 .LBB198_303
; %bb.298:
	s_cmp_gt_i32 s31, 27
	s_cbranch_scc0 .LBB198_300
; %bb.299:
	s_mov_b64 s[22:23], 0
	global_store_dword v[2:3], v0, off
.LBB198_300:
	s_andn2_b64 vcc, exec, s[22:23]
	s_cbranch_vccnz .LBB198_302
; %bb.301:
	global_store_short v[2:3], v0, off
.LBB198_302:
	s_mov_b64 s[22:23], 0
.LBB198_303:
	s_andn2_b64 vcc, exec, s[22:23]
	s_cbranch_vccnz .LBB198_311
; %bb.304:
	v_xor_b32_e32 v5, v0, v1
	v_ffbh_i32_e32 v4, v1
	v_ashrrev_i32_e32 v5, 31, v5
	v_add_u32_e32 v4, -1, v4
	v_add_u32_e32 v5, 32, v5
	v_min_u32_e32 v6, v4, v5
	v_lshlrev_b64 v[4:5], v6, v[0:1]
	s_mov_b32 s22, 0x43800000
	v_min_u32_e32 v4, 1, v4
	v_or_b32_e32 v4, v5, v4
	v_cvt_f32_i32_e32 v4, v4
	v_sub_u32_e32 v5, 32, v6
	v_mov_b32_e32 v6, 0x80
	v_ldexp_f32 v4, v4, v5
	v_and_b32_e32 v5, 0x7fffffff, v4
	v_cmp_gt_u32_e32 vcc, s22, v5
	s_and_saveexec_b64 s[22:23], vcc
	s_cbranch_execz .LBB198_310
; %bb.305:
	s_mov_b32 s26, 0x3bffffff
	v_cmp_lt_u32_e32 vcc, s26, v5
	s_mov_b64 s[26:27], 0
                                        ; implicit-def: $vgpr5
	s_and_saveexec_b64 s[28:29], vcc
	s_xor_b64 s[28:29], exec, s[28:29]
	s_cbranch_execz .LBB198_518
; %bb.306:
	v_bfe_u32 v5, v4, 20, 1
	s_mov_b32 s34, 0x487ffff
	v_add3_u32 v5, v4, v5, s34
	s_mov_b64 s[26:27], exec
	v_lshrrev_b32_e32 v5, 20, v5
	s_andn2_saveexec_b64 s[28:29], s[28:29]
	s_cbranch_execnz .LBB198_519
.LBB198_307:
	s_or_b64 exec, exec, s[28:29]
	v_mov_b32_e32 v6, 0
	s_and_saveexec_b64 s[28:29], s[26:27]
.LBB198_308:
	v_lshrrev_b32_e32 v4, 24, v4
	s_movk_i32 s26, 0x80
	v_and_or_b32 v6, v4, s26, v5
.LBB198_309:
	s_or_b64 exec, exec, s[28:29]
.LBB198_310:
	s_or_b64 exec, exec, s[22:23]
	global_store_byte v[2:3], v6, off
.LBB198_311:
	s_mov_b64 s[22:23], -1
.LBB198_312:
	s_mov_b64 s[26:27], 0
.LBB198_313:
	s_and_b64 vcc, exec, s[26:27]
	s_cbranch_vccz .LBB198_354
; %bb.314:
	s_cmp_gt_i32 s31, 22
	s_mov_b64 s[26:27], -1
	s_cbranch_scc0 .LBB198_346
; %bb.315:
	s_cmp_lt_i32 s31, 24
	s_mov_b64 s[22:23], -1
	s_cbranch_scc1 .LBB198_335
; %bb.316:
	s_cmp_gt_i32 s31, 24
	s_cbranch_scc0 .LBB198_324
; %bb.317:
	v_xor_b32_e32 v5, v0, v1
	v_ffbh_i32_e32 v4, v1
	v_ashrrev_i32_e32 v5, 31, v5
	v_add_u32_e32 v4, -1, v4
	v_add_u32_e32 v5, 32, v5
	v_min_u32_e32 v6, v4, v5
	v_lshlrev_b64 v[4:5], v6, v[0:1]
	s_mov_b32 s22, 0x47800000
	v_min_u32_e32 v4, 1, v4
	v_or_b32_e32 v4, v5, v4
	v_cvt_f32_i32_e32 v4, v4
	v_sub_u32_e32 v5, 32, v6
	v_mov_b32_e32 v6, 0x80
	v_ldexp_f32 v4, v4, v5
	v_and_b32_e32 v5, 0x7fffffff, v4
	v_cmp_gt_u32_e32 vcc, s22, v5
	s_and_saveexec_b64 s[22:23], vcc
	s_cbranch_execz .LBB198_323
; %bb.318:
	s_mov_b32 s26, 0x37ffffff
	v_cmp_lt_u32_e32 vcc, s26, v5
	s_mov_b64 s[26:27], 0
                                        ; implicit-def: $vgpr5
	s_and_saveexec_b64 s[28:29], vcc
	s_xor_b64 s[28:29], exec, s[28:29]
	s_cbranch_execz .LBB198_521
; %bb.319:
	v_bfe_u32 v5, v4, 21, 1
	s_mov_b32 s34, 0x88fffff
	v_add3_u32 v5, v4, v5, s34
	s_mov_b64 s[26:27], exec
	v_lshrrev_b32_e32 v5, 21, v5
	s_andn2_saveexec_b64 s[28:29], s[28:29]
	s_cbranch_execnz .LBB198_522
.LBB198_320:
	s_or_b64 exec, exec, s[28:29]
	v_mov_b32_e32 v6, 0
	s_and_saveexec_b64 s[28:29], s[26:27]
.LBB198_321:
	v_lshrrev_b32_e32 v4, 24, v4
	s_movk_i32 s26, 0x80
	v_and_or_b32 v6, v4, s26, v5
.LBB198_322:
	s_or_b64 exec, exec, s[28:29]
.LBB198_323:
	s_or_b64 exec, exec, s[22:23]
	s_mov_b64 s[22:23], 0
	global_store_byte v[2:3], v6, off
.LBB198_324:
	s_and_b64 vcc, exec, s[22:23]
	s_cbranch_vccz .LBB198_334
; %bb.325:
	v_xor_b32_e32 v5, v0, v1
	v_ffbh_i32_e32 v4, v1
	v_ashrrev_i32_e32 v5, 31, v5
	v_add_u32_e32 v4, -1, v4
	v_add_u32_e32 v5, 32, v5
	v_min_u32_e32 v6, v4, v5
	v_lshlrev_b64 v[4:5], v6, v[0:1]
	s_mov_b32 s22, 0x43f00000
	v_min_u32_e32 v4, 1, v4
	v_or_b32_e32 v4, v5, v4
	v_cvt_f32_i32_e32 v4, v4
	v_sub_u32_e32 v5, 32, v6
	v_ldexp_f32 v4, v4, v5
	v_and_b32_e32 v6, 0x7fffffff, v4
	v_cmp_gt_u32_e32 vcc, s22, v6
                                        ; implicit-def: $vgpr5
	s_and_saveexec_b64 s[22:23], vcc
	s_xor_b64 s[22:23], exec, s[22:23]
	s_cbranch_execz .LBB198_331
; %bb.326:
	s_mov_b32 s26, 0x3c7fffff
	v_cmp_lt_u32_e32 vcc, s26, v6
                                        ; implicit-def: $vgpr5
	s_and_saveexec_b64 s[26:27], vcc
	s_xor_b64 s[26:27], exec, s[26:27]
; %bb.327:
	v_bfe_u32 v5, v4, 20, 1
	s_mov_b32 s28, 0x407ffff
	v_add3_u32 v5, v4, v5, s28
	v_lshrrev_b32_e32 v6, 20, v5
	v_and_b32_e32 v5, 0xff00000, v5
	s_mov_b32 s28, 0x7f00000
	v_mov_b32_e32 v7, 0x7e
	v_cmp_ne_u32_e32 vcc, s28, v5
	v_cndmask_b32_e32 v5, v7, v6, vcc
; %bb.328:
	s_andn2_saveexec_b64 s[26:27], s[26:27]
; %bb.329:
	s_mov_b32 s28, 0x46800000
	v_add_f32_e64 v5, |v4|, s28
; %bb.330:
	s_or_b64 exec, exec, s[26:27]
                                        ; implicit-def: $vgpr6
.LBB198_331:
	s_andn2_saveexec_b64 s[22:23], s[22:23]
; %bb.332:
	s_mov_b32 s26, 0x7f800000
	v_mov_b32_e32 v5, 0x7e
	v_mov_b32_e32 v7, 0x7f
	v_cmp_lt_u32_e32 vcc, s26, v6
	v_cndmask_b32_e32 v5, v5, v7, vcc
; %bb.333:
	s_or_b64 exec, exec, s[22:23]
	v_lshrrev_b32_e32 v4, 24, v4
	s_movk_i32 s22, 0x80
	v_and_or_b32 v4, v4, s22, v5
	global_store_byte v[2:3], v4, off
.LBB198_334:
	s_mov_b64 s[22:23], 0
.LBB198_335:
	s_andn2_b64 vcc, exec, s[22:23]
	s_cbranch_vccnz .LBB198_345
; %bb.336:
	v_xor_b32_e32 v5, v0, v1
	v_ffbh_i32_e32 v4, v1
	v_ashrrev_i32_e32 v5, 31, v5
	v_add_u32_e32 v4, -1, v4
	v_add_u32_e32 v5, 32, v5
	v_min_u32_e32 v6, v4, v5
	v_lshlrev_b64 v[4:5], v6, v[0:1]
	s_mov_b32 s22, 0x47800000
	v_min_u32_e32 v4, 1, v4
	v_or_b32_e32 v4, v5, v4
	v_cvt_f32_i32_e32 v4, v4
	v_sub_u32_e32 v5, 32, v6
	v_ldexp_f32 v4, v4, v5
	v_and_b32_e32 v6, 0x7fffffff, v4
	v_cmp_gt_u32_e32 vcc, s22, v6
                                        ; implicit-def: $vgpr5
	s_and_saveexec_b64 s[22:23], vcc
	s_xor_b64 s[22:23], exec, s[22:23]
	s_cbranch_execz .LBB198_342
; %bb.337:
	s_mov_b32 s26, 0x387fffff
	v_cmp_lt_u32_e32 vcc, s26, v6
                                        ; implicit-def: $vgpr5
	s_and_saveexec_b64 s[26:27], vcc
	s_xor_b64 s[26:27], exec, s[26:27]
; %bb.338:
	v_bfe_u32 v5, v4, 21, 1
	s_mov_b32 s28, 0x80fffff
	v_add3_u32 v5, v4, v5, s28
	v_lshrrev_b32_e32 v5, 21, v5
; %bb.339:
	s_andn2_saveexec_b64 s[26:27], s[26:27]
; %bb.340:
	s_mov_b32 s28, 0x43000000
	v_add_f32_e64 v5, |v4|, s28
; %bb.341:
	s_or_b64 exec, exec, s[26:27]
                                        ; implicit-def: $vgpr6
.LBB198_342:
	s_andn2_saveexec_b64 s[22:23], s[22:23]
; %bb.343:
	s_mov_b32 s26, 0x7f800000
	v_mov_b32_e32 v5, 0x7c
	v_mov_b32_e32 v7, 0x7f
	v_cmp_lt_u32_e32 vcc, s26, v6
	v_cndmask_b32_e32 v5, v5, v7, vcc
; %bb.344:
	s_or_b64 exec, exec, s[22:23]
	v_lshrrev_b32_e32 v4, 24, v4
	s_movk_i32 s22, 0x80
	v_and_or_b32 v4, v4, s22, v5
	global_store_byte v[2:3], v4, off
.LBB198_345:
	s_mov_b64 s[26:27], 0
	s_mov_b64 s[22:23], -1
.LBB198_346:
	s_andn2_b64 vcc, exec, s[26:27]
	s_cbranch_vccnz .LBB198_354
; %bb.347:
	s_cmp_gt_i32 s31, 14
	s_mov_b64 s[26:27], -1
	s_cbranch_scc0 .LBB198_351
; %bb.348:
	s_cmp_eq_u32 s31, 15
	s_mov_b64 s[0:1], -1
	s_cbranch_scc0 .LBB198_350
; %bb.349:
	v_xor_b32_e32 v5, v0, v1
	v_ffbh_i32_e32 v4, v1
	v_ashrrev_i32_e32 v5, 31, v5
	v_add_u32_e32 v4, -1, v4
	v_add_u32_e32 v5, 32, v5
	v_min_u32_e32 v6, v4, v5
	v_lshlrev_b64 v[4:5], v6, v[0:1]
	s_movk_i32 s0, 0x7fff
	v_min_u32_e32 v4, 1, v4
	v_or_b32_e32 v4, v5, v4
	v_cvt_f32_i32_e32 v4, v4
	v_sub_u32_e32 v5, 32, v6
	s_mov_b64 s[22:23], -1
	v_ldexp_f32 v4, v4, v5
	v_bfe_u32 v5, v4, 16, 1
	v_add3_u32 v4, v4, v5, s0
	global_store_short_d16_hi v[2:3], v4, off
	s_mov_b64 s[0:1], 0
.LBB198_350:
	s_mov_b64 s[26:27], 0
.LBB198_351:
	s_and_b64 vcc, exec, s[26:27]
	s_cbranch_vccz .LBB198_354
; %bb.352:
	s_cmp_eq_u32 s31, 11
	s_mov_b64 s[0:1], -1
	s_cbranch_scc0 .LBB198_354
; %bb.353:
	v_cmp_ne_u64_e32 vcc, 0, v[0:1]
	s_mov_b64 s[0:1], 0
	v_cndmask_b32_e64 v4, 0, 1, vcc
	s_mov_b64 s[22:23], -1
	global_store_byte v[2:3], v4, off
.LBB198_354:
	s_mov_b64 s[26:27], 0
.LBB198_355:
	s_and_b64 vcc, exec, s[26:27]
	s_cbranch_vccz .LBB198_394
; %bb.356:
	s_and_b32 s26, 0xffff, s30
	s_cmp_lt_i32 s26, 5
	s_mov_b64 s[22:23], -1
	s_cbranch_scc1 .LBB198_377
; %bb.357:
	s_cmp_lt_i32 s26, 8
	s_cbranch_scc1 .LBB198_367
; %bb.358:
	s_cmp_lt_i32 s26, 9
	s_cbranch_scc1 .LBB198_364
; %bb.359:
	s_cmp_gt_i32 s26, 9
	s_cbranch_scc0 .LBB198_361
; %bb.360:
	v_cvt_f64_i32_e32 v[4:5], v1
	v_cvt_f64_u32_e32 v[6:7], v0
	s_mov_b64 s[22:23], 0
	v_ldexp_f64 v[4:5], v[4:5], 32
	v_add_f64 v[4:5], v[4:5], v[6:7]
	v_mov_b32_e32 v6, 0
	v_mov_b32_e32 v7, v6
	global_store_dwordx4 v[2:3], v[4:7], off
.LBB198_361:
	s_andn2_b64 vcc, exec, s[22:23]
	s_cbranch_vccnz .LBB198_363
; %bb.362:
	v_xor_b32_e32 v5, v0, v1
	v_ffbh_i32_e32 v4, v1
	v_ashrrev_i32_e32 v5, 31, v5
	v_add_u32_e32 v4, -1, v4
	v_add_u32_e32 v5, 32, v5
	v_min_u32_e32 v6, v4, v5
	v_lshlrev_b64 v[4:5], v6, v[0:1]
	v_min_u32_e32 v4, 1, v4
	v_or_b32_e32 v4, v5, v4
	v_cvt_f32_i32_e32 v4, v4
	v_sub_u32_e32 v5, 32, v6
	v_ldexp_f32 v4, v4, v5
	v_mov_b32_e32 v5, 0
	global_store_dwordx2 v[2:3], v[4:5], off
.LBB198_363:
	s_mov_b64 s[22:23], 0
.LBB198_364:
	s_andn2_b64 vcc, exec, s[22:23]
	s_cbranch_vccnz .LBB198_366
; %bb.365:
	v_xor_b32_e32 v5, v0, v1
	v_ffbh_i32_e32 v4, v1
	v_ashrrev_i32_e32 v5, 31, v5
	v_add_u32_e32 v4, -1, v4
	v_add_u32_e32 v5, 32, v5
	v_min_u32_e32 v6, v4, v5
	v_lshlrev_b64 v[4:5], v6, v[0:1]
	v_min_u32_e32 v4, 1, v4
	v_or_b32_e32 v4, v5, v4
	v_cvt_f32_i32_e32 v4, v4
	v_sub_u32_e32 v5, 32, v6
	v_ldexp_f32 v4, v4, v5
	v_cvt_f16_f32_e32 v4, v4
	global_store_dword v[2:3], v4, off
.LBB198_366:
	s_mov_b64 s[22:23], 0
.LBB198_367:
	s_andn2_b64 vcc, exec, s[22:23]
	s_cbranch_vccnz .LBB198_376
; %bb.368:
	s_cmp_lt_i32 s26, 6
	s_mov_b64 s[22:23], -1
	s_cbranch_scc1 .LBB198_374
; %bb.369:
	s_cmp_gt_i32 s26, 6
	s_cbranch_scc0 .LBB198_371
; %bb.370:
	v_cvt_f64_i32_e32 v[4:5], v1
	v_cvt_f64_u32_e32 v[6:7], v0
	s_mov_b64 s[22:23], 0
	v_ldexp_f64 v[4:5], v[4:5], 32
	v_add_f64 v[4:5], v[4:5], v[6:7]
	global_store_dwordx2 v[2:3], v[4:5], off
.LBB198_371:
	s_andn2_b64 vcc, exec, s[22:23]
	s_cbranch_vccnz .LBB198_373
; %bb.372:
	v_xor_b32_e32 v5, v0, v1
	v_ffbh_i32_e32 v4, v1
	v_ashrrev_i32_e32 v5, 31, v5
	v_add_u32_e32 v4, -1, v4
	v_add_u32_e32 v5, 32, v5
	v_min_u32_e32 v6, v4, v5
	v_lshlrev_b64 v[4:5], v6, v[0:1]
	v_min_u32_e32 v4, 1, v4
	v_or_b32_e32 v4, v5, v4
	v_cvt_f32_i32_e32 v4, v4
	v_sub_u32_e32 v5, 32, v6
	v_ldexp_f32 v4, v4, v5
	global_store_dword v[2:3], v4, off
.LBB198_373:
	s_mov_b64 s[22:23], 0
.LBB198_374:
	s_andn2_b64 vcc, exec, s[22:23]
	s_cbranch_vccnz .LBB198_376
; %bb.375:
	v_xor_b32_e32 v5, v0, v1
	v_ffbh_i32_e32 v4, v1
	v_ashrrev_i32_e32 v5, 31, v5
	v_add_u32_e32 v4, -1, v4
	v_add_u32_e32 v5, 32, v5
	v_min_u32_e32 v6, v4, v5
	v_lshlrev_b64 v[4:5], v6, v[0:1]
	v_min_u32_e32 v4, 1, v4
	v_or_b32_e32 v4, v5, v4
	v_cvt_f32_i32_e32 v4, v4
	v_sub_u32_e32 v5, 32, v6
	v_ldexp_f32 v4, v4, v5
	v_cvt_f16_f32_e32 v4, v4
	global_store_short v[2:3], v4, off
.LBB198_376:
	s_mov_b64 s[22:23], 0
.LBB198_377:
	s_andn2_b64 vcc, exec, s[22:23]
	s_cbranch_vccnz .LBB198_393
; %bb.378:
	s_cmp_lt_i32 s26, 2
	s_mov_b64 s[22:23], -1
	s_cbranch_scc1 .LBB198_388
; %bb.379:
	s_cmp_lt_i32 s26, 3
	s_cbranch_scc1 .LBB198_385
; %bb.380:
	s_cmp_gt_i32 s26, 3
	s_cbranch_scc0 .LBB198_382
; %bb.381:
	s_mov_b64 s[22:23], 0
	global_store_dwordx2 v[2:3], v[0:1], off
.LBB198_382:
	s_andn2_b64 vcc, exec, s[22:23]
	s_cbranch_vccnz .LBB198_384
; %bb.383:
	global_store_dword v[2:3], v0, off
.LBB198_384:
	s_mov_b64 s[22:23], 0
.LBB198_385:
	s_andn2_b64 vcc, exec, s[22:23]
	s_cbranch_vccnz .LBB198_387
; %bb.386:
	global_store_short v[2:3], v0, off
.LBB198_387:
	s_mov_b64 s[22:23], 0
.LBB198_388:
	s_andn2_b64 vcc, exec, s[22:23]
	s_cbranch_vccnz .LBB198_393
; %bb.389:
	s_cmp_gt_i32 s26, 0
	s_mov_b64 s[22:23], -1
	s_cbranch_scc0 .LBB198_391
; %bb.390:
	s_mov_b64 s[22:23], 0
	global_store_byte v[2:3], v0, off
.LBB198_391:
	s_andn2_b64 vcc, exec, s[22:23]
	s_cbranch_vccnz .LBB198_393
; %bb.392:
	global_store_byte v[2:3], v0, off
.LBB198_393:
	s_mov_b64 s[22:23], -1
.LBB198_394:
	s_andn2_b64 vcc, exec, s[22:23]
	s_cbranch_vccnz .LBB198_396
; %bb.395:
	v_add_u32_e32 v10, 0x80, v10
	s_mov_b64 s[26:27], -1
	s_branch .LBB198_504
.LBB198_396:
	s_mov_b64 s[26:27], 0
                                        ; implicit-def: $vgpr10
	s_branch .LBB198_504
.LBB198_397:
	s_mov_b64 s[20:21], -1
                                        ; implicit-def: $vgpr2_vgpr3
.LBB198_398:
	s_mov_b64 s[22:23], 0
.LBB198_399:
	s_and_b64 vcc, exec, s[22:23]
	s_cbranch_vccz .LBB198_403
; %bb.400:
	s_cmp_eq_u32 s26, 29
	s_cbranch_scc0 .LBB198_402
; %bb.401:
	global_load_dwordx2 v[2:3], v[0:1], off
	s_mov_b64 s[0:1], -1
	s_mov_b64 s[20:21], 0
	s_branch .LBB198_403
.LBB198_402:
	s_mov_b64 s[20:21], -1
                                        ; implicit-def: $vgpr2_vgpr3
.LBB198_403:
	s_mov_b64 s[22:23], 0
.LBB198_404:
	s_and_b64 vcc, exec, s[22:23]
	s_cbranch_vccz .LBB198_422
; %bb.405:
	s_cmp_lt_i32 s26, 27
	s_cbranch_scc1 .LBB198_408
; %bb.406:
	s_cmp_gt_i32 s26, 27
	s_cbranch_scc0 .LBB198_409
; %bb.407:
	global_load_dword v2, v[0:1], off
	s_waitcnt vmcnt(1)
	v_mov_b32_e32 v3, 0
	s_mov_b64 s[0:1], 0
	s_branch .LBB198_410
.LBB198_408:
	s_mov_b64 s[0:1], -1
                                        ; implicit-def: $vgpr2_vgpr3
	s_branch .LBB198_413
.LBB198_409:
	s_mov_b64 s[0:1], -1
                                        ; implicit-def: $vgpr2_vgpr3
.LBB198_410:
	s_andn2_b64 vcc, exec, s[0:1]
	s_cbranch_vccnz .LBB198_412
; %bb.411:
	global_load_ushort v2, v[0:1], off
	s_mov_b32 s0, 0
	s_waitcnt vmcnt(1)
	v_mov_b32_e32 v3, s0
	s_waitcnt vmcnt(0)
	v_and_b32_e32 v2, 0xffff, v2
.LBB198_412:
	s_mov_b64 s[0:1], 0
.LBB198_413:
	s_andn2_b64 vcc, exec, s[0:1]
	s_cbranch_vccnz .LBB198_421
; %bb.414:
	global_load_ubyte v4, v[0:1], off
	s_movk_i32 s0, 0x7f
	s_mov_b64 s[22:23], 0
	s_waitcnt vmcnt(0)
	v_cmp_lt_i16_e32 vcc, s0, v4
	s_and_saveexec_b64 s[0:1], vcc
	s_xor_b64 s[0:1], exec, s[0:1]
; %bb.415:
	s_movk_i32 s22, 0x80
	v_cmp_ne_u16_e32 vcc, s22, v4
	s_and_b64 s[22:23], vcc, exec
; %bb.416:
	s_andn2_saveexec_b64 s[0:1], s[0:1]
; %bb.417:
	v_cmp_ne_u16_e32 vcc, 0, v4
	s_andn2_b64 s[22:23], s[22:23], exec
	s_and_b64 s[28:29], vcc, exec
	s_or_b64 s[22:23], s[22:23], s[28:29]
; %bb.418:
	s_or_b64 exec, exec, s[0:1]
	v_mov_b32_e32 v2, 0
	v_mov_b32_e32 v3, 0
	s_and_saveexec_b64 s[0:1], s[22:23]
	s_cbranch_execz .LBB198_420
; %bb.419:
	v_and_b32_e32 v3, 0xffff, v4
	v_lshlrev_b32_e32 v2, 24, v4
	v_and_b32_e32 v4, 7, v3
	v_ffbh_u32_e32 v6, v4
	v_min_u32_e32 v6, 32, v6
	v_subrev_u32_e32 v7, 28, v6
	v_bfe_u32 v5, v3, 3, 4
	v_lshlrev_b32_e32 v3, v7, v3
	v_sub_u32_e32 v6, 29, v6
	v_and_b32_e32 v3, 7, v3
	v_cmp_eq_u32_e32 vcc, 0, v5
	v_cndmask_b32_e32 v5, v5, v6, vcc
	v_cndmask_b32_e32 v3, v4, v3, vcc
	v_mov_b32_e32 v4, 0x3b800000
	v_lshlrev_b32_e32 v3, 20, v3
	v_and_b32_e32 v2, 0x80000000, v2
	v_lshl_add_u32 v4, v5, 23, v4
	v_or3_b32 v2, v2, v4, v3
	v_trunc_f32_e32 v2, v2
	s_mov_b32 s22, 0x2f800000
	v_mul_f32_e64 v3, |v2|, s22
	v_floor_f32_e32 v3, v3
	s_mov_b32 s22, 0xcf800000
	v_fma_f32 v4, v3, s22, |v2|
	v_cvt_u32_f32_e32 v4, v4
	v_cvt_u32_f32_e32 v3, v3
	v_ashrrev_i32_e32 v5, 31, v2
	v_xor_b32_e32 v2, v4, v5
	v_xor_b32_e32 v3, v3, v5
	v_sub_co_u32_e32 v2, vcc, v2, v5
	v_subb_co_u32_e32 v3, vcc, v3, v5, vcc
.LBB198_420:
	s_or_b64 exec, exec, s[0:1]
.LBB198_421:
	s_mov_b64 s[0:1], -1
.LBB198_422:
	s_mov_b64 s[22:23], 0
.LBB198_423:
	s_and_b64 vcc, exec, s[22:23]
	s_cbranch_vccz .LBB198_454
; %bb.424:
	s_cmp_gt_i32 s26, 22
	s_cbranch_scc0 .LBB198_434
; %bb.425:
	s_cmp_lt_i32 s26, 24
	s_cbranch_scc1 .LBB198_435
; %bb.426:
	s_cmp_gt_i32 s26, 24
	s_cbranch_scc0 .LBB198_436
; %bb.427:
	global_load_ubyte v4, v[0:1], off
	s_movk_i32 s0, 0x7f
	s_mov_b64 s[22:23], 0
	s_waitcnt vmcnt(0)
	v_cmp_lt_i16_e32 vcc, s0, v4
	s_and_saveexec_b64 s[0:1], vcc
	s_xor_b64 s[0:1], exec, s[0:1]
; %bb.428:
	s_movk_i32 s22, 0x80
	v_cmp_ne_u16_e32 vcc, s22, v4
	s_and_b64 s[22:23], vcc, exec
; %bb.429:
	s_andn2_saveexec_b64 s[0:1], s[0:1]
; %bb.430:
	v_cmp_ne_u16_e32 vcc, 0, v4
	s_andn2_b64 s[22:23], s[22:23], exec
	s_and_b64 s[28:29], vcc, exec
	s_or_b64 s[22:23], s[22:23], s[28:29]
; %bb.431:
	s_or_b64 exec, exec, s[0:1]
	v_mov_b32_e32 v2, 0
	v_mov_b32_e32 v3, 0
	s_and_saveexec_b64 s[0:1], s[22:23]
	s_cbranch_execz .LBB198_433
; %bb.432:
	v_and_b32_e32 v3, 0xffff, v4
	v_lshlrev_b32_e32 v2, 24, v4
	v_and_b32_e32 v4, 3, v3
	v_ffbh_u32_e32 v6, v4
	v_min_u32_e32 v6, 32, v6
	v_subrev_u32_e32 v7, 29, v6
	v_bfe_u32 v5, v3, 2, 5
	v_lshlrev_b32_e32 v3, v7, v3
	v_sub_u32_e32 v6, 30, v6
	v_and_b32_e32 v3, 3, v3
	v_cmp_eq_u32_e32 vcc, 0, v5
	v_cndmask_b32_e32 v5, v5, v6, vcc
	v_cndmask_b32_e32 v3, v4, v3, vcc
	v_mov_b32_e32 v4, 0x37800000
	v_lshlrev_b32_e32 v3, 21, v3
	v_and_b32_e32 v2, 0x80000000, v2
	v_lshl_add_u32 v4, v5, 23, v4
	v_or3_b32 v2, v2, v4, v3
	v_trunc_f32_e32 v2, v2
	s_mov_b32 s22, 0x2f800000
	v_mul_f32_e64 v3, |v2|, s22
	v_floor_f32_e32 v3, v3
	s_mov_b32 s22, 0xcf800000
	v_fma_f32 v4, v3, s22, |v2|
	v_cvt_u32_f32_e32 v4, v4
	v_cvt_u32_f32_e32 v3, v3
	v_ashrrev_i32_e32 v5, 31, v2
	v_xor_b32_e32 v2, v4, v5
	v_xor_b32_e32 v3, v3, v5
	v_sub_co_u32_e32 v2, vcc, v2, v5
	v_subb_co_u32_e32 v3, vcc, v3, v5, vcc
.LBB198_433:
	s_or_b64 exec, exec, s[0:1]
	s_mov_b64 s[0:1], 0
	s_branch .LBB198_437
.LBB198_434:
	s_mov_b64 s[22:23], -1
                                        ; implicit-def: $vgpr2_vgpr3
	s_branch .LBB198_443
.LBB198_435:
	s_mov_b64 s[0:1], -1
                                        ; implicit-def: $vgpr2_vgpr3
	s_branch .LBB198_440
.LBB198_436:
	s_mov_b64 s[0:1], -1
                                        ; implicit-def: $vgpr2_vgpr3
.LBB198_437:
	s_and_b64 vcc, exec, s[0:1]
	s_cbranch_vccz .LBB198_439
; %bb.438:
	global_load_ubyte v2, v[0:1], off
	s_mov_b32 s0, 0x7f800000
	s_brev_b32 s1, 1
	s_mov_b32 s22, 0x2f800000
	s_mov_b32 s23, 0xcf800000
	s_waitcnt vmcnt(0)
	v_lshlrev_b32_e32 v2, 24, v2
	v_and_b32_e32 v3, 0x7f000000, v2
	v_ffbh_u32_e32 v4, v3
	v_min_u32_e32 v4, 32, v4
	v_sub_u32_e64 v4, v4, 4 clamp
	v_lshlrev_b32_e32 v6, v4, v3
	v_lshlrev_b32_e32 v4, 23, v4
	v_lshrrev_b32_e32 v6, 4, v6
	v_add_u32_e32 v5, 0x1000000, v3
	v_sub_u32_e32 v4, v6, v4
	v_ashrrev_i32_e32 v5, 8, v5
	v_add_u32_e32 v4, 0x3c000000, v4
	v_and_or_b32 v4, v5, s0, v4
	v_cmp_ne_u32_e32 vcc, 0, v3
	v_cndmask_b32_e32 v3, 0, v4, vcc
	v_and_or_b32 v2, v2, s1, v3
	v_trunc_f32_e32 v2, v2
	v_mul_f32_e64 v3, |v2|, s22
	v_floor_f32_e32 v3, v3
	v_fma_f32 v4, v3, s23, |v2|
	v_cvt_u32_f32_e32 v4, v4
	v_cvt_u32_f32_e32 v3, v3
	v_ashrrev_i32_e32 v5, 31, v2
	v_xor_b32_e32 v2, v4, v5
	v_xor_b32_e32 v3, v3, v5
	v_sub_co_u32_e32 v2, vcc, v2, v5
	v_subb_co_u32_e32 v3, vcc, v3, v5, vcc
.LBB198_439:
	s_mov_b64 s[0:1], 0
.LBB198_440:
	s_andn2_b64 vcc, exec, s[0:1]
	s_cbranch_vccnz .LBB198_442
; %bb.441:
	global_load_ubyte v2, v[0:1], off
	s_movk_i32 s0, 0x7f00
	s_brev_b32 s1, 16
	s_brev_b32 s22, 1
	s_mov_b32 s23, 0x2f800000
	s_mov_b32 s27, 0xcf800000
	s_waitcnt vmcnt(0)
	v_lshlrev_b16_e32 v3, 8, v2
	v_lshlrev_b32_e32 v2, 25, v2
	v_lshrrev_b32_e32 v4, 4, v2
	v_and_or_b32 v5, v3, s0, 0.5
	v_or_b32_e32 v4, 0x70000000, v4
	v_add_f32_e32 v5, -0.5, v5
	v_mul_f32_e32 v4, 0x7800000, v4
	v_cmp_gt_u32_e32 vcc, s1, v2
	v_bfe_i32 v3, v3, 0, 16
	v_cndmask_b32_e32 v2, v4, v5, vcc
	v_and_or_b32 v2, v3, s22, v2
	v_trunc_f32_e32 v2, v2
	v_mul_f32_e64 v3, |v2|, s23
	v_floor_f32_e32 v3, v3
	v_fma_f32 v4, v3, s27, |v2|
	v_cvt_u32_f32_e32 v4, v4
	v_cvt_u32_f32_e32 v3, v3
	v_ashrrev_i32_e32 v5, 31, v2
	v_xor_b32_e32 v2, v4, v5
	v_xor_b32_e32 v3, v3, v5
	v_sub_co_u32_e32 v2, vcc, v2, v5
	v_subb_co_u32_e32 v3, vcc, v3, v5, vcc
.LBB198_442:
	s_mov_b64 s[22:23], 0
	s_mov_b64 s[0:1], -1
.LBB198_443:
	s_andn2_b64 vcc, exec, s[22:23]
	s_cbranch_vccnz .LBB198_454
; %bb.444:
	s_cmp_gt_i32 s26, 14
	s_cbranch_scc0 .LBB198_447
; %bb.445:
	s_cmp_eq_u32 s26, 15
	s_cbranch_scc0 .LBB198_448
; %bb.446:
	global_load_ushort v2, v[0:1], off
	s_mov_b32 s0, 0x2f800000
	s_mov_b32 s1, 0xcf800000
	s_mov_b64 s[20:21], 0
	s_waitcnt vmcnt(0)
	v_lshlrev_b32_e32 v2, 16, v2
	v_trunc_f32_e32 v2, v2
	v_mul_f32_e64 v3, |v2|, s0
	v_floor_f32_e32 v3, v3
	v_fma_f32 v4, v3, s1, |v2|
	v_cvt_u32_f32_e32 v4, v4
	v_cvt_u32_f32_e32 v3, v3
	v_ashrrev_i32_e32 v5, 31, v2
	s_mov_b64 s[0:1], -1
	v_xor_b32_e32 v2, v4, v5
	v_xor_b32_e32 v3, v3, v5
	v_sub_co_u32_e32 v2, vcc, v2, v5
	v_subb_co_u32_e32 v3, vcc, v3, v5, vcc
	s_branch .LBB198_449
.LBB198_447:
	s_mov_b64 s[22:23], -1
                                        ; implicit-def: $vgpr2_vgpr3
	s_branch .LBB198_450
.LBB198_448:
	s_mov_b64 s[20:21], -1
                                        ; implicit-def: $vgpr2_vgpr3
.LBB198_449:
	s_mov_b64 s[22:23], 0
.LBB198_450:
	s_and_b64 vcc, exec, s[22:23]
	s_cbranch_vccz .LBB198_454
; %bb.451:
	s_cmp_eq_u32 s26, 11
	s_cbranch_scc0 .LBB198_453
; %bb.452:
	global_load_ubyte v2, v[0:1], off
	s_mov_b32 s20, 0
	s_mov_b64 s[0:1], -1
	s_waitcnt vmcnt(1)
	v_mov_b32_e32 v3, s20
	s_mov_b64 s[20:21], 0
	s_waitcnt vmcnt(0)
	v_cmp_ne_u16_e32 vcc, 0, v2
	v_cndmask_b32_e64 v2, 0, 1, vcc
	s_branch .LBB198_454
.LBB198_453:
	s_mov_b64 s[20:21], -1
                                        ; implicit-def: $vgpr2_vgpr3
.LBB198_454:
	s_branch .LBB198_261
.LBB198_455:
	s_cmp_lt_i32 s26, 5
	s_cbranch_scc1 .LBB198_460
; %bb.456:
	s_cmp_lt_i32 s26, 8
	s_cbranch_scc1 .LBB198_461
; %bb.457:
	;; [unrolled: 3-line block ×3, first 2 shown]
	s_cmp_gt_i32 s26, 9
	s_cbranch_scc0 .LBB198_463
; %bb.459:
	global_load_dwordx2 v[2:3], v[0:1], off
	s_movk_i32 s0, 0xffe0
	s_waitcnt vmcnt(0)
	v_trunc_f64_e32 v[2:3], v[2:3]
	v_ldexp_f64 v[4:5], v[2:3], s0
	s_mov_b32 s0, 0
	s_mov_b32 s1, 0xc1f00000
	v_floor_f64_e32 v[4:5], v[4:5]
	v_fma_f64 v[6:7], v[4:5], s[0:1], v[2:3]
	v_cvt_i32_f64_e32 v3, v[4:5]
	s_mov_b64 s[0:1], 0
	v_cvt_u32_f64_e32 v2, v[6:7]
	s_branch .LBB198_464
.LBB198_460:
	s_mov_b64 s[0:1], -1
                                        ; implicit-def: $vgpr2_vgpr3
	s_branch .LBB198_482
.LBB198_461:
	s_mov_b64 s[0:1], -1
                                        ; implicit-def: $vgpr2_vgpr3
	s_branch .LBB198_470
.LBB198_462:
	s_mov_b64 s[0:1], -1
                                        ; implicit-def: $vgpr2_vgpr3
	s_branch .LBB198_467
.LBB198_463:
	s_mov_b64 s[0:1], -1
                                        ; implicit-def: $vgpr2_vgpr3
.LBB198_464:
	s_andn2_b64 vcc, exec, s[0:1]
	s_cbranch_vccnz .LBB198_466
; %bb.465:
	global_load_dword v2, v[0:1], off
	s_mov_b32 s0, 0x2f800000
	s_mov_b32 s1, 0xcf800000
	s_waitcnt vmcnt(0)
	v_trunc_f32_e32 v2, v2
	v_mul_f32_e64 v3, |v2|, s0
	v_floor_f32_e32 v3, v3
	v_cvt_u32_f32_e32 v4, v3
	v_fma_f32 v3, v3, s1, |v2|
	v_cvt_u32_f32_e32 v3, v3
	v_ashrrev_i32_e32 v5, 31, v2
	v_xor_b32_e32 v4, v4, v5
	v_xor_b32_e32 v2, v3, v5
	v_sub_co_u32_e32 v2, vcc, v2, v5
	v_subb_co_u32_e32 v3, vcc, v4, v5, vcc
.LBB198_466:
	s_mov_b64 s[0:1], 0
.LBB198_467:
	s_andn2_b64 vcc, exec, s[0:1]
	s_cbranch_vccnz .LBB198_469
; %bb.468:
	global_load_dword v2, v[0:1], off
	s_waitcnt vmcnt(0)
	v_cvt_f32_f16_e32 v2, v2
	v_cvt_i32_f32_e32 v2, v2
	v_ashrrev_i32_e32 v3, 31, v2
.LBB198_469:
	s_mov_b64 s[0:1], 0
.LBB198_470:
	s_andn2_b64 vcc, exec, s[0:1]
	s_cbranch_vccnz .LBB198_481
; %bb.471:
	s_cmp_lt_i32 s26, 6
	s_cbranch_scc1 .LBB198_474
; %bb.472:
	s_cmp_gt_i32 s26, 6
	s_cbranch_scc0 .LBB198_475
; %bb.473:
	global_load_dwordx2 v[2:3], v[0:1], off
	s_movk_i32 s0, 0xffe0
	s_waitcnt vmcnt(0)
	v_trunc_f64_e32 v[2:3], v[2:3]
	v_ldexp_f64 v[4:5], v[2:3], s0
	s_mov_b32 s0, 0
	s_mov_b32 s1, 0xc1f00000
	v_floor_f64_e32 v[4:5], v[4:5]
	v_fma_f64 v[6:7], v[4:5], s[0:1], v[2:3]
	v_cvt_i32_f64_e32 v3, v[4:5]
	s_mov_b64 s[0:1], 0
	v_cvt_u32_f64_e32 v2, v[6:7]
	s_branch .LBB198_476
.LBB198_474:
	s_mov_b64 s[0:1], -1
                                        ; implicit-def: $vgpr2_vgpr3
	s_branch .LBB198_479
.LBB198_475:
	s_mov_b64 s[0:1], -1
                                        ; implicit-def: $vgpr2_vgpr3
.LBB198_476:
	s_andn2_b64 vcc, exec, s[0:1]
	s_cbranch_vccnz .LBB198_478
; %bb.477:
	global_load_dword v2, v[0:1], off
	s_mov_b32 s0, 0x2f800000
	s_mov_b32 s1, 0xcf800000
	s_waitcnt vmcnt(0)
	v_trunc_f32_e32 v2, v2
	v_mul_f32_e64 v3, |v2|, s0
	v_floor_f32_e32 v3, v3
	v_cvt_u32_f32_e32 v4, v3
	v_fma_f32 v3, v3, s1, |v2|
	v_cvt_u32_f32_e32 v3, v3
	v_ashrrev_i32_e32 v5, 31, v2
	v_xor_b32_e32 v4, v4, v5
	v_xor_b32_e32 v2, v3, v5
	v_sub_co_u32_e32 v2, vcc, v2, v5
	v_subb_co_u32_e32 v3, vcc, v4, v5, vcc
.LBB198_478:
	s_mov_b64 s[0:1], 0
.LBB198_479:
	s_andn2_b64 vcc, exec, s[0:1]
	s_cbranch_vccnz .LBB198_481
; %bb.480:
	global_load_ushort v2, v[0:1], off
	s_waitcnt vmcnt(0)
	v_cvt_f32_f16_e32 v2, v2
	v_cvt_i32_f32_e32 v2, v2
	v_ashrrev_i32_e32 v3, 31, v2
.LBB198_481:
	s_mov_b64 s[0:1], 0
.LBB198_482:
	s_andn2_b64 vcc, exec, s[0:1]
	s_cbranch_vccnz .LBB198_502
; %bb.483:
	s_cmp_lt_i32 s26, 2
	s_cbranch_scc1 .LBB198_487
; %bb.484:
	s_cmp_lt_i32 s26, 3
	s_cbranch_scc1 .LBB198_488
; %bb.485:
	s_cmp_gt_i32 s26, 3
	s_cbranch_scc0 .LBB198_489
; %bb.486:
	global_load_dwordx2 v[2:3], v[0:1], off
	s_mov_b64 s[0:1], 0
	s_branch .LBB198_490
.LBB198_487:
	s_mov_b64 s[0:1], -1
                                        ; implicit-def: $vgpr2_vgpr3
	s_branch .LBB198_496
.LBB198_488:
	s_mov_b64 s[0:1], -1
                                        ; implicit-def: $vgpr2_vgpr3
	s_branch .LBB198_493
.LBB198_489:
	s_mov_b64 s[0:1], -1
                                        ; implicit-def: $vgpr2_vgpr3
.LBB198_490:
	s_andn2_b64 vcc, exec, s[0:1]
	s_cbranch_vccnz .LBB198_492
; %bb.491:
	global_load_dword v2, v[0:1], off
	s_waitcnt vmcnt(0)
	v_ashrrev_i32_e32 v3, 31, v2
.LBB198_492:
	s_mov_b64 s[0:1], 0
.LBB198_493:
	s_andn2_b64 vcc, exec, s[0:1]
	s_cbranch_vccnz .LBB198_495
; %bb.494:
	global_load_ushort v2, v[0:1], off
	s_waitcnt vmcnt(0)
	v_bfe_i32 v2, v2, 0, 16
	v_ashrrev_i32_e32 v3, 31, v2
.LBB198_495:
	s_mov_b64 s[0:1], 0
.LBB198_496:
	s_andn2_b64 vcc, exec, s[0:1]
	s_cbranch_vccnz .LBB198_502
; %bb.497:
	s_cmp_gt_i32 s26, 0
	s_cbranch_scc0 .LBB198_499
; %bb.498:
	global_load_sbyte v2, v[0:1], off
	s_mov_b64 s[0:1], 0
	s_waitcnt vmcnt(0)
	v_bfe_i32 v2, v2, 0, 16
	v_ashrrev_i32_e32 v3, 31, v2
	s_branch .LBB198_500
.LBB198_499:
	s_mov_b64 s[0:1], -1
                                        ; implicit-def: $vgpr2_vgpr3
.LBB198_500:
	s_andn2_b64 vcc, exec, s[0:1]
	s_cbranch_vccnz .LBB198_502
; %bb.501:
	global_load_ubyte v0, v[0:1], off
	s_mov_b32 s0, 0
	s_waitcnt vmcnt(1)
	v_mov_b32_e32 v3, s0
	s_waitcnt vmcnt(0)
	v_and_b32_e32 v2, 0xffff, v0
.LBB198_502:
	s_branch .LBB198_262
.LBB198_503:
	s_mov_b64 s[26:27], 0
                                        ; implicit-def: $vgpr10
	s_mov_b64 s[0:1], s[14:15]
.LBB198_504:
	s_andn2_b64 s[22:23], s[14:15], exec
	s_and_b64 s[0:1], s[0:1], exec
	s_or_b64 s[22:23], s[22:23], s[0:1]
	s_andn2_b64 s[0:1], s[16:17], exec
	s_and_b64 s[20:21], s[20:21], exec
	s_or_b64 s[20:21], s[0:1], s[20:21]
	s_orn2_b64 s[0:1], s[26:27], exec
.LBB198_505:
	s_or_b64 exec, exec, s[24:25]
	s_mov_b64 s[26:27], 0
	s_mov_b64 s[28:29], 0
	;; [unrolled: 1-line block ×3, first 2 shown]
                                        ; implicit-def: $vgpr0_vgpr1
                                        ; implicit-def: $vgpr4_vgpr5
	s_and_saveexec_b64 s[24:25], s[0:1]
	s_cbranch_execz .LBB198_842
; %bb.506:
	v_cmp_gt_i32_e32 vcc, s40, v10
	s_mov_b64 s[36:37], -1
	s_mov_b64 s[0:1], s[20:21]
	s_mov_b64 s[30:31], s[22:23]
	s_and_saveexec_b64 s[26:27], vcc
	s_cbranch_execz .LBB198_760
; %bb.507:
	v_mul_lo_u32 v0, v10, s13
	v_mov_b32_e32 v1, s11
	s_and_b32 s34, 0xffff, s44
	s_cmp_lt_i32 s34, 11
	s_waitcnt vmcnt(0)
	v_ashrrev_i32_e32 v2, 31, v0
	v_add_co_u32_e32 v0, vcc, s10, v0
	v_addc_co_u32_e32 v1, vcc, v1, v2, vcc
	s_cbranch_scc1 .LBB198_514
; %bb.508:
	s_cmp_gt_i32 s34, 25
	s_cbranch_scc0 .LBB198_515
; %bb.509:
	s_cmp_gt_i32 s34, 28
	s_cbranch_scc0 .LBB198_516
	;; [unrolled: 3-line block ×4, first 2 shown]
; %bb.512:
	s_cmp_eq_u32 s34, 46
	s_mov_b64 s[30:31], 0
	s_cbranch_scc0 .LBB198_523
; %bb.513:
	global_load_dword v2, v[0:1], off
	s_mov_b32 s0, 0x2f800000
	s_mov_b32 s1, 0xcf800000
	s_waitcnt vmcnt(0)
	v_lshlrev_b32_e32 v2, 16, v2
	v_trunc_f32_e32 v2, v2
	v_mul_f32_e64 v3, |v2|, s0
	v_floor_f32_e32 v3, v3
	v_fma_f32 v4, v3, s1, |v2|
	v_cvt_u32_f32_e32 v4, v4
	v_cvt_u32_f32_e32 v3, v3
	v_ashrrev_i32_e32 v5, 31, v2
	s_mov_b64 s[0:1], -1
	v_xor_b32_e32 v2, v4, v5
	v_xor_b32_e32 v3, v3, v5
	v_sub_co_u32_e32 v2, vcc, v2, v5
	v_subb_co_u32_e32 v3, vcc, v3, v5, vcc
	s_branch .LBB198_524
.LBB198_514:
	s_mov_b64 s[30:31], -1
	s_mov_b64 s[0:1], 0
                                        ; implicit-def: $vgpr2_vgpr3
	s_mov_b64 s[28:29], s[20:21]
	s_branch .LBB198_585
.LBB198_515:
	s_mov_b64 s[30:31], -1
	s_mov_b64 s[0:1], 0
	s_mov_b64 s[28:29], s[20:21]
                                        ; implicit-def: $vgpr2_vgpr3
	s_branch .LBB198_553
.LBB198_516:
	s_mov_b64 s[30:31], -1
	s_mov_b64 s[0:1], 0
	s_mov_b64 s[28:29], s[20:21]
                                        ; implicit-def: $vgpr2_vgpr3
	s_branch .LBB198_534
.LBB198_517:
	s_mov_b64 s[30:31], -1
	s_mov_b64 s[0:1], 0
	s_mov_b64 s[28:29], s[20:21]
                                        ; implicit-def: $vgpr2_vgpr3
	s_branch .LBB198_529
.LBB198_518:
	s_andn2_saveexec_b64 s[28:29], s[28:29]
	s_cbranch_execz .LBB198_307
.LBB198_519:
	s_mov_b32 s34, 0x46000000
	v_add_f32_e64 v5, |v4|, s34
	v_and_b32_e32 v5, 0xff, v5
	v_cmp_ne_u32_e32 vcc, 0, v5
	s_andn2_b64 s[26:27], s[26:27], exec
	s_and_b64 s[34:35], vcc, exec
	s_or_b64 s[26:27], s[26:27], s[34:35]
	s_or_b64 exec, exec, s[28:29]
	v_mov_b32_e32 v6, 0
	s_and_saveexec_b64 s[28:29], s[26:27]
	s_cbranch_execnz .LBB198_308
	s_branch .LBB198_309
.LBB198_520:
	s_mov_b64 s[30:31], -1
	s_mov_b64 s[0:1], 0
	s_mov_b64 s[28:29], s[20:21]
                                        ; implicit-def: $vgpr2_vgpr3
	s_branch .LBB198_524
.LBB198_521:
	s_andn2_saveexec_b64 s[28:29], s[28:29]
	s_cbranch_execz .LBB198_320
.LBB198_522:
	s_mov_b32 s34, 0x42800000
	v_add_f32_e64 v5, |v4|, s34
	v_and_b32_e32 v5, 0xff, v5
	v_cmp_ne_u32_e32 vcc, 0, v5
	s_andn2_b64 s[26:27], s[26:27], exec
	s_and_b64 s[34:35], vcc, exec
	s_or_b64 s[26:27], s[26:27], s[34:35]
	s_or_b64 exec, exec, s[28:29]
	v_mov_b32_e32 v6, 0
	s_and_saveexec_b64 s[28:29], s[26:27]
	s_cbranch_execnz .LBB198_321
	s_branch .LBB198_322
.LBB198_523:
	s_mov_b64 s[28:29], -1
                                        ; implicit-def: $vgpr2_vgpr3
	s_mov_b64 s[0:1], 0
.LBB198_524:
	s_and_b64 vcc, exec, s[30:31]
	s_cbranch_vccz .LBB198_528
; %bb.525:
	s_cmp_eq_u32 s34, 44
	s_cbranch_scc0 .LBB198_527
; %bb.526:
	global_load_ubyte v2, v[0:1], off
	s_mov_b32 s0, 0x2f800000
	s_mov_b32 s1, 0xcf800000
	s_mov_b64 s[28:29], 0
	s_waitcnt vmcnt(0)
	v_lshlrev_b32_e32 v3, 23, v2
	v_trunc_f32_e32 v3, v3
	v_mul_f32_e64 v4, |v3|, s0
	v_floor_f32_e32 v4, v4
	v_fma_f32 v5, v4, s1, |v3|
	v_cvt_u32_f32_e32 v5, v5
	v_cvt_u32_f32_e32 v4, v4
	v_ashrrev_i32_e32 v3, 31, v3
	s_mov_b64 s[0:1], -1
	v_xor_b32_e32 v5, v5, v3
	v_xor_b32_e32 v4, v4, v3
	v_sub_co_u32_e32 v5, vcc, v5, v3
	v_subb_co_u32_e32 v3, vcc, v4, v3, vcc
	v_cmp_ne_u32_e32 vcc, 0, v2
	v_cndmask_b32_e32 v3, 0, v3, vcc
	v_cndmask_b32_e32 v2, 0, v5, vcc
	s_branch .LBB198_528
.LBB198_527:
	s_mov_b64 s[28:29], -1
                                        ; implicit-def: $vgpr2_vgpr3
.LBB198_528:
	s_mov_b64 s[30:31], 0
.LBB198_529:
	s_and_b64 vcc, exec, s[30:31]
	s_cbranch_vccz .LBB198_533
; %bb.530:
	s_cmp_eq_u32 s34, 29
	s_cbranch_scc0 .LBB198_532
; %bb.531:
	global_load_dwordx2 v[2:3], v[0:1], off
	s_mov_b64 s[0:1], -1
	s_mov_b64 s[28:29], 0
	s_branch .LBB198_533
.LBB198_532:
	s_mov_b64 s[28:29], -1
                                        ; implicit-def: $vgpr2_vgpr3
.LBB198_533:
	s_mov_b64 s[30:31], 0
.LBB198_534:
	s_and_b64 vcc, exec, s[30:31]
	s_cbranch_vccz .LBB198_552
; %bb.535:
	s_cmp_lt_i32 s34, 27
	s_cbranch_scc1 .LBB198_538
; %bb.536:
	s_cmp_gt_i32 s34, 27
	s_cbranch_scc0 .LBB198_539
; %bb.537:
	global_load_dword v2, v[0:1], off
	s_waitcnt vmcnt(1)
	v_mov_b32_e32 v3, 0
	s_mov_b64 s[0:1], 0
	s_branch .LBB198_540
.LBB198_538:
	s_mov_b64 s[0:1], -1
                                        ; implicit-def: $vgpr2_vgpr3
	s_branch .LBB198_543
.LBB198_539:
	s_mov_b64 s[0:1], -1
                                        ; implicit-def: $vgpr2_vgpr3
.LBB198_540:
	s_andn2_b64 vcc, exec, s[0:1]
	s_cbranch_vccnz .LBB198_542
; %bb.541:
	global_load_ushort v2, v[0:1], off
	s_mov_b32 s0, 0
	s_waitcnt vmcnt(1)
	v_mov_b32_e32 v3, s0
	s_waitcnt vmcnt(0)
	v_and_b32_e32 v2, 0xffff, v2
.LBB198_542:
	s_mov_b64 s[0:1], 0
.LBB198_543:
	s_andn2_b64 vcc, exec, s[0:1]
	s_cbranch_vccnz .LBB198_551
; %bb.544:
	global_load_ubyte v4, v[0:1], off
	s_movk_i32 s0, 0x7f
	s_mov_b64 s[30:31], 0
	s_waitcnt vmcnt(0)
	v_cmp_lt_i16_e32 vcc, s0, v4
	s_and_saveexec_b64 s[0:1], vcc
	s_xor_b64 s[0:1], exec, s[0:1]
; %bb.545:
	s_movk_i32 s30, 0x80
	v_cmp_ne_u16_e32 vcc, s30, v4
	s_and_b64 s[30:31], vcc, exec
; %bb.546:
	s_andn2_saveexec_b64 s[0:1], s[0:1]
; %bb.547:
	v_cmp_ne_u16_e32 vcc, 0, v4
	s_andn2_b64 s[30:31], s[30:31], exec
	s_and_b64 s[36:37], vcc, exec
	s_or_b64 s[30:31], s[30:31], s[36:37]
; %bb.548:
	s_or_b64 exec, exec, s[0:1]
	v_mov_b32_e32 v2, 0
	v_mov_b32_e32 v3, 0
	s_and_saveexec_b64 s[0:1], s[30:31]
	s_cbranch_execz .LBB198_550
; %bb.549:
	v_and_b32_e32 v3, 0xffff, v4
	v_lshlrev_b32_e32 v2, 24, v4
	v_and_b32_e32 v4, 7, v3
	v_ffbh_u32_e32 v6, v4
	v_min_u32_e32 v6, 32, v6
	v_subrev_u32_e32 v7, 28, v6
	v_bfe_u32 v5, v3, 3, 4
	v_lshlrev_b32_e32 v3, v7, v3
	v_sub_u32_e32 v6, 29, v6
	v_and_b32_e32 v3, 7, v3
	v_cmp_eq_u32_e32 vcc, 0, v5
	v_cndmask_b32_e32 v5, v5, v6, vcc
	v_cndmask_b32_e32 v3, v4, v3, vcc
	v_mov_b32_e32 v4, 0x3b800000
	v_lshlrev_b32_e32 v3, 20, v3
	v_and_b32_e32 v2, 0x80000000, v2
	v_lshl_add_u32 v4, v5, 23, v4
	v_or3_b32 v2, v2, v4, v3
	v_trunc_f32_e32 v2, v2
	s_mov_b32 s30, 0x2f800000
	v_mul_f32_e64 v3, |v2|, s30
	v_floor_f32_e32 v3, v3
	s_mov_b32 s30, 0xcf800000
	v_fma_f32 v4, v3, s30, |v2|
	v_cvt_u32_f32_e32 v4, v4
	v_cvt_u32_f32_e32 v3, v3
	v_ashrrev_i32_e32 v5, 31, v2
	v_xor_b32_e32 v2, v4, v5
	v_xor_b32_e32 v3, v3, v5
	v_sub_co_u32_e32 v2, vcc, v2, v5
	v_subb_co_u32_e32 v3, vcc, v3, v5, vcc
.LBB198_550:
	s_or_b64 exec, exec, s[0:1]
.LBB198_551:
	s_mov_b64 s[0:1], -1
.LBB198_552:
	s_mov_b64 s[30:31], 0
.LBB198_553:
	s_and_b64 vcc, exec, s[30:31]
	s_cbranch_vccz .LBB198_584
; %bb.554:
	s_cmp_gt_i32 s34, 22
	s_cbranch_scc0 .LBB198_564
; %bb.555:
	s_cmp_lt_i32 s34, 24
	s_cbranch_scc1 .LBB198_565
; %bb.556:
	s_cmp_gt_i32 s34, 24
	s_cbranch_scc0 .LBB198_566
; %bb.557:
	global_load_ubyte v4, v[0:1], off
	s_movk_i32 s0, 0x7f
	s_mov_b64 s[30:31], 0
	s_waitcnt vmcnt(0)
	v_cmp_lt_i16_e32 vcc, s0, v4
	s_and_saveexec_b64 s[0:1], vcc
	s_xor_b64 s[0:1], exec, s[0:1]
; %bb.558:
	s_movk_i32 s30, 0x80
	v_cmp_ne_u16_e32 vcc, s30, v4
	s_and_b64 s[30:31], vcc, exec
; %bb.559:
	s_andn2_saveexec_b64 s[0:1], s[0:1]
; %bb.560:
	v_cmp_ne_u16_e32 vcc, 0, v4
	s_andn2_b64 s[30:31], s[30:31], exec
	s_and_b64 s[36:37], vcc, exec
	s_or_b64 s[30:31], s[30:31], s[36:37]
; %bb.561:
	s_or_b64 exec, exec, s[0:1]
	v_mov_b32_e32 v2, 0
	v_mov_b32_e32 v3, 0
	s_and_saveexec_b64 s[0:1], s[30:31]
	s_cbranch_execz .LBB198_563
; %bb.562:
	v_and_b32_e32 v3, 0xffff, v4
	v_lshlrev_b32_e32 v2, 24, v4
	v_and_b32_e32 v4, 3, v3
	v_ffbh_u32_e32 v6, v4
	v_min_u32_e32 v6, 32, v6
	v_subrev_u32_e32 v7, 29, v6
	v_bfe_u32 v5, v3, 2, 5
	v_lshlrev_b32_e32 v3, v7, v3
	v_sub_u32_e32 v6, 30, v6
	v_and_b32_e32 v3, 3, v3
	v_cmp_eq_u32_e32 vcc, 0, v5
	v_cndmask_b32_e32 v5, v5, v6, vcc
	v_cndmask_b32_e32 v3, v4, v3, vcc
	v_mov_b32_e32 v4, 0x37800000
	v_lshlrev_b32_e32 v3, 21, v3
	v_and_b32_e32 v2, 0x80000000, v2
	v_lshl_add_u32 v4, v5, 23, v4
	v_or3_b32 v2, v2, v4, v3
	v_trunc_f32_e32 v2, v2
	s_mov_b32 s30, 0x2f800000
	v_mul_f32_e64 v3, |v2|, s30
	v_floor_f32_e32 v3, v3
	s_mov_b32 s30, 0xcf800000
	v_fma_f32 v4, v3, s30, |v2|
	v_cvt_u32_f32_e32 v4, v4
	v_cvt_u32_f32_e32 v3, v3
	v_ashrrev_i32_e32 v5, 31, v2
	v_xor_b32_e32 v2, v4, v5
	v_xor_b32_e32 v3, v3, v5
	v_sub_co_u32_e32 v2, vcc, v2, v5
	v_subb_co_u32_e32 v3, vcc, v3, v5, vcc
.LBB198_563:
	s_or_b64 exec, exec, s[0:1]
	s_mov_b64 s[0:1], 0
	s_branch .LBB198_567
.LBB198_564:
	s_mov_b64 s[30:31], -1
                                        ; implicit-def: $vgpr2_vgpr3
	s_branch .LBB198_573
.LBB198_565:
	s_mov_b64 s[0:1], -1
                                        ; implicit-def: $vgpr2_vgpr3
	s_branch .LBB198_570
.LBB198_566:
	s_mov_b64 s[0:1], -1
                                        ; implicit-def: $vgpr2_vgpr3
.LBB198_567:
	s_and_b64 vcc, exec, s[0:1]
	s_cbranch_vccz .LBB198_569
; %bb.568:
	global_load_ubyte v2, v[0:1], off
	s_mov_b32 s0, 0x7f800000
	s_brev_b32 s1, 1
	s_mov_b32 s30, 0x2f800000
	s_mov_b32 s31, 0xcf800000
	s_waitcnt vmcnt(0)
	v_lshlrev_b32_e32 v2, 24, v2
	v_and_b32_e32 v3, 0x7f000000, v2
	v_ffbh_u32_e32 v4, v3
	v_min_u32_e32 v4, 32, v4
	v_sub_u32_e64 v4, v4, 4 clamp
	v_lshlrev_b32_e32 v6, v4, v3
	v_lshlrev_b32_e32 v4, 23, v4
	v_lshrrev_b32_e32 v6, 4, v6
	v_add_u32_e32 v5, 0x1000000, v3
	v_sub_u32_e32 v4, v6, v4
	v_ashrrev_i32_e32 v5, 8, v5
	v_add_u32_e32 v4, 0x3c000000, v4
	v_and_or_b32 v4, v5, s0, v4
	v_cmp_ne_u32_e32 vcc, 0, v3
	v_cndmask_b32_e32 v3, 0, v4, vcc
	v_and_or_b32 v2, v2, s1, v3
	v_trunc_f32_e32 v2, v2
	v_mul_f32_e64 v3, |v2|, s30
	v_floor_f32_e32 v3, v3
	v_fma_f32 v4, v3, s31, |v2|
	v_cvt_u32_f32_e32 v4, v4
	v_cvt_u32_f32_e32 v3, v3
	v_ashrrev_i32_e32 v5, 31, v2
	v_xor_b32_e32 v2, v4, v5
	v_xor_b32_e32 v3, v3, v5
	v_sub_co_u32_e32 v2, vcc, v2, v5
	v_subb_co_u32_e32 v3, vcc, v3, v5, vcc
.LBB198_569:
	s_mov_b64 s[0:1], 0
.LBB198_570:
	s_andn2_b64 vcc, exec, s[0:1]
	s_cbranch_vccnz .LBB198_572
; %bb.571:
	global_load_ubyte v2, v[0:1], off
	s_movk_i32 s0, 0x7f00
	s_brev_b32 s1, 16
	s_brev_b32 s30, 1
	s_mov_b32 s31, 0x2f800000
	s_mov_b32 s35, 0xcf800000
	s_waitcnt vmcnt(0)
	v_lshlrev_b16_e32 v3, 8, v2
	v_lshlrev_b32_e32 v2, 25, v2
	v_lshrrev_b32_e32 v4, 4, v2
	v_and_or_b32 v5, v3, s0, 0.5
	v_or_b32_e32 v4, 0x70000000, v4
	v_add_f32_e32 v5, -0.5, v5
	v_mul_f32_e32 v4, 0x7800000, v4
	v_cmp_gt_u32_e32 vcc, s1, v2
	v_bfe_i32 v3, v3, 0, 16
	v_cndmask_b32_e32 v2, v4, v5, vcc
	v_and_or_b32 v2, v3, s30, v2
	v_trunc_f32_e32 v2, v2
	v_mul_f32_e64 v3, |v2|, s31
	v_floor_f32_e32 v3, v3
	v_fma_f32 v4, v3, s35, |v2|
	v_cvt_u32_f32_e32 v4, v4
	v_cvt_u32_f32_e32 v3, v3
	v_ashrrev_i32_e32 v5, 31, v2
	v_xor_b32_e32 v2, v4, v5
	v_xor_b32_e32 v3, v3, v5
	v_sub_co_u32_e32 v2, vcc, v2, v5
	v_subb_co_u32_e32 v3, vcc, v3, v5, vcc
.LBB198_572:
	s_mov_b64 s[30:31], 0
	s_mov_b64 s[0:1], -1
.LBB198_573:
	s_andn2_b64 vcc, exec, s[30:31]
	s_cbranch_vccnz .LBB198_584
; %bb.574:
	s_cmp_gt_i32 s34, 14
	s_cbranch_scc0 .LBB198_577
; %bb.575:
	s_cmp_eq_u32 s34, 15
	s_cbranch_scc0 .LBB198_578
; %bb.576:
	global_load_ushort v2, v[0:1], off
	s_mov_b32 s0, 0x2f800000
	s_mov_b32 s1, 0xcf800000
	s_mov_b64 s[28:29], 0
	s_waitcnt vmcnt(0)
	v_lshlrev_b32_e32 v2, 16, v2
	v_trunc_f32_e32 v2, v2
	v_mul_f32_e64 v3, |v2|, s0
	v_floor_f32_e32 v3, v3
	v_fma_f32 v4, v3, s1, |v2|
	v_cvt_u32_f32_e32 v4, v4
	v_cvt_u32_f32_e32 v3, v3
	v_ashrrev_i32_e32 v5, 31, v2
	s_mov_b64 s[0:1], -1
	v_xor_b32_e32 v2, v4, v5
	v_xor_b32_e32 v3, v3, v5
	v_sub_co_u32_e32 v2, vcc, v2, v5
	v_subb_co_u32_e32 v3, vcc, v3, v5, vcc
	s_branch .LBB198_579
.LBB198_577:
	s_mov_b64 s[30:31], -1
                                        ; implicit-def: $vgpr2_vgpr3
	s_branch .LBB198_580
.LBB198_578:
	s_mov_b64 s[28:29], -1
                                        ; implicit-def: $vgpr2_vgpr3
.LBB198_579:
	s_mov_b64 s[30:31], 0
.LBB198_580:
	s_and_b64 vcc, exec, s[30:31]
	s_cbranch_vccz .LBB198_584
; %bb.581:
	s_cmp_eq_u32 s34, 11
	s_cbranch_scc0 .LBB198_583
; %bb.582:
	global_load_ubyte v2, v[0:1], off
	s_mov_b32 s28, 0
	s_mov_b64 s[0:1], -1
	s_waitcnt vmcnt(1)
	v_mov_b32_e32 v3, s28
	s_mov_b64 s[28:29], 0
	s_waitcnt vmcnt(0)
	v_cmp_ne_u16_e32 vcc, 0, v2
	v_cndmask_b32_e64 v2, 0, 1, vcc
	s_branch .LBB198_584
.LBB198_583:
	s_mov_b64 s[28:29], -1
                                        ; implicit-def: $vgpr2_vgpr3
.LBB198_584:
	s_mov_b64 s[30:31], 0
.LBB198_585:
	s_and_b64 vcc, exec, s[30:31]
	s_cbranch_vccz .LBB198_634
; %bb.586:
	s_cmp_lt_i32 s34, 5
	s_cbranch_scc1 .LBB198_591
; %bb.587:
	s_cmp_lt_i32 s34, 8
	s_cbranch_scc1 .LBB198_592
; %bb.588:
	s_cmp_lt_i32 s34, 9
	s_cbranch_scc1 .LBB198_593
; %bb.589:
	s_cmp_gt_i32 s34, 9
	s_cbranch_scc0 .LBB198_594
; %bb.590:
	global_load_dwordx2 v[2:3], v[0:1], off
	s_movk_i32 s0, 0xffe0
	s_waitcnt vmcnt(0)
	v_trunc_f64_e32 v[2:3], v[2:3]
	v_ldexp_f64 v[4:5], v[2:3], s0
	s_mov_b32 s0, 0
	s_mov_b32 s1, 0xc1f00000
	v_floor_f64_e32 v[4:5], v[4:5]
	v_fma_f64 v[6:7], v[4:5], s[0:1], v[2:3]
	v_cvt_i32_f64_e32 v3, v[4:5]
	s_mov_b64 s[0:1], 0
	v_cvt_u32_f64_e32 v2, v[6:7]
	s_branch .LBB198_595
.LBB198_591:
	s_mov_b64 s[0:1], -1
                                        ; implicit-def: $vgpr2_vgpr3
	s_branch .LBB198_613
.LBB198_592:
	s_mov_b64 s[0:1], -1
                                        ; implicit-def: $vgpr2_vgpr3
	s_branch .LBB198_601
.LBB198_593:
	s_mov_b64 s[0:1], -1
                                        ; implicit-def: $vgpr2_vgpr3
	s_branch .LBB198_598
.LBB198_594:
	s_mov_b64 s[0:1], -1
                                        ; implicit-def: $vgpr2_vgpr3
.LBB198_595:
	s_andn2_b64 vcc, exec, s[0:1]
	s_cbranch_vccnz .LBB198_597
; %bb.596:
	global_load_dword v2, v[0:1], off
	s_mov_b32 s0, 0x2f800000
	s_mov_b32 s1, 0xcf800000
	s_waitcnt vmcnt(0)
	v_trunc_f32_e32 v2, v2
	v_mul_f32_e64 v3, |v2|, s0
	v_floor_f32_e32 v3, v3
	v_cvt_u32_f32_e32 v4, v3
	v_fma_f32 v3, v3, s1, |v2|
	v_cvt_u32_f32_e32 v3, v3
	v_ashrrev_i32_e32 v5, 31, v2
	v_xor_b32_e32 v4, v4, v5
	v_xor_b32_e32 v2, v3, v5
	v_sub_co_u32_e32 v2, vcc, v2, v5
	v_subb_co_u32_e32 v3, vcc, v4, v5, vcc
.LBB198_597:
	s_mov_b64 s[0:1], 0
.LBB198_598:
	s_andn2_b64 vcc, exec, s[0:1]
	s_cbranch_vccnz .LBB198_600
; %bb.599:
	global_load_dword v2, v[0:1], off
	s_waitcnt vmcnt(0)
	v_cvt_f32_f16_e32 v2, v2
	v_cvt_i32_f32_e32 v2, v2
	v_ashrrev_i32_e32 v3, 31, v2
.LBB198_600:
	s_mov_b64 s[0:1], 0
.LBB198_601:
	s_andn2_b64 vcc, exec, s[0:1]
	s_cbranch_vccnz .LBB198_612
; %bb.602:
	s_cmp_lt_i32 s34, 6
	s_cbranch_scc1 .LBB198_605
; %bb.603:
	s_cmp_gt_i32 s34, 6
	s_cbranch_scc0 .LBB198_606
; %bb.604:
	global_load_dwordx2 v[2:3], v[0:1], off
	s_movk_i32 s0, 0xffe0
	s_waitcnt vmcnt(0)
	v_trunc_f64_e32 v[2:3], v[2:3]
	v_ldexp_f64 v[4:5], v[2:3], s0
	s_mov_b32 s0, 0
	s_mov_b32 s1, 0xc1f00000
	v_floor_f64_e32 v[4:5], v[4:5]
	v_fma_f64 v[6:7], v[4:5], s[0:1], v[2:3]
	v_cvt_i32_f64_e32 v3, v[4:5]
	s_mov_b64 s[0:1], 0
	v_cvt_u32_f64_e32 v2, v[6:7]
	s_branch .LBB198_607
.LBB198_605:
	s_mov_b64 s[0:1], -1
                                        ; implicit-def: $vgpr2_vgpr3
	s_branch .LBB198_610
.LBB198_606:
	s_mov_b64 s[0:1], -1
                                        ; implicit-def: $vgpr2_vgpr3
.LBB198_607:
	s_andn2_b64 vcc, exec, s[0:1]
	s_cbranch_vccnz .LBB198_609
; %bb.608:
	global_load_dword v2, v[0:1], off
	s_mov_b32 s0, 0x2f800000
	s_mov_b32 s1, 0xcf800000
	s_waitcnt vmcnt(0)
	v_trunc_f32_e32 v2, v2
	v_mul_f32_e64 v3, |v2|, s0
	v_floor_f32_e32 v3, v3
	v_cvt_u32_f32_e32 v4, v3
	v_fma_f32 v3, v3, s1, |v2|
	v_cvt_u32_f32_e32 v3, v3
	v_ashrrev_i32_e32 v5, 31, v2
	v_xor_b32_e32 v4, v4, v5
	v_xor_b32_e32 v2, v3, v5
	v_sub_co_u32_e32 v2, vcc, v2, v5
	v_subb_co_u32_e32 v3, vcc, v4, v5, vcc
.LBB198_609:
	s_mov_b64 s[0:1], 0
.LBB198_610:
	s_andn2_b64 vcc, exec, s[0:1]
	s_cbranch_vccnz .LBB198_612
; %bb.611:
	global_load_ushort v2, v[0:1], off
	s_waitcnt vmcnt(0)
	v_cvt_f32_f16_e32 v2, v2
	v_cvt_i32_f32_e32 v2, v2
	v_ashrrev_i32_e32 v3, 31, v2
.LBB198_612:
	s_mov_b64 s[0:1], 0
.LBB198_613:
	s_andn2_b64 vcc, exec, s[0:1]
	s_cbranch_vccnz .LBB198_633
; %bb.614:
	s_cmp_lt_i32 s34, 2
	s_cbranch_scc1 .LBB198_618
; %bb.615:
	s_cmp_lt_i32 s34, 3
	s_cbranch_scc1 .LBB198_619
; %bb.616:
	s_cmp_gt_i32 s34, 3
	s_cbranch_scc0 .LBB198_620
; %bb.617:
	global_load_dwordx2 v[2:3], v[0:1], off
	s_mov_b64 s[0:1], 0
	s_branch .LBB198_621
.LBB198_618:
	s_mov_b64 s[0:1], -1
                                        ; implicit-def: $vgpr2_vgpr3
	s_branch .LBB198_627
.LBB198_619:
	s_mov_b64 s[0:1], -1
                                        ; implicit-def: $vgpr2_vgpr3
	s_branch .LBB198_624
.LBB198_620:
	s_mov_b64 s[0:1], -1
                                        ; implicit-def: $vgpr2_vgpr3
.LBB198_621:
	s_andn2_b64 vcc, exec, s[0:1]
	s_cbranch_vccnz .LBB198_623
; %bb.622:
	global_load_dword v2, v[0:1], off
	s_waitcnt vmcnt(0)
	v_ashrrev_i32_e32 v3, 31, v2
.LBB198_623:
	s_mov_b64 s[0:1], 0
.LBB198_624:
	s_andn2_b64 vcc, exec, s[0:1]
	s_cbranch_vccnz .LBB198_626
; %bb.625:
	global_load_ushort v2, v[0:1], off
	s_waitcnt vmcnt(0)
	v_bfe_i32 v2, v2, 0, 16
	v_ashrrev_i32_e32 v3, 31, v2
.LBB198_626:
	s_mov_b64 s[0:1], 0
.LBB198_627:
	s_andn2_b64 vcc, exec, s[0:1]
	s_cbranch_vccnz .LBB198_633
; %bb.628:
	s_cmp_gt_i32 s34, 0
	s_cbranch_scc0 .LBB198_630
; %bb.629:
	global_load_sbyte v2, v[0:1], off
	s_mov_b64 s[0:1], 0
	s_waitcnt vmcnt(0)
	v_bfe_i32 v2, v2, 0, 16
	v_ashrrev_i32_e32 v3, 31, v2
	s_branch .LBB198_631
.LBB198_630:
	s_mov_b64 s[0:1], -1
                                        ; implicit-def: $vgpr2_vgpr3
.LBB198_631:
	s_andn2_b64 vcc, exec, s[0:1]
	s_cbranch_vccnz .LBB198_633
; %bb.632:
	global_load_ubyte v0, v[0:1], off
	s_mov_b32 s0, 0
	s_waitcnt vmcnt(1)
	v_mov_b32_e32 v3, s0
	s_waitcnt vmcnt(0)
	v_and_b32_e32 v2, 0xffff, v0
.LBB198_633:
	s_mov_b64 s[0:1], -1
.LBB198_634:
	s_andn2_b64 vcc, exec, s[0:1]
	s_cbranch_vccnz .LBB198_642
; %bb.635:
	v_mul_lo_u32 v4, v10, s12
	s_waitcnt vmcnt(0)
	v_cmp_gt_u64_e32 vcc, 63, v[2:3]
	v_mov_b32_e32 v5, s9
	v_cndmask_b32_e32 v0, 63, v2, vcc
	v_ashrrev_i64 v[0:1], v0, s[2:3]
	v_ashrrev_i32_e32 v3, 31, v4
	s_and_b32 s38, s33, 0xff
	v_add_co_u32_e32 v2, vcc, s8, v4
	s_cmp_lt_i32 s38, 11
	v_addc_co_u32_e32 v3, vcc, v5, v3, vcc
	s_cbranch_scc1 .LBB198_643
; %bb.636:
	s_and_b32 s39, 0xffff, s38
	s_cmp_gt_i32 s39, 25
	s_cbranch_scc0 .LBB198_644
; %bb.637:
	s_cmp_gt_i32 s39, 28
	s_cbranch_scc0 .LBB198_645
; %bb.638:
	;; [unrolled: 3-line block ×4, first 2 shown]
	s_mov_b64 s[34:35], 0
	s_mov_b64 s[0:1], -1
	s_cmp_eq_u32 s39, 46
	s_mov_b64 s[30:31], 0
	s_cbranch_scc0 .LBB198_648
; %bb.641:
	v_xor_b32_e32 v5, v0, v1
	v_ffbh_i32_e32 v4, v1
	v_ashrrev_i32_e32 v5, 31, v5
	v_add_u32_e32 v4, -1, v4
	v_add_u32_e32 v5, 32, v5
	v_min_u32_e32 v6, v4, v5
	v_lshlrev_b64 v[4:5], v6, v[0:1]
	s_movk_i32 s0, 0x7fff
	v_min_u32_e32 v4, 1, v4
	v_or_b32_e32 v4, v5, v4
	v_cvt_f32_i32_e32 v4, v4
	v_sub_u32_e32 v5, 32, v6
	s_mov_b64 s[30:31], -1
	v_ldexp_f32 v4, v4, v5
	v_bfe_u32 v5, v4, 16, 1
	v_add3_u32 v4, v4, v5, s0
	v_lshrrev_b32_e32 v4, 16, v4
	global_store_dword v[2:3], v4, off
	s_mov_b64 s[0:1], 0
	s_branch .LBB198_648
.LBB198_642:
	s_mov_b64 s[34:35], 0
                                        ; implicit-def: $vgpr10
	s_mov_b64 s[0:1], s[22:23]
	s_branch .LBB198_759
.LBB198_643:
	s_mov_b64 s[34:35], -1
	s_mov_b64 s[30:31], 0
	s_mov_b64 s[0:1], s[22:23]
	s_branch .LBB198_717
.LBB198_644:
	s_mov_b64 s[34:35], -1
	s_mov_b64 s[30:31], 0
	s_mov_b64 s[0:1], s[22:23]
	s_branch .LBB198_675
.LBB198_645:
	s_mov_b64 s[34:35], -1
	s_mov_b64 s[30:31], 0
	s_mov_b64 s[0:1], s[22:23]
	s_branch .LBB198_658
.LBB198_646:
	s_mov_b64 s[34:35], -1
	s_mov_b64 s[30:31], 0
	s_mov_b64 s[0:1], s[22:23]
	s_branch .LBB198_654
.LBB198_647:
	s_mov_b64 s[34:35], -1
	s_mov_b64 s[30:31], 0
	s_mov_b64 s[0:1], s[22:23]
.LBB198_648:
	s_and_b64 vcc, exec, s[34:35]
	s_cbranch_vccz .LBB198_653
; %bb.649:
	s_cmp_eq_u32 s39, 44
	s_mov_b64 s[0:1], -1
	s_cbranch_scc0 .LBB198_653
; %bb.650:
	v_xor_b32_e32 v5, v0, v1
	v_ffbh_i32_e32 v4, v1
	v_ashrrev_i32_e32 v5, 31, v5
	v_add_u32_e32 v4, -1, v4
	v_add_u32_e32 v5, 32, v5
	v_min_u32_e32 v6, v4, v5
	v_lshlrev_b64 v[4:5], v6, v[0:1]
	s_movk_i32 s0, 0xff
	v_min_u32_e32 v4, 1, v4
	v_or_b32_e32 v4, v5, v4
	v_cvt_f32_i32_e32 v4, v4
	v_sub_u32_e32 v5, 32, v6
	v_mov_b32_e32 v6, 0xff
	v_ldexp_f32 v4, v4, v5
	v_bfe_u32 v5, v4, 23, 8
	v_cmp_ne_u32_e32 vcc, s0, v5
	s_and_saveexec_b64 s[30:31], vcc
; %bb.651:
	s_mov_b32 s0, 0x3fffff
	v_lshrrev_b32_e32 v6, 23, v4
	v_and_b32_e32 v7, 0x400000, v4
	v_and_or_b32 v4, v4, s0, v5
	v_cmp_ne_u32_e32 vcc, 0, v7
	v_cmp_ne_u32_e64 s[0:1], 0, v4
	s_and_b64 s[0:1], vcc, s[0:1]
	v_cndmask_b32_e64 v4, 0, 1, s[0:1]
	v_add_u32_e32 v6, v6, v4
; %bb.652:
	s_or_b64 exec, exec, s[30:31]
	s_mov_b64 s[30:31], -1
	s_mov_b64 s[0:1], 0
	global_store_byte v[2:3], v6, off
.LBB198_653:
	s_mov_b64 s[34:35], 0
.LBB198_654:
	s_and_b64 vcc, exec, s[34:35]
	s_cbranch_vccz .LBB198_657
; %bb.655:
	s_cmp_eq_u32 s39, 29
	s_mov_b64 s[0:1], -1
	s_cbranch_scc0 .LBB198_657
; %bb.656:
	global_store_dwordx2 v[2:3], v[0:1], off
	s_mov_b64 s[30:31], -1
	s_mov_b64 s[0:1], 0
.LBB198_657:
	s_mov_b64 s[34:35], 0
.LBB198_658:
	s_and_b64 vcc, exec, s[34:35]
	s_cbranch_vccz .LBB198_674
; %bb.659:
	s_cmp_lt_i32 s39, 27
	s_mov_b64 s[30:31], -1
	s_cbranch_scc1 .LBB198_665
; %bb.660:
	s_cmp_gt_i32 s39, 27
	s_cbranch_scc0 .LBB198_662
; %bb.661:
	s_mov_b64 s[30:31], 0
	global_store_dword v[2:3], v0, off
.LBB198_662:
	s_andn2_b64 vcc, exec, s[30:31]
	s_cbranch_vccnz .LBB198_664
; %bb.663:
	global_store_short v[2:3], v0, off
.LBB198_664:
	s_mov_b64 s[30:31], 0
.LBB198_665:
	s_andn2_b64 vcc, exec, s[30:31]
	s_cbranch_vccnz .LBB198_673
; %bb.666:
	v_xor_b32_e32 v5, v0, v1
	v_ffbh_i32_e32 v4, v1
	v_ashrrev_i32_e32 v5, 31, v5
	v_add_u32_e32 v4, -1, v4
	v_add_u32_e32 v5, 32, v5
	v_min_u32_e32 v6, v4, v5
	v_lshlrev_b64 v[4:5], v6, v[0:1]
	s_mov_b32 s30, 0x43800000
	v_min_u32_e32 v4, 1, v4
	v_or_b32_e32 v4, v5, v4
	v_cvt_f32_i32_e32 v4, v4
	v_sub_u32_e32 v5, 32, v6
	v_mov_b32_e32 v6, 0x80
	v_ldexp_f32 v4, v4, v5
	v_and_b32_e32 v5, 0x7fffffff, v4
	v_cmp_gt_u32_e32 vcc, s30, v5
	s_and_saveexec_b64 s[30:31], vcc
	s_cbranch_execz .LBB198_672
; %bb.667:
	s_mov_b32 s34, 0x3bffffff
	v_cmp_lt_u32_e32 vcc, s34, v5
	s_mov_b64 s[34:35], 0
                                        ; implicit-def: $vgpr5
	s_and_saveexec_b64 s[36:37], vcc
	s_xor_b64 s[36:37], exec, s[36:37]
	s_cbranch_execz .LBB198_773
; %bb.668:
	v_bfe_u32 v5, v4, 20, 1
	s_mov_b32 s41, 0x487ffff
	v_add3_u32 v5, v4, v5, s41
	s_mov_b64 s[34:35], exec
	v_lshrrev_b32_e32 v5, 20, v5
	s_andn2_saveexec_b64 s[36:37], s[36:37]
	s_cbranch_execnz .LBB198_774
.LBB198_669:
	s_or_b64 exec, exec, s[36:37]
	v_mov_b32_e32 v6, 0
	s_and_saveexec_b64 s[36:37], s[34:35]
.LBB198_670:
	v_lshrrev_b32_e32 v4, 24, v4
	s_movk_i32 s34, 0x80
	v_and_or_b32 v6, v4, s34, v5
.LBB198_671:
	s_or_b64 exec, exec, s[36:37]
.LBB198_672:
	s_or_b64 exec, exec, s[30:31]
	global_store_byte v[2:3], v6, off
.LBB198_673:
	s_mov_b64 s[30:31], -1
.LBB198_674:
	s_mov_b64 s[34:35], 0
.LBB198_675:
	s_and_b64 vcc, exec, s[34:35]
	s_cbranch_vccz .LBB198_716
; %bb.676:
	s_cmp_gt_i32 s39, 22
	s_mov_b64 s[34:35], -1
	s_cbranch_scc0 .LBB198_708
; %bb.677:
	s_cmp_lt_i32 s39, 24
	s_mov_b64 s[30:31], -1
	s_cbranch_scc1 .LBB198_697
; %bb.678:
	s_cmp_gt_i32 s39, 24
	s_cbranch_scc0 .LBB198_686
; %bb.679:
	v_xor_b32_e32 v5, v0, v1
	v_ffbh_i32_e32 v4, v1
	v_ashrrev_i32_e32 v5, 31, v5
	v_add_u32_e32 v4, -1, v4
	v_add_u32_e32 v5, 32, v5
	v_min_u32_e32 v6, v4, v5
	v_lshlrev_b64 v[4:5], v6, v[0:1]
	s_mov_b32 s30, 0x47800000
	v_min_u32_e32 v4, 1, v4
	v_or_b32_e32 v4, v5, v4
	v_cvt_f32_i32_e32 v4, v4
	v_sub_u32_e32 v5, 32, v6
	v_mov_b32_e32 v6, 0x80
	v_ldexp_f32 v4, v4, v5
	v_and_b32_e32 v5, 0x7fffffff, v4
	v_cmp_gt_u32_e32 vcc, s30, v5
	s_and_saveexec_b64 s[30:31], vcc
	s_cbranch_execz .LBB198_685
; %bb.680:
	s_mov_b32 s34, 0x37ffffff
	v_cmp_lt_u32_e32 vcc, s34, v5
	s_mov_b64 s[34:35], 0
                                        ; implicit-def: $vgpr5
	s_and_saveexec_b64 s[36:37], vcc
	s_xor_b64 s[36:37], exec, s[36:37]
	s_cbranch_execz .LBB198_776
; %bb.681:
	v_bfe_u32 v5, v4, 21, 1
	s_mov_b32 s41, 0x88fffff
	v_add3_u32 v5, v4, v5, s41
	s_mov_b64 s[34:35], exec
	v_lshrrev_b32_e32 v5, 21, v5
	s_andn2_saveexec_b64 s[36:37], s[36:37]
	s_cbranch_execnz .LBB198_777
.LBB198_682:
	s_or_b64 exec, exec, s[36:37]
	v_mov_b32_e32 v6, 0
	s_and_saveexec_b64 s[36:37], s[34:35]
.LBB198_683:
	v_lshrrev_b32_e32 v4, 24, v4
	s_movk_i32 s34, 0x80
	v_and_or_b32 v6, v4, s34, v5
.LBB198_684:
	s_or_b64 exec, exec, s[36:37]
.LBB198_685:
	s_or_b64 exec, exec, s[30:31]
	s_mov_b64 s[30:31], 0
	global_store_byte v[2:3], v6, off
.LBB198_686:
	s_and_b64 vcc, exec, s[30:31]
	s_cbranch_vccz .LBB198_696
; %bb.687:
	v_xor_b32_e32 v5, v0, v1
	v_ffbh_i32_e32 v4, v1
	v_ashrrev_i32_e32 v5, 31, v5
	v_add_u32_e32 v4, -1, v4
	v_add_u32_e32 v5, 32, v5
	v_min_u32_e32 v6, v4, v5
	v_lshlrev_b64 v[4:5], v6, v[0:1]
	s_mov_b32 s30, 0x43f00000
	v_min_u32_e32 v4, 1, v4
	v_or_b32_e32 v4, v5, v4
	v_cvt_f32_i32_e32 v4, v4
	v_sub_u32_e32 v5, 32, v6
	v_ldexp_f32 v4, v4, v5
	v_and_b32_e32 v6, 0x7fffffff, v4
	v_cmp_gt_u32_e32 vcc, s30, v6
                                        ; implicit-def: $vgpr5
	s_and_saveexec_b64 s[30:31], vcc
	s_xor_b64 s[30:31], exec, s[30:31]
	s_cbranch_execz .LBB198_693
; %bb.688:
	s_mov_b32 s34, 0x3c7fffff
	v_cmp_lt_u32_e32 vcc, s34, v6
                                        ; implicit-def: $vgpr5
	s_and_saveexec_b64 s[34:35], vcc
	s_xor_b64 s[34:35], exec, s[34:35]
; %bb.689:
	v_bfe_u32 v5, v4, 20, 1
	s_mov_b32 s36, 0x407ffff
	v_add3_u32 v5, v4, v5, s36
	v_lshrrev_b32_e32 v6, 20, v5
	v_and_b32_e32 v5, 0xff00000, v5
	s_mov_b32 s36, 0x7f00000
	v_mov_b32_e32 v7, 0x7e
	v_cmp_ne_u32_e32 vcc, s36, v5
	v_cndmask_b32_e32 v5, v7, v6, vcc
; %bb.690:
	s_andn2_saveexec_b64 s[34:35], s[34:35]
; %bb.691:
	s_mov_b32 s36, 0x46800000
	v_add_f32_e64 v5, |v4|, s36
; %bb.692:
	s_or_b64 exec, exec, s[34:35]
                                        ; implicit-def: $vgpr6
.LBB198_693:
	s_andn2_saveexec_b64 s[30:31], s[30:31]
; %bb.694:
	s_mov_b32 s34, 0x7f800000
	v_mov_b32_e32 v5, 0x7e
	v_mov_b32_e32 v7, 0x7f
	v_cmp_lt_u32_e32 vcc, s34, v6
	v_cndmask_b32_e32 v5, v5, v7, vcc
; %bb.695:
	s_or_b64 exec, exec, s[30:31]
	v_lshrrev_b32_e32 v4, 24, v4
	s_movk_i32 s30, 0x80
	v_and_or_b32 v4, v4, s30, v5
	global_store_byte v[2:3], v4, off
.LBB198_696:
	s_mov_b64 s[30:31], 0
.LBB198_697:
	s_andn2_b64 vcc, exec, s[30:31]
	s_cbranch_vccnz .LBB198_707
; %bb.698:
	v_xor_b32_e32 v5, v0, v1
	v_ffbh_i32_e32 v4, v1
	v_ashrrev_i32_e32 v5, 31, v5
	v_add_u32_e32 v4, -1, v4
	v_add_u32_e32 v5, 32, v5
	v_min_u32_e32 v6, v4, v5
	v_lshlrev_b64 v[4:5], v6, v[0:1]
	s_mov_b32 s30, 0x47800000
	v_min_u32_e32 v4, 1, v4
	v_or_b32_e32 v4, v5, v4
	v_cvt_f32_i32_e32 v4, v4
	v_sub_u32_e32 v5, 32, v6
	v_ldexp_f32 v4, v4, v5
	v_and_b32_e32 v6, 0x7fffffff, v4
	v_cmp_gt_u32_e32 vcc, s30, v6
                                        ; implicit-def: $vgpr5
	s_and_saveexec_b64 s[30:31], vcc
	s_xor_b64 s[30:31], exec, s[30:31]
	s_cbranch_execz .LBB198_704
; %bb.699:
	s_mov_b32 s34, 0x387fffff
	v_cmp_lt_u32_e32 vcc, s34, v6
                                        ; implicit-def: $vgpr5
	s_and_saveexec_b64 s[34:35], vcc
	s_xor_b64 s[34:35], exec, s[34:35]
; %bb.700:
	v_bfe_u32 v5, v4, 21, 1
	s_mov_b32 s36, 0x80fffff
	v_add3_u32 v5, v4, v5, s36
	v_lshrrev_b32_e32 v5, 21, v5
; %bb.701:
	s_andn2_saveexec_b64 s[34:35], s[34:35]
; %bb.702:
	s_mov_b32 s36, 0x43000000
	v_add_f32_e64 v5, |v4|, s36
; %bb.703:
	s_or_b64 exec, exec, s[34:35]
                                        ; implicit-def: $vgpr6
.LBB198_704:
	s_andn2_saveexec_b64 s[30:31], s[30:31]
; %bb.705:
	s_mov_b32 s34, 0x7f800000
	v_mov_b32_e32 v5, 0x7c
	v_mov_b32_e32 v7, 0x7f
	v_cmp_lt_u32_e32 vcc, s34, v6
	v_cndmask_b32_e32 v5, v5, v7, vcc
; %bb.706:
	s_or_b64 exec, exec, s[30:31]
	v_lshrrev_b32_e32 v4, 24, v4
	s_movk_i32 s30, 0x80
	v_and_or_b32 v4, v4, s30, v5
	global_store_byte v[2:3], v4, off
.LBB198_707:
	s_mov_b64 s[34:35], 0
	s_mov_b64 s[30:31], -1
.LBB198_708:
	s_andn2_b64 vcc, exec, s[34:35]
	s_cbranch_vccnz .LBB198_716
; %bb.709:
	s_cmp_gt_i32 s39, 14
	s_mov_b64 s[34:35], -1
	s_cbranch_scc0 .LBB198_713
; %bb.710:
	s_cmp_eq_u32 s39, 15
	s_mov_b64 s[0:1], -1
	s_cbranch_scc0 .LBB198_712
; %bb.711:
	v_xor_b32_e32 v5, v0, v1
	v_ffbh_i32_e32 v4, v1
	v_ashrrev_i32_e32 v5, 31, v5
	v_add_u32_e32 v4, -1, v4
	v_add_u32_e32 v5, 32, v5
	v_min_u32_e32 v6, v4, v5
	v_lshlrev_b64 v[4:5], v6, v[0:1]
	s_movk_i32 s0, 0x7fff
	v_min_u32_e32 v4, 1, v4
	v_or_b32_e32 v4, v5, v4
	v_cvt_f32_i32_e32 v4, v4
	v_sub_u32_e32 v5, 32, v6
	s_mov_b64 s[30:31], -1
	v_ldexp_f32 v4, v4, v5
	v_bfe_u32 v5, v4, 16, 1
	v_add3_u32 v4, v4, v5, s0
	global_store_short_d16_hi v[2:3], v4, off
	s_mov_b64 s[0:1], 0
.LBB198_712:
	s_mov_b64 s[34:35], 0
.LBB198_713:
	s_and_b64 vcc, exec, s[34:35]
	s_cbranch_vccz .LBB198_716
; %bb.714:
	s_cmp_eq_u32 s39, 11
	s_mov_b64 s[0:1], -1
	s_cbranch_scc0 .LBB198_716
; %bb.715:
	v_cmp_ne_u64_e32 vcc, 0, v[0:1]
	s_mov_b64 s[0:1], 0
	v_cndmask_b32_e64 v4, 0, 1, vcc
	s_mov_b64 s[30:31], -1
	global_store_byte v[2:3], v4, off
.LBB198_716:
	s_mov_b64 s[34:35], 0
.LBB198_717:
	s_and_b64 vcc, exec, s[34:35]
	s_cbranch_vccz .LBB198_756
; %bb.718:
	s_and_b32 s34, 0xffff, s38
	s_cmp_lt_i32 s34, 5
	s_mov_b64 s[30:31], -1
	s_cbranch_scc1 .LBB198_739
; %bb.719:
	s_cmp_lt_i32 s34, 8
	s_cbranch_scc1 .LBB198_729
; %bb.720:
	s_cmp_lt_i32 s34, 9
	s_cbranch_scc1 .LBB198_726
; %bb.721:
	s_cmp_gt_i32 s34, 9
	s_cbranch_scc0 .LBB198_723
; %bb.722:
	v_cvt_f64_i32_e32 v[4:5], v1
	v_cvt_f64_u32_e32 v[6:7], v0
	s_mov_b64 s[30:31], 0
	v_ldexp_f64 v[4:5], v[4:5], 32
	v_add_f64 v[4:5], v[4:5], v[6:7]
	v_mov_b32_e32 v6, 0
	v_mov_b32_e32 v7, v6
	global_store_dwordx4 v[2:3], v[4:7], off
.LBB198_723:
	s_andn2_b64 vcc, exec, s[30:31]
	s_cbranch_vccnz .LBB198_725
; %bb.724:
	v_xor_b32_e32 v5, v0, v1
	v_ffbh_i32_e32 v4, v1
	v_ashrrev_i32_e32 v5, 31, v5
	v_add_u32_e32 v4, -1, v4
	v_add_u32_e32 v5, 32, v5
	v_min_u32_e32 v6, v4, v5
	v_lshlrev_b64 v[4:5], v6, v[0:1]
	v_min_u32_e32 v4, 1, v4
	v_or_b32_e32 v4, v5, v4
	v_cvt_f32_i32_e32 v4, v4
	v_sub_u32_e32 v5, 32, v6
	v_ldexp_f32 v4, v4, v5
	v_mov_b32_e32 v5, 0
	global_store_dwordx2 v[2:3], v[4:5], off
.LBB198_725:
	s_mov_b64 s[30:31], 0
.LBB198_726:
	s_andn2_b64 vcc, exec, s[30:31]
	s_cbranch_vccnz .LBB198_728
; %bb.727:
	v_xor_b32_e32 v5, v0, v1
	v_ffbh_i32_e32 v4, v1
	v_ashrrev_i32_e32 v5, 31, v5
	v_add_u32_e32 v4, -1, v4
	v_add_u32_e32 v5, 32, v5
	v_min_u32_e32 v6, v4, v5
	v_lshlrev_b64 v[4:5], v6, v[0:1]
	v_min_u32_e32 v4, 1, v4
	v_or_b32_e32 v4, v5, v4
	v_cvt_f32_i32_e32 v4, v4
	v_sub_u32_e32 v5, 32, v6
	v_ldexp_f32 v4, v4, v5
	v_cvt_f16_f32_e32 v4, v4
	global_store_dword v[2:3], v4, off
.LBB198_728:
	s_mov_b64 s[30:31], 0
.LBB198_729:
	s_andn2_b64 vcc, exec, s[30:31]
	s_cbranch_vccnz .LBB198_738
; %bb.730:
	s_cmp_lt_i32 s34, 6
	s_mov_b64 s[30:31], -1
	s_cbranch_scc1 .LBB198_736
; %bb.731:
	s_cmp_gt_i32 s34, 6
	s_cbranch_scc0 .LBB198_733
; %bb.732:
	v_cvt_f64_i32_e32 v[4:5], v1
	v_cvt_f64_u32_e32 v[6:7], v0
	s_mov_b64 s[30:31], 0
	v_ldexp_f64 v[4:5], v[4:5], 32
	v_add_f64 v[4:5], v[4:5], v[6:7]
	global_store_dwordx2 v[2:3], v[4:5], off
.LBB198_733:
	s_andn2_b64 vcc, exec, s[30:31]
	s_cbranch_vccnz .LBB198_735
; %bb.734:
	v_xor_b32_e32 v5, v0, v1
	v_ffbh_i32_e32 v4, v1
	v_ashrrev_i32_e32 v5, 31, v5
	v_add_u32_e32 v4, -1, v4
	v_add_u32_e32 v5, 32, v5
	v_min_u32_e32 v6, v4, v5
	v_lshlrev_b64 v[4:5], v6, v[0:1]
	v_min_u32_e32 v4, 1, v4
	v_or_b32_e32 v4, v5, v4
	v_cvt_f32_i32_e32 v4, v4
	v_sub_u32_e32 v5, 32, v6
	v_ldexp_f32 v4, v4, v5
	global_store_dword v[2:3], v4, off
.LBB198_735:
	s_mov_b64 s[30:31], 0
.LBB198_736:
	s_andn2_b64 vcc, exec, s[30:31]
	s_cbranch_vccnz .LBB198_738
; %bb.737:
	v_xor_b32_e32 v5, v0, v1
	v_ffbh_i32_e32 v4, v1
	v_ashrrev_i32_e32 v5, 31, v5
	v_add_u32_e32 v4, -1, v4
	v_add_u32_e32 v5, 32, v5
	v_min_u32_e32 v6, v4, v5
	v_lshlrev_b64 v[4:5], v6, v[0:1]
	v_min_u32_e32 v4, 1, v4
	v_or_b32_e32 v4, v5, v4
	v_cvt_f32_i32_e32 v4, v4
	v_sub_u32_e32 v5, 32, v6
	v_ldexp_f32 v4, v4, v5
	v_cvt_f16_f32_e32 v4, v4
	global_store_short v[2:3], v4, off
.LBB198_738:
	s_mov_b64 s[30:31], 0
.LBB198_739:
	s_andn2_b64 vcc, exec, s[30:31]
	s_cbranch_vccnz .LBB198_755
; %bb.740:
	s_cmp_lt_i32 s34, 2
	s_mov_b64 s[30:31], -1
	s_cbranch_scc1 .LBB198_750
; %bb.741:
	s_cmp_lt_i32 s34, 3
	s_cbranch_scc1 .LBB198_747
; %bb.742:
	s_cmp_gt_i32 s34, 3
	s_cbranch_scc0 .LBB198_744
; %bb.743:
	s_mov_b64 s[30:31], 0
	global_store_dwordx2 v[2:3], v[0:1], off
.LBB198_744:
	s_andn2_b64 vcc, exec, s[30:31]
	s_cbranch_vccnz .LBB198_746
; %bb.745:
	global_store_dword v[2:3], v0, off
.LBB198_746:
	s_mov_b64 s[30:31], 0
.LBB198_747:
	s_andn2_b64 vcc, exec, s[30:31]
	s_cbranch_vccnz .LBB198_749
; %bb.748:
	global_store_short v[2:3], v0, off
.LBB198_749:
	s_mov_b64 s[30:31], 0
.LBB198_750:
	s_andn2_b64 vcc, exec, s[30:31]
	s_cbranch_vccnz .LBB198_755
; %bb.751:
	s_cmp_gt_i32 s34, 0
	s_mov_b64 s[30:31], -1
	s_cbranch_scc0 .LBB198_753
; %bb.752:
	s_mov_b64 s[30:31], 0
	global_store_byte v[2:3], v0, off
.LBB198_753:
	s_andn2_b64 vcc, exec, s[30:31]
	s_cbranch_vccnz .LBB198_755
; %bb.754:
	global_store_byte v[2:3], v0, off
.LBB198_755:
	s_mov_b64 s[30:31], -1
.LBB198_756:
	s_andn2_b64 vcc, exec, s[30:31]
	s_cbranch_vccnz .LBB198_758
; %bb.757:
	v_add_u32_e32 v10, 0x80, v10
	s_mov_b64 s[34:35], -1
	s_branch .LBB198_759
.LBB198_758:
	s_mov_b64 s[34:35], 0
                                        ; implicit-def: $vgpr10
.LBB198_759:
	s_andn2_b64 s[30:31], s[22:23], exec
	s_and_b64 s[0:1], s[0:1], exec
	s_or_b64 s[30:31], s[30:31], s[0:1]
	s_andn2_b64 s[0:1], s[20:21], exec
	s_and_b64 s[28:29], s[28:29], exec
	s_or_b64 s[0:1], s[0:1], s[28:29]
	s_orn2_b64 s[36:37], s[34:35], exec
.LBB198_760:
	s_or_b64 exec, exec, s[26:27]
	s_mov_b64 s[34:35], 0
	s_mov_b64 s[28:29], 0
	;; [unrolled: 1-line block ×3, first 2 shown]
                                        ; implicit-def: $vgpr0_vgpr1
                                        ; implicit-def: $vgpr4_vgpr5
	s_and_saveexec_b64 s[26:27], s[36:37]
	s_cbranch_execz .LBB198_841
; %bb.761:
	v_cmp_gt_i32_e32 vcc, s40, v10
	s_mov_b64 s[36:37], 0
	s_mov_b64 s[40:41], s[0:1]
	;; [unrolled: 1-line block ×3, first 2 shown]
                                        ; implicit-def: $vgpr0_vgpr1
                                        ; implicit-def: $vgpr4_vgpr5
	s_and_saveexec_b64 s[28:29], vcc
	s_cbranch_execz .LBB198_840
; %bb.762:
	v_mul_lo_u32 v0, v10, s13
	v_mov_b32_e32 v1, s11
	s_and_b32 s42, 0xffff, s44
	s_cmp_lt_i32 s42, 11
	s_waitcnt vmcnt(0)
	v_ashrrev_i32_e32 v2, 31, v0
	v_add_co_u32_e32 v0, vcc, s10, v0
	v_addc_co_u32_e32 v1, vcc, v1, v2, vcc
	s_cbranch_scc1 .LBB198_769
; %bb.763:
	s_cmp_gt_i32 s42, 25
	s_cbranch_scc0 .LBB198_770
; %bb.764:
	s_cmp_gt_i32 s42, 28
	s_cbranch_scc0 .LBB198_771
	;; [unrolled: 3-line block ×4, first 2 shown]
; %bb.767:
	s_cmp_eq_u32 s42, 46
	s_mov_b64 s[40:41], 0
	s_cbranch_scc0 .LBB198_778
; %bb.768:
	global_load_dword v2, v[0:1], off
	s_mov_b32 s34, 0x2f800000
	s_mov_b32 s35, 0xcf800000
	s_mov_b64 s[38:39], -1
	s_waitcnt vmcnt(0)
	v_lshlrev_b32_e32 v2, 16, v2
	v_trunc_f32_e32 v2, v2
	v_mul_f32_e64 v3, |v2|, s34
	v_floor_f32_e32 v3, v3
	v_fma_f32 v4, v3, s35, |v2|
	v_cvt_u32_f32_e32 v4, v4
	v_cvt_u32_f32_e32 v3, v3
	v_ashrrev_i32_e32 v2, 31, v2
	s_mov_b64 s[34:35], 0
	v_xor_b32_e32 v4, v4, v2
	v_xor_b32_e32 v3, v3, v2
	v_sub_co_u32_e32 v4, vcc, v4, v2
	v_subb_co_u32_e32 v5, vcc, v3, v2, vcc
	s_branch .LBB198_780
.LBB198_769:
	s_mov_b64 s[40:41], -1
                                        ; implicit-def: $vgpr4_vgpr5
	s_mov_b64 s[34:35], s[0:1]
	s_branch .LBB198_839
.LBB198_770:
	s_mov_b64 s[40:41], -1
	s_mov_b64 s[34:35], s[0:1]
                                        ; implicit-def: $vgpr4_vgpr5
	s_branch .LBB198_809
.LBB198_771:
	s_mov_b64 s[40:41], -1
	s_mov_b64 s[34:35], s[0:1]
                                        ; implicit-def: $vgpr4_vgpr5
	s_branch .LBB198_790
.LBB198_772:
	s_mov_b64 s[40:41], -1
	s_mov_b64 s[34:35], s[0:1]
                                        ; implicit-def: $vgpr4_vgpr5
	s_branch .LBB198_785
.LBB198_773:
	s_andn2_saveexec_b64 s[36:37], s[36:37]
	s_cbranch_execz .LBB198_669
.LBB198_774:
	s_mov_b32 s41, 0x46000000
	v_add_f32_e64 v5, |v4|, s41
	v_and_b32_e32 v5, 0xff, v5
	v_cmp_ne_u32_e32 vcc, 0, v5
	s_andn2_b64 s[34:35], s[34:35], exec
	s_and_b64 s[42:43], vcc, exec
	s_or_b64 s[34:35], s[34:35], s[42:43]
	s_or_b64 exec, exec, s[36:37]
	v_mov_b32_e32 v6, 0
	s_and_saveexec_b64 s[36:37], s[34:35]
	s_cbranch_execnz .LBB198_670
	s_branch .LBB198_671
.LBB198_775:
	s_mov_b64 s[40:41], -1
	s_mov_b64 s[34:35], s[0:1]
	s_branch .LBB198_779
.LBB198_776:
	s_andn2_saveexec_b64 s[36:37], s[36:37]
	s_cbranch_execz .LBB198_682
.LBB198_777:
	s_mov_b32 s41, 0x42800000
	v_add_f32_e64 v5, |v4|, s41
	v_and_b32_e32 v5, 0xff, v5
	v_cmp_ne_u32_e32 vcc, 0, v5
	s_andn2_b64 s[34:35], s[34:35], exec
	s_and_b64 s[42:43], vcc, exec
	s_or_b64 s[34:35], s[34:35], s[42:43]
	s_or_b64 exec, exec, s[36:37]
	v_mov_b32_e32 v6, 0
	s_and_saveexec_b64 s[36:37], s[34:35]
	s_cbranch_execnz .LBB198_683
	s_branch .LBB198_684
.LBB198_778:
	s_mov_b64 s[34:35], -1
.LBB198_779:
                                        ; implicit-def: $vgpr4_vgpr5
.LBB198_780:
	s_and_b64 vcc, exec, s[40:41]
	s_cbranch_vccz .LBB198_784
; %bb.781:
	s_cmp_eq_u32 s42, 44
	s_cbranch_scc0 .LBB198_783
; %bb.782:
	global_load_ubyte v2, v[0:1], off
	s_mov_b32 s34, 0x2f800000
	s_mov_b32 s35, 0xcf800000
	s_mov_b64 s[38:39], -1
	s_waitcnt vmcnt(0)
	v_lshlrev_b32_e32 v3, 23, v2
	v_trunc_f32_e32 v3, v3
	v_mul_f32_e64 v4, |v3|, s34
	v_floor_f32_e32 v4, v4
	v_fma_f32 v5, v4, s35, |v3|
	v_cvt_u32_f32_e32 v5, v5
	v_cvt_u32_f32_e32 v4, v4
	v_ashrrev_i32_e32 v3, 31, v3
	s_mov_b64 s[34:35], 0
	v_xor_b32_e32 v5, v5, v3
	v_xor_b32_e32 v4, v4, v3
	v_sub_co_u32_e32 v6, vcc, v5, v3
	v_subb_co_u32_e32 v3, vcc, v4, v3, vcc
	v_cmp_ne_u32_e32 vcc, 0, v2
	v_cndmask_b32_e32 v5, 0, v3, vcc
	v_cndmask_b32_e32 v4, 0, v6, vcc
	s_branch .LBB198_784
.LBB198_783:
	s_mov_b64 s[34:35], -1
                                        ; implicit-def: $vgpr4_vgpr5
.LBB198_784:
	s_mov_b64 s[40:41], 0
.LBB198_785:
	s_and_b64 vcc, exec, s[40:41]
	s_cbranch_vccz .LBB198_789
; %bb.786:
	s_cmp_eq_u32 s42, 29
	s_cbranch_scc0 .LBB198_788
; %bb.787:
	global_load_dwordx2 v[4:5], v[0:1], off
	s_mov_b64 s[34:35], 0
	s_mov_b64 s[38:39], -1
	s_branch .LBB198_789
.LBB198_788:
	s_mov_b64 s[34:35], -1
                                        ; implicit-def: $vgpr4_vgpr5
.LBB198_789:
	s_mov_b64 s[40:41], 0
.LBB198_790:
	s_and_b64 vcc, exec, s[40:41]
	s_cbranch_vccz .LBB198_808
; %bb.791:
	s_cmp_lt_i32 s42, 27
	s_cbranch_scc1 .LBB198_794
; %bb.792:
	s_cmp_gt_i32 s42, 27
	s_cbranch_scc0 .LBB198_795
; %bb.793:
	global_load_dword v4, v[0:1], off
	s_waitcnt vmcnt(1)
	v_mov_b32_e32 v5, 0
	s_mov_b64 s[38:39], 0
	s_branch .LBB198_796
.LBB198_794:
	s_mov_b64 s[38:39], -1
                                        ; implicit-def: $vgpr4_vgpr5
	s_branch .LBB198_799
.LBB198_795:
	s_mov_b64 s[38:39], -1
                                        ; implicit-def: $vgpr4_vgpr5
.LBB198_796:
	s_andn2_b64 vcc, exec, s[38:39]
	s_cbranch_vccnz .LBB198_798
; %bb.797:
	global_load_ushort v2, v[0:1], off
	s_mov_b32 s38, 0
	s_waitcnt vmcnt(1)
	v_mov_b32_e32 v5, s38
	s_waitcnt vmcnt(0)
	v_and_b32_e32 v4, 0xffff, v2
.LBB198_798:
	s_mov_b64 s[38:39], 0
.LBB198_799:
	s_andn2_b64 vcc, exec, s[38:39]
	s_cbranch_vccnz .LBB198_807
; %bb.800:
	global_load_ubyte v2, v[0:1], off
	s_movk_i32 s38, 0x7f
	s_mov_b64 s[40:41], 0
	s_waitcnt vmcnt(0)
	v_cmp_lt_i16_e32 vcc, s38, v2
	s_and_saveexec_b64 s[38:39], vcc
	s_xor_b64 s[38:39], exec, s[38:39]
; %bb.801:
	s_movk_i32 s40, 0x80
	v_cmp_ne_u16_e32 vcc, s40, v2
	s_and_b64 s[40:41], vcc, exec
; %bb.802:
	s_andn2_saveexec_b64 s[38:39], s[38:39]
; %bb.803:
	v_cmp_ne_u16_e32 vcc, 0, v2
	s_andn2_b64 s[40:41], s[40:41], exec
	s_and_b64 s[46:47], vcc, exec
	s_or_b64 s[40:41], s[40:41], s[46:47]
; %bb.804:
	s_or_b64 exec, exec, s[38:39]
	v_mov_b32_e32 v4, 0
	v_mov_b32_e32 v5, 0
	s_and_saveexec_b64 s[38:39], s[40:41]
	s_cbranch_execz .LBB198_806
; %bb.805:
	v_lshlrev_b32_e32 v3, 24, v2
	v_and_b32_e32 v2, 0xffff, v2
	v_and_b32_e32 v4, 7, v2
	v_ffbh_u32_e32 v6, v4
	v_min_u32_e32 v6, 32, v6
	v_subrev_u32_e32 v7, 28, v6
	v_bfe_u32 v5, v2, 3, 4
	v_lshlrev_b32_e32 v2, v7, v2
	v_sub_u32_e32 v6, 29, v6
	v_and_b32_e32 v2, 7, v2
	v_cmp_eq_u32_e32 vcc, 0, v5
	v_cndmask_b32_e32 v5, v5, v6, vcc
	v_cndmask_b32_e32 v2, v4, v2, vcc
	v_mov_b32_e32 v4, 0x3b800000
	v_lshlrev_b32_e32 v2, 20, v2
	v_and_b32_e32 v3, 0x80000000, v3
	v_lshl_add_u32 v4, v5, 23, v4
	v_or3_b32 v2, v3, v4, v2
	v_trunc_f32_e32 v2, v2
	s_mov_b32 s40, 0x2f800000
	v_mul_f32_e64 v3, |v2|, s40
	v_floor_f32_e32 v3, v3
	s_mov_b32 s40, 0xcf800000
	v_fma_f32 v4, v3, s40, |v2|
	v_cvt_u32_f32_e32 v4, v4
	v_cvt_u32_f32_e32 v3, v3
	v_ashrrev_i32_e32 v2, 31, v2
	v_xor_b32_e32 v4, v4, v2
	v_xor_b32_e32 v3, v3, v2
	v_sub_co_u32_e32 v4, vcc, v4, v2
	v_subb_co_u32_e32 v5, vcc, v3, v2, vcc
.LBB198_806:
	s_or_b64 exec, exec, s[38:39]
.LBB198_807:
	s_mov_b64 s[38:39], -1
.LBB198_808:
	s_mov_b64 s[40:41], 0
.LBB198_809:
	s_and_b64 vcc, exec, s[40:41]
	s_cbranch_vccz .LBB198_838
; %bb.810:
	s_cmp_gt_i32 s42, 22
	s_cbranch_scc0 .LBB198_820
; %bb.811:
	s_cmp_lt_i32 s42, 24
	s_cbranch_scc1 .LBB198_821
; %bb.812:
	s_cmp_gt_i32 s42, 24
	s_cbranch_scc0 .LBB198_822
; %bb.813:
	global_load_ubyte v2, v[0:1], off
	s_movk_i32 s36, 0x7f
	s_mov_b64 s[38:39], 0
	s_waitcnt vmcnt(0)
	v_cmp_lt_i16_e32 vcc, s36, v2
	s_and_saveexec_b64 s[36:37], vcc
	s_xor_b64 s[36:37], exec, s[36:37]
; %bb.814:
	s_movk_i32 s38, 0x80
	v_cmp_ne_u16_e32 vcc, s38, v2
	s_and_b64 s[38:39], vcc, exec
; %bb.815:
	s_andn2_saveexec_b64 s[36:37], s[36:37]
; %bb.816:
	v_cmp_ne_u16_e32 vcc, 0, v2
	s_andn2_b64 s[38:39], s[38:39], exec
	s_and_b64 s[40:41], vcc, exec
	s_or_b64 s[38:39], s[38:39], s[40:41]
; %bb.817:
	s_or_b64 exec, exec, s[36:37]
	v_mov_b32_e32 v4, 0
	v_mov_b32_e32 v5, 0
	s_and_saveexec_b64 s[36:37], s[38:39]
	s_cbranch_execz .LBB198_819
; %bb.818:
	v_lshlrev_b32_e32 v3, 24, v2
	v_and_b32_e32 v2, 0xffff, v2
	v_and_b32_e32 v4, 3, v2
	v_ffbh_u32_e32 v6, v4
	v_min_u32_e32 v6, 32, v6
	v_subrev_u32_e32 v7, 29, v6
	v_bfe_u32 v5, v2, 2, 5
	v_lshlrev_b32_e32 v2, v7, v2
	v_sub_u32_e32 v6, 30, v6
	v_and_b32_e32 v2, 3, v2
	v_cmp_eq_u32_e32 vcc, 0, v5
	v_cndmask_b32_e32 v5, v5, v6, vcc
	v_cndmask_b32_e32 v2, v4, v2, vcc
	v_mov_b32_e32 v4, 0x37800000
	v_lshlrev_b32_e32 v2, 21, v2
	v_and_b32_e32 v3, 0x80000000, v3
	v_lshl_add_u32 v4, v5, 23, v4
	v_or3_b32 v2, v3, v4, v2
	v_trunc_f32_e32 v2, v2
	s_mov_b32 s38, 0x2f800000
	v_mul_f32_e64 v3, |v2|, s38
	v_floor_f32_e32 v3, v3
	s_mov_b32 s38, 0xcf800000
	v_fma_f32 v4, v3, s38, |v2|
	v_cvt_u32_f32_e32 v4, v4
	v_cvt_u32_f32_e32 v3, v3
	v_ashrrev_i32_e32 v2, 31, v2
	v_xor_b32_e32 v4, v4, v2
	v_xor_b32_e32 v3, v3, v2
	v_sub_co_u32_e32 v4, vcc, v4, v2
	v_subb_co_u32_e32 v5, vcc, v3, v2, vcc
.LBB198_819:
	s_or_b64 exec, exec, s[36:37]
	s_mov_b64 s[36:37], 0
	s_branch .LBB198_823
.LBB198_820:
	s_mov_b64 s[36:37], -1
                                        ; implicit-def: $vgpr4_vgpr5
	s_branch .LBB198_829
.LBB198_821:
	s_mov_b64 s[36:37], -1
                                        ; implicit-def: $vgpr4_vgpr5
	s_branch .LBB198_826
.LBB198_822:
	s_mov_b64 s[36:37], -1
                                        ; implicit-def: $vgpr4_vgpr5
.LBB198_823:
	s_and_b64 vcc, exec, s[36:37]
	s_cbranch_vccz .LBB198_825
; %bb.824:
	global_load_ubyte v2, v[0:1], off
	s_mov_b32 s36, 0x7f800000
	s_brev_b32 s37, 1
	s_mov_b32 s38, 0x2f800000
	s_mov_b32 s39, 0xcf800000
	s_waitcnt vmcnt(0)
	v_lshlrev_b32_e32 v2, 24, v2
	v_and_b32_e32 v3, 0x7f000000, v2
	v_ffbh_u32_e32 v4, v3
	v_min_u32_e32 v4, 32, v4
	v_sub_u32_e64 v4, v4, 4 clamp
	v_lshlrev_b32_e32 v6, v4, v3
	v_lshlrev_b32_e32 v4, 23, v4
	v_lshrrev_b32_e32 v6, 4, v6
	v_add_u32_e32 v5, 0x1000000, v3
	v_sub_u32_e32 v4, v6, v4
	v_ashrrev_i32_e32 v5, 8, v5
	v_add_u32_e32 v4, 0x3c000000, v4
	v_and_or_b32 v4, v5, s36, v4
	v_cmp_ne_u32_e32 vcc, 0, v3
	v_cndmask_b32_e32 v3, 0, v4, vcc
	v_and_or_b32 v2, v2, s37, v3
	v_trunc_f32_e32 v2, v2
	v_mul_f32_e64 v3, |v2|, s38
	v_floor_f32_e32 v3, v3
	v_fma_f32 v4, v3, s39, |v2|
	v_cvt_u32_f32_e32 v4, v4
	v_cvt_u32_f32_e32 v3, v3
	v_ashrrev_i32_e32 v2, 31, v2
	v_xor_b32_e32 v4, v4, v2
	v_xor_b32_e32 v3, v3, v2
	v_sub_co_u32_e32 v4, vcc, v4, v2
	v_subb_co_u32_e32 v5, vcc, v3, v2, vcc
.LBB198_825:
	s_mov_b64 s[36:37], 0
.LBB198_826:
	s_andn2_b64 vcc, exec, s[36:37]
	s_cbranch_vccnz .LBB198_828
; %bb.827:
	global_load_ubyte v2, v[0:1], off
	s_movk_i32 s36, 0x7f00
	s_brev_b32 s37, 16
	s_brev_b32 s38, 1
	s_mov_b32 s39, 0x2f800000
	s_mov_b32 s40, 0xcf800000
	s_waitcnt vmcnt(0)
	v_lshlrev_b16_e32 v3, 8, v2
	v_lshlrev_b32_e32 v2, 25, v2
	v_lshrrev_b32_e32 v4, 4, v2
	v_and_or_b32 v5, v3, s36, 0.5
	v_or_b32_e32 v4, 0x70000000, v4
	v_add_f32_e32 v5, -0.5, v5
	v_mul_f32_e32 v4, 0x7800000, v4
	v_cmp_gt_u32_e32 vcc, s37, v2
	v_bfe_i32 v3, v3, 0, 16
	v_cndmask_b32_e32 v2, v4, v5, vcc
	v_and_or_b32 v2, v3, s38, v2
	v_trunc_f32_e32 v2, v2
	v_mul_f32_e64 v3, |v2|, s39
	v_floor_f32_e32 v3, v3
	v_fma_f32 v4, v3, s40, |v2|
	v_cvt_u32_f32_e32 v4, v4
	v_cvt_u32_f32_e32 v3, v3
	v_ashrrev_i32_e32 v2, 31, v2
	v_xor_b32_e32 v4, v4, v2
	v_xor_b32_e32 v3, v3, v2
	v_sub_co_u32_e32 v4, vcc, v4, v2
	v_subb_co_u32_e32 v5, vcc, v3, v2, vcc
.LBB198_828:
	s_mov_b64 s[36:37], 0
	s_mov_b64 s[38:39], -1
.LBB198_829:
	s_andn2_b64 vcc, exec, s[36:37]
	s_mov_b64 s[36:37], 0
	s_cbranch_vccnz .LBB198_838
; %bb.830:
	s_cmp_gt_i32 s42, 14
	s_cbranch_scc0 .LBB198_833
; %bb.831:
	s_cmp_eq_u32 s42, 15
	s_cbranch_scc0 .LBB198_834
; %bb.832:
	global_load_ushort v2, v[0:1], off
	s_mov_b32 s34, 0x2f800000
	s_mov_b32 s35, 0xcf800000
	s_mov_b64 s[38:39], -1
	s_waitcnt vmcnt(0)
	v_lshlrev_b32_e32 v2, 16, v2
	v_trunc_f32_e32 v2, v2
	v_mul_f32_e64 v3, |v2|, s34
	v_floor_f32_e32 v3, v3
	v_fma_f32 v4, v3, s35, |v2|
	v_cvt_u32_f32_e32 v4, v4
	v_cvt_u32_f32_e32 v3, v3
	v_ashrrev_i32_e32 v2, 31, v2
	s_mov_b64 s[34:35], 0
	v_xor_b32_e32 v4, v4, v2
	v_xor_b32_e32 v3, v3, v2
	v_sub_co_u32_e32 v4, vcc, v4, v2
	v_subb_co_u32_e32 v5, vcc, v3, v2, vcc
	s_branch .LBB198_835
.LBB198_833:
	s_mov_b64 s[40:41], -1
                                        ; implicit-def: $vgpr4_vgpr5
	s_branch .LBB198_836
.LBB198_834:
	s_mov_b64 s[34:35], -1
                                        ; implicit-def: $vgpr4_vgpr5
.LBB198_835:
	s_mov_b64 s[40:41], 0
.LBB198_836:
	s_and_b64 vcc, exec, s[40:41]
	s_cbranch_vccz .LBB198_838
; %bb.837:
	s_cmp_lg_u32 s42, 11
	s_cselect_b64 s[40:41], -1, 0
	s_andn2_b64 s[34:35], s[34:35], exec
	s_and_b64 s[40:41], s[40:41], exec
	s_mov_b64 s[36:37], -1
	s_or_b64 s[34:35], s[34:35], s[40:41]
.LBB198_838:
	s_mov_b64 s[40:41], 0
.LBB198_839:
	s_and_b64 s[42:43], s[40:41], exec
	s_andn2_b64 s[40:41], s[0:1], exec
	s_and_b64 s[34:35], s[34:35], exec
	s_and_b64 s[38:39], s[38:39], exec
	s_and_b64 s[36:37], s[36:37], exec
	s_or_b64 s[40:41], s[40:41], s[34:35]
.LBB198_840:
	s_or_b64 exec, exec, s[28:29]
	s_and_b64 s[34:35], s[36:37], exec
	s_andn2_b64 s[0:1], s[0:1], exec
	s_and_b64 s[36:37], s[40:41], exec
	s_and_b64 s[38:39], s[38:39], exec
	;; [unrolled: 1-line block ×3, first 2 shown]
	s_or_b64 s[0:1], s[0:1], s[36:37]
.LBB198_841:
	s_or_b64 exec, exec, s[26:27]
	s_andn2_b64 s[22:23], s[22:23], exec
	s_and_b64 s[26:27], s[30:31], exec
	s_andn2_b64 s[20:21], s[20:21], exec
	s_and_b64 s[0:1], s[0:1], exec
	s_or_b64 s[22:23], s[22:23], s[26:27]
	s_and_b64 s[30:31], s[38:39], exec
	s_and_b64 s[28:29], s[28:29], exec
	;; [unrolled: 1-line block ×3, first 2 shown]
	s_or_b64 s[20:21], s[20:21], s[0:1]
.LBB198_842:
	s_or_b64 exec, exec, s[24:25]
	s_andn2_b64 s[0:1], s[14:15], exec
	s_and_b64 s[14:15], s[22:23], exec
	s_andn2_b64 s[16:17], s[16:17], exec
	s_and_b64 s[20:21], s[20:21], exec
	s_or_b64 s[14:15], s[0:1], s[14:15]
	s_and_b64 s[0:1], s[30:31], exec
	s_and_b64 s[24:25], s[28:29], exec
	;; [unrolled: 1-line block ×3, first 2 shown]
	s_or_b64 s[16:17], s[16:17], s[20:21]
	s_or_b64 exec, exec, s[18:19]
	s_mov_b64 s[18:19], 0
	s_and_saveexec_b64 s[20:21], s[16:17]
	s_cbranch_execz .LBB198_258
.LBB198_843:
	s_mov_b64 s[18:19], exec
	s_andn2_b64 s[22:23], s[22:23], exec
	s_trap 2
	s_or_b64 exec, exec, s[20:21]
	s_and_saveexec_b64 s[16:17], s[22:23]
	s_xor_b64 s[16:17], exec, s[16:17]
	s_cbranch_execnz .LBB198_259
.LBB198_844:
	s_or_b64 exec, exec, s[16:17]
	s_and_saveexec_b64 s[16:17], s[24:25]
	s_cbranch_execz .LBB198_890
.LBB198_845:
	s_sext_i32_i16 s20, s44
	s_cmp_lt_i32 s20, 5
	s_cbranch_scc1 .LBB198_850
; %bb.846:
	s_cmp_lt_i32 s20, 8
	s_cbranch_scc1 .LBB198_851
; %bb.847:
	;; [unrolled: 3-line block ×3, first 2 shown]
	s_cmp_gt_i32 s20, 9
	s_cbranch_scc0 .LBB198_853
; %bb.849:
	global_load_dwordx2 v[2:3], v[0:1], off
	s_movk_i32 s20, 0xffe0
	s_waitcnt vmcnt(0)
	v_trunc_f64_e32 v[2:3], v[2:3]
	v_ldexp_f64 v[4:5], v[2:3], s20
	s_mov_b32 s20, 0
	s_mov_b32 s21, 0xc1f00000
	v_floor_f64_e32 v[4:5], v[4:5]
	v_fma_f64 v[2:3], v[4:5], s[20:21], v[2:3]
	v_cvt_i32_f64_e32 v5, v[4:5]
	s_mov_b64 s[20:21], 0
	v_cvt_u32_f64_e32 v4, v[2:3]
	s_branch .LBB198_854
.LBB198_850:
                                        ; implicit-def: $vgpr4_vgpr5
	s_branch .LBB198_871
.LBB198_851:
                                        ; implicit-def: $vgpr4_vgpr5
	s_branch .LBB198_860
.LBB198_852:
	s_mov_b64 s[20:21], -1
                                        ; implicit-def: $vgpr4_vgpr5
	s_branch .LBB198_857
.LBB198_853:
	s_mov_b64 s[20:21], -1
                                        ; implicit-def: $vgpr4_vgpr5
.LBB198_854:
	s_andn2_b64 vcc, exec, s[20:21]
	s_cbranch_vccnz .LBB198_856
; %bb.855:
	global_load_dword v2, v[0:1], off
	s_mov_b32 s20, 0x2f800000
	s_mov_b32 s21, 0xcf800000
	s_waitcnt vmcnt(0)
	v_trunc_f32_e32 v2, v2
	v_mul_f32_e64 v3, |v2|, s20
	v_floor_f32_e32 v3, v3
	v_cvt_u32_f32_e32 v4, v3
	v_fma_f32 v3, v3, s21, |v2|
	v_cvt_u32_f32_e32 v3, v3
	v_ashrrev_i32_e32 v2, 31, v2
	v_xor_b32_e32 v5, v4, v2
	v_xor_b32_e32 v3, v3, v2
	v_sub_co_u32_e32 v4, vcc, v3, v2
	v_subb_co_u32_e32 v5, vcc, v5, v2, vcc
.LBB198_856:
	s_mov_b64 s[20:21], 0
.LBB198_857:
	s_andn2_b64 vcc, exec, s[20:21]
	s_cbranch_vccnz .LBB198_859
; %bb.858:
	global_load_dword v2, v[0:1], off
	s_waitcnt vmcnt(0)
	v_cvt_f32_f16_e32 v2, v2
	v_cvt_i32_f32_e32 v4, v2
	v_ashrrev_i32_e32 v5, 31, v4
.LBB198_859:
	s_cbranch_execnz .LBB198_870
.LBB198_860:
	s_sext_i32_i16 s20, s44
	s_cmp_lt_i32 s20, 6
	s_cbranch_scc1 .LBB198_863
; %bb.861:
	s_cmp_gt_i32 s20, 6
	s_cbranch_scc0 .LBB198_864
; %bb.862:
	global_load_dwordx2 v[2:3], v[0:1], off
	s_movk_i32 s20, 0xffe0
	s_waitcnt vmcnt(0)
	v_trunc_f64_e32 v[2:3], v[2:3]
	v_ldexp_f64 v[4:5], v[2:3], s20
	s_mov_b32 s20, 0
	s_mov_b32 s21, 0xc1f00000
	v_floor_f64_e32 v[4:5], v[4:5]
	v_fma_f64 v[2:3], v[4:5], s[20:21], v[2:3]
	v_cvt_i32_f64_e32 v5, v[4:5]
	s_mov_b64 s[20:21], 0
	v_cvt_u32_f64_e32 v4, v[2:3]
	s_branch .LBB198_865
.LBB198_863:
	s_mov_b64 s[20:21], -1
                                        ; implicit-def: $vgpr4_vgpr5
	s_branch .LBB198_868
.LBB198_864:
	s_mov_b64 s[20:21], -1
                                        ; implicit-def: $vgpr4_vgpr5
.LBB198_865:
	s_andn2_b64 vcc, exec, s[20:21]
	s_cbranch_vccnz .LBB198_867
; %bb.866:
	global_load_dword v2, v[0:1], off
	s_mov_b32 s20, 0x2f800000
	s_mov_b32 s21, 0xcf800000
	s_waitcnt vmcnt(0)
	v_trunc_f32_e32 v2, v2
	v_mul_f32_e64 v3, |v2|, s20
	v_floor_f32_e32 v3, v3
	v_cvt_u32_f32_e32 v4, v3
	v_fma_f32 v3, v3, s21, |v2|
	v_cvt_u32_f32_e32 v3, v3
	v_ashrrev_i32_e32 v2, 31, v2
	v_xor_b32_e32 v5, v4, v2
	v_xor_b32_e32 v3, v3, v2
	v_sub_co_u32_e32 v4, vcc, v3, v2
	v_subb_co_u32_e32 v5, vcc, v5, v2, vcc
.LBB198_867:
	s_mov_b64 s[20:21], 0
.LBB198_868:
	s_andn2_b64 vcc, exec, s[20:21]
	s_cbranch_vccnz .LBB198_870
; %bb.869:
	global_load_ushort v2, v[0:1], off
	s_waitcnt vmcnt(0)
	v_cvt_f32_f16_e32 v2, v2
	v_cvt_i32_f32_e32 v4, v2
	v_ashrrev_i32_e32 v5, 31, v4
.LBB198_870:
	s_cbranch_execnz .LBB198_889
.LBB198_871:
	s_sext_i32_i16 s20, s44
	s_cmp_lt_i32 s20, 2
	s_cbranch_scc1 .LBB198_875
; %bb.872:
	s_cmp_lt_i32 s20, 3
	s_cbranch_scc1 .LBB198_876
; %bb.873:
	s_cmp_gt_i32 s20, 3
	s_cbranch_scc0 .LBB198_877
; %bb.874:
	global_load_dwordx2 v[4:5], v[0:1], off
	s_mov_b64 s[20:21], 0
	s_branch .LBB198_878
.LBB198_875:
                                        ; implicit-def: $vgpr4_vgpr5
	s_branch .LBB198_884
.LBB198_876:
	s_mov_b64 s[20:21], -1
                                        ; implicit-def: $vgpr4_vgpr5
	s_branch .LBB198_881
.LBB198_877:
	s_mov_b64 s[20:21], -1
                                        ; implicit-def: $vgpr4_vgpr5
.LBB198_878:
	s_andn2_b64 vcc, exec, s[20:21]
	s_cbranch_vccnz .LBB198_880
; %bb.879:
	global_load_dword v4, v[0:1], off
	s_waitcnt vmcnt(0)
	v_ashrrev_i32_e32 v5, 31, v4
.LBB198_880:
	s_mov_b64 s[20:21], 0
.LBB198_881:
	s_andn2_b64 vcc, exec, s[20:21]
	s_cbranch_vccnz .LBB198_883
; %bb.882:
	global_load_ushort v2, v[0:1], off
	s_waitcnt vmcnt(0)
	v_bfe_i32 v4, v2, 0, 16
	v_ashrrev_i32_e32 v5, 31, v4
.LBB198_883:
	s_cbranch_execnz .LBB198_889
.LBB198_884:
	s_sext_i32_i16 s20, s44
	s_cmp_gt_i32 s20, 0
	s_cbranch_scc0 .LBB198_886
; %bb.885:
	global_load_sbyte v2, v[0:1], off
	s_mov_b64 s[20:21], 0
	s_waitcnt vmcnt(0)
	v_bfe_i32 v4, v2, 0, 16
	v_ashrrev_i32_e32 v5, 31, v4
	s_branch .LBB198_887
.LBB198_886:
	s_mov_b64 s[20:21], -1
                                        ; implicit-def: $vgpr4_vgpr5
.LBB198_887:
	s_andn2_b64 vcc, exec, s[20:21]
	s_cbranch_vccnz .LBB198_889
; %bb.888:
	global_load_ubyte v0, v[0:1], off
	s_mov_b32 s20, 0
	s_waitcnt vmcnt(1)
	v_mov_b32_e32 v5, s20
	s_waitcnt vmcnt(0)
	v_and_b32_e32 v4, 0xffff, v0
.LBB198_889:
	s_or_b64 s[0:1], s[0:1], exec
.LBB198_890:
	s_or_b64 exec, exec, s[16:17]
	s_mov_b64 s[22:23], 0
	s_mov_b64 s[20:21], 0
                                        ; implicit-def: $sgpr28
                                        ; implicit-def: $vgpr2_vgpr3
                                        ; implicit-def: $vgpr0_vgpr1
	s_and_saveexec_b64 s[16:17], s[0:1]
	s_cbranch_execz .LBB198_898
; %bb.891:
	s_waitcnt vmcnt(0)
	v_mul_lo_u32 v2, v10, s12
	v_cmp_gt_u64_e32 vcc, 63, v[4:5]
	s_and_b32 s28, s33, 0xff
	v_cndmask_b32_e32 v0, 63, v4, vcc
	v_ashrrev_i64 v[0:1], v0, s[2:3]
	v_ashrrev_i32_e32 v3, 31, v2
	v_mov_b32_e32 v4, s9
	v_add_co_u32_e32 v2, vcc, s8, v2
	s_cmp_lt_i32 s28, 11
	v_addc_co_u32_e32 v3, vcc, v4, v3, vcc
	s_cbranch_scc1 .LBB198_901
; %bb.892:
	s_and_b32 s29, 0xffff, s28
	s_mov_b64 s[22:23], -1
	s_cmp_gt_i32 s29, 25
	s_mov_b64 s[0:1], s[14:15]
	s_cbranch_scc0 .LBB198_929
; %bb.893:
	s_mov_b64 s[20:21], -1
	s_cmp_gt_i32 s29, 28
	s_mov_b64 s[0:1], s[14:15]
	s_cbranch_scc0 .LBB198_913
; %bb.894:
	s_cmp_gt_i32 s29, 43
	s_mov_b64 s[0:1], s[14:15]
	s_cbranch_scc0 .LBB198_909
; %bb.895:
	s_cmp_gt_i32 s29, 45
	s_mov_b64 s[0:1], s[14:15]
	s_cbranch_scc0 .LBB198_903
; %bb.896:
	s_cmp_eq_u32 s29, 46
	s_mov_b64 s[0:1], -1
	s_cbranch_scc0 .LBB198_902
; %bb.897:
	v_xor_b32_e32 v5, v0, v1
	v_ffbh_i32_e32 v4, v1
	v_ashrrev_i32_e32 v5, 31, v5
	v_add_u32_e32 v4, -1, v4
	v_add_u32_e32 v5, 32, v5
	v_min_u32_e32 v6, v4, v5
	v_lshlrev_b64 v[4:5], v6, v[0:1]
	s_movk_i32 s0, 0x7fff
	v_min_u32_e32 v4, 1, v4
	v_or_b32_e32 v4, v5, v4
	v_cvt_f32_i32_e32 v4, v4
	v_sub_u32_e32 v5, 32, v6
	s_mov_b64 s[20:21], 0
	v_ldexp_f32 v4, v4, v5
	v_bfe_u32 v5, v4, 16, 1
	v_add3_u32 v4, v4, v5, s0
	v_lshrrev_b32_e32 v4, 16, v4
	global_store_dword v[2:3], v4, off
	s_mov_b64 s[0:1], 0
	s_branch .LBB198_903
.LBB198_898:
	s_or_b64 exec, exec, s[16:17]
	s_and_saveexec_b64 s[0:1], s[14:15]
	s_cbranch_execnz .LBB198_971
.LBB198_899:
	s_or_b64 exec, exec, s[0:1]
	s_and_saveexec_b64 s[0:1], s[22:23]
	s_xor_b64 s[0:1], exec, s[0:1]
	s_cbranch_execz .LBB198_972
.LBB198_900:
	v_cmp_ne_u64_e32 vcc, 0, v[0:1]
	s_waitcnt vmcnt(0)
	v_cndmask_b32_e64 v4, 0, 1, vcc
	global_store_byte v[2:3], v4, off
	s_or_b64 exec, exec, s[0:1]
	s_and_saveexec_b64 s[0:1], s[20:21]
	s_xor_b64 s[0:1], exec, s[0:1]
	s_cbranch_execz .LBB198_1010
	s_branch .LBB198_973
.LBB198_901:
	s_mov_b64 s[20:21], -1
	s_mov_b64 s[0:1], s[14:15]
	s_branch .LBB198_970
.LBB198_902:
	s_mov_b64 s[20:21], 0
.LBB198_903:
	s_and_b64 vcc, exec, s[20:21]
	s_cbranch_vccz .LBB198_908
; %bb.904:
	s_cmp_eq_u32 s29, 44
	s_mov_b64 s[0:1], -1
	s_cbranch_scc0 .LBB198_908
; %bb.905:
	v_xor_b32_e32 v5, v0, v1
	v_ffbh_i32_e32 v4, v1
	v_ashrrev_i32_e32 v5, 31, v5
	v_add_u32_e32 v4, -1, v4
	v_add_u32_e32 v5, 32, v5
	v_min_u32_e32 v6, v4, v5
	v_lshlrev_b64 v[4:5], v6, v[0:1]
	s_movk_i32 s0, 0xff
	v_min_u32_e32 v4, 1, v4
	v_or_b32_e32 v4, v5, v4
	v_cvt_f32_i32_e32 v4, v4
	v_sub_u32_e32 v5, 32, v6
	v_mov_b32_e32 v6, 0xff
	v_ldexp_f32 v4, v4, v5
	v_bfe_u32 v5, v4, 23, 8
	v_cmp_ne_u32_e32 vcc, s0, v5
	s_and_saveexec_b64 s[20:21], vcc
; %bb.906:
	s_mov_b32 s0, 0x3fffff
	v_lshrrev_b32_e32 v6, 23, v4
	v_and_b32_e32 v7, 0x400000, v4
	v_and_or_b32 v4, v4, s0, v5
	v_cmp_ne_u32_e32 vcc, 0, v7
	v_cmp_ne_u32_e64 s[0:1], 0, v4
	s_and_b64 s[0:1], vcc, s[0:1]
	v_cndmask_b32_e64 v4, 0, 1, s[0:1]
	v_add_u32_e32 v6, v6, v4
; %bb.907:
	s_or_b64 exec, exec, s[20:21]
	s_mov_b64 s[0:1], 0
	global_store_byte v[2:3], v6, off
.LBB198_908:
	s_mov_b64 s[20:21], 0
.LBB198_909:
	s_and_b64 vcc, exec, s[20:21]
	s_cbranch_vccz .LBB198_912
; %bb.910:
	s_cmp_eq_u32 s29, 29
	s_mov_b64 s[0:1], -1
	s_cbranch_scc0 .LBB198_912
; %bb.911:
	global_store_dwordx2 v[2:3], v[0:1], off
	s_mov_b64 s[0:1], 0
.LBB198_912:
	s_mov_b64 s[20:21], 0
.LBB198_913:
	s_and_b64 vcc, exec, s[20:21]
	s_cbranch_vccz .LBB198_928
; %bb.914:
	s_cmp_lt_i32 s29, 27
	s_mov_b64 s[20:21], -1
	s_cbranch_scc1 .LBB198_920
; %bb.915:
	s_cmp_gt_i32 s29, 27
	s_cbranch_scc0 .LBB198_917
; %bb.916:
	s_mov_b64 s[20:21], 0
	global_store_dword v[2:3], v0, off
.LBB198_917:
	s_andn2_b64 vcc, exec, s[20:21]
	s_cbranch_vccnz .LBB198_919
; %bb.918:
	global_store_short v[2:3], v0, off
.LBB198_919:
	s_mov_b64 s[20:21], 0
.LBB198_920:
	s_andn2_b64 vcc, exec, s[20:21]
	s_cbranch_vccnz .LBB198_928
; %bb.921:
	v_xor_b32_e32 v5, v0, v1
	v_ffbh_i32_e32 v4, v1
	v_ashrrev_i32_e32 v5, 31, v5
	v_add_u32_e32 v4, -1, v4
	v_add_u32_e32 v5, 32, v5
	v_min_u32_e32 v6, v4, v5
	v_lshlrev_b64 v[4:5], v6, v[0:1]
	s_mov_b32 s20, 0x43800000
	v_min_u32_e32 v4, 1, v4
	v_or_b32_e32 v4, v5, v4
	v_cvt_f32_i32_e32 v4, v4
	v_sub_u32_e32 v5, 32, v6
	v_mov_b32_e32 v6, 0x80
	v_ldexp_f32 v4, v4, v5
	v_and_b32_e32 v5, 0x7fffffff, v4
	v_cmp_gt_u32_e32 vcc, s20, v5
	s_and_saveexec_b64 s[20:21], vcc
	s_cbranch_execz .LBB198_927
; %bb.922:
	s_mov_b32 s22, 0x3bffffff
	v_cmp_lt_u32_e32 vcc, s22, v5
	s_mov_b64 s[22:23], 0
                                        ; implicit-def: $vgpr5
	s_and_saveexec_b64 s[24:25], vcc
	s_xor_b64 s[24:25], exec, s[24:25]
	s_cbranch_execz .LBB198_1025
; %bb.923:
	v_bfe_u32 v5, v4, 20, 1
	s_mov_b32 s26, 0x487ffff
	v_add3_u32 v5, v4, v5, s26
	s_mov_b64 s[22:23], exec
	v_lshrrev_b32_e32 v5, 20, v5
	s_andn2_saveexec_b64 s[24:25], s[24:25]
	s_cbranch_execnz .LBB198_1026
.LBB198_924:
	s_or_b64 exec, exec, s[24:25]
	v_mov_b32_e32 v6, 0
	s_and_saveexec_b64 s[24:25], s[22:23]
.LBB198_925:
	v_lshrrev_b32_e32 v4, 24, v4
	s_movk_i32 s22, 0x80
	v_and_or_b32 v6, v4, s22, v5
.LBB198_926:
	s_or_b64 exec, exec, s[24:25]
.LBB198_927:
	s_or_b64 exec, exec, s[20:21]
	global_store_byte v[2:3], v6, off
.LBB198_928:
	s_mov_b64 s[22:23], 0
.LBB198_929:
	s_mov_b64 s[20:21], 0
	s_and_b64 vcc, exec, s[22:23]
	s_cbranch_vccz .LBB198_969
; %bb.930:
	s_cmp_gt_i32 s29, 22
	s_mov_b64 s[22:23], -1
	s_cbranch_scc0 .LBB198_962
; %bb.931:
	s_cmp_lt_i32 s29, 24
	s_cbranch_scc1 .LBB198_951
; %bb.932:
	s_cmp_gt_i32 s29, 24
	s_cbranch_scc0 .LBB198_940
; %bb.933:
	v_xor_b32_e32 v5, v0, v1
	v_ffbh_i32_e32 v4, v1
	v_ashrrev_i32_e32 v5, 31, v5
	v_add_u32_e32 v4, -1, v4
	v_add_u32_e32 v5, 32, v5
	v_min_u32_e32 v6, v4, v5
	v_lshlrev_b64 v[4:5], v6, v[0:1]
	s_mov_b32 s22, 0x47800000
	v_min_u32_e32 v4, 1, v4
	v_or_b32_e32 v4, v5, v4
	v_cvt_f32_i32_e32 v4, v4
	v_sub_u32_e32 v5, 32, v6
	v_mov_b32_e32 v6, 0x80
	v_ldexp_f32 v4, v4, v5
	v_and_b32_e32 v5, 0x7fffffff, v4
	v_cmp_gt_u32_e32 vcc, s22, v5
	s_and_saveexec_b64 s[22:23], vcc
	s_cbranch_execz .LBB198_939
; %bb.934:
	s_mov_b32 s24, 0x37ffffff
	v_cmp_lt_u32_e32 vcc, s24, v5
	s_mov_b64 s[24:25], 0
                                        ; implicit-def: $vgpr5
	s_and_saveexec_b64 s[26:27], vcc
	s_xor_b64 s[26:27], exec, s[26:27]
	s_cbranch_execz .LBB198_1145
; %bb.935:
	v_bfe_u32 v5, v4, 21, 1
	s_mov_b32 s30, 0x88fffff
	v_add3_u32 v5, v4, v5, s30
	s_mov_b64 s[24:25], exec
	v_lshrrev_b32_e32 v5, 21, v5
	s_andn2_saveexec_b64 s[26:27], s[26:27]
	s_cbranch_execnz .LBB198_1146
.LBB198_936:
	s_or_b64 exec, exec, s[26:27]
	v_mov_b32_e32 v6, 0
	s_and_saveexec_b64 s[26:27], s[24:25]
.LBB198_937:
	v_lshrrev_b32_e32 v4, 24, v4
	s_movk_i32 s24, 0x80
	v_and_or_b32 v6, v4, s24, v5
.LBB198_938:
	s_or_b64 exec, exec, s[26:27]
.LBB198_939:
	s_or_b64 exec, exec, s[22:23]
	s_mov_b64 s[22:23], 0
	global_store_byte v[2:3], v6, off
.LBB198_940:
	s_and_b64 vcc, exec, s[22:23]
	s_cbranch_vccz .LBB198_950
; %bb.941:
	v_xor_b32_e32 v5, v0, v1
	v_ffbh_i32_e32 v4, v1
	v_ashrrev_i32_e32 v5, 31, v5
	v_add_u32_e32 v4, -1, v4
	v_add_u32_e32 v5, 32, v5
	v_min_u32_e32 v6, v4, v5
	v_lshlrev_b64 v[4:5], v6, v[0:1]
	s_mov_b32 s22, 0x43f00000
	v_min_u32_e32 v4, 1, v4
	v_or_b32_e32 v4, v5, v4
	v_cvt_f32_i32_e32 v4, v4
	v_sub_u32_e32 v5, 32, v6
	v_ldexp_f32 v4, v4, v5
	v_and_b32_e32 v6, 0x7fffffff, v4
	v_cmp_gt_u32_e32 vcc, s22, v6
                                        ; implicit-def: $vgpr5
	s_and_saveexec_b64 s[22:23], vcc
	s_xor_b64 s[22:23], exec, s[22:23]
	s_cbranch_execz .LBB198_947
; %bb.942:
	s_mov_b32 s24, 0x3c7fffff
	v_cmp_lt_u32_e32 vcc, s24, v6
                                        ; implicit-def: $vgpr5
	s_and_saveexec_b64 s[24:25], vcc
	s_xor_b64 s[24:25], exec, s[24:25]
; %bb.943:
	v_bfe_u32 v5, v4, 20, 1
	s_mov_b32 s26, 0x407ffff
	v_add3_u32 v5, v4, v5, s26
	v_lshrrev_b32_e32 v6, 20, v5
	v_and_b32_e32 v5, 0xff00000, v5
	s_mov_b32 s26, 0x7f00000
	v_mov_b32_e32 v7, 0x7e
	v_cmp_ne_u32_e32 vcc, s26, v5
	v_cndmask_b32_e32 v5, v7, v6, vcc
; %bb.944:
	s_andn2_saveexec_b64 s[24:25], s[24:25]
; %bb.945:
	s_mov_b32 s26, 0x46800000
	v_add_f32_e64 v5, |v4|, s26
; %bb.946:
	s_or_b64 exec, exec, s[24:25]
                                        ; implicit-def: $vgpr6
.LBB198_947:
	s_andn2_saveexec_b64 s[22:23], s[22:23]
; %bb.948:
	s_mov_b32 s24, 0x7f800000
	v_mov_b32_e32 v5, 0x7e
	v_mov_b32_e32 v7, 0x7f
	v_cmp_lt_u32_e32 vcc, s24, v6
	v_cndmask_b32_e32 v5, v5, v7, vcc
; %bb.949:
	s_or_b64 exec, exec, s[22:23]
	v_lshrrev_b32_e32 v4, 24, v4
	s_movk_i32 s22, 0x80
	v_and_or_b32 v4, v4, s22, v5
	global_store_byte v[2:3], v4, off
.LBB198_950:
	s_mov_b64 s[22:23], 0
.LBB198_951:
	s_andn2_b64 vcc, exec, s[22:23]
	s_cbranch_vccnz .LBB198_961
; %bb.952:
	v_xor_b32_e32 v5, v0, v1
	v_ffbh_i32_e32 v4, v1
	v_ashrrev_i32_e32 v5, 31, v5
	v_add_u32_e32 v4, -1, v4
	v_add_u32_e32 v5, 32, v5
	v_min_u32_e32 v6, v4, v5
	v_lshlrev_b64 v[4:5], v6, v[0:1]
	s_mov_b32 s22, 0x47800000
	v_min_u32_e32 v4, 1, v4
	v_or_b32_e32 v4, v5, v4
	v_cvt_f32_i32_e32 v4, v4
	v_sub_u32_e32 v5, 32, v6
	v_ldexp_f32 v4, v4, v5
	v_and_b32_e32 v6, 0x7fffffff, v4
	v_cmp_gt_u32_e32 vcc, s22, v6
                                        ; implicit-def: $vgpr5
	s_and_saveexec_b64 s[22:23], vcc
	s_xor_b64 s[22:23], exec, s[22:23]
	s_cbranch_execz .LBB198_958
; %bb.953:
	s_mov_b32 s24, 0x387fffff
	v_cmp_lt_u32_e32 vcc, s24, v6
                                        ; implicit-def: $vgpr5
	s_and_saveexec_b64 s[24:25], vcc
	s_xor_b64 s[24:25], exec, s[24:25]
; %bb.954:
	v_bfe_u32 v5, v4, 21, 1
	s_mov_b32 s26, 0x80fffff
	v_add3_u32 v5, v4, v5, s26
	v_lshrrev_b32_e32 v5, 21, v5
; %bb.955:
	s_andn2_saveexec_b64 s[24:25], s[24:25]
; %bb.956:
	s_mov_b32 s26, 0x43000000
	v_add_f32_e64 v5, |v4|, s26
; %bb.957:
	s_or_b64 exec, exec, s[24:25]
                                        ; implicit-def: $vgpr6
.LBB198_958:
	s_andn2_saveexec_b64 s[22:23], s[22:23]
; %bb.959:
	s_mov_b32 s24, 0x7f800000
	v_mov_b32_e32 v5, 0x7c
	v_mov_b32_e32 v7, 0x7f
	v_cmp_lt_u32_e32 vcc, s24, v6
	v_cndmask_b32_e32 v5, v5, v7, vcc
; %bb.960:
	s_or_b64 exec, exec, s[22:23]
	v_lshrrev_b32_e32 v4, 24, v4
	s_movk_i32 s22, 0x80
	v_and_or_b32 v4, v4, s22, v5
	global_store_byte v[2:3], v4, off
.LBB198_961:
	s_mov_b64 s[22:23], 0
.LBB198_962:
	s_andn2_b64 vcc, exec, s[22:23]
	s_mov_b64 s[22:23], 0
	s_cbranch_vccnz .LBB198_970
; %bb.963:
	s_cmp_gt_i32 s29, 14
	s_mov_b64 s[24:25], -1
	s_cbranch_scc0 .LBB198_967
; %bb.964:
	s_cmp_eq_u32 s29, 15
	s_mov_b64 s[0:1], -1
	s_cbranch_scc0 .LBB198_966
; %bb.965:
	v_xor_b32_e32 v5, v0, v1
	v_ffbh_i32_e32 v4, v1
	v_ashrrev_i32_e32 v5, 31, v5
	v_add_u32_e32 v4, -1, v4
	v_add_u32_e32 v5, 32, v5
	v_min_u32_e32 v6, v4, v5
	v_lshlrev_b64 v[4:5], v6, v[0:1]
	s_movk_i32 s0, 0x7fff
	v_min_u32_e32 v4, 1, v4
	v_or_b32_e32 v4, v5, v4
	v_cvt_f32_i32_e32 v4, v4
	v_sub_u32_e32 v5, 32, v6
	v_ldexp_f32 v4, v4, v5
	v_bfe_u32 v5, v4, 16, 1
	v_add3_u32 v4, v4, v5, s0
	global_store_short_d16_hi v[2:3], v4, off
	s_mov_b64 s[0:1], 0
.LBB198_966:
	s_mov_b64 s[24:25], 0
.LBB198_967:
	s_and_b64 vcc, exec, s[24:25]
	s_cbranch_vccz .LBB198_970
; %bb.968:
	s_cmp_lg_u32 s29, 11
	s_cselect_b64 s[24:25], -1, 0
	s_andn2_b64 s[0:1], s[0:1], exec
	s_and_b64 s[24:25], s[24:25], exec
	s_mov_b64 s[22:23], -1
	s_or_b64 s[0:1], s[0:1], s[24:25]
	s_branch .LBB198_970
.LBB198_969:
	s_mov_b64 s[22:23], 0
.LBB198_970:
	s_andn2_b64 s[14:15], s[14:15], exec
	s_and_b64 s[0:1], s[0:1], exec
	s_and_b64 s[20:21], s[20:21], exec
	;; [unrolled: 1-line block ×3, first 2 shown]
	s_or_b64 s[14:15], s[14:15], s[0:1]
	s_or_b64 exec, exec, s[16:17]
	s_and_saveexec_b64 s[0:1], s[14:15]
	s_cbranch_execz .LBB198_899
.LBB198_971:
	s_or_b64 s[18:19], s[18:19], exec
	s_andn2_b64 s[22:23], s[22:23], exec
	s_trap 2
	s_or_b64 exec, exec, s[0:1]
	s_and_saveexec_b64 s[0:1], s[22:23]
	s_xor_b64 s[0:1], exec, s[0:1]
	s_cbranch_execnz .LBB198_900
.LBB198_972:
	s_or_b64 exec, exec, s[0:1]
	s_and_saveexec_b64 s[0:1], s[20:21]
	s_xor_b64 s[0:1], exec, s[0:1]
	s_cbranch_execz .LBB198_1010
.LBB198_973:
	s_sext_i32_i16 s16, s28
	s_cmp_lt_i32 s16, 5
	s_mov_b64 s[14:15], -1
	s_cbranch_scc1 .LBB198_994
; %bb.974:
	s_cmp_lt_i32 s16, 8
	s_cbranch_scc1 .LBB198_984
; %bb.975:
	s_cmp_lt_i32 s16, 9
	s_cbranch_scc1 .LBB198_981
; %bb.976:
	s_cmp_gt_i32 s16, 9
	s_cbranch_scc0 .LBB198_978
; %bb.977:
	s_waitcnt vmcnt(0)
	v_cvt_f64_i32_e32 v[4:5], v1
	v_cvt_f64_u32_e32 v[6:7], v0
	s_mov_b64 s[14:15], 0
	v_ldexp_f64 v[4:5], v[4:5], 32
	v_add_f64 v[4:5], v[4:5], v[6:7]
	v_mov_b32_e32 v6, 0
	v_mov_b32_e32 v7, v6
	global_store_dwordx4 v[2:3], v[4:7], off
.LBB198_978:
	s_andn2_b64 vcc, exec, s[14:15]
	s_cbranch_vccnz .LBB198_980
; %bb.979:
	s_waitcnt vmcnt(0)
	v_xor_b32_e32 v5, v0, v1
	v_ffbh_i32_e32 v4, v1
	v_ashrrev_i32_e32 v5, 31, v5
	v_add_u32_e32 v4, -1, v4
	v_add_u32_e32 v5, 32, v5
	v_min_u32_e32 v6, v4, v5
	v_lshlrev_b64 v[4:5], v6, v[0:1]
	v_min_u32_e32 v4, 1, v4
	v_or_b32_e32 v4, v5, v4
	v_cvt_f32_i32_e32 v4, v4
	v_sub_u32_e32 v5, 32, v6
	v_ldexp_f32 v4, v4, v5
	v_mov_b32_e32 v5, 0
	global_store_dwordx2 v[2:3], v[4:5], off
.LBB198_980:
	s_mov_b64 s[14:15], 0
.LBB198_981:
	s_andn2_b64 vcc, exec, s[14:15]
	s_cbranch_vccnz .LBB198_983
; %bb.982:
	s_waitcnt vmcnt(0)
	v_xor_b32_e32 v5, v0, v1
	v_ffbh_i32_e32 v4, v1
	v_ashrrev_i32_e32 v5, 31, v5
	v_add_u32_e32 v4, -1, v4
	v_add_u32_e32 v5, 32, v5
	v_min_u32_e32 v6, v4, v5
	v_lshlrev_b64 v[4:5], v6, v[0:1]
	v_min_u32_e32 v4, 1, v4
	v_or_b32_e32 v4, v5, v4
	v_cvt_f32_i32_e32 v4, v4
	v_sub_u32_e32 v5, 32, v6
	v_ldexp_f32 v4, v4, v5
	v_cvt_f16_f32_e32 v4, v4
	global_store_dword v[2:3], v4, off
.LBB198_983:
	s_mov_b64 s[14:15], 0
.LBB198_984:
	s_andn2_b64 vcc, exec, s[14:15]
	s_cbranch_vccnz .LBB198_993
; %bb.985:
	s_sext_i32_i16 s16, s28
	s_cmp_lt_i32 s16, 6
	s_mov_b64 s[14:15], -1
	s_cbranch_scc1 .LBB198_991
; %bb.986:
	s_cmp_gt_i32 s16, 6
	s_cbranch_scc0 .LBB198_988
; %bb.987:
	s_waitcnt vmcnt(0)
	v_cvt_f64_i32_e32 v[4:5], v1
	v_cvt_f64_u32_e32 v[6:7], v0
	s_mov_b64 s[14:15], 0
	v_ldexp_f64 v[4:5], v[4:5], 32
	v_add_f64 v[4:5], v[4:5], v[6:7]
	global_store_dwordx2 v[2:3], v[4:5], off
.LBB198_988:
	s_andn2_b64 vcc, exec, s[14:15]
	s_cbranch_vccnz .LBB198_990
; %bb.989:
	s_waitcnt vmcnt(0)
	v_xor_b32_e32 v5, v0, v1
	v_ffbh_i32_e32 v4, v1
	v_ashrrev_i32_e32 v5, 31, v5
	v_add_u32_e32 v4, -1, v4
	v_add_u32_e32 v5, 32, v5
	v_min_u32_e32 v6, v4, v5
	v_lshlrev_b64 v[4:5], v6, v[0:1]
	v_min_u32_e32 v4, 1, v4
	v_or_b32_e32 v4, v5, v4
	v_cvt_f32_i32_e32 v4, v4
	v_sub_u32_e32 v5, 32, v6
	v_ldexp_f32 v4, v4, v5
	global_store_dword v[2:3], v4, off
.LBB198_990:
	s_mov_b64 s[14:15], 0
.LBB198_991:
	s_andn2_b64 vcc, exec, s[14:15]
	s_cbranch_vccnz .LBB198_993
; %bb.992:
	s_waitcnt vmcnt(0)
	v_xor_b32_e32 v5, v0, v1
	v_ffbh_i32_e32 v4, v1
	v_ashrrev_i32_e32 v5, 31, v5
	v_add_u32_e32 v4, -1, v4
	v_add_u32_e32 v5, 32, v5
	v_min_u32_e32 v6, v4, v5
	v_lshlrev_b64 v[4:5], v6, v[0:1]
	v_min_u32_e32 v4, 1, v4
	v_or_b32_e32 v4, v5, v4
	v_cvt_f32_i32_e32 v4, v4
	v_sub_u32_e32 v5, 32, v6
	v_ldexp_f32 v4, v4, v5
	v_cvt_f16_f32_e32 v4, v4
	global_store_short v[2:3], v4, off
.LBB198_993:
	s_mov_b64 s[14:15], 0
.LBB198_994:
	s_andn2_b64 vcc, exec, s[14:15]
	s_cbranch_vccnz .LBB198_1010
; %bb.995:
	s_sext_i32_i16 s16, s28
	s_cmp_lt_i32 s16, 2
	s_mov_b64 s[14:15], -1
	s_cbranch_scc1 .LBB198_1005
; %bb.996:
	s_cmp_lt_i32 s16, 3
	s_cbranch_scc1 .LBB198_1002
; %bb.997:
	s_cmp_gt_i32 s16, 3
	s_cbranch_scc0 .LBB198_999
; %bb.998:
	s_mov_b64 s[14:15], 0
	s_waitcnt vmcnt(0)
	global_store_dwordx2 v[2:3], v[0:1], off
.LBB198_999:
	s_andn2_b64 vcc, exec, s[14:15]
	s_cbranch_vccnz .LBB198_1001
; %bb.1000:
	s_waitcnt vmcnt(0)
	global_store_dword v[2:3], v0, off
.LBB198_1001:
	s_mov_b64 s[14:15], 0
.LBB198_1002:
	s_andn2_b64 vcc, exec, s[14:15]
	s_cbranch_vccnz .LBB198_1004
; %bb.1003:
	s_waitcnt vmcnt(0)
	global_store_short v[2:3], v0, off
.LBB198_1004:
	s_mov_b64 s[14:15], 0
.LBB198_1005:
	s_andn2_b64 vcc, exec, s[14:15]
	s_cbranch_vccnz .LBB198_1010
; %bb.1006:
	s_sext_i32_i16 s14, s28
	s_cmp_gt_i32 s14, 0
	s_mov_b64 s[14:15], -1
	s_cbranch_scc0 .LBB198_1008
; %bb.1007:
	s_mov_b64 s[14:15], 0
	s_waitcnt vmcnt(0)
	global_store_byte v[2:3], v0, off
.LBB198_1008:
	s_andn2_b64 vcc, exec, s[14:15]
	s_cbranch_vccnz .LBB198_1010
; %bb.1009:
	s_waitcnt vmcnt(0)
	global_store_byte v[2:3], v0, off
.LBB198_1010:
	s_or_b64 exec, exec, s[0:1]
	s_and_b64 s[14:15], s[18:19], exec
                                        ; implicit-def: $vgpr10
.LBB198_1011:
	s_or_saveexec_b64 s[6:7], s[6:7]
	s_mov_b64 s[0:1], 0
                                        ; implicit-def: $sgpr22
                                        ; implicit-def: $vgpr2_vgpr3
                                        ; implicit-def: $vgpr0_vgpr1
	s_xor_b64 exec, exec, s[6:7]
	s_cbranch_execz .LBB198_1942
; %bb.1012:
	s_waitcnt vmcnt(0)
	v_mul_lo_u32 v4, s13, v10
	v_mov_b32_e32 v0, s11
	s_and_b32 s22, 0xffff, s44
	s_cmp_lt_i32 s22, 11
	v_ashrrev_i32_e32 v1, 31, v4
	v_add_co_u32_e32 v2, vcc, s10, v4
	v_addc_co_u32_e32 v3, vcc, v0, v1, vcc
	s_cbranch_scc1 .LBB198_1019
; %bb.1013:
	s_cmp_gt_i32 s22, 25
	s_cbranch_scc0 .LBB198_1021
; %bb.1014:
	s_cmp_gt_i32 s22, 28
	s_cbranch_scc0 .LBB198_1022
	;; [unrolled: 3-line block ×4, first 2 shown]
; %bb.1017:
	s_cmp_eq_u32 s22, 46
	s_mov_b64 s[16:17], 0
	s_cbranch_scc0 .LBB198_1027
; %bb.1018:
	global_load_dword v0, v[2:3], off
	s_mov_b32 s0, 0x2f800000
	s_mov_b32 s1, 0xcf800000
	s_mov_b64 s[18:19], -1
	s_waitcnt vmcnt(0)
	v_lshlrev_b32_e32 v0, 16, v0
	v_trunc_f32_e32 v0, v0
	v_mul_f32_e64 v1, |v0|, s0
	v_floor_f32_e32 v1, v1
	v_fma_f32 v5, v1, s1, |v0|
	v_cvt_u32_f32_e32 v5, v5
	v_cvt_u32_f32_e32 v1, v1
	v_ashrrev_i32_e32 v6, 31, v0
	s_mov_b64 s[0:1], 0
	v_xor_b32_e32 v0, v5, v6
	v_xor_b32_e32 v1, v1, v6
	v_sub_co_u32_e32 v0, vcc, v0, v6
	v_subb_co_u32_e32 v1, vcc, v1, v6, vcc
	s_branch .LBB198_1028
.LBB198_1019:
	s_mov_b64 s[18:19], 0
                                        ; implicit-def: $vgpr0_vgpr1
	s_mov_b64 s[16:17], s[14:15]
	s_cbranch_execnz .LBB198_1086
.LBB198_1020:
	s_andn2_b64 vcc, exec, s[18:19]
	s_cbranch_vccz .LBB198_1131
	s_branch .LBB198_1940
.LBB198_1021:
	s_mov_b64 s[18:19], 0
                                        ; implicit-def: $vgpr0_vgpr1
	s_cbranch_execnz .LBB198_1055
	s_branch .LBB198_1082
.LBB198_1022:
	s_mov_b64 s[18:19], 0
                                        ; implicit-def: $vgpr0_vgpr1
	s_cbranch_execz .LBB198_1054
	s_branch .LBB198_1037
.LBB198_1023:
	s_mov_b64 s[18:19], 0
                                        ; implicit-def: $vgpr0_vgpr1
	s_cbranch_execnz .LBB198_1033
	s_branch .LBB198_1036
.LBB198_1024:
	s_mov_b64 s[16:17], -1
	s_mov_b64 s[18:19], 0
                                        ; implicit-def: $vgpr0_vgpr1
	s_branch .LBB198_1028
.LBB198_1025:
	s_andn2_saveexec_b64 s[24:25], s[24:25]
	s_cbranch_execz .LBB198_924
.LBB198_1026:
	s_mov_b32 s26, 0x46000000
	v_add_f32_e64 v5, |v4|, s26
	v_and_b32_e32 v5, 0xff, v5
	v_cmp_ne_u32_e32 vcc, 0, v5
	s_andn2_b64 s[22:23], s[22:23], exec
	s_and_b64 s[26:27], vcc, exec
	s_or_b64 s[22:23], s[22:23], s[26:27]
	s_or_b64 exec, exec, s[24:25]
	v_mov_b32_e32 v6, 0
	s_and_saveexec_b64 s[24:25], s[22:23]
	s_cbranch_execnz .LBB198_925
	s_branch .LBB198_926
.LBB198_1027:
	s_mov_b64 s[0:1], -1
                                        ; implicit-def: $vgpr0_vgpr1
	s_mov_b64 s[18:19], 0
.LBB198_1028:
	s_and_b64 vcc, exec, s[16:17]
	s_cbranch_vccz .LBB198_1031
; %bb.1029:
	s_cmp_eq_u32 s22, 44
	s_cbranch_scc0 .LBB198_1032
; %bb.1030:
	global_load_ubyte v0, v[2:3], off
	s_mov_b32 s0, 0x2f800000
	s_mov_b32 s1, 0xcf800000
	s_mov_b64 s[18:19], -1
	s_waitcnt vmcnt(0)
	v_lshlrev_b32_e32 v1, 23, v0
	v_trunc_f32_e32 v1, v1
	v_mul_f32_e64 v5, |v1|, s0
	v_floor_f32_e32 v5, v5
	v_fma_f32 v6, v5, s1, |v1|
	v_cvt_u32_f32_e32 v6, v6
	v_cvt_u32_f32_e32 v5, v5
	v_ashrrev_i32_e32 v1, 31, v1
	s_mov_b64 s[0:1], 0
	v_xor_b32_e32 v6, v6, v1
	v_xor_b32_e32 v5, v5, v1
	v_sub_co_u32_e32 v6, vcc, v6, v1
	v_subb_co_u32_e32 v1, vcc, v5, v1, vcc
	v_cmp_ne_u32_e32 vcc, 0, v0
	v_cndmask_b32_e32 v1, 0, v1, vcc
	v_cndmask_b32_e32 v0, 0, v6, vcc
.LBB198_1031:
	s_branch .LBB198_1036
.LBB198_1032:
	s_mov_b64 s[0:1], -1
                                        ; implicit-def: $vgpr0_vgpr1
	s_branch .LBB198_1036
.LBB198_1033:
	s_cmp_eq_u32 s22, 29
	s_cbranch_scc0 .LBB198_1035
; %bb.1034:
	global_load_dwordx2 v[0:1], v[2:3], off
	s_mov_b64 s[0:1], 0
	s_mov_b64 s[18:19], -1
	s_branch .LBB198_1036
.LBB198_1035:
	s_mov_b64 s[0:1], -1
                                        ; implicit-def: $vgpr0_vgpr1
.LBB198_1036:
	s_branch .LBB198_1054
.LBB198_1037:
	s_cmp_lt_i32 s22, 27
	s_cbranch_scc1 .LBB198_1040
; %bb.1038:
	s_cmp_gt_i32 s22, 27
	s_cbranch_scc0 .LBB198_1041
; %bb.1039:
	global_load_dword v0, v[2:3], off
	s_waitcnt vmcnt(1)
	v_mov_b32_e32 v1, 0
	s_mov_b64 s[16:17], 0
	s_branch .LBB198_1042
.LBB198_1040:
	s_mov_b64 s[16:17], -1
                                        ; implicit-def: $vgpr0_vgpr1
	s_branch .LBB198_1045
.LBB198_1041:
	s_mov_b64 s[16:17], -1
                                        ; implicit-def: $vgpr0_vgpr1
.LBB198_1042:
	s_andn2_b64 vcc, exec, s[16:17]
	s_cbranch_vccnz .LBB198_1044
; %bb.1043:
	global_load_ushort v0, v[2:3], off
	s_mov_b32 s16, 0
	s_waitcnt vmcnt(1)
	v_mov_b32_e32 v1, s16
	s_waitcnt vmcnt(0)
	v_and_b32_e32 v0, 0xffff, v0
.LBB198_1044:
	s_mov_b64 s[16:17], 0
.LBB198_1045:
	s_andn2_b64 vcc, exec, s[16:17]
	s_cbranch_vccnz .LBB198_1053
; %bb.1046:
	global_load_ubyte v5, v[2:3], off
	s_movk_i32 s16, 0x7f
	s_mov_b64 s[18:19], 0
	s_waitcnt vmcnt(0)
	v_cmp_lt_i16_e32 vcc, s16, v5
	s_and_saveexec_b64 s[16:17], vcc
	s_xor_b64 s[16:17], exec, s[16:17]
; %bb.1047:
	s_movk_i32 s18, 0x80
	v_cmp_ne_u16_e32 vcc, s18, v5
	s_and_b64 s[18:19], vcc, exec
; %bb.1048:
	s_andn2_saveexec_b64 s[16:17], s[16:17]
; %bb.1049:
	v_cmp_ne_u16_e32 vcc, 0, v5
	s_andn2_b64 s[18:19], s[18:19], exec
	s_and_b64 s[20:21], vcc, exec
	s_or_b64 s[18:19], s[18:19], s[20:21]
; %bb.1050:
	s_or_b64 exec, exec, s[16:17]
	v_mov_b32_e32 v0, 0
	v_mov_b32_e32 v1, 0
	s_and_saveexec_b64 s[16:17], s[18:19]
	s_cbranch_execz .LBB198_1052
; %bb.1051:
	v_and_b32_e32 v1, 0xffff, v5
	v_lshlrev_b32_e32 v0, 24, v5
	v_and_b32_e32 v5, 7, v1
	v_ffbh_u32_e32 v7, v5
	v_min_u32_e32 v7, 32, v7
	v_subrev_u32_e32 v8, 28, v7
	v_bfe_u32 v6, v1, 3, 4
	v_lshlrev_b32_e32 v1, v8, v1
	v_sub_u32_e32 v7, 29, v7
	v_and_b32_e32 v1, 7, v1
	v_cmp_eq_u32_e32 vcc, 0, v6
	v_cndmask_b32_e32 v6, v6, v7, vcc
	v_cndmask_b32_e32 v1, v5, v1, vcc
	v_mov_b32_e32 v5, 0x3b800000
	v_lshlrev_b32_e32 v1, 20, v1
	v_and_b32_e32 v0, 0x80000000, v0
	v_lshl_add_u32 v5, v6, 23, v5
	v_or3_b32 v0, v0, v5, v1
	v_trunc_f32_e32 v0, v0
	s_mov_b32 s18, 0x2f800000
	v_mul_f32_e64 v1, |v0|, s18
	v_floor_f32_e32 v1, v1
	s_mov_b32 s18, 0xcf800000
	v_fma_f32 v5, v1, s18, |v0|
	v_cvt_u32_f32_e32 v5, v5
	v_cvt_u32_f32_e32 v1, v1
	v_ashrrev_i32_e32 v6, 31, v0
	v_xor_b32_e32 v0, v5, v6
	v_xor_b32_e32 v1, v1, v6
	v_sub_co_u32_e32 v0, vcc, v0, v6
	v_subb_co_u32_e32 v1, vcc, v1, v6, vcc
.LBB198_1052:
	s_or_b64 exec, exec, s[16:17]
.LBB198_1053:
	s_mov_b64 s[18:19], -1
.LBB198_1054:
	s_branch .LBB198_1082
.LBB198_1055:
	s_cmp_gt_i32 s22, 22
	s_cbranch_scc0 .LBB198_1065
; %bb.1056:
	s_cmp_lt_i32 s22, 24
	s_cbranch_scc1 .LBB198_1066
; %bb.1057:
	s_cmp_gt_i32 s22, 24
	s_cbranch_scc0 .LBB198_1067
; %bb.1058:
	global_load_ubyte v5, v[2:3], off
	s_movk_i32 s4, 0x7f
	s_mov_b64 s[16:17], 0
	s_waitcnt vmcnt(0)
	v_cmp_lt_i16_e32 vcc, s4, v5
	s_and_saveexec_b64 s[4:5], vcc
	s_xor_b64 s[4:5], exec, s[4:5]
; %bb.1059:
	s_movk_i32 s16, 0x80
	v_cmp_ne_u16_e32 vcc, s16, v5
	s_and_b64 s[16:17], vcc, exec
; %bb.1060:
	s_andn2_saveexec_b64 s[4:5], s[4:5]
; %bb.1061:
	v_cmp_ne_u16_e32 vcc, 0, v5
	s_andn2_b64 s[16:17], s[16:17], exec
	s_and_b64 s[18:19], vcc, exec
	s_or_b64 s[16:17], s[16:17], s[18:19]
; %bb.1062:
	s_or_b64 exec, exec, s[4:5]
	v_mov_b32_e32 v0, 0
	v_mov_b32_e32 v1, 0
	s_and_saveexec_b64 s[4:5], s[16:17]
	s_cbranch_execz .LBB198_1064
; %bb.1063:
	v_and_b32_e32 v1, 0xffff, v5
	v_lshlrev_b32_e32 v0, 24, v5
	v_and_b32_e32 v5, 3, v1
	v_ffbh_u32_e32 v7, v5
	v_min_u32_e32 v7, 32, v7
	v_subrev_u32_e32 v8, 29, v7
	v_bfe_u32 v6, v1, 2, 5
	v_lshlrev_b32_e32 v1, v8, v1
	v_sub_u32_e32 v7, 30, v7
	v_and_b32_e32 v1, 3, v1
	v_cmp_eq_u32_e32 vcc, 0, v6
	v_cndmask_b32_e32 v6, v6, v7, vcc
	v_cndmask_b32_e32 v1, v5, v1, vcc
	v_mov_b32_e32 v5, 0x37800000
	v_lshlrev_b32_e32 v1, 21, v1
	v_and_b32_e32 v0, 0x80000000, v0
	v_lshl_add_u32 v5, v6, 23, v5
	v_or3_b32 v0, v0, v5, v1
	v_trunc_f32_e32 v0, v0
	s_mov_b32 s16, 0x2f800000
	v_mul_f32_e64 v1, |v0|, s16
	v_floor_f32_e32 v1, v1
	s_mov_b32 s16, 0xcf800000
	v_fma_f32 v5, v1, s16, |v0|
	v_cvt_u32_f32_e32 v5, v5
	v_cvt_u32_f32_e32 v1, v1
	v_ashrrev_i32_e32 v6, 31, v0
	v_xor_b32_e32 v0, v5, v6
	v_xor_b32_e32 v1, v1, v6
	v_sub_co_u32_e32 v0, vcc, v0, v6
	v_subb_co_u32_e32 v1, vcc, v1, v6, vcc
.LBB198_1064:
	s_or_b64 exec, exec, s[4:5]
	s_mov_b64 s[4:5], 0
	s_branch .LBB198_1068
.LBB198_1065:
                                        ; implicit-def: $vgpr0_vgpr1
	s_mov_b64 s[4:5], 0
	s_branch .LBB198_1074
.LBB198_1066:
	s_mov_b64 s[4:5], -1
                                        ; implicit-def: $vgpr0_vgpr1
	s_branch .LBB198_1071
.LBB198_1067:
	s_mov_b64 s[4:5], -1
                                        ; implicit-def: $vgpr0_vgpr1
.LBB198_1068:
	s_and_b64 vcc, exec, s[4:5]
	s_cbranch_vccz .LBB198_1070
; %bb.1069:
	global_load_ubyte v0, v[2:3], off
	s_mov_b32 s4, 0x7f800000
	s_brev_b32 s5, 1
	s_mov_b32 s16, 0x2f800000
	s_mov_b32 s17, 0xcf800000
	s_waitcnt vmcnt(0)
	v_lshlrev_b32_e32 v0, 24, v0
	v_and_b32_e32 v1, 0x7f000000, v0
	v_ffbh_u32_e32 v5, v1
	v_min_u32_e32 v5, 32, v5
	v_sub_u32_e64 v5, v5, 4 clamp
	v_lshlrev_b32_e32 v7, v5, v1
	v_lshlrev_b32_e32 v5, 23, v5
	v_lshrrev_b32_e32 v7, 4, v7
	v_add_u32_e32 v6, 0x1000000, v1
	v_sub_u32_e32 v5, v7, v5
	v_ashrrev_i32_e32 v6, 8, v6
	v_add_u32_e32 v5, 0x3c000000, v5
	v_and_or_b32 v5, v6, s4, v5
	v_cmp_ne_u32_e32 vcc, 0, v1
	v_cndmask_b32_e32 v1, 0, v5, vcc
	v_and_or_b32 v0, v0, s5, v1
	v_trunc_f32_e32 v0, v0
	v_mul_f32_e64 v1, |v0|, s16
	v_floor_f32_e32 v1, v1
	v_fma_f32 v5, v1, s17, |v0|
	v_cvt_u32_f32_e32 v5, v5
	v_cvt_u32_f32_e32 v1, v1
	v_ashrrev_i32_e32 v6, 31, v0
	v_xor_b32_e32 v0, v5, v6
	v_xor_b32_e32 v1, v1, v6
	v_sub_co_u32_e32 v0, vcc, v0, v6
	v_subb_co_u32_e32 v1, vcc, v1, v6, vcc
.LBB198_1070:
	s_mov_b64 s[4:5], 0
.LBB198_1071:
	s_andn2_b64 vcc, exec, s[4:5]
	s_cbranch_vccnz .LBB198_1073
; %bb.1072:
	global_load_ubyte v0, v[2:3], off
	s_movk_i32 s4, 0x7f00
	s_brev_b32 s5, 16
	s_brev_b32 s16, 1
	s_mov_b32 s17, 0x2f800000
	s_mov_b32 s18, 0xcf800000
	s_waitcnt vmcnt(0)
	v_lshlrev_b16_e32 v1, 8, v0
	v_lshlrev_b32_e32 v0, 25, v0
	v_lshrrev_b32_e32 v5, 4, v0
	v_and_or_b32 v6, v1, s4, 0.5
	v_or_b32_e32 v5, 0x70000000, v5
	v_add_f32_e32 v6, -0.5, v6
	v_mul_f32_e32 v5, 0x7800000, v5
	v_cmp_gt_u32_e32 vcc, s5, v0
	v_bfe_i32 v1, v1, 0, 16
	v_cndmask_b32_e32 v0, v5, v6, vcc
	v_and_or_b32 v0, v1, s16, v0
	v_trunc_f32_e32 v0, v0
	v_mul_f32_e64 v1, |v0|, s17
	v_floor_f32_e32 v1, v1
	v_fma_f32 v5, v1, s18, |v0|
	v_cvt_u32_f32_e32 v5, v5
	v_cvt_u32_f32_e32 v1, v1
	v_ashrrev_i32_e32 v6, 31, v0
	v_xor_b32_e32 v0, v5, v6
	v_xor_b32_e32 v1, v1, v6
	v_sub_co_u32_e32 v0, vcc, v0, v6
	v_subb_co_u32_e32 v1, vcc, v1, v6, vcc
.LBB198_1073:
	s_mov_b64 s[18:19], -1
	s_mov_b64 s[4:5], 0
	s_cbranch_execnz .LBB198_1082
.LBB198_1074:
	s_cmp_gt_i32 s22, 14
	s_cbranch_scc0 .LBB198_1077
; %bb.1075:
	s_cmp_eq_u32 s22, 15
	s_cbranch_scc0 .LBB198_1078
; %bb.1076:
	global_load_ushort v0, v[2:3], off
	s_mov_b32 s0, 0x2f800000
	s_mov_b32 s1, 0xcf800000
	s_mov_b64 s[18:19], -1
	s_waitcnt vmcnt(0)
	v_lshlrev_b32_e32 v0, 16, v0
	v_trunc_f32_e32 v0, v0
	v_mul_f32_e64 v1, |v0|, s0
	v_floor_f32_e32 v1, v1
	v_fma_f32 v5, v1, s1, |v0|
	v_cvt_u32_f32_e32 v5, v5
	v_cvt_u32_f32_e32 v1, v1
	v_ashrrev_i32_e32 v6, 31, v0
	s_mov_b64 s[0:1], 0
	v_xor_b32_e32 v0, v5, v6
	v_xor_b32_e32 v1, v1, v6
	v_sub_co_u32_e32 v0, vcc, v0, v6
	v_subb_co_u32_e32 v1, vcc, v1, v6, vcc
	s_branch .LBB198_1079
.LBB198_1077:
	s_mov_b64 s[16:17], -1
                                        ; implicit-def: $vgpr0_vgpr1
	s_branch .LBB198_1080
.LBB198_1078:
	s_mov_b64 s[0:1], -1
                                        ; implicit-def: $vgpr0_vgpr1
.LBB198_1079:
	s_mov_b64 s[16:17], 0
.LBB198_1080:
	s_and_b64 vcc, exec, s[16:17]
	s_cbranch_vccz .LBB198_1082
; %bb.1081:
	s_cmp_lg_u32 s22, 11
	s_mov_b64 s[4:5], -1
	s_cselect_b64 s[0:1], -1, 0
.LBB198_1082:
	s_and_b64 vcc, exec, s[0:1]
	s_mov_b64 s[16:17], s[14:15]
	s_cbranch_vccnz .LBB198_1143
; %bb.1083:
	s_andn2_b64 vcc, exec, s[4:5]
	s_cbranch_vccnz .LBB198_1085
.LBB198_1084:
	global_load_ubyte v0, v[2:3], off
	s_mov_b32 s0, 0
	s_waitcnt vmcnt(1)
	v_mov_b32_e32 v1, s0
	s_mov_b64 s[18:19], -1
	s_waitcnt vmcnt(0)
	v_cmp_ne_u16_e32 vcc, 0, v0
	v_cndmask_b32_e64 v0, 0, 1, vcc
.LBB198_1085:
	s_branch .LBB198_1020
.LBB198_1086:
	s_cmp_lt_i32 s22, 5
	s_cbranch_scc1 .LBB198_1091
; %bb.1087:
	s_cmp_lt_i32 s22, 8
	s_cbranch_scc1 .LBB198_1092
; %bb.1088:
	;; [unrolled: 3-line block ×3, first 2 shown]
	s_cmp_gt_i32 s22, 9
	s_cbranch_scc0 .LBB198_1094
; %bb.1090:
	global_load_dwordx2 v[0:1], v[2:3], off
	s_movk_i32 s0, 0xffe0
	s_waitcnt vmcnt(0)
	v_trunc_f64_e32 v[0:1], v[0:1]
	v_ldexp_f64 v[5:6], v[0:1], s0
	s_mov_b32 s0, 0
	s_mov_b32 s1, 0xc1f00000
	v_floor_f64_e32 v[5:6], v[5:6]
	v_fma_f64 v[7:8], v[5:6], s[0:1], v[0:1]
	v_cvt_i32_f64_e32 v1, v[5:6]
	s_mov_b64 s[0:1], 0
	v_cvt_u32_f64_e32 v0, v[7:8]
	s_branch .LBB198_1095
.LBB198_1091:
                                        ; implicit-def: $vgpr0_vgpr1
	s_branch .LBB198_1112
.LBB198_1092:
                                        ; implicit-def: $vgpr0_vgpr1
	s_branch .LBB198_1101
.LBB198_1093:
	s_mov_b64 s[0:1], -1
                                        ; implicit-def: $vgpr0_vgpr1
	s_branch .LBB198_1098
.LBB198_1094:
	s_mov_b64 s[0:1], -1
                                        ; implicit-def: $vgpr0_vgpr1
.LBB198_1095:
	s_andn2_b64 vcc, exec, s[0:1]
	s_cbranch_vccnz .LBB198_1097
; %bb.1096:
	global_load_dword v0, v[2:3], off
	s_mov_b32 s0, 0x2f800000
	s_mov_b32 s1, 0xcf800000
	s_waitcnt vmcnt(0)
	v_trunc_f32_e32 v0, v0
	v_mul_f32_e64 v1, |v0|, s0
	v_floor_f32_e32 v1, v1
	v_cvt_u32_f32_e32 v5, v1
	v_fma_f32 v1, v1, s1, |v0|
	v_cvt_u32_f32_e32 v1, v1
	v_ashrrev_i32_e32 v6, 31, v0
	v_xor_b32_e32 v5, v5, v6
	v_xor_b32_e32 v0, v1, v6
	v_sub_co_u32_e32 v0, vcc, v0, v6
	v_subb_co_u32_e32 v1, vcc, v5, v6, vcc
.LBB198_1097:
	s_mov_b64 s[0:1], 0
.LBB198_1098:
	s_andn2_b64 vcc, exec, s[0:1]
	s_cbranch_vccnz .LBB198_1100
; %bb.1099:
	global_load_dword v0, v[2:3], off
	s_waitcnt vmcnt(0)
	v_cvt_f32_f16_e32 v0, v0
	v_cvt_i32_f32_e32 v0, v0
	v_ashrrev_i32_e32 v1, 31, v0
.LBB198_1100:
	s_cbranch_execnz .LBB198_1111
.LBB198_1101:
	s_cmp_lt_i32 s22, 6
	s_cbranch_scc1 .LBB198_1104
; %bb.1102:
	s_cmp_gt_i32 s22, 6
	s_cbranch_scc0 .LBB198_1105
; %bb.1103:
	global_load_dwordx2 v[0:1], v[2:3], off
	s_movk_i32 s0, 0xffe0
	s_waitcnt vmcnt(0)
	v_trunc_f64_e32 v[0:1], v[0:1]
	v_ldexp_f64 v[5:6], v[0:1], s0
	s_mov_b32 s0, 0
	s_mov_b32 s1, 0xc1f00000
	v_floor_f64_e32 v[5:6], v[5:6]
	v_fma_f64 v[7:8], v[5:6], s[0:1], v[0:1]
	v_cvt_i32_f64_e32 v1, v[5:6]
	s_mov_b64 s[0:1], 0
	v_cvt_u32_f64_e32 v0, v[7:8]
	s_branch .LBB198_1106
.LBB198_1104:
	s_mov_b64 s[0:1], -1
                                        ; implicit-def: $vgpr0_vgpr1
	s_branch .LBB198_1109
.LBB198_1105:
	s_mov_b64 s[0:1], -1
                                        ; implicit-def: $vgpr0_vgpr1
.LBB198_1106:
	s_andn2_b64 vcc, exec, s[0:1]
	s_cbranch_vccnz .LBB198_1108
; %bb.1107:
	global_load_dword v0, v[2:3], off
	s_mov_b32 s0, 0x2f800000
	s_mov_b32 s1, 0xcf800000
	s_waitcnt vmcnt(0)
	v_trunc_f32_e32 v0, v0
	v_mul_f32_e64 v1, |v0|, s0
	v_floor_f32_e32 v1, v1
	v_cvt_u32_f32_e32 v5, v1
	v_fma_f32 v1, v1, s1, |v0|
	v_cvt_u32_f32_e32 v1, v1
	v_ashrrev_i32_e32 v6, 31, v0
	v_xor_b32_e32 v5, v5, v6
	v_xor_b32_e32 v0, v1, v6
	v_sub_co_u32_e32 v0, vcc, v0, v6
	v_subb_co_u32_e32 v1, vcc, v5, v6, vcc
.LBB198_1108:
	s_mov_b64 s[0:1], 0
.LBB198_1109:
	s_andn2_b64 vcc, exec, s[0:1]
	s_cbranch_vccnz .LBB198_1111
; %bb.1110:
	global_load_ushort v0, v[2:3], off
	s_waitcnt vmcnt(0)
	v_cvt_f32_f16_e32 v0, v0
	v_cvt_i32_f32_e32 v0, v0
	v_ashrrev_i32_e32 v1, 31, v0
.LBB198_1111:
	s_cbranch_execnz .LBB198_1130
.LBB198_1112:
	s_cmp_lt_i32 s22, 2
	s_cbranch_scc1 .LBB198_1116
; %bb.1113:
	s_cmp_lt_i32 s22, 3
	s_cbranch_scc1 .LBB198_1117
; %bb.1114:
	s_cmp_gt_i32 s22, 3
	s_cbranch_scc0 .LBB198_1118
; %bb.1115:
	global_load_dwordx2 v[0:1], v[2:3], off
	s_mov_b64 s[0:1], 0
	s_branch .LBB198_1119
.LBB198_1116:
                                        ; implicit-def: $vgpr0_vgpr1
	s_branch .LBB198_1125
.LBB198_1117:
	s_mov_b64 s[0:1], -1
                                        ; implicit-def: $vgpr0_vgpr1
	s_branch .LBB198_1122
.LBB198_1118:
	s_mov_b64 s[0:1], -1
                                        ; implicit-def: $vgpr0_vgpr1
.LBB198_1119:
	s_andn2_b64 vcc, exec, s[0:1]
	s_cbranch_vccnz .LBB198_1121
; %bb.1120:
	global_load_dword v0, v[2:3], off
	s_waitcnt vmcnt(0)
	v_ashrrev_i32_e32 v1, 31, v0
.LBB198_1121:
	s_mov_b64 s[0:1], 0
.LBB198_1122:
	s_andn2_b64 vcc, exec, s[0:1]
	s_cbranch_vccnz .LBB198_1124
; %bb.1123:
	global_load_ushort v0, v[2:3], off
	s_waitcnt vmcnt(0)
	v_bfe_i32 v0, v0, 0, 16
	v_ashrrev_i32_e32 v1, 31, v0
.LBB198_1124:
	s_cbranch_execnz .LBB198_1130
.LBB198_1125:
	s_cmp_gt_i32 s22, 0
	s_cbranch_scc0 .LBB198_1127
; %bb.1126:
	global_load_sbyte v0, v[2:3], off
	s_mov_b64 s[0:1], 0
	s_waitcnt vmcnt(0)
	v_bfe_i32 v0, v0, 0, 16
	v_ashrrev_i32_e32 v1, 31, v0
	s_branch .LBB198_1128
.LBB198_1127:
	s_mov_b64 s[0:1], -1
                                        ; implicit-def: $vgpr0_vgpr1
.LBB198_1128:
	s_andn2_b64 vcc, exec, s[0:1]
	s_cbranch_vccnz .LBB198_1130
; %bb.1129:
	global_load_ubyte v0, v[2:3], off
	s_mov_b32 s0, 0
	s_waitcnt vmcnt(1)
	v_mov_b32_e32 v1, s0
	s_waitcnt vmcnt(0)
	v_and_b32_e32 v0, 0xffff, v0
.LBB198_1130:
.LBB198_1131:
	s_lshl_b32 s13, s13, 7
	v_add_u32_e32 v6, s13, v4
	v_ashrrev_i32_e32 v2, 31, v6
	v_mov_b32_e32 v3, s11
	v_add_co_u32_e32 v4, vcc, s10, v6
	s_cmp_lt_i32 s22, 11
	v_addc_co_u32_e32 v5, vcc, v3, v2, vcc
	s_cbranch_scc1 .LBB198_1138
; %bb.1132:
	s_cmp_gt_i32 s22, 25
	s_mov_b64 s[4:5], 0
	s_cbranch_scc0 .LBB198_1140
; %bb.1133:
	s_cmp_gt_i32 s22, 28
	s_cbranch_scc0 .LBB198_1141
; %bb.1134:
	s_cmp_gt_i32 s22, 43
	;; [unrolled: 3-line block ×3, first 2 shown]
	s_cbranch_scc0 .LBB198_1144
; %bb.1136:
	s_cmp_eq_u32 s22, 46
	s_mov_b64 s[20:21], 0
	s_cbranch_scc0 .LBB198_1147
; %bb.1137:
	global_load_dword v2, v[4:5], off
	s_mov_b32 s0, 0x2f800000
	s_mov_b32 s1, 0xcf800000
	s_mov_b64 s[18:19], -1
	s_waitcnt vmcnt(0)
	v_lshlrev_b32_e32 v2, 16, v2
	v_trunc_f32_e32 v2, v2
	v_mul_f32_e64 v3, |v2|, s0
	v_floor_f32_e32 v3, v3
	v_fma_f32 v7, v3, s1, |v2|
	v_cvt_u32_f32_e32 v7, v7
	v_cvt_u32_f32_e32 v3, v3
	v_ashrrev_i32_e32 v8, 31, v2
	s_mov_b64 s[0:1], 0
	v_xor_b32_e32 v2, v7, v8
	v_xor_b32_e32 v3, v3, v8
	v_sub_co_u32_e32 v2, vcc, v2, v8
	v_subb_co_u32_e32 v3, vcc, v3, v8, vcc
	s_branch .LBB198_1148
.LBB198_1138:
	s_mov_b64 s[18:19], 0
                                        ; implicit-def: $vgpr2_vgpr3
	s_cbranch_execnz .LBB198_1209
.LBB198_1139:
	s_andn2_b64 vcc, exec, s[18:19]
	s_cbranch_vccnz .LBB198_1940
	s_branch .LBB198_1256
.LBB198_1140:
	s_mov_b64 s[18:19], 0
	s_mov_b64 s[0:1], 0
                                        ; implicit-def: $vgpr2_vgpr3
	s_cbranch_execnz .LBB198_1177
	s_branch .LBB198_1205
.LBB198_1141:
	s_mov_b64 s[20:21], -1
	s_mov_b64 s[18:19], 0
	s_mov_b64 s[0:1], 0
                                        ; implicit-def: $vgpr2_vgpr3
	s_branch .LBB198_1158
.LBB198_1142:
	s_mov_b64 s[20:21], -1
	s_mov_b64 s[18:19], 0
	s_mov_b64 s[0:1], 0
                                        ; implicit-def: $vgpr2_vgpr3
	s_branch .LBB198_1153
.LBB198_1143:
	s_or_b64 s[16:17], s[14:15], exec
	s_trap 2
	s_cbranch_execz .LBB198_1084
	s_branch .LBB198_1085
.LBB198_1144:
	s_mov_b64 s[20:21], -1
	s_mov_b64 s[18:19], 0
	s_mov_b64 s[0:1], 0
                                        ; implicit-def: $vgpr2_vgpr3
	s_branch .LBB198_1148
.LBB198_1145:
	s_andn2_saveexec_b64 s[26:27], s[26:27]
	s_cbranch_execz .LBB198_936
.LBB198_1146:
	s_mov_b32 s30, 0x42800000
	v_add_f32_e64 v5, |v4|, s30
	v_and_b32_e32 v5, 0xff, v5
	v_cmp_ne_u32_e32 vcc, 0, v5
	s_andn2_b64 s[24:25], s[24:25], exec
	s_and_b64 s[30:31], vcc, exec
	s_or_b64 s[24:25], s[24:25], s[30:31]
	s_or_b64 exec, exec, s[26:27]
	v_mov_b32_e32 v6, 0
	s_and_saveexec_b64 s[26:27], s[24:25]
	s_cbranch_execnz .LBB198_937
	s_branch .LBB198_938
.LBB198_1147:
	s_mov_b64 s[0:1], -1
                                        ; implicit-def: $vgpr2_vgpr3
	s_mov_b64 s[18:19], 0
.LBB198_1148:
	s_and_b64 vcc, exec, s[20:21]
	s_cbranch_vccz .LBB198_1152
; %bb.1149:
	s_cmp_eq_u32 s22, 44
	s_cbranch_scc0 .LBB198_1151
; %bb.1150:
	global_load_ubyte v2, v[4:5], off
	s_mov_b32 s0, 0x2f800000
	s_mov_b32 s1, 0xcf800000
	s_mov_b64 s[18:19], -1
	s_waitcnt vmcnt(0)
	v_lshlrev_b32_e32 v3, 23, v2
	v_trunc_f32_e32 v3, v3
	v_mul_f32_e64 v7, |v3|, s0
	v_floor_f32_e32 v7, v7
	v_fma_f32 v8, v7, s1, |v3|
	v_cvt_u32_f32_e32 v8, v8
	v_cvt_u32_f32_e32 v7, v7
	v_ashrrev_i32_e32 v3, 31, v3
	s_mov_b64 s[0:1], 0
	v_xor_b32_e32 v8, v8, v3
	v_xor_b32_e32 v7, v7, v3
	v_sub_co_u32_e32 v8, vcc, v8, v3
	v_subb_co_u32_e32 v3, vcc, v7, v3, vcc
	v_cmp_ne_u32_e32 vcc, 0, v2
	v_cndmask_b32_e32 v3, 0, v3, vcc
	v_cndmask_b32_e32 v2, 0, v8, vcc
	s_branch .LBB198_1152
.LBB198_1151:
	s_mov_b64 s[0:1], -1
                                        ; implicit-def: $vgpr2_vgpr3
.LBB198_1152:
	s_mov_b64 s[20:21], 0
.LBB198_1153:
	s_and_b64 vcc, exec, s[20:21]
	s_cbranch_vccz .LBB198_1157
; %bb.1154:
	s_cmp_eq_u32 s22, 29
	s_cbranch_scc0 .LBB198_1156
; %bb.1155:
	global_load_dwordx2 v[2:3], v[4:5], off
	s_mov_b64 s[0:1], 0
	s_mov_b64 s[18:19], -1
	s_branch .LBB198_1157
.LBB198_1156:
	s_mov_b64 s[0:1], -1
                                        ; implicit-def: $vgpr2_vgpr3
.LBB198_1157:
	s_mov_b64 s[20:21], 0
.LBB198_1158:
	s_and_b64 vcc, exec, s[20:21]
	s_cbranch_vccz .LBB198_1176
; %bb.1159:
	s_cmp_lt_i32 s22, 27
	s_cbranch_scc1 .LBB198_1162
; %bb.1160:
	s_cmp_gt_i32 s22, 27
	s_cbranch_scc0 .LBB198_1163
; %bb.1161:
	global_load_dword v2, v[4:5], off
	s_waitcnt vmcnt(1)
	v_mov_b32_e32 v3, 0
	s_mov_b64 s[18:19], 0
	s_branch .LBB198_1164
.LBB198_1162:
	s_mov_b64 s[18:19], -1
                                        ; implicit-def: $vgpr2_vgpr3
	s_branch .LBB198_1167
.LBB198_1163:
	s_mov_b64 s[18:19], -1
                                        ; implicit-def: $vgpr2_vgpr3
.LBB198_1164:
	s_andn2_b64 vcc, exec, s[18:19]
	s_cbranch_vccnz .LBB198_1166
; %bb.1165:
	global_load_ushort v2, v[4:5], off
	s_mov_b32 s18, 0
	s_waitcnt vmcnt(1)
	v_mov_b32_e32 v3, s18
	s_waitcnt vmcnt(0)
	v_and_b32_e32 v2, 0xffff, v2
.LBB198_1166:
	s_mov_b64 s[18:19], 0
.LBB198_1167:
	s_andn2_b64 vcc, exec, s[18:19]
	s_cbranch_vccnz .LBB198_1175
; %bb.1168:
	global_load_ubyte v7, v[4:5], off
	s_movk_i32 s18, 0x7f
	s_mov_b64 s[20:21], 0
	s_waitcnt vmcnt(0)
	v_cmp_lt_i16_e32 vcc, s18, v7
	s_and_saveexec_b64 s[18:19], vcc
	s_xor_b64 s[18:19], exec, s[18:19]
; %bb.1169:
	s_movk_i32 s20, 0x80
	v_cmp_ne_u16_e32 vcc, s20, v7
	s_and_b64 s[20:21], vcc, exec
; %bb.1170:
	s_andn2_saveexec_b64 s[18:19], s[18:19]
; %bb.1171:
	v_cmp_ne_u16_e32 vcc, 0, v7
	s_andn2_b64 s[20:21], s[20:21], exec
	s_and_b64 s[24:25], vcc, exec
	s_or_b64 s[20:21], s[20:21], s[24:25]
; %bb.1172:
	s_or_b64 exec, exec, s[18:19]
	v_mov_b32_e32 v2, 0
	v_mov_b32_e32 v3, 0
	s_and_saveexec_b64 s[18:19], s[20:21]
	s_cbranch_execz .LBB198_1174
; %bb.1173:
	v_and_b32_e32 v3, 0xffff, v7
	v_lshlrev_b32_e32 v2, 24, v7
	v_and_b32_e32 v7, 7, v3
	v_ffbh_u32_e32 v9, v7
	v_min_u32_e32 v9, 32, v9
	v_subrev_u32_e32 v11, 28, v9
	v_bfe_u32 v8, v3, 3, 4
	v_lshlrev_b32_e32 v3, v11, v3
	v_sub_u32_e32 v9, 29, v9
	v_and_b32_e32 v3, 7, v3
	v_cmp_eq_u32_e32 vcc, 0, v8
	v_cndmask_b32_e32 v8, v8, v9, vcc
	v_cndmask_b32_e32 v3, v7, v3, vcc
	v_mov_b32_e32 v7, 0x3b800000
	v_lshlrev_b32_e32 v3, 20, v3
	v_and_b32_e32 v2, 0x80000000, v2
	v_lshl_add_u32 v7, v8, 23, v7
	v_or3_b32 v2, v2, v7, v3
	v_trunc_f32_e32 v2, v2
	s_mov_b32 s20, 0x2f800000
	v_mul_f32_e64 v3, |v2|, s20
	v_floor_f32_e32 v3, v3
	s_mov_b32 s20, 0xcf800000
	v_fma_f32 v7, v3, s20, |v2|
	v_cvt_u32_f32_e32 v7, v7
	v_cvt_u32_f32_e32 v3, v3
	v_ashrrev_i32_e32 v8, 31, v2
	v_xor_b32_e32 v2, v7, v8
	v_xor_b32_e32 v3, v3, v8
	v_sub_co_u32_e32 v2, vcc, v2, v8
	v_subb_co_u32_e32 v3, vcc, v3, v8, vcc
.LBB198_1174:
	s_or_b64 exec, exec, s[18:19]
.LBB198_1175:
	s_mov_b64 s[18:19], -1
.LBB198_1176:
	s_branch .LBB198_1205
.LBB198_1177:
	s_cmp_gt_i32 s22, 22
	s_cbranch_scc0 .LBB198_1187
; %bb.1178:
	s_cmp_lt_i32 s22, 24
	s_cbranch_scc1 .LBB198_1188
; %bb.1179:
	s_cmp_gt_i32 s22, 24
	s_cbranch_scc0 .LBB198_1189
; %bb.1180:
	global_load_ubyte v7, v[4:5], off
	s_movk_i32 s4, 0x7f
	s_mov_b64 s[18:19], 0
	s_waitcnt vmcnt(0)
	v_cmp_lt_i16_e32 vcc, s4, v7
	s_and_saveexec_b64 s[4:5], vcc
	s_xor_b64 s[4:5], exec, s[4:5]
; %bb.1181:
	s_movk_i32 s18, 0x80
	v_cmp_ne_u16_e32 vcc, s18, v7
	s_and_b64 s[18:19], vcc, exec
; %bb.1182:
	s_andn2_saveexec_b64 s[4:5], s[4:5]
; %bb.1183:
	v_cmp_ne_u16_e32 vcc, 0, v7
	s_andn2_b64 s[18:19], s[18:19], exec
	s_and_b64 s[20:21], vcc, exec
	s_or_b64 s[18:19], s[18:19], s[20:21]
; %bb.1184:
	s_or_b64 exec, exec, s[4:5]
	v_mov_b32_e32 v2, 0
	v_mov_b32_e32 v3, 0
	s_and_saveexec_b64 s[4:5], s[18:19]
	s_cbranch_execz .LBB198_1186
; %bb.1185:
	v_and_b32_e32 v3, 0xffff, v7
	v_lshlrev_b32_e32 v2, 24, v7
	v_and_b32_e32 v7, 3, v3
	v_ffbh_u32_e32 v9, v7
	v_min_u32_e32 v9, 32, v9
	v_subrev_u32_e32 v11, 29, v9
	v_bfe_u32 v8, v3, 2, 5
	v_lshlrev_b32_e32 v3, v11, v3
	v_sub_u32_e32 v9, 30, v9
	v_and_b32_e32 v3, 3, v3
	v_cmp_eq_u32_e32 vcc, 0, v8
	v_cndmask_b32_e32 v8, v8, v9, vcc
	v_cndmask_b32_e32 v3, v7, v3, vcc
	v_mov_b32_e32 v7, 0x37800000
	v_lshlrev_b32_e32 v3, 21, v3
	v_and_b32_e32 v2, 0x80000000, v2
	v_lshl_add_u32 v7, v8, 23, v7
	v_or3_b32 v2, v2, v7, v3
	v_trunc_f32_e32 v2, v2
	s_mov_b32 s18, 0x2f800000
	v_mul_f32_e64 v3, |v2|, s18
	v_floor_f32_e32 v3, v3
	s_mov_b32 s18, 0xcf800000
	v_fma_f32 v7, v3, s18, |v2|
	v_cvt_u32_f32_e32 v7, v7
	v_cvt_u32_f32_e32 v3, v3
	v_ashrrev_i32_e32 v8, 31, v2
	v_xor_b32_e32 v2, v7, v8
	v_xor_b32_e32 v3, v3, v8
	v_sub_co_u32_e32 v2, vcc, v2, v8
	v_subb_co_u32_e32 v3, vcc, v3, v8, vcc
.LBB198_1186:
	s_or_b64 exec, exec, s[4:5]
	s_mov_b64 s[4:5], 0
	s_branch .LBB198_1190
.LBB198_1187:
	s_mov_b64 s[4:5], -1
                                        ; implicit-def: $vgpr2_vgpr3
	s_branch .LBB198_1196
.LBB198_1188:
	s_mov_b64 s[4:5], -1
                                        ; implicit-def: $vgpr2_vgpr3
	s_branch .LBB198_1193
.LBB198_1189:
	s_mov_b64 s[4:5], -1
                                        ; implicit-def: $vgpr2_vgpr3
.LBB198_1190:
	s_and_b64 vcc, exec, s[4:5]
	s_cbranch_vccz .LBB198_1192
; %bb.1191:
	global_load_ubyte v2, v[4:5], off
	s_mov_b32 s4, 0x7f800000
	s_brev_b32 s5, 1
	s_mov_b32 s18, 0x2f800000
	s_mov_b32 s19, 0xcf800000
	s_waitcnt vmcnt(0)
	v_lshlrev_b32_e32 v2, 24, v2
	v_and_b32_e32 v3, 0x7f000000, v2
	v_ffbh_u32_e32 v7, v3
	v_min_u32_e32 v7, 32, v7
	v_sub_u32_e64 v7, v7, 4 clamp
	v_lshlrev_b32_e32 v9, v7, v3
	v_lshlrev_b32_e32 v7, 23, v7
	v_lshrrev_b32_e32 v9, 4, v9
	v_add_u32_e32 v8, 0x1000000, v3
	v_sub_u32_e32 v7, v9, v7
	v_ashrrev_i32_e32 v8, 8, v8
	v_add_u32_e32 v7, 0x3c000000, v7
	v_and_or_b32 v7, v8, s4, v7
	v_cmp_ne_u32_e32 vcc, 0, v3
	v_cndmask_b32_e32 v3, 0, v7, vcc
	v_and_or_b32 v2, v2, s5, v3
	v_trunc_f32_e32 v2, v2
	v_mul_f32_e64 v3, |v2|, s18
	v_floor_f32_e32 v3, v3
	v_fma_f32 v7, v3, s19, |v2|
	v_cvt_u32_f32_e32 v7, v7
	v_cvt_u32_f32_e32 v3, v3
	v_ashrrev_i32_e32 v8, 31, v2
	v_xor_b32_e32 v2, v7, v8
	v_xor_b32_e32 v3, v3, v8
	v_sub_co_u32_e32 v2, vcc, v2, v8
	v_subb_co_u32_e32 v3, vcc, v3, v8, vcc
.LBB198_1192:
	s_mov_b64 s[4:5], 0
.LBB198_1193:
	s_andn2_b64 vcc, exec, s[4:5]
	s_cbranch_vccnz .LBB198_1195
; %bb.1194:
	global_load_ubyte v2, v[4:5], off
	s_movk_i32 s4, 0x7f00
	s_brev_b32 s5, 16
	s_brev_b32 s18, 1
	s_mov_b32 s19, 0x2f800000
	s_mov_b32 s20, 0xcf800000
	s_waitcnt vmcnt(0)
	v_lshlrev_b16_e32 v3, 8, v2
	v_lshlrev_b32_e32 v2, 25, v2
	v_lshrrev_b32_e32 v7, 4, v2
	v_and_or_b32 v8, v3, s4, 0.5
	v_or_b32_e32 v7, 0x70000000, v7
	v_add_f32_e32 v8, -0.5, v8
	v_mul_f32_e32 v7, 0x7800000, v7
	v_cmp_gt_u32_e32 vcc, s5, v2
	v_bfe_i32 v3, v3, 0, 16
	v_cndmask_b32_e32 v2, v7, v8, vcc
	v_and_or_b32 v2, v3, s18, v2
	v_trunc_f32_e32 v2, v2
	v_mul_f32_e64 v3, |v2|, s19
	v_floor_f32_e32 v3, v3
	v_fma_f32 v7, v3, s20, |v2|
	v_cvt_u32_f32_e32 v7, v7
	v_cvt_u32_f32_e32 v3, v3
	v_ashrrev_i32_e32 v8, 31, v2
	v_xor_b32_e32 v2, v7, v8
	v_xor_b32_e32 v3, v3, v8
	v_sub_co_u32_e32 v2, vcc, v2, v8
	v_subb_co_u32_e32 v3, vcc, v3, v8, vcc
.LBB198_1195:
	s_mov_b64 s[4:5], 0
	s_mov_b64 s[18:19], -1
.LBB198_1196:
	s_andn2_b64 vcc, exec, s[4:5]
	s_mov_b64 s[4:5], 0
	s_cbranch_vccnz .LBB198_1205
; %bb.1197:
	s_cmp_gt_i32 s22, 14
	s_cbranch_scc0 .LBB198_1200
; %bb.1198:
	s_cmp_eq_u32 s22, 15
	s_cbranch_scc0 .LBB198_1201
; %bb.1199:
	global_load_ushort v2, v[4:5], off
	s_mov_b32 s0, 0x2f800000
	s_mov_b32 s1, 0xcf800000
	s_mov_b64 s[18:19], -1
	s_waitcnt vmcnt(0)
	v_lshlrev_b32_e32 v2, 16, v2
	v_trunc_f32_e32 v2, v2
	v_mul_f32_e64 v3, |v2|, s0
	v_floor_f32_e32 v3, v3
	v_fma_f32 v7, v3, s1, |v2|
	v_cvt_u32_f32_e32 v7, v7
	v_cvt_u32_f32_e32 v3, v3
	v_ashrrev_i32_e32 v8, 31, v2
	s_mov_b64 s[0:1], 0
	v_xor_b32_e32 v2, v7, v8
	v_xor_b32_e32 v3, v3, v8
	v_sub_co_u32_e32 v2, vcc, v2, v8
	v_subb_co_u32_e32 v3, vcc, v3, v8, vcc
	s_branch .LBB198_1202
.LBB198_1200:
	s_mov_b64 s[20:21], -1
                                        ; implicit-def: $vgpr2_vgpr3
	s_branch .LBB198_1203
.LBB198_1201:
	s_mov_b64 s[0:1], -1
                                        ; implicit-def: $vgpr2_vgpr3
.LBB198_1202:
	s_mov_b64 s[20:21], 0
.LBB198_1203:
	s_and_b64 vcc, exec, s[20:21]
	s_cbranch_vccz .LBB198_1205
; %bb.1204:
	s_cmp_lg_u32 s22, 11
	s_mov_b64 s[4:5], -1
	s_cselect_b64 s[0:1], -1, 0
.LBB198_1205:
	s_and_b64 vcc, exec, s[0:1]
	s_cbranch_vccnz .LBB198_1268
; %bb.1206:
	s_andn2_b64 vcc, exec, s[4:5]
	s_cbranch_vccnz .LBB198_1208
.LBB198_1207:
	global_load_ubyte v2, v[4:5], off
	s_mov_b32 s0, 0
	s_waitcnt vmcnt(1)
	v_mov_b32_e32 v3, s0
	s_mov_b64 s[18:19], -1
	s_waitcnt vmcnt(0)
	v_cmp_ne_u16_e32 vcc, 0, v2
	v_cndmask_b32_e64 v2, 0, 1, vcc
.LBB198_1208:
	s_branch .LBB198_1139
.LBB198_1209:
	s_cmp_lt_i32 s22, 5
	s_cbranch_scc1 .LBB198_1214
; %bb.1210:
	s_cmp_lt_i32 s22, 8
	s_cbranch_scc1 .LBB198_1215
; %bb.1211:
	;; [unrolled: 3-line block ×3, first 2 shown]
	s_cmp_gt_i32 s22, 9
	s_cbranch_scc0 .LBB198_1217
; %bb.1213:
	global_load_dwordx2 v[2:3], v[4:5], off
	s_movk_i32 s0, 0xffe0
	s_waitcnt vmcnt(0)
	v_trunc_f64_e32 v[2:3], v[2:3]
	v_ldexp_f64 v[7:8], v[2:3], s0
	s_mov_b32 s0, 0
	s_mov_b32 s1, 0xc1f00000
	v_floor_f64_e32 v[7:8], v[7:8]
	v_fma_f64 v[11:12], v[7:8], s[0:1], v[2:3]
	v_cvt_i32_f64_e32 v3, v[7:8]
	s_mov_b64 s[0:1], 0
	v_cvt_u32_f64_e32 v2, v[11:12]
	s_branch .LBB198_1218
.LBB198_1214:
                                        ; implicit-def: $vgpr2_vgpr3
	s_branch .LBB198_1236
.LBB198_1215:
	s_mov_b64 s[0:1], -1
                                        ; implicit-def: $vgpr2_vgpr3
	s_branch .LBB198_1224
.LBB198_1216:
	s_mov_b64 s[0:1], -1
                                        ; implicit-def: $vgpr2_vgpr3
	s_branch .LBB198_1221
.LBB198_1217:
	s_mov_b64 s[0:1], -1
                                        ; implicit-def: $vgpr2_vgpr3
.LBB198_1218:
	s_andn2_b64 vcc, exec, s[0:1]
	s_cbranch_vccnz .LBB198_1220
; %bb.1219:
	global_load_dword v2, v[4:5], off
	s_mov_b32 s0, 0x2f800000
	s_mov_b32 s1, 0xcf800000
	s_waitcnt vmcnt(0)
	v_trunc_f32_e32 v2, v2
	v_mul_f32_e64 v3, |v2|, s0
	v_floor_f32_e32 v3, v3
	v_cvt_u32_f32_e32 v7, v3
	v_fma_f32 v3, v3, s1, |v2|
	v_cvt_u32_f32_e32 v3, v3
	v_ashrrev_i32_e32 v8, 31, v2
	v_xor_b32_e32 v7, v7, v8
	v_xor_b32_e32 v2, v3, v8
	v_sub_co_u32_e32 v2, vcc, v2, v8
	v_subb_co_u32_e32 v3, vcc, v7, v8, vcc
.LBB198_1220:
	s_mov_b64 s[0:1], 0
.LBB198_1221:
	s_andn2_b64 vcc, exec, s[0:1]
	s_cbranch_vccnz .LBB198_1223
; %bb.1222:
	global_load_dword v2, v[4:5], off
	s_waitcnt vmcnt(0)
	v_cvt_f32_f16_e32 v2, v2
	v_cvt_i32_f32_e32 v2, v2
	v_ashrrev_i32_e32 v3, 31, v2
.LBB198_1223:
	s_mov_b64 s[0:1], 0
.LBB198_1224:
	s_andn2_b64 vcc, exec, s[0:1]
	s_cbranch_vccnz .LBB198_1235
; %bb.1225:
	s_cmp_lt_i32 s22, 6
	s_cbranch_scc1 .LBB198_1228
; %bb.1226:
	s_cmp_gt_i32 s22, 6
	s_cbranch_scc0 .LBB198_1229
; %bb.1227:
	global_load_dwordx2 v[2:3], v[4:5], off
	s_movk_i32 s0, 0xffe0
	s_waitcnt vmcnt(0)
	v_trunc_f64_e32 v[2:3], v[2:3]
	v_ldexp_f64 v[7:8], v[2:3], s0
	s_mov_b32 s0, 0
	s_mov_b32 s1, 0xc1f00000
	v_floor_f64_e32 v[7:8], v[7:8]
	v_fma_f64 v[11:12], v[7:8], s[0:1], v[2:3]
	v_cvt_i32_f64_e32 v3, v[7:8]
	s_mov_b64 s[0:1], 0
	v_cvt_u32_f64_e32 v2, v[11:12]
	s_branch .LBB198_1230
.LBB198_1228:
	s_mov_b64 s[0:1], -1
                                        ; implicit-def: $vgpr2_vgpr3
	s_branch .LBB198_1233
.LBB198_1229:
	s_mov_b64 s[0:1], -1
                                        ; implicit-def: $vgpr2_vgpr3
.LBB198_1230:
	s_andn2_b64 vcc, exec, s[0:1]
	s_cbranch_vccnz .LBB198_1232
; %bb.1231:
	global_load_dword v2, v[4:5], off
	s_mov_b32 s0, 0x2f800000
	s_mov_b32 s1, 0xcf800000
	s_waitcnt vmcnt(0)
	v_trunc_f32_e32 v2, v2
	v_mul_f32_e64 v3, |v2|, s0
	v_floor_f32_e32 v3, v3
	v_cvt_u32_f32_e32 v7, v3
	v_fma_f32 v3, v3, s1, |v2|
	v_cvt_u32_f32_e32 v3, v3
	v_ashrrev_i32_e32 v8, 31, v2
	v_xor_b32_e32 v7, v7, v8
	v_xor_b32_e32 v2, v3, v8
	v_sub_co_u32_e32 v2, vcc, v2, v8
	v_subb_co_u32_e32 v3, vcc, v7, v8, vcc
.LBB198_1232:
	s_mov_b64 s[0:1], 0
.LBB198_1233:
	s_andn2_b64 vcc, exec, s[0:1]
	s_cbranch_vccnz .LBB198_1235
; %bb.1234:
	global_load_ushort v2, v[4:5], off
	s_waitcnt vmcnt(0)
	v_cvt_f32_f16_e32 v2, v2
	v_cvt_i32_f32_e32 v2, v2
	v_ashrrev_i32_e32 v3, 31, v2
.LBB198_1235:
	s_cbranch_execnz .LBB198_1255
.LBB198_1236:
	s_cmp_lt_i32 s22, 2
	s_cbranch_scc1 .LBB198_1240
; %bb.1237:
	s_cmp_lt_i32 s22, 3
	s_cbranch_scc1 .LBB198_1241
; %bb.1238:
	s_cmp_gt_i32 s22, 3
	s_cbranch_scc0 .LBB198_1242
; %bb.1239:
	global_load_dwordx2 v[2:3], v[4:5], off
	s_mov_b64 s[0:1], 0
	s_branch .LBB198_1243
.LBB198_1240:
	s_mov_b64 s[0:1], -1
                                        ; implicit-def: $vgpr2_vgpr3
	s_branch .LBB198_1249
.LBB198_1241:
	s_mov_b64 s[0:1], -1
                                        ; implicit-def: $vgpr2_vgpr3
	s_branch .LBB198_1246
.LBB198_1242:
	s_mov_b64 s[0:1], -1
                                        ; implicit-def: $vgpr2_vgpr3
.LBB198_1243:
	s_andn2_b64 vcc, exec, s[0:1]
	s_cbranch_vccnz .LBB198_1245
; %bb.1244:
	global_load_dword v2, v[4:5], off
	s_waitcnt vmcnt(0)
	v_ashrrev_i32_e32 v3, 31, v2
.LBB198_1245:
	s_mov_b64 s[0:1], 0
.LBB198_1246:
	s_andn2_b64 vcc, exec, s[0:1]
	s_cbranch_vccnz .LBB198_1248
; %bb.1247:
	global_load_ushort v2, v[4:5], off
	s_waitcnt vmcnt(0)
	v_bfe_i32 v2, v2, 0, 16
	v_ashrrev_i32_e32 v3, 31, v2
.LBB198_1248:
	s_mov_b64 s[0:1], 0
.LBB198_1249:
	s_andn2_b64 vcc, exec, s[0:1]
	s_cbranch_vccnz .LBB198_1255
; %bb.1250:
	s_cmp_gt_i32 s22, 0
	s_cbranch_scc0 .LBB198_1252
; %bb.1251:
	global_load_sbyte v2, v[4:5], off
	s_mov_b64 s[0:1], 0
	s_waitcnt vmcnt(0)
	v_bfe_i32 v2, v2, 0, 16
	v_ashrrev_i32_e32 v3, 31, v2
	s_branch .LBB198_1253
.LBB198_1252:
	s_mov_b64 s[0:1], -1
                                        ; implicit-def: $vgpr2_vgpr3
.LBB198_1253:
	s_andn2_b64 vcc, exec, s[0:1]
	s_cbranch_vccnz .LBB198_1255
; %bb.1254:
	global_load_ubyte v2, v[4:5], off
	s_mov_b32 s0, 0
	s_waitcnt vmcnt(1)
	v_mov_b32_e32 v3, s0
	s_waitcnt vmcnt(0)
	v_and_b32_e32 v2, 0xffff, v2
.LBB198_1255:
.LBB198_1256:
	v_add_u32_e32 v8, s13, v6
	v_ashrrev_i32_e32 v4, 31, v8
	v_mov_b32_e32 v5, s11
	v_add_co_u32_e32 v6, vcc, s10, v8
	s_cmp_lt_i32 s22, 11
	v_addc_co_u32_e32 v7, vcc, v5, v4, vcc
	s_cbranch_scc1 .LBB198_1263
; %bb.1257:
	s_cmp_gt_i32 s22, 25
	s_mov_b64 s[4:5], 0
	s_cbranch_scc0 .LBB198_1265
; %bb.1258:
	s_cmp_gt_i32 s22, 28
	s_cbranch_scc0 .LBB198_1266
; %bb.1259:
	s_cmp_gt_i32 s22, 43
	;; [unrolled: 3-line block ×3, first 2 shown]
	s_cbranch_scc0 .LBB198_1269
; %bb.1261:
	s_cmp_eq_u32 s22, 46
	s_mov_b64 s[20:21], 0
	s_cbranch_scc0 .LBB198_1270
; %bb.1262:
	global_load_dword v4, v[6:7], off
	s_mov_b32 s0, 0x2f800000
	s_mov_b32 s1, 0xcf800000
	s_mov_b64 s[18:19], -1
	s_waitcnt vmcnt(0)
	v_lshlrev_b32_e32 v4, 16, v4
	v_trunc_f32_e32 v4, v4
	v_mul_f32_e64 v5, |v4|, s0
	v_floor_f32_e32 v5, v5
	v_fma_f32 v9, v5, s1, |v4|
	v_cvt_u32_f32_e32 v9, v9
	v_cvt_u32_f32_e32 v5, v5
	v_ashrrev_i32_e32 v11, 31, v4
	s_mov_b64 s[0:1], 0
	v_xor_b32_e32 v4, v9, v11
	v_xor_b32_e32 v5, v5, v11
	v_sub_co_u32_e32 v4, vcc, v4, v11
	v_subb_co_u32_e32 v5, vcc, v5, v11, vcc
	s_branch .LBB198_1271
.LBB198_1263:
	s_mov_b64 s[18:19], 0
                                        ; implicit-def: $vgpr4_vgpr5
	s_cbranch_execnz .LBB198_1333
.LBB198_1264:
	s_andn2_b64 vcc, exec, s[18:19]
	s_cbranch_vccnz .LBB198_1940
	s_branch .LBB198_1381
.LBB198_1265:
	s_mov_b64 s[20:21], -1
	s_mov_b64 s[18:19], 0
	s_mov_b64 s[0:1], 0
                                        ; implicit-def: $vgpr4_vgpr5
	s_branch .LBB198_1300
.LBB198_1266:
	s_mov_b64 s[20:21], -1
	s_mov_b64 s[18:19], 0
	s_mov_b64 s[0:1], 0
                                        ; implicit-def: $vgpr4_vgpr5
	s_branch .LBB198_1281
.LBB198_1267:
	s_mov_b64 s[20:21], -1
	s_mov_b64 s[18:19], 0
	s_mov_b64 s[0:1], 0
                                        ; implicit-def: $vgpr4_vgpr5
	s_branch .LBB198_1276
.LBB198_1268:
	s_trap 2
	s_or_b64 s[16:17], s[16:17], exec
	s_cbranch_execz .LBB198_1207
	s_branch .LBB198_1208
.LBB198_1269:
	s_mov_b64 s[20:21], -1
	s_mov_b64 s[18:19], 0
	s_mov_b64 s[0:1], 0
                                        ; implicit-def: $vgpr4_vgpr5
	s_branch .LBB198_1271
.LBB198_1270:
	s_mov_b64 s[0:1], -1
                                        ; implicit-def: $vgpr4_vgpr5
	s_mov_b64 s[18:19], 0
.LBB198_1271:
	s_and_b64 vcc, exec, s[20:21]
	s_cbranch_vccz .LBB198_1275
; %bb.1272:
	s_cmp_eq_u32 s22, 44
	s_cbranch_scc0 .LBB198_1274
; %bb.1273:
	global_load_ubyte v4, v[6:7], off
	s_mov_b32 s0, 0x2f800000
	s_mov_b32 s1, 0xcf800000
	s_mov_b64 s[18:19], -1
	s_waitcnt vmcnt(0)
	v_lshlrev_b32_e32 v5, 23, v4
	v_trunc_f32_e32 v5, v5
	v_mul_f32_e64 v9, |v5|, s0
	v_floor_f32_e32 v9, v9
	v_fma_f32 v11, v9, s1, |v5|
	v_cvt_u32_f32_e32 v11, v11
	v_cvt_u32_f32_e32 v9, v9
	v_ashrrev_i32_e32 v5, 31, v5
	s_mov_b64 s[0:1], 0
	v_xor_b32_e32 v11, v11, v5
	v_xor_b32_e32 v9, v9, v5
	v_sub_co_u32_e32 v11, vcc, v11, v5
	v_subb_co_u32_e32 v5, vcc, v9, v5, vcc
	v_cmp_ne_u32_e32 vcc, 0, v4
	v_cndmask_b32_e32 v5, 0, v5, vcc
	v_cndmask_b32_e32 v4, 0, v11, vcc
	s_branch .LBB198_1275
.LBB198_1274:
	s_mov_b64 s[0:1], -1
                                        ; implicit-def: $vgpr4_vgpr5
.LBB198_1275:
	s_mov_b64 s[20:21], 0
.LBB198_1276:
	s_and_b64 vcc, exec, s[20:21]
	s_cbranch_vccz .LBB198_1280
; %bb.1277:
	s_cmp_eq_u32 s22, 29
	s_cbranch_scc0 .LBB198_1279
; %bb.1278:
	global_load_dwordx2 v[4:5], v[6:7], off
	s_mov_b64 s[0:1], 0
	s_mov_b64 s[18:19], -1
	s_branch .LBB198_1280
.LBB198_1279:
	s_mov_b64 s[0:1], -1
                                        ; implicit-def: $vgpr4_vgpr5
.LBB198_1280:
	s_mov_b64 s[20:21], 0
.LBB198_1281:
	s_and_b64 vcc, exec, s[20:21]
	s_cbranch_vccz .LBB198_1299
; %bb.1282:
	s_cmp_lt_i32 s22, 27
	s_cbranch_scc1 .LBB198_1285
; %bb.1283:
	s_cmp_gt_i32 s22, 27
	s_cbranch_scc0 .LBB198_1286
; %bb.1284:
	global_load_dword v4, v[6:7], off
	s_waitcnt vmcnt(1)
	v_mov_b32_e32 v5, 0
	s_mov_b64 s[18:19], 0
	s_branch .LBB198_1287
.LBB198_1285:
	s_mov_b64 s[18:19], -1
                                        ; implicit-def: $vgpr4_vgpr5
	s_branch .LBB198_1290
.LBB198_1286:
	s_mov_b64 s[18:19], -1
                                        ; implicit-def: $vgpr4_vgpr5
.LBB198_1287:
	s_andn2_b64 vcc, exec, s[18:19]
	s_cbranch_vccnz .LBB198_1289
; %bb.1288:
	global_load_ushort v4, v[6:7], off
	s_mov_b32 s18, 0
	s_waitcnt vmcnt(1)
	v_mov_b32_e32 v5, s18
	s_waitcnt vmcnt(0)
	v_and_b32_e32 v4, 0xffff, v4
.LBB198_1289:
	s_mov_b64 s[18:19], 0
.LBB198_1290:
	s_andn2_b64 vcc, exec, s[18:19]
	s_cbranch_vccnz .LBB198_1298
; %bb.1291:
	global_load_ubyte v9, v[6:7], off
	s_movk_i32 s18, 0x7f
	s_mov_b64 s[20:21], 0
	s_waitcnt vmcnt(0)
	v_cmp_lt_i16_e32 vcc, s18, v9
	s_and_saveexec_b64 s[18:19], vcc
	s_xor_b64 s[18:19], exec, s[18:19]
; %bb.1292:
	s_movk_i32 s20, 0x80
	v_cmp_ne_u16_e32 vcc, s20, v9
	s_and_b64 s[20:21], vcc, exec
; %bb.1293:
	s_andn2_saveexec_b64 s[18:19], s[18:19]
; %bb.1294:
	v_cmp_ne_u16_e32 vcc, 0, v9
	s_andn2_b64 s[20:21], s[20:21], exec
	s_and_b64 s[24:25], vcc, exec
	s_or_b64 s[20:21], s[20:21], s[24:25]
; %bb.1295:
	s_or_b64 exec, exec, s[18:19]
	v_mov_b32_e32 v4, 0
	v_mov_b32_e32 v5, 0
	s_and_saveexec_b64 s[18:19], s[20:21]
	s_cbranch_execz .LBB198_1297
; %bb.1296:
	v_and_b32_e32 v5, 0xffff, v9
	v_lshlrev_b32_e32 v4, 24, v9
	v_and_b32_e32 v9, 7, v5
	v_ffbh_u32_e32 v12, v9
	v_min_u32_e32 v12, 32, v12
	v_subrev_u32_e32 v13, 28, v12
	v_bfe_u32 v11, v5, 3, 4
	v_lshlrev_b32_e32 v5, v13, v5
	v_sub_u32_e32 v12, 29, v12
	v_and_b32_e32 v5, 7, v5
	v_cmp_eq_u32_e32 vcc, 0, v11
	v_cndmask_b32_e32 v11, v11, v12, vcc
	v_cndmask_b32_e32 v5, v9, v5, vcc
	v_mov_b32_e32 v9, 0x3b800000
	v_lshlrev_b32_e32 v5, 20, v5
	v_and_b32_e32 v4, 0x80000000, v4
	v_lshl_add_u32 v9, v11, 23, v9
	v_or3_b32 v4, v4, v9, v5
	v_trunc_f32_e32 v4, v4
	s_mov_b32 s20, 0x2f800000
	v_mul_f32_e64 v5, |v4|, s20
	v_floor_f32_e32 v5, v5
	s_mov_b32 s20, 0xcf800000
	v_fma_f32 v9, v5, s20, |v4|
	v_cvt_u32_f32_e32 v9, v9
	v_cvt_u32_f32_e32 v5, v5
	v_ashrrev_i32_e32 v11, 31, v4
	v_xor_b32_e32 v4, v9, v11
	v_xor_b32_e32 v5, v5, v11
	v_sub_co_u32_e32 v4, vcc, v4, v11
	v_subb_co_u32_e32 v5, vcc, v5, v11, vcc
.LBB198_1297:
	s_or_b64 exec, exec, s[18:19]
.LBB198_1298:
	s_mov_b64 s[18:19], -1
.LBB198_1299:
	s_mov_b64 s[20:21], 0
.LBB198_1300:
	s_and_b64 vcc, exec, s[20:21]
	s_cbranch_vccz .LBB198_1329
; %bb.1301:
	s_cmp_gt_i32 s22, 22
	s_cbranch_scc0 .LBB198_1311
; %bb.1302:
	s_cmp_lt_i32 s22, 24
	s_cbranch_scc1 .LBB198_1312
; %bb.1303:
	s_cmp_gt_i32 s22, 24
	s_cbranch_scc0 .LBB198_1313
; %bb.1304:
	global_load_ubyte v9, v[6:7], off
	s_movk_i32 s4, 0x7f
	s_mov_b64 s[18:19], 0
	s_waitcnt vmcnt(0)
	v_cmp_lt_i16_e32 vcc, s4, v9
	s_and_saveexec_b64 s[4:5], vcc
	s_xor_b64 s[4:5], exec, s[4:5]
; %bb.1305:
	s_movk_i32 s18, 0x80
	v_cmp_ne_u16_e32 vcc, s18, v9
	s_and_b64 s[18:19], vcc, exec
; %bb.1306:
	s_andn2_saveexec_b64 s[4:5], s[4:5]
; %bb.1307:
	v_cmp_ne_u16_e32 vcc, 0, v9
	s_andn2_b64 s[18:19], s[18:19], exec
	s_and_b64 s[20:21], vcc, exec
	s_or_b64 s[18:19], s[18:19], s[20:21]
; %bb.1308:
	s_or_b64 exec, exec, s[4:5]
	v_mov_b32_e32 v4, 0
	v_mov_b32_e32 v5, 0
	s_and_saveexec_b64 s[4:5], s[18:19]
	s_cbranch_execz .LBB198_1310
; %bb.1309:
	v_and_b32_e32 v5, 0xffff, v9
	v_lshlrev_b32_e32 v4, 24, v9
	v_and_b32_e32 v9, 3, v5
	v_ffbh_u32_e32 v12, v9
	v_min_u32_e32 v12, 32, v12
	v_subrev_u32_e32 v13, 29, v12
	v_bfe_u32 v11, v5, 2, 5
	v_lshlrev_b32_e32 v5, v13, v5
	v_sub_u32_e32 v12, 30, v12
	v_and_b32_e32 v5, 3, v5
	v_cmp_eq_u32_e32 vcc, 0, v11
	v_cndmask_b32_e32 v11, v11, v12, vcc
	v_cndmask_b32_e32 v5, v9, v5, vcc
	v_mov_b32_e32 v9, 0x37800000
	v_lshlrev_b32_e32 v5, 21, v5
	v_and_b32_e32 v4, 0x80000000, v4
	v_lshl_add_u32 v9, v11, 23, v9
	v_or3_b32 v4, v4, v9, v5
	v_trunc_f32_e32 v4, v4
	s_mov_b32 s18, 0x2f800000
	v_mul_f32_e64 v5, |v4|, s18
	v_floor_f32_e32 v5, v5
	s_mov_b32 s18, 0xcf800000
	v_fma_f32 v9, v5, s18, |v4|
	v_cvt_u32_f32_e32 v9, v9
	v_cvt_u32_f32_e32 v5, v5
	v_ashrrev_i32_e32 v11, 31, v4
	v_xor_b32_e32 v4, v9, v11
	v_xor_b32_e32 v5, v5, v11
	v_sub_co_u32_e32 v4, vcc, v4, v11
	v_subb_co_u32_e32 v5, vcc, v5, v11, vcc
.LBB198_1310:
	s_or_b64 exec, exec, s[4:5]
	s_mov_b64 s[4:5], 0
	s_branch .LBB198_1314
.LBB198_1311:
	s_mov_b64 s[4:5], -1
                                        ; implicit-def: $vgpr4_vgpr5
	s_branch .LBB198_1320
.LBB198_1312:
	s_mov_b64 s[4:5], -1
                                        ; implicit-def: $vgpr4_vgpr5
	s_branch .LBB198_1317
.LBB198_1313:
	s_mov_b64 s[4:5], -1
                                        ; implicit-def: $vgpr4_vgpr5
.LBB198_1314:
	s_and_b64 vcc, exec, s[4:5]
	s_cbranch_vccz .LBB198_1316
; %bb.1315:
	global_load_ubyte v4, v[6:7], off
	s_mov_b32 s4, 0x7f800000
	s_brev_b32 s5, 1
	s_mov_b32 s18, 0x2f800000
	s_mov_b32 s19, 0xcf800000
	s_waitcnt vmcnt(0)
	v_lshlrev_b32_e32 v4, 24, v4
	v_and_b32_e32 v5, 0x7f000000, v4
	v_ffbh_u32_e32 v9, v5
	v_min_u32_e32 v9, 32, v9
	v_sub_u32_e64 v9, v9, 4 clamp
	v_lshlrev_b32_e32 v12, v9, v5
	v_lshlrev_b32_e32 v9, 23, v9
	v_lshrrev_b32_e32 v12, 4, v12
	v_add_u32_e32 v11, 0x1000000, v5
	v_sub_u32_e32 v9, v12, v9
	v_ashrrev_i32_e32 v11, 8, v11
	v_add_u32_e32 v9, 0x3c000000, v9
	v_and_or_b32 v9, v11, s4, v9
	v_cmp_ne_u32_e32 vcc, 0, v5
	v_cndmask_b32_e32 v5, 0, v9, vcc
	v_and_or_b32 v4, v4, s5, v5
	v_trunc_f32_e32 v4, v4
	v_mul_f32_e64 v5, |v4|, s18
	v_floor_f32_e32 v5, v5
	v_fma_f32 v9, v5, s19, |v4|
	v_cvt_u32_f32_e32 v9, v9
	v_cvt_u32_f32_e32 v5, v5
	v_ashrrev_i32_e32 v11, 31, v4
	v_xor_b32_e32 v4, v9, v11
	v_xor_b32_e32 v5, v5, v11
	v_sub_co_u32_e32 v4, vcc, v4, v11
	v_subb_co_u32_e32 v5, vcc, v5, v11, vcc
.LBB198_1316:
	s_mov_b64 s[4:5], 0
.LBB198_1317:
	s_andn2_b64 vcc, exec, s[4:5]
	s_cbranch_vccnz .LBB198_1319
; %bb.1318:
	global_load_ubyte v4, v[6:7], off
	s_movk_i32 s4, 0x7f00
	s_brev_b32 s5, 16
	s_brev_b32 s18, 1
	s_mov_b32 s19, 0x2f800000
	s_mov_b32 s20, 0xcf800000
	s_waitcnt vmcnt(0)
	v_lshlrev_b16_e32 v5, 8, v4
	v_lshlrev_b32_e32 v4, 25, v4
	v_lshrrev_b32_e32 v9, 4, v4
	v_and_or_b32 v11, v5, s4, 0.5
	v_or_b32_e32 v9, 0x70000000, v9
	v_add_f32_e32 v11, -0.5, v11
	v_mul_f32_e32 v9, 0x7800000, v9
	v_cmp_gt_u32_e32 vcc, s5, v4
	v_bfe_i32 v5, v5, 0, 16
	v_cndmask_b32_e32 v4, v9, v11, vcc
	v_and_or_b32 v4, v5, s18, v4
	v_trunc_f32_e32 v4, v4
	v_mul_f32_e64 v5, |v4|, s19
	v_floor_f32_e32 v5, v5
	v_fma_f32 v9, v5, s20, |v4|
	v_cvt_u32_f32_e32 v9, v9
	v_cvt_u32_f32_e32 v5, v5
	v_ashrrev_i32_e32 v11, 31, v4
	v_xor_b32_e32 v4, v9, v11
	v_xor_b32_e32 v5, v5, v11
	v_sub_co_u32_e32 v4, vcc, v4, v11
	v_subb_co_u32_e32 v5, vcc, v5, v11, vcc
.LBB198_1319:
	s_mov_b64 s[4:5], 0
	s_mov_b64 s[18:19], -1
.LBB198_1320:
	s_andn2_b64 vcc, exec, s[4:5]
	s_mov_b64 s[4:5], 0
	s_cbranch_vccnz .LBB198_1329
; %bb.1321:
	s_cmp_gt_i32 s22, 14
	s_cbranch_scc0 .LBB198_1324
; %bb.1322:
	s_cmp_eq_u32 s22, 15
	s_cbranch_scc0 .LBB198_1325
; %bb.1323:
	global_load_ushort v4, v[6:7], off
	s_mov_b32 s0, 0x2f800000
	s_mov_b32 s1, 0xcf800000
	s_mov_b64 s[18:19], -1
	s_waitcnt vmcnt(0)
	v_lshlrev_b32_e32 v4, 16, v4
	v_trunc_f32_e32 v4, v4
	v_mul_f32_e64 v5, |v4|, s0
	v_floor_f32_e32 v5, v5
	v_fma_f32 v9, v5, s1, |v4|
	v_cvt_u32_f32_e32 v9, v9
	v_cvt_u32_f32_e32 v5, v5
	v_ashrrev_i32_e32 v11, 31, v4
	s_mov_b64 s[0:1], 0
	v_xor_b32_e32 v4, v9, v11
	v_xor_b32_e32 v5, v5, v11
	v_sub_co_u32_e32 v4, vcc, v4, v11
	v_subb_co_u32_e32 v5, vcc, v5, v11, vcc
	s_branch .LBB198_1326
.LBB198_1324:
	s_mov_b64 s[20:21], -1
                                        ; implicit-def: $vgpr4_vgpr5
	s_branch .LBB198_1327
.LBB198_1325:
	s_mov_b64 s[0:1], -1
                                        ; implicit-def: $vgpr4_vgpr5
.LBB198_1326:
	s_mov_b64 s[20:21], 0
.LBB198_1327:
	s_and_b64 vcc, exec, s[20:21]
	s_cbranch_vccz .LBB198_1329
; %bb.1328:
	s_cmp_lg_u32 s22, 11
	s_mov_b64 s[4:5], -1
	s_cselect_b64 s[0:1], -1, 0
.LBB198_1329:
	s_and_b64 vcc, exec, s[0:1]
	s_cbranch_vccnz .LBB198_1392
; %bb.1330:
	s_andn2_b64 vcc, exec, s[4:5]
	s_cbranch_vccnz .LBB198_1332
.LBB198_1331:
	global_load_ubyte v4, v[6:7], off
	s_mov_b32 s0, 0
	s_waitcnt vmcnt(1)
	v_mov_b32_e32 v5, s0
	s_mov_b64 s[18:19], -1
	s_waitcnt vmcnt(0)
	v_cmp_ne_u16_e32 vcc, 0, v4
	v_cndmask_b32_e64 v4, 0, 1, vcc
.LBB198_1332:
	s_branch .LBB198_1264
.LBB198_1333:
	s_cmp_lt_i32 s22, 5
	s_cbranch_scc1 .LBB198_1338
; %bb.1334:
	s_cmp_lt_i32 s22, 8
	s_cbranch_scc1 .LBB198_1339
; %bb.1335:
	;; [unrolled: 3-line block ×3, first 2 shown]
	s_cmp_gt_i32 s22, 9
	s_cbranch_scc0 .LBB198_1341
; %bb.1337:
	global_load_dwordx2 v[4:5], v[6:7], off
	s_movk_i32 s0, 0xffe0
	s_waitcnt vmcnt(0)
	v_trunc_f64_e32 v[4:5], v[4:5]
	v_ldexp_f64 v[11:12], v[4:5], s0
	s_mov_b32 s0, 0
	s_mov_b32 s1, 0xc1f00000
	v_floor_f64_e32 v[11:12], v[11:12]
	v_fma_f64 v[13:14], v[11:12], s[0:1], v[4:5]
	v_cvt_i32_f64_e32 v5, v[11:12]
	s_mov_b64 s[0:1], 0
	v_cvt_u32_f64_e32 v4, v[13:14]
	s_branch .LBB198_1342
.LBB198_1338:
	s_mov_b64 s[0:1], -1
                                        ; implicit-def: $vgpr4_vgpr5
	s_branch .LBB198_1360
.LBB198_1339:
	s_mov_b64 s[0:1], -1
                                        ; implicit-def: $vgpr4_vgpr5
	s_branch .LBB198_1348
.LBB198_1340:
	s_mov_b64 s[0:1], -1
                                        ; implicit-def: $vgpr4_vgpr5
	s_branch .LBB198_1345
.LBB198_1341:
	s_mov_b64 s[0:1], -1
                                        ; implicit-def: $vgpr4_vgpr5
.LBB198_1342:
	s_andn2_b64 vcc, exec, s[0:1]
	s_cbranch_vccnz .LBB198_1344
; %bb.1343:
	global_load_dword v4, v[6:7], off
	s_mov_b32 s0, 0x2f800000
	s_mov_b32 s1, 0xcf800000
	s_waitcnt vmcnt(0)
	v_trunc_f32_e32 v4, v4
	v_mul_f32_e64 v5, |v4|, s0
	v_floor_f32_e32 v5, v5
	v_cvt_u32_f32_e32 v9, v5
	v_fma_f32 v5, v5, s1, |v4|
	v_cvt_u32_f32_e32 v5, v5
	v_ashrrev_i32_e32 v11, 31, v4
	v_xor_b32_e32 v9, v9, v11
	v_xor_b32_e32 v4, v5, v11
	v_sub_co_u32_e32 v4, vcc, v4, v11
	v_subb_co_u32_e32 v5, vcc, v9, v11, vcc
.LBB198_1344:
	s_mov_b64 s[0:1], 0
.LBB198_1345:
	s_andn2_b64 vcc, exec, s[0:1]
	s_cbranch_vccnz .LBB198_1347
; %bb.1346:
	global_load_dword v4, v[6:7], off
	s_waitcnt vmcnt(0)
	v_cvt_f32_f16_e32 v4, v4
	v_cvt_i32_f32_e32 v4, v4
	v_ashrrev_i32_e32 v5, 31, v4
.LBB198_1347:
	s_mov_b64 s[0:1], 0
.LBB198_1348:
	s_andn2_b64 vcc, exec, s[0:1]
	s_cbranch_vccnz .LBB198_1359
; %bb.1349:
	s_cmp_lt_i32 s22, 6
	s_cbranch_scc1 .LBB198_1352
; %bb.1350:
	s_cmp_gt_i32 s22, 6
	s_cbranch_scc0 .LBB198_1353
; %bb.1351:
	global_load_dwordx2 v[4:5], v[6:7], off
	s_movk_i32 s0, 0xffe0
	s_waitcnt vmcnt(0)
	v_trunc_f64_e32 v[4:5], v[4:5]
	v_ldexp_f64 v[11:12], v[4:5], s0
	s_mov_b32 s0, 0
	s_mov_b32 s1, 0xc1f00000
	v_floor_f64_e32 v[11:12], v[11:12]
	v_fma_f64 v[13:14], v[11:12], s[0:1], v[4:5]
	v_cvt_i32_f64_e32 v5, v[11:12]
	s_mov_b64 s[0:1], 0
	v_cvt_u32_f64_e32 v4, v[13:14]
	s_branch .LBB198_1354
.LBB198_1352:
	s_mov_b64 s[0:1], -1
                                        ; implicit-def: $vgpr4_vgpr5
	s_branch .LBB198_1357
.LBB198_1353:
	s_mov_b64 s[0:1], -1
                                        ; implicit-def: $vgpr4_vgpr5
.LBB198_1354:
	s_andn2_b64 vcc, exec, s[0:1]
	s_cbranch_vccnz .LBB198_1356
; %bb.1355:
	global_load_dword v4, v[6:7], off
	s_mov_b32 s0, 0x2f800000
	s_mov_b32 s1, 0xcf800000
	s_waitcnt vmcnt(0)
	v_trunc_f32_e32 v4, v4
	v_mul_f32_e64 v5, |v4|, s0
	v_floor_f32_e32 v5, v5
	v_cvt_u32_f32_e32 v9, v5
	v_fma_f32 v5, v5, s1, |v4|
	v_cvt_u32_f32_e32 v5, v5
	v_ashrrev_i32_e32 v11, 31, v4
	v_xor_b32_e32 v9, v9, v11
	v_xor_b32_e32 v4, v5, v11
	v_sub_co_u32_e32 v4, vcc, v4, v11
	v_subb_co_u32_e32 v5, vcc, v9, v11, vcc
.LBB198_1356:
	s_mov_b64 s[0:1], 0
.LBB198_1357:
	s_andn2_b64 vcc, exec, s[0:1]
	s_cbranch_vccnz .LBB198_1359
; %bb.1358:
	global_load_ushort v4, v[6:7], off
	s_waitcnt vmcnt(0)
	v_cvt_f32_f16_e32 v4, v4
	v_cvt_i32_f32_e32 v4, v4
	v_ashrrev_i32_e32 v5, 31, v4
.LBB198_1359:
	s_mov_b64 s[0:1], 0
.LBB198_1360:
	s_andn2_b64 vcc, exec, s[0:1]
	s_cbranch_vccnz .LBB198_1380
; %bb.1361:
	s_cmp_lt_i32 s22, 2
	s_cbranch_scc1 .LBB198_1365
; %bb.1362:
	s_cmp_lt_i32 s22, 3
	s_cbranch_scc1 .LBB198_1366
; %bb.1363:
	s_cmp_gt_i32 s22, 3
	s_cbranch_scc0 .LBB198_1367
; %bb.1364:
	global_load_dwordx2 v[4:5], v[6:7], off
	s_mov_b64 s[0:1], 0
	s_branch .LBB198_1368
.LBB198_1365:
	s_mov_b64 s[0:1], -1
                                        ; implicit-def: $vgpr4_vgpr5
	s_branch .LBB198_1374
.LBB198_1366:
	s_mov_b64 s[0:1], -1
                                        ; implicit-def: $vgpr4_vgpr5
	s_branch .LBB198_1371
.LBB198_1367:
	s_mov_b64 s[0:1], -1
                                        ; implicit-def: $vgpr4_vgpr5
.LBB198_1368:
	s_andn2_b64 vcc, exec, s[0:1]
	s_cbranch_vccnz .LBB198_1370
; %bb.1369:
	global_load_dword v4, v[6:7], off
	s_waitcnt vmcnt(0)
	v_ashrrev_i32_e32 v5, 31, v4
.LBB198_1370:
	s_mov_b64 s[0:1], 0
.LBB198_1371:
	s_andn2_b64 vcc, exec, s[0:1]
	s_cbranch_vccnz .LBB198_1373
; %bb.1372:
	global_load_ushort v4, v[6:7], off
	s_waitcnt vmcnt(0)
	v_bfe_i32 v4, v4, 0, 16
	v_ashrrev_i32_e32 v5, 31, v4
.LBB198_1373:
	s_mov_b64 s[0:1], 0
.LBB198_1374:
	s_andn2_b64 vcc, exec, s[0:1]
	s_cbranch_vccnz .LBB198_1380
; %bb.1375:
	s_cmp_gt_i32 s22, 0
	s_cbranch_scc0 .LBB198_1377
; %bb.1376:
	global_load_sbyte v4, v[6:7], off
	s_mov_b64 s[0:1], 0
	s_waitcnt vmcnt(0)
	v_bfe_i32 v4, v4, 0, 16
	v_ashrrev_i32_e32 v5, 31, v4
	s_branch .LBB198_1378
.LBB198_1377:
	s_mov_b64 s[0:1], -1
                                        ; implicit-def: $vgpr4_vgpr5
.LBB198_1378:
	s_andn2_b64 vcc, exec, s[0:1]
	s_cbranch_vccnz .LBB198_1380
; %bb.1379:
	global_load_ubyte v4, v[6:7], off
	s_mov_b32 s0, 0
	s_waitcnt vmcnt(1)
	v_mov_b32_e32 v5, s0
	s_waitcnt vmcnt(0)
	v_and_b32_e32 v4, 0xffff, v4
.LBB198_1380:
.LBB198_1381:
	v_add_u32_e32 v6, s13, v8
	v_ashrrev_i32_e32 v7, 31, v6
	v_mov_b32_e32 v9, s11
	v_add_co_u32_e32 v8, vcc, s10, v6
	s_cmp_lt_i32 s22, 11
	v_addc_co_u32_e32 v9, vcc, v9, v7, vcc
	s_cbranch_scc1 .LBB198_1388
; %bb.1382:
	s_cmp_gt_i32 s22, 25
	s_mov_b64 s[4:5], 0
	s_cbranch_scc0 .LBB198_1389
; %bb.1383:
	s_cmp_gt_i32 s22, 28
	s_cbranch_scc0 .LBB198_1390
; %bb.1384:
	s_cmp_gt_i32 s22, 43
	;; [unrolled: 3-line block ×3, first 2 shown]
	s_cbranch_scc0 .LBB198_1393
; %bb.1386:
	s_cmp_eq_u32 s22, 46
	s_mov_b64 s[18:19], 0
	s_cbranch_scc0 .LBB198_1394
; %bb.1387:
	global_load_dword v6, v[8:9], off
	s_mov_b32 s0, 0x2f800000
	s_mov_b32 s1, 0xcf800000
	s_mov_b64 s[10:11], -1
	s_waitcnt vmcnt(0)
	v_lshlrev_b32_e32 v6, 16, v6
	v_trunc_f32_e32 v6, v6
	v_mul_f32_e64 v7, |v6|, s0
	v_floor_f32_e32 v7, v7
	v_fma_f32 v11, v7, s1, |v6|
	v_cvt_u32_f32_e32 v11, v11
	v_cvt_u32_f32_e32 v7, v7
	v_ashrrev_i32_e32 v12, 31, v6
	s_mov_b64 s[0:1], 0
	v_xor_b32_e32 v6, v11, v12
	v_xor_b32_e32 v7, v7, v12
	v_sub_co_u32_e32 v6, vcc, v6, v12
	v_subb_co_u32_e32 v7, vcc, v7, v12, vcc
	s_branch .LBB198_1395
.LBB198_1388:
	s_mov_b64 s[0:1], -1
	s_mov_b64 s[10:11], 0
                                        ; implicit-def: $vgpr6_vgpr7
	s_branch .LBB198_1457
.LBB198_1389:
	s_mov_b64 s[18:19], -1
	s_mov_b64 s[10:11], 0
	s_mov_b64 s[0:1], 0
                                        ; implicit-def: $vgpr6_vgpr7
	s_branch .LBB198_1424
.LBB198_1390:
	s_mov_b64 s[18:19], -1
	s_mov_b64 s[10:11], 0
	s_mov_b64 s[0:1], 0
                                        ; implicit-def: $vgpr6_vgpr7
	s_branch .LBB198_1405
.LBB198_1391:
	s_mov_b64 s[18:19], -1
	s_mov_b64 s[10:11], 0
	s_mov_b64 s[0:1], 0
                                        ; implicit-def: $vgpr6_vgpr7
	s_branch .LBB198_1400
.LBB198_1392:
	s_trap 2
	s_or_b64 s[16:17], s[16:17], exec
	s_cbranch_execz .LBB198_1331
	s_branch .LBB198_1332
.LBB198_1393:
	s_mov_b64 s[18:19], -1
	s_mov_b64 s[10:11], 0
	s_mov_b64 s[0:1], 0
                                        ; implicit-def: $vgpr6_vgpr7
	s_branch .LBB198_1395
.LBB198_1394:
	s_mov_b64 s[0:1], -1
                                        ; implicit-def: $vgpr6_vgpr7
	s_mov_b64 s[10:11], 0
.LBB198_1395:
	s_and_b64 vcc, exec, s[18:19]
	s_cbranch_vccz .LBB198_1399
; %bb.1396:
	s_cmp_eq_u32 s22, 44
	s_cbranch_scc0 .LBB198_1398
; %bb.1397:
	global_load_ubyte v6, v[8:9], off
	s_mov_b32 s0, 0x2f800000
	s_mov_b32 s1, 0xcf800000
	s_mov_b64 s[10:11], -1
	s_waitcnt vmcnt(0)
	v_lshlrev_b32_e32 v7, 23, v6
	v_trunc_f32_e32 v7, v7
	v_mul_f32_e64 v11, |v7|, s0
	v_floor_f32_e32 v11, v11
	v_fma_f32 v12, v11, s1, |v7|
	v_cvt_u32_f32_e32 v12, v12
	v_cvt_u32_f32_e32 v11, v11
	v_ashrrev_i32_e32 v7, 31, v7
	s_mov_b64 s[0:1], 0
	v_xor_b32_e32 v12, v12, v7
	v_xor_b32_e32 v11, v11, v7
	v_sub_co_u32_e32 v12, vcc, v12, v7
	v_subb_co_u32_e32 v7, vcc, v11, v7, vcc
	v_cmp_ne_u32_e32 vcc, 0, v6
	v_cndmask_b32_e32 v7, 0, v7, vcc
	v_cndmask_b32_e32 v6, 0, v12, vcc
	s_branch .LBB198_1399
.LBB198_1398:
	s_mov_b64 s[0:1], -1
                                        ; implicit-def: $vgpr6_vgpr7
.LBB198_1399:
	s_mov_b64 s[18:19], 0
.LBB198_1400:
	s_and_b64 vcc, exec, s[18:19]
	s_cbranch_vccz .LBB198_1404
; %bb.1401:
	s_cmp_eq_u32 s22, 29
	s_cbranch_scc0 .LBB198_1403
; %bb.1402:
	global_load_dwordx2 v[6:7], v[8:9], off
	s_mov_b64 s[0:1], 0
	s_mov_b64 s[10:11], -1
	s_branch .LBB198_1404
.LBB198_1403:
	s_mov_b64 s[0:1], -1
                                        ; implicit-def: $vgpr6_vgpr7
.LBB198_1404:
	s_mov_b64 s[18:19], 0
.LBB198_1405:
	s_and_b64 vcc, exec, s[18:19]
	s_cbranch_vccz .LBB198_1423
; %bb.1406:
	s_cmp_lt_i32 s22, 27
	s_cbranch_scc1 .LBB198_1409
; %bb.1407:
	s_cmp_gt_i32 s22, 27
	s_cbranch_scc0 .LBB198_1410
; %bb.1408:
	global_load_dword v6, v[8:9], off
	s_waitcnt vmcnt(1)
	v_mov_b32_e32 v7, 0
	s_mov_b64 s[10:11], 0
	s_branch .LBB198_1411
.LBB198_1409:
	s_mov_b64 s[10:11], -1
                                        ; implicit-def: $vgpr6_vgpr7
	s_branch .LBB198_1414
.LBB198_1410:
	s_mov_b64 s[10:11], -1
                                        ; implicit-def: $vgpr6_vgpr7
.LBB198_1411:
	s_andn2_b64 vcc, exec, s[10:11]
	s_cbranch_vccnz .LBB198_1413
; %bb.1412:
	global_load_ushort v6, v[8:9], off
	s_mov_b32 s10, 0
	s_waitcnt vmcnt(1)
	v_mov_b32_e32 v7, s10
	s_waitcnt vmcnt(0)
	v_and_b32_e32 v6, 0xffff, v6
.LBB198_1413:
	s_mov_b64 s[10:11], 0
.LBB198_1414:
	s_andn2_b64 vcc, exec, s[10:11]
	s_cbranch_vccnz .LBB198_1422
; %bb.1415:
	global_load_ubyte v11, v[8:9], off
	s_movk_i32 s10, 0x7f
	s_mov_b64 s[18:19], 0
	s_waitcnt vmcnt(0)
	v_cmp_lt_i16_e32 vcc, s10, v11
	s_and_saveexec_b64 s[10:11], vcc
	s_xor_b64 s[10:11], exec, s[10:11]
; %bb.1416:
	s_movk_i32 s13, 0x80
	v_cmp_ne_u16_e32 vcc, s13, v11
	s_and_b64 s[18:19], vcc, exec
; %bb.1417:
	s_andn2_saveexec_b64 s[10:11], s[10:11]
; %bb.1418:
	v_cmp_ne_u16_e32 vcc, 0, v11
	s_andn2_b64 s[18:19], s[18:19], exec
	s_and_b64 s[20:21], vcc, exec
	s_or_b64 s[18:19], s[18:19], s[20:21]
; %bb.1419:
	s_or_b64 exec, exec, s[10:11]
	v_mov_b32_e32 v6, 0
	v_mov_b32_e32 v7, 0
	s_and_saveexec_b64 s[10:11], s[18:19]
	s_cbranch_execz .LBB198_1421
; %bb.1420:
	v_and_b32_e32 v7, 0xffff, v11
	v_lshlrev_b32_e32 v6, 24, v11
	v_and_b32_e32 v11, 7, v7
	v_ffbh_u32_e32 v13, v11
	v_min_u32_e32 v13, 32, v13
	v_subrev_u32_e32 v14, 28, v13
	v_bfe_u32 v12, v7, 3, 4
	v_lshlrev_b32_e32 v7, v14, v7
	v_sub_u32_e32 v13, 29, v13
	v_and_b32_e32 v7, 7, v7
	v_cmp_eq_u32_e32 vcc, 0, v12
	v_cndmask_b32_e32 v12, v12, v13, vcc
	v_cndmask_b32_e32 v7, v11, v7, vcc
	v_mov_b32_e32 v11, 0x3b800000
	v_lshlrev_b32_e32 v7, 20, v7
	v_and_b32_e32 v6, 0x80000000, v6
	v_lshl_add_u32 v11, v12, 23, v11
	v_or3_b32 v6, v6, v11, v7
	v_trunc_f32_e32 v6, v6
	s_mov_b32 s13, 0x2f800000
	v_mul_f32_e64 v7, |v6|, s13
	v_floor_f32_e32 v7, v7
	s_mov_b32 s13, 0xcf800000
	v_fma_f32 v11, v7, s13, |v6|
	v_cvt_u32_f32_e32 v11, v11
	v_cvt_u32_f32_e32 v7, v7
	v_ashrrev_i32_e32 v12, 31, v6
	v_xor_b32_e32 v6, v11, v12
	v_xor_b32_e32 v7, v7, v12
	v_sub_co_u32_e32 v6, vcc, v6, v12
	v_subb_co_u32_e32 v7, vcc, v7, v12, vcc
.LBB198_1421:
	s_or_b64 exec, exec, s[10:11]
.LBB198_1422:
	s_mov_b64 s[10:11], -1
.LBB198_1423:
	s_mov_b64 s[18:19], 0
.LBB198_1424:
	s_and_b64 vcc, exec, s[18:19]
	s_cbranch_vccz .LBB198_1453
; %bb.1425:
	s_cmp_gt_i32 s22, 22
	s_cbranch_scc0 .LBB198_1435
; %bb.1426:
	s_cmp_lt_i32 s22, 24
	s_cbranch_scc1 .LBB198_1436
; %bb.1427:
	s_cmp_gt_i32 s22, 24
	s_cbranch_scc0 .LBB198_1437
; %bb.1428:
	global_load_ubyte v11, v[8:9], off
	s_movk_i32 s4, 0x7f
	s_mov_b64 s[10:11], 0
	s_waitcnt vmcnt(0)
	v_cmp_lt_i16_e32 vcc, s4, v11
	s_and_saveexec_b64 s[4:5], vcc
	s_xor_b64 s[4:5], exec, s[4:5]
; %bb.1429:
	s_movk_i32 s10, 0x80
	v_cmp_ne_u16_e32 vcc, s10, v11
	s_and_b64 s[10:11], vcc, exec
; %bb.1430:
	s_andn2_saveexec_b64 s[4:5], s[4:5]
; %bb.1431:
	v_cmp_ne_u16_e32 vcc, 0, v11
	s_andn2_b64 s[10:11], s[10:11], exec
	s_and_b64 s[18:19], vcc, exec
	s_or_b64 s[10:11], s[10:11], s[18:19]
; %bb.1432:
	s_or_b64 exec, exec, s[4:5]
	v_mov_b32_e32 v6, 0
	v_mov_b32_e32 v7, 0
	s_and_saveexec_b64 s[4:5], s[10:11]
	s_cbranch_execz .LBB198_1434
; %bb.1433:
	v_and_b32_e32 v7, 0xffff, v11
	v_lshlrev_b32_e32 v6, 24, v11
	v_and_b32_e32 v11, 3, v7
	v_ffbh_u32_e32 v13, v11
	v_min_u32_e32 v13, 32, v13
	v_subrev_u32_e32 v14, 29, v13
	v_bfe_u32 v12, v7, 2, 5
	v_lshlrev_b32_e32 v7, v14, v7
	v_sub_u32_e32 v13, 30, v13
	v_and_b32_e32 v7, 3, v7
	v_cmp_eq_u32_e32 vcc, 0, v12
	v_cndmask_b32_e32 v12, v12, v13, vcc
	v_cndmask_b32_e32 v7, v11, v7, vcc
	v_mov_b32_e32 v11, 0x37800000
	v_lshlrev_b32_e32 v7, 21, v7
	v_and_b32_e32 v6, 0x80000000, v6
	v_lshl_add_u32 v11, v12, 23, v11
	v_or3_b32 v6, v6, v11, v7
	v_trunc_f32_e32 v6, v6
	s_mov_b32 s10, 0x2f800000
	v_mul_f32_e64 v7, |v6|, s10
	v_floor_f32_e32 v7, v7
	s_mov_b32 s10, 0xcf800000
	v_fma_f32 v11, v7, s10, |v6|
	v_cvt_u32_f32_e32 v11, v11
	v_cvt_u32_f32_e32 v7, v7
	v_ashrrev_i32_e32 v12, 31, v6
	v_xor_b32_e32 v6, v11, v12
	v_xor_b32_e32 v7, v7, v12
	v_sub_co_u32_e32 v6, vcc, v6, v12
	v_subb_co_u32_e32 v7, vcc, v7, v12, vcc
.LBB198_1434:
	s_or_b64 exec, exec, s[4:5]
	s_mov_b64 s[4:5], 0
	s_branch .LBB198_1438
.LBB198_1435:
	s_mov_b64 s[4:5], -1
                                        ; implicit-def: $vgpr6_vgpr7
	s_branch .LBB198_1444
.LBB198_1436:
	s_mov_b64 s[4:5], -1
                                        ; implicit-def: $vgpr6_vgpr7
	s_branch .LBB198_1441
.LBB198_1437:
	s_mov_b64 s[4:5], -1
                                        ; implicit-def: $vgpr6_vgpr7
.LBB198_1438:
	s_and_b64 vcc, exec, s[4:5]
	s_cbranch_vccz .LBB198_1440
; %bb.1439:
	global_load_ubyte v6, v[8:9], off
	s_mov_b32 s4, 0x7f800000
	s_brev_b32 s5, 1
	s_mov_b32 s10, 0x2f800000
	s_mov_b32 s11, 0xcf800000
	s_waitcnt vmcnt(0)
	v_lshlrev_b32_e32 v6, 24, v6
	v_and_b32_e32 v7, 0x7f000000, v6
	v_ffbh_u32_e32 v11, v7
	v_min_u32_e32 v11, 32, v11
	v_sub_u32_e64 v11, v11, 4 clamp
	v_lshlrev_b32_e32 v13, v11, v7
	v_lshlrev_b32_e32 v11, 23, v11
	v_lshrrev_b32_e32 v13, 4, v13
	v_add_u32_e32 v12, 0x1000000, v7
	v_sub_u32_e32 v11, v13, v11
	v_ashrrev_i32_e32 v12, 8, v12
	v_add_u32_e32 v11, 0x3c000000, v11
	v_and_or_b32 v11, v12, s4, v11
	v_cmp_ne_u32_e32 vcc, 0, v7
	v_cndmask_b32_e32 v7, 0, v11, vcc
	v_and_or_b32 v6, v6, s5, v7
	v_trunc_f32_e32 v6, v6
	v_mul_f32_e64 v7, |v6|, s10
	v_floor_f32_e32 v7, v7
	v_fma_f32 v11, v7, s11, |v6|
	v_cvt_u32_f32_e32 v11, v11
	v_cvt_u32_f32_e32 v7, v7
	v_ashrrev_i32_e32 v12, 31, v6
	v_xor_b32_e32 v6, v11, v12
	v_xor_b32_e32 v7, v7, v12
	v_sub_co_u32_e32 v6, vcc, v6, v12
	v_subb_co_u32_e32 v7, vcc, v7, v12, vcc
.LBB198_1440:
	s_mov_b64 s[4:5], 0
.LBB198_1441:
	s_andn2_b64 vcc, exec, s[4:5]
	s_cbranch_vccnz .LBB198_1443
; %bb.1442:
	global_load_ubyte v6, v[8:9], off
	s_movk_i32 s4, 0x7f00
	s_brev_b32 s5, 16
	s_brev_b32 s10, 1
	s_mov_b32 s11, 0x2f800000
	s_mov_b32 s13, 0xcf800000
	s_waitcnt vmcnt(0)
	v_lshlrev_b16_e32 v7, 8, v6
	v_lshlrev_b32_e32 v6, 25, v6
	v_lshrrev_b32_e32 v11, 4, v6
	v_and_or_b32 v12, v7, s4, 0.5
	v_or_b32_e32 v11, 0x70000000, v11
	v_add_f32_e32 v12, -0.5, v12
	v_mul_f32_e32 v11, 0x7800000, v11
	v_cmp_gt_u32_e32 vcc, s5, v6
	v_bfe_i32 v7, v7, 0, 16
	v_cndmask_b32_e32 v6, v11, v12, vcc
	v_and_or_b32 v6, v7, s10, v6
	v_trunc_f32_e32 v6, v6
	v_mul_f32_e64 v7, |v6|, s11
	v_floor_f32_e32 v7, v7
	v_fma_f32 v11, v7, s13, |v6|
	v_cvt_u32_f32_e32 v11, v11
	v_cvt_u32_f32_e32 v7, v7
	v_ashrrev_i32_e32 v12, 31, v6
	v_xor_b32_e32 v6, v11, v12
	v_xor_b32_e32 v7, v7, v12
	v_sub_co_u32_e32 v6, vcc, v6, v12
	v_subb_co_u32_e32 v7, vcc, v7, v12, vcc
.LBB198_1443:
	s_mov_b64 s[4:5], 0
	s_mov_b64 s[10:11], -1
.LBB198_1444:
	s_andn2_b64 vcc, exec, s[4:5]
	s_mov_b64 s[4:5], 0
	s_cbranch_vccnz .LBB198_1453
; %bb.1445:
	s_cmp_gt_i32 s22, 14
	s_cbranch_scc0 .LBB198_1448
; %bb.1446:
	s_cmp_eq_u32 s22, 15
	s_cbranch_scc0 .LBB198_1449
; %bb.1447:
	global_load_ushort v6, v[8:9], off
	s_mov_b32 s0, 0x2f800000
	s_mov_b32 s1, 0xcf800000
	s_mov_b64 s[10:11], -1
	s_waitcnt vmcnt(0)
	v_lshlrev_b32_e32 v6, 16, v6
	v_trunc_f32_e32 v6, v6
	v_mul_f32_e64 v7, |v6|, s0
	v_floor_f32_e32 v7, v7
	v_fma_f32 v11, v7, s1, |v6|
	v_cvt_u32_f32_e32 v11, v11
	v_cvt_u32_f32_e32 v7, v7
	v_ashrrev_i32_e32 v12, 31, v6
	s_mov_b64 s[0:1], 0
	v_xor_b32_e32 v6, v11, v12
	v_xor_b32_e32 v7, v7, v12
	v_sub_co_u32_e32 v6, vcc, v6, v12
	v_subb_co_u32_e32 v7, vcc, v7, v12, vcc
	s_branch .LBB198_1450
.LBB198_1448:
	s_mov_b64 s[18:19], -1
                                        ; implicit-def: $vgpr6_vgpr7
	s_branch .LBB198_1451
.LBB198_1449:
	s_mov_b64 s[0:1], -1
                                        ; implicit-def: $vgpr6_vgpr7
.LBB198_1450:
	s_mov_b64 s[18:19], 0
.LBB198_1451:
	s_and_b64 vcc, exec, s[18:19]
	s_cbranch_vccz .LBB198_1453
; %bb.1452:
	s_cmp_lg_u32 s22, 11
	s_mov_b64 s[4:5], -1
	s_cselect_b64 s[0:1], -1, 0
.LBB198_1453:
	s_and_b64 vcc, exec, s[0:1]
	s_cbranch_vccnz .LBB198_1986
; %bb.1454:
	s_andn2_b64 vcc, exec, s[4:5]
	s_cbranch_vccnz .LBB198_1456
.LBB198_1455:
	global_load_ubyte v6, v[8:9], off
	s_mov_b32 s0, 0
	s_waitcnt vmcnt(1)
	v_mov_b32_e32 v7, s0
	s_mov_b64 s[10:11], -1
	s_waitcnt vmcnt(0)
	v_cmp_ne_u16_e32 vcc, 0, v6
	v_cndmask_b32_e64 v6, 0, 1, vcc
.LBB198_1456:
	s_mov_b64 s[0:1], 0
.LBB198_1457:
	s_and_b64 vcc, exec, s[0:1]
	s_cbranch_vccz .LBB198_1506
; %bb.1458:
	s_cmp_lt_i32 s22, 5
	s_cbranch_scc1 .LBB198_1463
; %bb.1459:
	s_cmp_lt_i32 s22, 8
	s_cbranch_scc1 .LBB198_1464
	;; [unrolled: 3-line block ×3, first 2 shown]
; %bb.1461:
	s_cmp_gt_i32 s22, 9
	s_cbranch_scc0 .LBB198_1466
; %bb.1462:
	global_load_dwordx2 v[6:7], v[8:9], off
	s_movk_i32 s0, 0xffe0
	s_waitcnt vmcnt(0)
	v_trunc_f64_e32 v[6:7], v[6:7]
	v_ldexp_f64 v[11:12], v[6:7], s0
	s_mov_b32 s0, 0
	s_mov_b32 s1, 0xc1f00000
	v_floor_f64_e32 v[11:12], v[11:12]
	v_fma_f64 v[13:14], v[11:12], s[0:1], v[6:7]
	v_cvt_i32_f64_e32 v7, v[11:12]
	s_mov_b64 s[0:1], 0
	v_cvt_u32_f64_e32 v6, v[13:14]
	s_branch .LBB198_1467
.LBB198_1463:
	s_mov_b64 s[0:1], -1
                                        ; implicit-def: $vgpr6_vgpr7
	s_branch .LBB198_1485
.LBB198_1464:
	s_mov_b64 s[0:1], -1
                                        ; implicit-def: $vgpr6_vgpr7
	s_branch .LBB198_1473
.LBB198_1465:
	s_mov_b64 s[0:1], -1
                                        ; implicit-def: $vgpr6_vgpr7
	s_branch .LBB198_1470
.LBB198_1466:
	s_mov_b64 s[0:1], -1
                                        ; implicit-def: $vgpr6_vgpr7
.LBB198_1467:
	s_andn2_b64 vcc, exec, s[0:1]
	s_cbranch_vccnz .LBB198_1469
; %bb.1468:
	global_load_dword v6, v[8:9], off
	s_mov_b32 s0, 0x2f800000
	s_mov_b32 s1, 0xcf800000
	s_waitcnt vmcnt(0)
	v_trunc_f32_e32 v6, v6
	v_mul_f32_e64 v7, |v6|, s0
	v_floor_f32_e32 v7, v7
	v_cvt_u32_f32_e32 v11, v7
	v_fma_f32 v7, v7, s1, |v6|
	v_cvt_u32_f32_e32 v7, v7
	v_ashrrev_i32_e32 v12, 31, v6
	v_xor_b32_e32 v11, v11, v12
	v_xor_b32_e32 v6, v7, v12
	v_sub_co_u32_e32 v6, vcc, v6, v12
	v_subb_co_u32_e32 v7, vcc, v11, v12, vcc
.LBB198_1469:
	s_mov_b64 s[0:1], 0
.LBB198_1470:
	s_andn2_b64 vcc, exec, s[0:1]
	s_cbranch_vccnz .LBB198_1472
; %bb.1471:
	global_load_dword v6, v[8:9], off
	s_waitcnt vmcnt(0)
	v_cvt_f32_f16_e32 v6, v6
	v_cvt_i32_f32_e32 v6, v6
	v_ashrrev_i32_e32 v7, 31, v6
.LBB198_1472:
	s_mov_b64 s[0:1], 0
.LBB198_1473:
	s_andn2_b64 vcc, exec, s[0:1]
	s_cbranch_vccnz .LBB198_1484
; %bb.1474:
	s_cmp_lt_i32 s22, 6
	s_cbranch_scc1 .LBB198_1477
; %bb.1475:
	s_cmp_gt_i32 s22, 6
	s_cbranch_scc0 .LBB198_1478
; %bb.1476:
	global_load_dwordx2 v[6:7], v[8:9], off
	s_movk_i32 s0, 0xffe0
	s_waitcnt vmcnt(0)
	v_trunc_f64_e32 v[6:7], v[6:7]
	v_ldexp_f64 v[11:12], v[6:7], s0
	s_mov_b32 s0, 0
	s_mov_b32 s1, 0xc1f00000
	v_floor_f64_e32 v[11:12], v[11:12]
	v_fma_f64 v[13:14], v[11:12], s[0:1], v[6:7]
	v_cvt_i32_f64_e32 v7, v[11:12]
	s_mov_b64 s[0:1], 0
	v_cvt_u32_f64_e32 v6, v[13:14]
	s_branch .LBB198_1479
.LBB198_1477:
	s_mov_b64 s[0:1], -1
                                        ; implicit-def: $vgpr6_vgpr7
	s_branch .LBB198_1482
.LBB198_1478:
	s_mov_b64 s[0:1], -1
                                        ; implicit-def: $vgpr6_vgpr7
.LBB198_1479:
	s_andn2_b64 vcc, exec, s[0:1]
	s_cbranch_vccnz .LBB198_1481
; %bb.1480:
	global_load_dword v6, v[8:9], off
	s_mov_b32 s0, 0x2f800000
	s_mov_b32 s1, 0xcf800000
	s_waitcnt vmcnt(0)
	v_trunc_f32_e32 v6, v6
	v_mul_f32_e64 v7, |v6|, s0
	v_floor_f32_e32 v7, v7
	v_cvt_u32_f32_e32 v11, v7
	v_fma_f32 v7, v7, s1, |v6|
	v_cvt_u32_f32_e32 v7, v7
	v_ashrrev_i32_e32 v12, 31, v6
	v_xor_b32_e32 v11, v11, v12
	v_xor_b32_e32 v6, v7, v12
	v_sub_co_u32_e32 v6, vcc, v6, v12
	v_subb_co_u32_e32 v7, vcc, v11, v12, vcc
.LBB198_1481:
	s_mov_b64 s[0:1], 0
.LBB198_1482:
	s_andn2_b64 vcc, exec, s[0:1]
	s_cbranch_vccnz .LBB198_1484
; %bb.1483:
	global_load_ushort v6, v[8:9], off
	s_waitcnt vmcnt(0)
	v_cvt_f32_f16_e32 v6, v6
	v_cvt_i32_f32_e32 v6, v6
	v_ashrrev_i32_e32 v7, 31, v6
.LBB198_1484:
	s_mov_b64 s[0:1], 0
.LBB198_1485:
	s_andn2_b64 vcc, exec, s[0:1]
	s_cbranch_vccnz .LBB198_1505
; %bb.1486:
	s_cmp_lt_i32 s22, 2
	s_cbranch_scc1 .LBB198_1490
; %bb.1487:
	s_cmp_lt_i32 s22, 3
	s_cbranch_scc1 .LBB198_1491
; %bb.1488:
	s_cmp_gt_i32 s22, 3
	s_cbranch_scc0 .LBB198_1492
; %bb.1489:
	global_load_dwordx2 v[6:7], v[8:9], off
	s_mov_b64 s[0:1], 0
	s_branch .LBB198_1493
.LBB198_1490:
	s_mov_b64 s[0:1], -1
                                        ; implicit-def: $vgpr6_vgpr7
	s_branch .LBB198_1499
.LBB198_1491:
	s_mov_b64 s[0:1], -1
                                        ; implicit-def: $vgpr6_vgpr7
	s_branch .LBB198_1496
.LBB198_1492:
	s_mov_b64 s[0:1], -1
                                        ; implicit-def: $vgpr6_vgpr7
.LBB198_1493:
	s_andn2_b64 vcc, exec, s[0:1]
	s_cbranch_vccnz .LBB198_1495
; %bb.1494:
	global_load_dword v6, v[8:9], off
	s_waitcnt vmcnt(0)
	v_ashrrev_i32_e32 v7, 31, v6
.LBB198_1495:
	s_mov_b64 s[0:1], 0
.LBB198_1496:
	s_andn2_b64 vcc, exec, s[0:1]
	s_cbranch_vccnz .LBB198_1498
; %bb.1497:
	global_load_ushort v6, v[8:9], off
	s_waitcnt vmcnt(0)
	v_bfe_i32 v6, v6, 0, 16
	v_ashrrev_i32_e32 v7, 31, v6
.LBB198_1498:
	s_mov_b64 s[0:1], 0
.LBB198_1499:
	s_andn2_b64 vcc, exec, s[0:1]
	s_cbranch_vccnz .LBB198_1505
; %bb.1500:
	s_cmp_gt_i32 s22, 0
	s_cbranch_scc0 .LBB198_1502
; %bb.1501:
	global_load_sbyte v6, v[8:9], off
	s_mov_b64 s[0:1], 0
	s_waitcnt vmcnt(0)
	v_bfe_i32 v6, v6, 0, 16
	v_ashrrev_i32_e32 v7, 31, v6
	s_branch .LBB198_1503
.LBB198_1502:
	s_mov_b64 s[0:1], -1
                                        ; implicit-def: $vgpr6_vgpr7
.LBB198_1503:
	s_andn2_b64 vcc, exec, s[0:1]
	s_cbranch_vccnz .LBB198_1505
; %bb.1504:
	global_load_ubyte v6, v[8:9], off
	s_mov_b32 s0, 0
	s_waitcnt vmcnt(1)
	v_mov_b32_e32 v7, s0
	s_waitcnt vmcnt(0)
	v_and_b32_e32 v6, 0xffff, v6
.LBB198_1505:
	s_mov_b64 s[10:11], -1
.LBB198_1506:
	s_andn2_b64 vcc, exec, s[10:11]
	s_cbranch_vccnz .LBB198_1940
; %bb.1507:
	v_mul_lo_u32 v10, s12, v10
	s_waitcnt vmcnt(0)
	v_cmp_gt_u64_e32 vcc, 63, v[0:1]
	v_mov_b32_e32 v11, s9
	v_cndmask_b32_e32 v0, 63, v0, vcc
	v_ashrrev_i64 v[0:1], v0, s[2:3]
	v_ashrrev_i32_e32 v9, 31, v10
	s_and_b32 s22, s33, 0xff
	v_add_co_u32_e32 v8, vcc, s8, v10
	s_cmp_lt_i32 s22, 11
	v_addc_co_u32_e32 v9, vcc, v11, v9, vcc
	s_cbranch_scc1 .LBB198_1585
; %bb.1508:
	s_and_b32 s13, 0xffff, s22
	s_mov_b64 s[18:19], -1
	s_mov_b64 s[4:5], 0
	s_cmp_gt_i32 s13, 25
	s_mov_b64 s[10:11], 0
	s_mov_b64 s[0:1], 0
	s_cbranch_scc0 .LBB198_1541
; %bb.1509:
	s_cmp_gt_i32 s13, 28
	s_cbranch_scc0 .LBB198_1524
; %bb.1510:
	s_cmp_gt_i32 s13, 43
	;; [unrolled: 3-line block ×3, first 2 shown]
	s_cbranch_scc0 .LBB198_1514
; %bb.1512:
	s_mov_b64 s[0:1], -1
	s_mov_b64 s[18:19], 0
	s_cmp_eq_u32 s13, 46
	s_cbranch_scc0 .LBB198_1514
; %bb.1513:
	v_xor_b32_e32 v12, v0, v1
	v_ffbh_i32_e32 v11, v1
	v_ashrrev_i32_e32 v12, 31, v12
	v_add_u32_e32 v11, -1, v11
	v_add_u32_e32 v12, 32, v12
	v_min_u32_e32 v13, v11, v12
	v_lshlrev_b64 v[11:12], v13, v[0:1]
	s_movk_i32 s0, 0x7fff
	v_min_u32_e32 v11, 1, v11
	v_or_b32_e32 v11, v12, v11
	v_cvt_f32_i32_e32 v11, v11
	v_sub_u32_e32 v12, 32, v13
	s_mov_b64 s[10:11], -1
	v_ldexp_f32 v11, v11, v12
	v_bfe_u32 v12, v11, 16, 1
	v_add3_u32 v11, v11, v12, s0
	v_lshrrev_b32_e32 v11, 16, v11
	global_store_dword v[8:9], v11, off
	s_mov_b64 s[0:1], 0
.LBB198_1514:
	s_and_b64 vcc, exec, s[18:19]
	s_cbranch_vccz .LBB198_1519
; %bb.1515:
	s_cmp_eq_u32 s13, 44
	s_mov_b64 s[0:1], -1
	s_cbranch_scc0 .LBB198_1519
; %bb.1516:
	v_xor_b32_e32 v12, v0, v1
	v_ffbh_i32_e32 v11, v1
	v_ashrrev_i32_e32 v12, 31, v12
	v_add_u32_e32 v11, -1, v11
	v_add_u32_e32 v12, 32, v12
	v_min_u32_e32 v13, v11, v12
	v_lshlrev_b64 v[11:12], v13, v[0:1]
	s_movk_i32 s0, 0xff
	v_min_u32_e32 v11, 1, v11
	v_or_b32_e32 v11, v12, v11
	v_cvt_f32_i32_e32 v11, v11
	v_sub_u32_e32 v12, 32, v13
	v_mov_b32_e32 v13, 0xff
	v_ldexp_f32 v11, v11, v12
	v_bfe_u32 v12, v11, 23, 8
	v_cmp_ne_u32_e32 vcc, s0, v12
	s_and_saveexec_b64 s[10:11], vcc
; %bb.1517:
	s_mov_b32 s0, 0x3fffff
	v_lshrrev_b32_e32 v13, 23, v11
	v_and_b32_e32 v14, 0x400000, v11
	v_and_or_b32 v11, v11, s0, v12
	v_cmp_ne_u32_e32 vcc, 0, v14
	v_cmp_ne_u32_e64 s[0:1], 0, v11
	s_and_b64 s[0:1], vcc, s[0:1]
	v_cndmask_b32_e64 v11, 0, 1, s[0:1]
	v_add_u32_e32 v13, v13, v11
; %bb.1518:
	s_or_b64 exec, exec, s[10:11]
	s_mov_b64 s[0:1], 0
	s_mov_b64 s[10:11], -1
	global_store_byte v[8:9], v13, off
.LBB198_1519:
	s_mov_b64 s[18:19], 0
.LBB198_1520:
	s_and_b64 vcc, exec, s[18:19]
	s_cbranch_vccz .LBB198_1523
; %bb.1521:
	s_cmp_eq_u32 s13, 29
	s_mov_b64 s[0:1], -1
	s_cbranch_scc0 .LBB198_1523
; %bb.1522:
	global_store_dwordx2 v[8:9], v[0:1], off
	s_mov_b64 s[0:1], 0
	s_mov_b64 s[10:11], -1
.LBB198_1523:
	s_mov_b64 s[18:19], 0
.LBB198_1524:
	s_and_b64 vcc, exec, s[18:19]
	s_cbranch_vccz .LBB198_1540
; %bb.1525:
	s_cmp_lt_i32 s13, 27
	s_mov_b64 s[10:11], -1
	s_cbranch_scc1 .LBB198_1531
; %bb.1526:
	s_cmp_gt_i32 s13, 27
	s_cbranch_scc0 .LBB198_1528
; %bb.1527:
	s_mov_b64 s[10:11], 0
	global_store_dword v[8:9], v0, off
.LBB198_1528:
	s_andn2_b64 vcc, exec, s[10:11]
	s_cbranch_vccnz .LBB198_1530
; %bb.1529:
	global_store_short v[8:9], v0, off
.LBB198_1530:
	s_mov_b64 s[10:11], 0
.LBB198_1531:
	s_andn2_b64 vcc, exec, s[10:11]
	s_cbranch_vccnz .LBB198_1539
; %bb.1532:
	v_xor_b32_e32 v12, v0, v1
	v_ffbh_i32_e32 v11, v1
	v_ashrrev_i32_e32 v12, 31, v12
	v_add_u32_e32 v11, -1, v11
	v_add_u32_e32 v12, 32, v12
	v_min_u32_e32 v13, v11, v12
	v_lshlrev_b64 v[11:12], v13, v[0:1]
	s_mov_b32 s10, 0x43800000
	v_min_u32_e32 v11, 1, v11
	v_or_b32_e32 v11, v12, v11
	v_cvt_f32_i32_e32 v11, v11
	v_sub_u32_e32 v12, 32, v13
	v_mov_b32_e32 v13, 0x80
	v_ldexp_f32 v11, v11, v12
	v_and_b32_e32 v12, 0x7fffffff, v11
	v_cmp_gt_u32_e32 vcc, s10, v12
	s_and_saveexec_b64 s[10:11], vcc
	s_cbranch_execz .LBB198_1538
; %bb.1533:
	s_mov_b32 s18, 0x3bffffff
	v_cmp_lt_u32_e32 vcc, s18, v12
	s_mov_b64 s[18:19], 0
                                        ; implicit-def: $vgpr12
	s_and_saveexec_b64 s[20:21], vcc
	s_xor_b64 s[20:21], exec, s[20:21]
	s_cbranch_execz .LBB198_1987
; %bb.1534:
	v_bfe_u32 v12, v11, 20, 1
	s_mov_b32 s23, 0x487ffff
	v_add3_u32 v12, v11, v12, s23
	s_mov_b64 s[18:19], exec
	v_lshrrev_b32_e32 v12, 20, v12
	s_andn2_saveexec_b64 s[20:21], s[20:21]
	s_cbranch_execnz .LBB198_1988
.LBB198_1535:
	s_or_b64 exec, exec, s[20:21]
	v_mov_b32_e32 v13, 0
	s_and_saveexec_b64 s[20:21], s[18:19]
.LBB198_1536:
	v_lshrrev_b32_e32 v11, 24, v11
	s_movk_i32 s18, 0x80
	v_and_or_b32 v13, v11, s18, v12
.LBB198_1537:
	s_or_b64 exec, exec, s[20:21]
.LBB198_1538:
	s_or_b64 exec, exec, s[10:11]
	global_store_byte v[8:9], v13, off
.LBB198_1539:
	s_mov_b64 s[10:11], -1
.LBB198_1540:
	s_mov_b64 s[18:19], 0
.LBB198_1541:
	s_and_b64 vcc, exec, s[18:19]
	s_cbranch_vccz .LBB198_1581
; %bb.1542:
	s_cmp_gt_i32 s13, 22
	s_mov_b64 s[4:5], -1
	s_cbranch_scc0 .LBB198_1574
; %bb.1543:
	s_cmp_lt_i32 s13, 24
	s_cbranch_scc1 .LBB198_1563
; %bb.1544:
	s_cmp_gt_i32 s13, 24
	s_cbranch_scc0 .LBB198_1552
; %bb.1545:
	v_xor_b32_e32 v12, v0, v1
	v_ffbh_i32_e32 v11, v1
	v_ashrrev_i32_e32 v12, 31, v12
	v_add_u32_e32 v11, -1, v11
	v_add_u32_e32 v12, 32, v12
	v_min_u32_e32 v13, v11, v12
	v_lshlrev_b64 v[11:12], v13, v[0:1]
	s_mov_b32 s4, 0x47800000
	v_min_u32_e32 v11, 1, v11
	v_or_b32_e32 v11, v12, v11
	v_cvt_f32_i32_e32 v11, v11
	v_sub_u32_e32 v12, 32, v13
	v_mov_b32_e32 v13, 0x80
	v_ldexp_f32 v11, v11, v12
	v_and_b32_e32 v12, 0x7fffffff, v11
	v_cmp_gt_u32_e32 vcc, s4, v12
	s_and_saveexec_b64 s[4:5], vcc
	s_cbranch_execz .LBB198_1551
; %bb.1546:
	s_mov_b32 s10, 0x37ffffff
	v_cmp_lt_u32_e32 vcc, s10, v12
	s_mov_b64 s[10:11], 0
                                        ; implicit-def: $vgpr12
	s_and_saveexec_b64 s[18:19], vcc
	s_xor_b64 s[18:19], exec, s[18:19]
	s_cbranch_execz .LBB198_1990
; %bb.1547:
	v_bfe_u32 v12, v11, 21, 1
	s_mov_b32 s20, 0x88fffff
	v_add3_u32 v12, v11, v12, s20
	s_mov_b64 s[10:11], exec
	v_lshrrev_b32_e32 v12, 21, v12
	s_andn2_saveexec_b64 s[18:19], s[18:19]
	s_cbranch_execnz .LBB198_1991
.LBB198_1548:
	s_or_b64 exec, exec, s[18:19]
	v_mov_b32_e32 v13, 0
	s_and_saveexec_b64 s[18:19], s[10:11]
.LBB198_1549:
	v_lshrrev_b32_e32 v11, 24, v11
	s_movk_i32 s10, 0x80
	v_and_or_b32 v13, v11, s10, v12
.LBB198_1550:
	s_or_b64 exec, exec, s[18:19]
.LBB198_1551:
	s_or_b64 exec, exec, s[4:5]
	s_mov_b64 s[4:5], 0
	global_store_byte v[8:9], v13, off
.LBB198_1552:
	s_and_b64 vcc, exec, s[4:5]
	s_cbranch_vccz .LBB198_1562
; %bb.1553:
	v_xor_b32_e32 v12, v0, v1
	v_ffbh_i32_e32 v11, v1
	v_ashrrev_i32_e32 v12, 31, v12
	v_add_u32_e32 v11, -1, v11
	v_add_u32_e32 v12, 32, v12
	v_min_u32_e32 v13, v11, v12
	v_lshlrev_b64 v[11:12], v13, v[0:1]
	s_mov_b32 s4, 0x43f00000
	v_min_u32_e32 v11, 1, v11
	v_or_b32_e32 v11, v12, v11
	v_cvt_f32_i32_e32 v11, v11
	v_sub_u32_e32 v12, 32, v13
	v_ldexp_f32 v11, v11, v12
	v_and_b32_e32 v13, 0x7fffffff, v11
	v_cmp_gt_u32_e32 vcc, s4, v13
                                        ; implicit-def: $vgpr12
	s_and_saveexec_b64 s[4:5], vcc
	s_xor_b64 s[4:5], exec, s[4:5]
	s_cbranch_execz .LBB198_1559
; %bb.1554:
	s_mov_b32 s10, 0x3c7fffff
	v_cmp_lt_u32_e32 vcc, s10, v13
                                        ; implicit-def: $vgpr12
	s_and_saveexec_b64 s[10:11], vcc
	s_xor_b64 s[10:11], exec, s[10:11]
; %bb.1555:
	v_bfe_u32 v12, v11, 20, 1
	s_mov_b32 s18, 0x407ffff
	v_add3_u32 v12, v11, v12, s18
	v_lshrrev_b32_e32 v13, 20, v12
	v_and_b32_e32 v12, 0xff00000, v12
	s_mov_b32 s18, 0x7f00000
	v_mov_b32_e32 v14, 0x7e
	v_cmp_ne_u32_e32 vcc, s18, v12
	v_cndmask_b32_e32 v12, v14, v13, vcc
; %bb.1556:
	s_andn2_saveexec_b64 s[10:11], s[10:11]
; %bb.1557:
	s_mov_b32 s18, 0x46800000
	v_add_f32_e64 v12, |v11|, s18
; %bb.1558:
	s_or_b64 exec, exec, s[10:11]
                                        ; implicit-def: $vgpr13
.LBB198_1559:
	s_andn2_saveexec_b64 s[4:5], s[4:5]
; %bb.1560:
	s_mov_b32 s10, 0x7f800000
	v_mov_b32_e32 v12, 0x7e
	v_mov_b32_e32 v14, 0x7f
	v_cmp_lt_u32_e32 vcc, s10, v13
	v_cndmask_b32_e32 v12, v12, v14, vcc
; %bb.1561:
	s_or_b64 exec, exec, s[4:5]
	v_lshrrev_b32_e32 v11, 24, v11
	s_movk_i32 s4, 0x80
	v_and_or_b32 v11, v11, s4, v12
	global_store_byte v[8:9], v11, off
.LBB198_1562:
	s_mov_b64 s[4:5], 0
.LBB198_1563:
	s_andn2_b64 vcc, exec, s[4:5]
	s_cbranch_vccnz .LBB198_1573
; %bb.1564:
	v_xor_b32_e32 v12, v0, v1
	v_ffbh_i32_e32 v11, v1
	v_ashrrev_i32_e32 v12, 31, v12
	v_add_u32_e32 v11, -1, v11
	v_add_u32_e32 v12, 32, v12
	v_min_u32_e32 v13, v11, v12
	v_lshlrev_b64 v[11:12], v13, v[0:1]
	s_mov_b32 s4, 0x47800000
	v_min_u32_e32 v11, 1, v11
	v_or_b32_e32 v11, v12, v11
	v_cvt_f32_i32_e32 v11, v11
	v_sub_u32_e32 v12, 32, v13
	v_ldexp_f32 v11, v11, v12
	v_and_b32_e32 v13, 0x7fffffff, v11
	v_cmp_gt_u32_e32 vcc, s4, v13
                                        ; implicit-def: $vgpr12
	s_and_saveexec_b64 s[4:5], vcc
	s_xor_b64 s[4:5], exec, s[4:5]
	s_cbranch_execz .LBB198_1570
; %bb.1565:
	s_mov_b32 s10, 0x387fffff
	v_cmp_lt_u32_e32 vcc, s10, v13
                                        ; implicit-def: $vgpr12
	s_and_saveexec_b64 s[10:11], vcc
	s_xor_b64 s[10:11], exec, s[10:11]
; %bb.1566:
	v_bfe_u32 v12, v11, 21, 1
	s_mov_b32 s18, 0x80fffff
	v_add3_u32 v12, v11, v12, s18
	v_lshrrev_b32_e32 v12, 21, v12
; %bb.1567:
	s_andn2_saveexec_b64 s[10:11], s[10:11]
; %bb.1568:
	s_mov_b32 s18, 0x43000000
	v_add_f32_e64 v12, |v11|, s18
; %bb.1569:
	s_or_b64 exec, exec, s[10:11]
                                        ; implicit-def: $vgpr13
.LBB198_1570:
	s_andn2_saveexec_b64 s[4:5], s[4:5]
; %bb.1571:
	s_mov_b32 s10, 0x7f800000
	v_mov_b32_e32 v12, 0x7c
	v_mov_b32_e32 v14, 0x7f
	v_cmp_lt_u32_e32 vcc, s10, v13
	v_cndmask_b32_e32 v12, v12, v14, vcc
; %bb.1572:
	s_or_b64 exec, exec, s[4:5]
	v_lshrrev_b32_e32 v11, 24, v11
	s_movk_i32 s4, 0x80
	v_and_or_b32 v11, v11, s4, v12
	global_store_byte v[8:9], v11, off
.LBB198_1573:
	s_mov_b64 s[4:5], 0
	s_mov_b64 s[10:11], -1
.LBB198_1574:
	s_andn2_b64 vcc, exec, s[4:5]
	s_mov_b64 s[4:5], 0
	s_cbranch_vccnz .LBB198_1581
; %bb.1575:
	s_cmp_gt_i32 s13, 14
	s_mov_b64 s[18:19], -1
	s_cbranch_scc0 .LBB198_1579
; %bb.1576:
	s_cmp_eq_u32 s13, 15
	s_mov_b64 s[0:1], -1
	s_cbranch_scc0 .LBB198_1578
; %bb.1577:
	v_xor_b32_e32 v12, v0, v1
	v_ffbh_i32_e32 v11, v1
	v_ashrrev_i32_e32 v12, 31, v12
	v_add_u32_e32 v11, -1, v11
	v_add_u32_e32 v12, 32, v12
	v_min_u32_e32 v13, v11, v12
	v_lshlrev_b64 v[11:12], v13, v[0:1]
	s_movk_i32 s0, 0x7fff
	v_min_u32_e32 v11, 1, v11
	v_or_b32_e32 v11, v12, v11
	v_cvt_f32_i32_e32 v11, v11
	v_sub_u32_e32 v12, 32, v13
	s_mov_b64 s[10:11], -1
	v_ldexp_f32 v11, v11, v12
	v_bfe_u32 v12, v11, 16, 1
	v_add3_u32 v11, v11, v12, s0
	global_store_short_d16_hi v[8:9], v11, off
	s_mov_b64 s[0:1], 0
.LBB198_1578:
	s_mov_b64 s[18:19], 0
.LBB198_1579:
	s_and_b64 vcc, exec, s[18:19]
	s_cbranch_vccz .LBB198_1581
; %bb.1580:
	s_cmp_lg_u32 s13, 11
	s_mov_b64 s[4:5], -1
	s_cselect_b64 s[0:1], -1, 0
.LBB198_1581:
	s_and_b64 vcc, exec, s[0:1]
	s_cbranch_vccnz .LBB198_1989
; %bb.1582:
	s_andn2_b64 vcc, exec, s[4:5]
	s_cbranch_vccnz .LBB198_1584
.LBB198_1583:
	v_cmp_ne_u64_e32 vcc, 0, v[0:1]
	s_mov_b64 s[10:11], -1
	v_cndmask_b32_e64 v11, 0, 1, vcc
	global_store_byte v[8:9], v11, off
.LBB198_1584:
	s_mov_b64 s[0:1], 0
	s_branch .LBB198_1586
.LBB198_1585:
	s_mov_b64 s[0:1], -1
	s_mov_b64 s[10:11], 0
.LBB198_1586:
	s_and_b64 vcc, exec, s[0:1]
	s_cbranch_vccz .LBB198_1625
; %bb.1587:
	s_and_b32 s4, 0xffff, s22
	s_cmp_lt_i32 s4, 5
	s_mov_b64 s[0:1], -1
	s_cbranch_scc1 .LBB198_1608
; %bb.1588:
	s_cmp_lt_i32 s4, 8
	s_cbranch_scc1 .LBB198_1598
; %bb.1589:
	s_cmp_lt_i32 s4, 9
	s_cbranch_scc1 .LBB198_1595
; %bb.1590:
	s_cmp_gt_i32 s4, 9
	s_cbranch_scc0 .LBB198_1592
; %bb.1591:
	v_cvt_f64_i32_e32 v[11:12], v1
	v_cvt_f64_u32_e32 v[13:14], v0
	s_mov_b64 s[0:1], 0
	v_ldexp_f64 v[11:12], v[11:12], 32
	v_add_f64 v[11:12], v[11:12], v[13:14]
	v_mov_b32_e32 v13, 0
	v_mov_b32_e32 v14, v13
	global_store_dwordx4 v[8:9], v[11:14], off
.LBB198_1592:
	s_andn2_b64 vcc, exec, s[0:1]
	s_cbranch_vccnz .LBB198_1594
; %bb.1593:
	v_xor_b32_e32 v12, v0, v1
	v_ffbh_i32_e32 v11, v1
	v_ashrrev_i32_e32 v12, 31, v12
	v_add_u32_e32 v11, -1, v11
	v_add_u32_e32 v12, 32, v12
	v_min_u32_e32 v13, v11, v12
	v_lshlrev_b64 v[11:12], v13, v[0:1]
	v_min_u32_e32 v11, 1, v11
	v_or_b32_e32 v11, v12, v11
	v_cvt_f32_i32_e32 v11, v11
	v_sub_u32_e32 v12, 32, v13
	v_ldexp_f32 v11, v11, v12
	v_mov_b32_e32 v12, 0
	global_store_dwordx2 v[8:9], v[11:12], off
.LBB198_1594:
	s_mov_b64 s[0:1], 0
.LBB198_1595:
	s_andn2_b64 vcc, exec, s[0:1]
	s_cbranch_vccnz .LBB198_1597
; %bb.1596:
	v_xor_b32_e32 v12, v0, v1
	v_ffbh_i32_e32 v11, v1
	v_ashrrev_i32_e32 v12, 31, v12
	v_add_u32_e32 v11, -1, v11
	v_add_u32_e32 v12, 32, v12
	v_min_u32_e32 v13, v11, v12
	v_lshlrev_b64 v[11:12], v13, v[0:1]
	v_min_u32_e32 v11, 1, v11
	v_or_b32_e32 v11, v12, v11
	v_cvt_f32_i32_e32 v11, v11
	v_sub_u32_e32 v12, 32, v13
	v_ldexp_f32 v11, v11, v12
	v_cvt_f16_f32_e32 v11, v11
	global_store_dword v[8:9], v11, off
.LBB198_1597:
	s_mov_b64 s[0:1], 0
.LBB198_1598:
	s_andn2_b64 vcc, exec, s[0:1]
	s_cbranch_vccnz .LBB198_1607
; %bb.1599:
	s_cmp_lt_i32 s4, 6
	s_mov_b64 s[0:1], -1
	s_cbranch_scc1 .LBB198_1605
; %bb.1600:
	s_cmp_gt_i32 s4, 6
	s_cbranch_scc0 .LBB198_1602
; %bb.1601:
	v_cvt_f64_i32_e32 v[11:12], v1
	v_cvt_f64_u32_e32 v[13:14], v0
	s_mov_b64 s[0:1], 0
	v_ldexp_f64 v[11:12], v[11:12], 32
	v_add_f64 v[11:12], v[11:12], v[13:14]
	global_store_dwordx2 v[8:9], v[11:12], off
.LBB198_1602:
	s_andn2_b64 vcc, exec, s[0:1]
	s_cbranch_vccnz .LBB198_1604
; %bb.1603:
	v_xor_b32_e32 v12, v0, v1
	v_ffbh_i32_e32 v11, v1
	v_ashrrev_i32_e32 v12, 31, v12
	v_add_u32_e32 v11, -1, v11
	v_add_u32_e32 v12, 32, v12
	v_min_u32_e32 v13, v11, v12
	v_lshlrev_b64 v[11:12], v13, v[0:1]
	v_min_u32_e32 v11, 1, v11
	v_or_b32_e32 v11, v12, v11
	v_cvt_f32_i32_e32 v11, v11
	v_sub_u32_e32 v12, 32, v13
	v_ldexp_f32 v11, v11, v12
	global_store_dword v[8:9], v11, off
.LBB198_1604:
	s_mov_b64 s[0:1], 0
.LBB198_1605:
	s_andn2_b64 vcc, exec, s[0:1]
	s_cbranch_vccnz .LBB198_1607
; %bb.1606:
	v_xor_b32_e32 v12, v0, v1
	v_ffbh_i32_e32 v11, v1
	v_ashrrev_i32_e32 v12, 31, v12
	v_add_u32_e32 v11, -1, v11
	v_add_u32_e32 v12, 32, v12
	v_min_u32_e32 v13, v11, v12
	v_lshlrev_b64 v[11:12], v13, v[0:1]
	v_min_u32_e32 v11, 1, v11
	v_or_b32_e32 v11, v12, v11
	v_cvt_f32_i32_e32 v11, v11
	v_sub_u32_e32 v12, 32, v13
	v_ldexp_f32 v11, v11, v12
	v_cvt_f16_f32_e32 v11, v11
	global_store_short v[8:9], v11, off
.LBB198_1607:
	s_mov_b64 s[0:1], 0
.LBB198_1608:
	s_andn2_b64 vcc, exec, s[0:1]
	s_cbranch_vccnz .LBB198_1624
; %bb.1609:
	s_cmp_lt_i32 s4, 2
	s_mov_b64 s[0:1], -1
	s_cbranch_scc1 .LBB198_1619
; %bb.1610:
	s_cmp_lt_i32 s4, 3
	s_cbranch_scc1 .LBB198_1616
; %bb.1611:
	s_cmp_gt_i32 s4, 3
	s_cbranch_scc0 .LBB198_1613
; %bb.1612:
	global_store_dwordx2 v[8:9], v[0:1], off
	s_mov_b64 s[0:1], 0
.LBB198_1613:
	s_andn2_b64 vcc, exec, s[0:1]
	s_cbranch_vccnz .LBB198_1615
; %bb.1614:
	global_store_dword v[8:9], v0, off
.LBB198_1615:
	s_mov_b64 s[0:1], 0
.LBB198_1616:
	s_andn2_b64 vcc, exec, s[0:1]
	s_cbranch_vccnz .LBB198_1618
; %bb.1617:
	global_store_short v[8:9], v0, off
.LBB198_1618:
	s_mov_b64 s[0:1], 0
.LBB198_1619:
	s_andn2_b64 vcc, exec, s[0:1]
	s_cbranch_vccnz .LBB198_1624
; %bb.1620:
	s_cmp_gt_i32 s4, 0
	s_mov_b64 s[0:1], -1
	s_cbranch_scc0 .LBB198_1622
; %bb.1621:
	global_store_byte v[8:9], v0, off
	s_mov_b64 s[0:1], 0
.LBB198_1622:
	s_andn2_b64 vcc, exec, s[0:1]
	s_cbranch_vccnz .LBB198_1624
; %bb.1623:
	global_store_byte v[8:9], v0, off
.LBB198_1624:
	s_mov_b64 s[10:11], -1
.LBB198_1625:
	s_andn2_b64 vcc, exec, s[10:11]
	s_cbranch_vccnz .LBB198_1940
; %bb.1626:
	v_cmp_gt_u64_e32 vcc, 63, v[2:3]
	s_lshl_b32 s20, s12, 7
	v_cndmask_b32_e32 v0, 63, v2, vcc
	v_add_u32_e32 v8, s20, v10
	v_ashrrev_i64 v[0:1], v0, s[2:3]
	v_ashrrev_i32_e32 v3, 31, v8
	v_mov_b32_e32 v9, s9
	v_add_co_u32_e32 v2, vcc, s8, v8
	s_cmp_lt_i32 s22, 11
	v_addc_co_u32_e32 v3, vcc, v9, v3, vcc
	s_cbranch_scc1 .LBB198_1704
; %bb.1627:
	s_and_b32 s21, 0xffff, s22
	s_mov_b64 s[12:13], -1
	s_mov_b64 s[4:5], 0
	s_cmp_gt_i32 s21, 25
	s_mov_b64 s[10:11], 0
	s_mov_b64 s[0:1], 0
	s_cbranch_scc0 .LBB198_1660
; %bb.1628:
	s_cmp_gt_i32 s21, 28
	s_cbranch_scc0 .LBB198_1643
; %bb.1629:
	s_cmp_gt_i32 s21, 43
	s_cbranch_scc0 .LBB198_1639
; %bb.1630:
	s_cmp_gt_i32 s21, 45
	s_cbranch_scc0 .LBB198_1633
; %bb.1631:
	s_mov_b64 s[0:1], -1
	s_mov_b64 s[12:13], 0
	s_cmp_eq_u32 s21, 46
	s_cbranch_scc0 .LBB198_1633
; %bb.1632:
	v_xor_b32_e32 v10, v0, v1
	v_ffbh_i32_e32 v9, v1
	v_ashrrev_i32_e32 v10, 31, v10
	v_add_u32_e32 v9, -1, v9
	v_add_u32_e32 v10, 32, v10
	v_min_u32_e32 v11, v9, v10
	v_lshlrev_b64 v[9:10], v11, v[0:1]
	s_movk_i32 s0, 0x7fff
	v_min_u32_e32 v9, 1, v9
	v_or_b32_e32 v9, v10, v9
	v_cvt_f32_i32_e32 v9, v9
	v_sub_u32_e32 v10, 32, v11
	s_mov_b64 s[10:11], -1
	v_ldexp_f32 v9, v9, v10
	v_bfe_u32 v10, v9, 16, 1
	v_add3_u32 v9, v9, v10, s0
	v_lshrrev_b32_e32 v9, 16, v9
	global_store_dword v[2:3], v9, off
	s_mov_b64 s[0:1], 0
.LBB198_1633:
	s_and_b64 vcc, exec, s[12:13]
	s_cbranch_vccz .LBB198_1638
; %bb.1634:
	s_cmp_eq_u32 s21, 44
	s_mov_b64 s[0:1], -1
	s_cbranch_scc0 .LBB198_1638
; %bb.1635:
	v_xor_b32_e32 v10, v0, v1
	v_ffbh_i32_e32 v9, v1
	v_ashrrev_i32_e32 v10, 31, v10
	v_add_u32_e32 v9, -1, v9
	v_add_u32_e32 v10, 32, v10
	v_min_u32_e32 v11, v9, v10
	v_lshlrev_b64 v[9:10], v11, v[0:1]
	s_movk_i32 s0, 0xff
	v_min_u32_e32 v9, 1, v9
	v_or_b32_e32 v9, v10, v9
	v_cvt_f32_i32_e32 v9, v9
	v_sub_u32_e32 v10, 32, v11
	v_mov_b32_e32 v11, 0xff
	v_ldexp_f32 v9, v9, v10
	v_bfe_u32 v10, v9, 23, 8
	v_cmp_ne_u32_e32 vcc, s0, v10
	s_and_saveexec_b64 s[10:11], vcc
; %bb.1636:
	s_mov_b32 s0, 0x3fffff
	v_lshrrev_b32_e32 v11, 23, v9
	v_and_b32_e32 v12, 0x400000, v9
	v_and_or_b32 v9, v9, s0, v10
	v_cmp_ne_u32_e32 vcc, 0, v12
	v_cmp_ne_u32_e64 s[0:1], 0, v9
	s_and_b64 s[0:1], vcc, s[0:1]
	v_cndmask_b32_e64 v9, 0, 1, s[0:1]
	v_add_u32_e32 v11, v11, v9
; %bb.1637:
	s_or_b64 exec, exec, s[10:11]
	s_mov_b64 s[0:1], 0
	s_mov_b64 s[10:11], -1
	global_store_byte v[2:3], v11, off
.LBB198_1638:
	s_mov_b64 s[12:13], 0
.LBB198_1639:
	s_and_b64 vcc, exec, s[12:13]
	s_cbranch_vccz .LBB198_1642
; %bb.1640:
	s_cmp_eq_u32 s21, 29
	s_mov_b64 s[0:1], -1
	s_cbranch_scc0 .LBB198_1642
; %bb.1641:
	global_store_dwordx2 v[2:3], v[0:1], off
	s_mov_b64 s[0:1], 0
	s_mov_b64 s[10:11], -1
.LBB198_1642:
	s_mov_b64 s[12:13], 0
.LBB198_1643:
	s_and_b64 vcc, exec, s[12:13]
	s_cbranch_vccz .LBB198_1659
; %bb.1644:
	s_cmp_lt_i32 s21, 27
	s_mov_b64 s[10:11], -1
	s_cbranch_scc1 .LBB198_1650
; %bb.1645:
	s_cmp_gt_i32 s21, 27
	s_cbranch_scc0 .LBB198_1647
; %bb.1646:
	s_mov_b64 s[10:11], 0
	global_store_dword v[2:3], v0, off
.LBB198_1647:
	s_andn2_b64 vcc, exec, s[10:11]
	s_cbranch_vccnz .LBB198_1649
; %bb.1648:
	global_store_short v[2:3], v0, off
.LBB198_1649:
	s_mov_b64 s[10:11], 0
.LBB198_1650:
	s_andn2_b64 vcc, exec, s[10:11]
	s_cbranch_vccnz .LBB198_1658
; %bb.1651:
	v_xor_b32_e32 v10, v0, v1
	v_ffbh_i32_e32 v9, v1
	v_ashrrev_i32_e32 v10, 31, v10
	v_add_u32_e32 v9, -1, v9
	v_add_u32_e32 v10, 32, v10
	v_min_u32_e32 v11, v9, v10
	v_lshlrev_b64 v[9:10], v11, v[0:1]
	s_mov_b32 s10, 0x43800000
	v_min_u32_e32 v9, 1, v9
	v_or_b32_e32 v9, v10, v9
	v_cvt_f32_i32_e32 v9, v9
	v_sub_u32_e32 v10, 32, v11
	v_mov_b32_e32 v11, 0x80
	v_ldexp_f32 v9, v9, v10
	v_and_b32_e32 v10, 0x7fffffff, v9
	v_cmp_gt_u32_e32 vcc, s10, v10
	s_and_saveexec_b64 s[10:11], vcc
	s_cbranch_execz .LBB198_1657
; %bb.1652:
	s_mov_b32 s12, 0x3bffffff
	v_cmp_lt_u32_e32 vcc, s12, v10
	s_mov_b64 s[12:13], 0
                                        ; implicit-def: $vgpr10
	s_and_saveexec_b64 s[18:19], vcc
	s_xor_b64 s[18:19], exec, s[18:19]
	s_cbranch_execz .LBB198_1992
; %bb.1653:
	v_bfe_u32 v10, v9, 20, 1
	s_mov_b32 s23, 0x487ffff
	v_add3_u32 v10, v9, v10, s23
	s_mov_b64 s[12:13], exec
	v_lshrrev_b32_e32 v10, 20, v10
	s_andn2_saveexec_b64 s[18:19], s[18:19]
	s_cbranch_execnz .LBB198_1993
.LBB198_1654:
	s_or_b64 exec, exec, s[18:19]
	v_mov_b32_e32 v11, 0
	s_and_saveexec_b64 s[18:19], s[12:13]
.LBB198_1655:
	v_lshrrev_b32_e32 v9, 24, v9
	s_movk_i32 s12, 0x80
	v_and_or_b32 v11, v9, s12, v10
.LBB198_1656:
	s_or_b64 exec, exec, s[18:19]
.LBB198_1657:
	s_or_b64 exec, exec, s[10:11]
	global_store_byte v[2:3], v11, off
.LBB198_1658:
	s_mov_b64 s[10:11], -1
.LBB198_1659:
	s_mov_b64 s[12:13], 0
.LBB198_1660:
	s_and_b64 vcc, exec, s[12:13]
	s_cbranch_vccz .LBB198_1700
; %bb.1661:
	s_cmp_gt_i32 s21, 22
	s_mov_b64 s[4:5], -1
	s_cbranch_scc0 .LBB198_1693
; %bb.1662:
	s_cmp_lt_i32 s21, 24
	s_cbranch_scc1 .LBB198_1682
; %bb.1663:
	s_cmp_gt_i32 s21, 24
	s_cbranch_scc0 .LBB198_1671
; %bb.1664:
	v_xor_b32_e32 v10, v0, v1
	v_ffbh_i32_e32 v9, v1
	v_ashrrev_i32_e32 v10, 31, v10
	v_add_u32_e32 v9, -1, v9
	v_add_u32_e32 v10, 32, v10
	v_min_u32_e32 v11, v9, v10
	v_lshlrev_b64 v[9:10], v11, v[0:1]
	s_mov_b32 s4, 0x47800000
	v_min_u32_e32 v9, 1, v9
	v_or_b32_e32 v9, v10, v9
	v_cvt_f32_i32_e32 v9, v9
	v_sub_u32_e32 v10, 32, v11
	v_mov_b32_e32 v11, 0x80
	v_ldexp_f32 v9, v9, v10
	v_and_b32_e32 v10, 0x7fffffff, v9
	v_cmp_gt_u32_e32 vcc, s4, v10
	s_and_saveexec_b64 s[4:5], vcc
	s_cbranch_execz .LBB198_1670
; %bb.1665:
	s_mov_b32 s10, 0x37ffffff
	v_cmp_lt_u32_e32 vcc, s10, v10
	s_mov_b64 s[10:11], 0
                                        ; implicit-def: $vgpr10
	s_and_saveexec_b64 s[12:13], vcc
	s_xor_b64 s[12:13], exec, s[12:13]
	s_cbranch_execz .LBB198_1995
; %bb.1666:
	v_bfe_u32 v10, v9, 21, 1
	s_mov_b32 s18, 0x88fffff
	v_add3_u32 v10, v9, v10, s18
	s_mov_b64 s[10:11], exec
	v_lshrrev_b32_e32 v10, 21, v10
	s_andn2_saveexec_b64 s[12:13], s[12:13]
	s_cbranch_execnz .LBB198_1996
.LBB198_1667:
	s_or_b64 exec, exec, s[12:13]
	v_mov_b32_e32 v11, 0
	s_and_saveexec_b64 s[12:13], s[10:11]
.LBB198_1668:
	v_lshrrev_b32_e32 v9, 24, v9
	s_movk_i32 s10, 0x80
	v_and_or_b32 v11, v9, s10, v10
.LBB198_1669:
	s_or_b64 exec, exec, s[12:13]
.LBB198_1670:
	s_or_b64 exec, exec, s[4:5]
	s_mov_b64 s[4:5], 0
	global_store_byte v[2:3], v11, off
.LBB198_1671:
	s_and_b64 vcc, exec, s[4:5]
	s_cbranch_vccz .LBB198_1681
; %bb.1672:
	v_xor_b32_e32 v10, v0, v1
	v_ffbh_i32_e32 v9, v1
	v_ashrrev_i32_e32 v10, 31, v10
	v_add_u32_e32 v9, -1, v9
	v_add_u32_e32 v10, 32, v10
	v_min_u32_e32 v11, v9, v10
	v_lshlrev_b64 v[9:10], v11, v[0:1]
	s_mov_b32 s4, 0x43f00000
	v_min_u32_e32 v9, 1, v9
	v_or_b32_e32 v9, v10, v9
	v_cvt_f32_i32_e32 v9, v9
	v_sub_u32_e32 v10, 32, v11
	v_ldexp_f32 v9, v9, v10
	v_and_b32_e32 v11, 0x7fffffff, v9
	v_cmp_gt_u32_e32 vcc, s4, v11
                                        ; implicit-def: $vgpr10
	s_and_saveexec_b64 s[4:5], vcc
	s_xor_b64 s[4:5], exec, s[4:5]
	s_cbranch_execz .LBB198_1678
; %bb.1673:
	s_mov_b32 s10, 0x3c7fffff
	v_cmp_lt_u32_e32 vcc, s10, v11
                                        ; implicit-def: $vgpr10
	s_and_saveexec_b64 s[10:11], vcc
	s_xor_b64 s[10:11], exec, s[10:11]
; %bb.1674:
	v_bfe_u32 v10, v9, 20, 1
	s_mov_b32 s12, 0x407ffff
	v_add3_u32 v10, v9, v10, s12
	v_lshrrev_b32_e32 v11, 20, v10
	v_and_b32_e32 v10, 0xff00000, v10
	s_mov_b32 s12, 0x7f00000
	v_mov_b32_e32 v12, 0x7e
	v_cmp_ne_u32_e32 vcc, s12, v10
	v_cndmask_b32_e32 v10, v12, v11, vcc
; %bb.1675:
	s_andn2_saveexec_b64 s[10:11], s[10:11]
; %bb.1676:
	s_mov_b32 s12, 0x46800000
	v_add_f32_e64 v10, |v9|, s12
; %bb.1677:
	s_or_b64 exec, exec, s[10:11]
                                        ; implicit-def: $vgpr11
.LBB198_1678:
	s_andn2_saveexec_b64 s[4:5], s[4:5]
; %bb.1679:
	s_mov_b32 s10, 0x7f800000
	v_mov_b32_e32 v10, 0x7e
	v_mov_b32_e32 v12, 0x7f
	v_cmp_lt_u32_e32 vcc, s10, v11
	v_cndmask_b32_e32 v10, v10, v12, vcc
; %bb.1680:
	s_or_b64 exec, exec, s[4:5]
	v_lshrrev_b32_e32 v9, 24, v9
	s_movk_i32 s4, 0x80
	v_and_or_b32 v9, v9, s4, v10
	global_store_byte v[2:3], v9, off
.LBB198_1681:
	s_mov_b64 s[4:5], 0
.LBB198_1682:
	s_andn2_b64 vcc, exec, s[4:5]
	s_cbranch_vccnz .LBB198_1692
; %bb.1683:
	v_xor_b32_e32 v10, v0, v1
	v_ffbh_i32_e32 v9, v1
	v_ashrrev_i32_e32 v10, 31, v10
	v_add_u32_e32 v9, -1, v9
	v_add_u32_e32 v10, 32, v10
	v_min_u32_e32 v11, v9, v10
	v_lshlrev_b64 v[9:10], v11, v[0:1]
	s_mov_b32 s4, 0x47800000
	v_min_u32_e32 v9, 1, v9
	v_or_b32_e32 v9, v10, v9
	v_cvt_f32_i32_e32 v9, v9
	v_sub_u32_e32 v10, 32, v11
	v_ldexp_f32 v9, v9, v10
	v_and_b32_e32 v11, 0x7fffffff, v9
	v_cmp_gt_u32_e32 vcc, s4, v11
                                        ; implicit-def: $vgpr10
	s_and_saveexec_b64 s[4:5], vcc
	s_xor_b64 s[4:5], exec, s[4:5]
	s_cbranch_execz .LBB198_1689
; %bb.1684:
	s_mov_b32 s10, 0x387fffff
	v_cmp_lt_u32_e32 vcc, s10, v11
                                        ; implicit-def: $vgpr10
	s_and_saveexec_b64 s[10:11], vcc
	s_xor_b64 s[10:11], exec, s[10:11]
; %bb.1685:
	v_bfe_u32 v10, v9, 21, 1
	s_mov_b32 s12, 0x80fffff
	v_add3_u32 v10, v9, v10, s12
	v_lshrrev_b32_e32 v10, 21, v10
; %bb.1686:
	s_andn2_saveexec_b64 s[10:11], s[10:11]
; %bb.1687:
	s_mov_b32 s12, 0x43000000
	v_add_f32_e64 v10, |v9|, s12
; %bb.1688:
	s_or_b64 exec, exec, s[10:11]
                                        ; implicit-def: $vgpr11
.LBB198_1689:
	s_andn2_saveexec_b64 s[4:5], s[4:5]
; %bb.1690:
	s_mov_b32 s10, 0x7f800000
	v_mov_b32_e32 v10, 0x7c
	v_mov_b32_e32 v12, 0x7f
	v_cmp_lt_u32_e32 vcc, s10, v11
	v_cndmask_b32_e32 v10, v10, v12, vcc
; %bb.1691:
	s_or_b64 exec, exec, s[4:5]
	v_lshrrev_b32_e32 v9, 24, v9
	s_movk_i32 s4, 0x80
	v_and_or_b32 v9, v9, s4, v10
	global_store_byte v[2:3], v9, off
.LBB198_1692:
	s_mov_b64 s[4:5], 0
	s_mov_b64 s[10:11], -1
.LBB198_1693:
	s_andn2_b64 vcc, exec, s[4:5]
	s_mov_b64 s[4:5], 0
	s_cbranch_vccnz .LBB198_1700
; %bb.1694:
	s_cmp_gt_i32 s21, 14
	s_mov_b64 s[12:13], -1
	s_cbranch_scc0 .LBB198_1698
; %bb.1695:
	s_cmp_eq_u32 s21, 15
	s_mov_b64 s[0:1], -1
	s_cbranch_scc0 .LBB198_1697
; %bb.1696:
	v_xor_b32_e32 v10, v0, v1
	v_ffbh_i32_e32 v9, v1
	v_ashrrev_i32_e32 v10, 31, v10
	v_add_u32_e32 v9, -1, v9
	v_add_u32_e32 v10, 32, v10
	v_min_u32_e32 v11, v9, v10
	v_lshlrev_b64 v[9:10], v11, v[0:1]
	s_movk_i32 s0, 0x7fff
	v_min_u32_e32 v9, 1, v9
	v_or_b32_e32 v9, v10, v9
	v_cvt_f32_i32_e32 v9, v9
	v_sub_u32_e32 v10, 32, v11
	s_mov_b64 s[10:11], -1
	v_ldexp_f32 v9, v9, v10
	v_bfe_u32 v10, v9, 16, 1
	v_add3_u32 v9, v9, v10, s0
	global_store_short_d16_hi v[2:3], v9, off
	s_mov_b64 s[0:1], 0
.LBB198_1697:
	s_mov_b64 s[12:13], 0
.LBB198_1698:
	s_and_b64 vcc, exec, s[12:13]
	s_cbranch_vccz .LBB198_1700
; %bb.1699:
	s_cmp_lg_u32 s21, 11
	s_mov_b64 s[4:5], -1
	s_cselect_b64 s[0:1], -1, 0
.LBB198_1700:
	s_and_b64 vcc, exec, s[0:1]
	s_cbranch_vccnz .LBB198_1994
; %bb.1701:
	s_andn2_b64 vcc, exec, s[4:5]
	s_cbranch_vccnz .LBB198_1703
.LBB198_1702:
	v_cmp_ne_u64_e32 vcc, 0, v[0:1]
	s_mov_b64 s[10:11], -1
	v_cndmask_b32_e64 v9, 0, 1, vcc
	global_store_byte v[2:3], v9, off
.LBB198_1703:
	s_mov_b64 s[0:1], 0
	s_branch .LBB198_1705
.LBB198_1704:
	s_mov_b64 s[0:1], -1
	s_mov_b64 s[10:11], 0
.LBB198_1705:
	s_and_b64 vcc, exec, s[0:1]
	s_cbranch_vccz .LBB198_1744
; %bb.1706:
	s_and_b32 s4, 0xffff, s22
	s_cmp_lt_i32 s4, 5
	s_mov_b64 s[0:1], -1
	s_cbranch_scc1 .LBB198_1727
; %bb.1707:
	s_cmp_lt_i32 s4, 8
	s_cbranch_scc1 .LBB198_1717
; %bb.1708:
	s_cmp_lt_i32 s4, 9
	s_cbranch_scc1 .LBB198_1714
; %bb.1709:
	s_cmp_gt_i32 s4, 9
	s_cbranch_scc0 .LBB198_1711
; %bb.1710:
	v_cvt_f64_i32_e32 v[9:10], v1
	v_cvt_f64_u32_e32 v[11:12], v0
	s_mov_b64 s[0:1], 0
	v_ldexp_f64 v[9:10], v[9:10], 32
	v_add_f64 v[9:10], v[9:10], v[11:12]
	v_mov_b32_e32 v11, 0
	v_mov_b32_e32 v12, v11
	global_store_dwordx4 v[2:3], v[9:12], off
.LBB198_1711:
	s_andn2_b64 vcc, exec, s[0:1]
	s_cbranch_vccnz .LBB198_1713
; %bb.1712:
	v_xor_b32_e32 v10, v0, v1
	v_ffbh_i32_e32 v9, v1
	v_ashrrev_i32_e32 v10, 31, v10
	v_add_u32_e32 v9, -1, v9
	v_add_u32_e32 v10, 32, v10
	v_min_u32_e32 v11, v9, v10
	v_lshlrev_b64 v[9:10], v11, v[0:1]
	v_min_u32_e32 v9, 1, v9
	v_or_b32_e32 v9, v10, v9
	v_cvt_f32_i32_e32 v9, v9
	v_sub_u32_e32 v10, 32, v11
	v_ldexp_f32 v9, v9, v10
	v_mov_b32_e32 v10, 0
	global_store_dwordx2 v[2:3], v[9:10], off
.LBB198_1713:
	s_mov_b64 s[0:1], 0
.LBB198_1714:
	s_andn2_b64 vcc, exec, s[0:1]
	s_cbranch_vccnz .LBB198_1716
; %bb.1715:
	v_xor_b32_e32 v10, v0, v1
	v_ffbh_i32_e32 v9, v1
	v_ashrrev_i32_e32 v10, 31, v10
	v_add_u32_e32 v9, -1, v9
	v_add_u32_e32 v10, 32, v10
	v_min_u32_e32 v11, v9, v10
	v_lshlrev_b64 v[9:10], v11, v[0:1]
	v_min_u32_e32 v9, 1, v9
	v_or_b32_e32 v9, v10, v9
	v_cvt_f32_i32_e32 v9, v9
	v_sub_u32_e32 v10, 32, v11
	v_ldexp_f32 v9, v9, v10
	v_cvt_f16_f32_e32 v9, v9
	global_store_dword v[2:3], v9, off
.LBB198_1716:
	s_mov_b64 s[0:1], 0
.LBB198_1717:
	s_andn2_b64 vcc, exec, s[0:1]
	s_cbranch_vccnz .LBB198_1726
; %bb.1718:
	s_cmp_lt_i32 s4, 6
	s_mov_b64 s[0:1], -1
	s_cbranch_scc1 .LBB198_1724
; %bb.1719:
	s_cmp_gt_i32 s4, 6
	s_cbranch_scc0 .LBB198_1721
; %bb.1720:
	v_cvt_f64_i32_e32 v[9:10], v1
	v_cvt_f64_u32_e32 v[11:12], v0
	s_mov_b64 s[0:1], 0
	v_ldexp_f64 v[9:10], v[9:10], 32
	v_add_f64 v[9:10], v[9:10], v[11:12]
	global_store_dwordx2 v[2:3], v[9:10], off
.LBB198_1721:
	s_andn2_b64 vcc, exec, s[0:1]
	s_cbranch_vccnz .LBB198_1723
; %bb.1722:
	v_xor_b32_e32 v10, v0, v1
	v_ffbh_i32_e32 v9, v1
	v_ashrrev_i32_e32 v10, 31, v10
	v_add_u32_e32 v9, -1, v9
	v_add_u32_e32 v10, 32, v10
	v_min_u32_e32 v11, v9, v10
	v_lshlrev_b64 v[9:10], v11, v[0:1]
	v_min_u32_e32 v9, 1, v9
	v_or_b32_e32 v9, v10, v9
	v_cvt_f32_i32_e32 v9, v9
	v_sub_u32_e32 v10, 32, v11
	v_ldexp_f32 v9, v9, v10
	global_store_dword v[2:3], v9, off
.LBB198_1723:
	s_mov_b64 s[0:1], 0
.LBB198_1724:
	s_andn2_b64 vcc, exec, s[0:1]
	s_cbranch_vccnz .LBB198_1726
; %bb.1725:
	v_xor_b32_e32 v10, v0, v1
	v_ffbh_i32_e32 v9, v1
	v_ashrrev_i32_e32 v10, 31, v10
	v_add_u32_e32 v9, -1, v9
	v_add_u32_e32 v10, 32, v10
	v_min_u32_e32 v11, v9, v10
	v_lshlrev_b64 v[9:10], v11, v[0:1]
	v_min_u32_e32 v9, 1, v9
	v_or_b32_e32 v9, v10, v9
	v_cvt_f32_i32_e32 v9, v9
	v_sub_u32_e32 v10, 32, v11
	v_ldexp_f32 v9, v9, v10
	v_cvt_f16_f32_e32 v9, v9
	global_store_short v[2:3], v9, off
.LBB198_1726:
	s_mov_b64 s[0:1], 0
.LBB198_1727:
	s_andn2_b64 vcc, exec, s[0:1]
	s_cbranch_vccnz .LBB198_1743
; %bb.1728:
	s_cmp_lt_i32 s4, 2
	s_mov_b64 s[0:1], -1
	s_cbranch_scc1 .LBB198_1738
; %bb.1729:
	s_cmp_lt_i32 s4, 3
	s_cbranch_scc1 .LBB198_1735
; %bb.1730:
	s_cmp_gt_i32 s4, 3
	s_cbranch_scc0 .LBB198_1732
; %bb.1731:
	global_store_dwordx2 v[2:3], v[0:1], off
	s_mov_b64 s[0:1], 0
.LBB198_1732:
	s_andn2_b64 vcc, exec, s[0:1]
	s_cbranch_vccnz .LBB198_1734
; %bb.1733:
	global_store_dword v[2:3], v0, off
.LBB198_1734:
	s_mov_b64 s[0:1], 0
.LBB198_1735:
	s_andn2_b64 vcc, exec, s[0:1]
	s_cbranch_vccnz .LBB198_1737
; %bb.1736:
	global_store_short v[2:3], v0, off
.LBB198_1737:
	s_mov_b64 s[0:1], 0
.LBB198_1738:
	s_andn2_b64 vcc, exec, s[0:1]
	s_cbranch_vccnz .LBB198_1743
; %bb.1739:
	s_cmp_gt_i32 s4, 0
	s_mov_b64 s[0:1], -1
	s_cbranch_scc0 .LBB198_1741
; %bb.1740:
	global_store_byte v[2:3], v0, off
	s_mov_b64 s[0:1], 0
.LBB198_1741:
	s_andn2_b64 vcc, exec, s[0:1]
	s_cbranch_vccnz .LBB198_1743
; %bb.1742:
	global_store_byte v[2:3], v0, off
.LBB198_1743:
	s_mov_b64 s[10:11], -1
.LBB198_1744:
	s_andn2_b64 vcc, exec, s[10:11]
	s_cbranch_vccnz .LBB198_1940
; %bb.1745:
	v_cmp_gt_u64_e32 vcc, 63, v[4:5]
	v_mov_b32_e32 v5, s9
	v_cndmask_b32_e32 v0, 63, v4, vcc
	v_add_u32_e32 v4, s20, v8
	v_ashrrev_i64 v[0:1], v0, s[2:3]
	v_ashrrev_i32_e32 v3, 31, v4
	v_add_co_u32_e32 v2, vcc, s8, v4
	s_cmp_lt_i32 s22, 11
	v_addc_co_u32_e32 v3, vcc, v5, v3, vcc
	s_cbranch_scc1 .LBB198_1823
; %bb.1746:
	s_and_b32 s21, 0xffff, s22
	s_mov_b64 s[12:13], -1
	s_mov_b64 s[4:5], 0
	s_cmp_gt_i32 s21, 25
	s_mov_b64 s[10:11], 0
	s_mov_b64 s[0:1], 0
	s_cbranch_scc0 .LBB198_1779
; %bb.1747:
	s_cmp_gt_i32 s21, 28
	s_cbranch_scc0 .LBB198_1762
; %bb.1748:
	s_cmp_gt_i32 s21, 43
	s_cbranch_scc0 .LBB198_1758
; %bb.1749:
	s_cmp_gt_i32 s21, 45
	s_cbranch_scc0 .LBB198_1752
; %bb.1750:
	s_mov_b64 s[0:1], -1
	s_mov_b64 s[12:13], 0
	s_cmp_eq_u32 s21, 46
	s_cbranch_scc0 .LBB198_1752
; %bb.1751:
	v_xor_b32_e32 v8, v0, v1
	v_ffbh_i32_e32 v5, v1
	v_ashrrev_i32_e32 v8, 31, v8
	v_add_u32_e32 v5, -1, v5
	v_add_u32_e32 v8, 32, v8
	v_min_u32_e32 v5, v5, v8
	v_lshlrev_b64 v[8:9], v5, v[0:1]
	v_sub_u32_e32 v5, 32, v5
	v_min_u32_e32 v8, 1, v8
	v_or_b32_e32 v8, v9, v8
	v_cvt_f32_i32_e32 v8, v8
	s_movk_i32 s0, 0x7fff
	s_mov_b64 s[10:11], -1
	v_ldexp_f32 v5, v8, v5
	v_bfe_u32 v8, v5, 16, 1
	v_add3_u32 v5, v5, v8, s0
	v_lshrrev_b32_e32 v5, 16, v5
	global_store_dword v[2:3], v5, off
	s_mov_b64 s[0:1], 0
.LBB198_1752:
	s_and_b64 vcc, exec, s[12:13]
	s_cbranch_vccz .LBB198_1757
; %bb.1753:
	s_cmp_eq_u32 s21, 44
	s_mov_b64 s[0:1], -1
	s_cbranch_scc0 .LBB198_1757
; %bb.1754:
	v_xor_b32_e32 v8, v0, v1
	v_ffbh_i32_e32 v5, v1
	v_ashrrev_i32_e32 v8, 31, v8
	v_add_u32_e32 v5, -1, v5
	v_add_u32_e32 v8, 32, v8
	v_min_u32_e32 v5, v5, v8
	v_lshlrev_b64 v[8:9], v5, v[0:1]
	v_sub_u32_e32 v5, 32, v5
	v_min_u32_e32 v8, 1, v8
	v_or_b32_e32 v8, v9, v8
	v_cvt_f32_i32_e32 v8, v8
	s_movk_i32 s0, 0xff
	v_mov_b32_e32 v9, 0xff
	v_ldexp_f32 v5, v8, v5
	v_bfe_u32 v8, v5, 23, 8
	v_cmp_ne_u32_e32 vcc, s0, v8
	s_and_saveexec_b64 s[10:11], vcc
; %bb.1755:
	s_mov_b32 s0, 0x3fffff
	v_lshrrev_b32_e32 v9, 23, v5
	v_and_b32_e32 v10, 0x400000, v5
	v_and_or_b32 v5, v5, s0, v8
	v_cmp_ne_u32_e32 vcc, 0, v10
	v_cmp_ne_u32_e64 s[0:1], 0, v5
	s_and_b64 s[0:1], vcc, s[0:1]
	v_cndmask_b32_e64 v5, 0, 1, s[0:1]
	v_add_u32_e32 v9, v9, v5
; %bb.1756:
	s_or_b64 exec, exec, s[10:11]
	s_mov_b64 s[0:1], 0
	s_mov_b64 s[10:11], -1
	global_store_byte v[2:3], v9, off
.LBB198_1757:
	s_mov_b64 s[12:13], 0
.LBB198_1758:
	s_and_b64 vcc, exec, s[12:13]
	s_cbranch_vccz .LBB198_1761
; %bb.1759:
	s_cmp_eq_u32 s21, 29
	s_mov_b64 s[0:1], -1
	s_cbranch_scc0 .LBB198_1761
; %bb.1760:
	global_store_dwordx2 v[2:3], v[0:1], off
	s_mov_b64 s[0:1], 0
	s_mov_b64 s[10:11], -1
.LBB198_1761:
	s_mov_b64 s[12:13], 0
.LBB198_1762:
	s_and_b64 vcc, exec, s[12:13]
	s_cbranch_vccz .LBB198_1778
; %bb.1763:
	s_cmp_lt_i32 s21, 27
	s_mov_b64 s[10:11], -1
	s_cbranch_scc1 .LBB198_1769
; %bb.1764:
	s_cmp_gt_i32 s21, 27
	s_cbranch_scc0 .LBB198_1766
; %bb.1765:
	s_mov_b64 s[10:11], 0
	global_store_dword v[2:3], v0, off
.LBB198_1766:
	s_andn2_b64 vcc, exec, s[10:11]
	s_cbranch_vccnz .LBB198_1768
; %bb.1767:
	global_store_short v[2:3], v0, off
.LBB198_1768:
	s_mov_b64 s[10:11], 0
.LBB198_1769:
	s_andn2_b64 vcc, exec, s[10:11]
	s_cbranch_vccnz .LBB198_1777
; %bb.1770:
	v_xor_b32_e32 v8, v0, v1
	v_ffbh_i32_e32 v5, v1
	v_ashrrev_i32_e32 v8, 31, v8
	v_add_u32_e32 v5, -1, v5
	v_add_u32_e32 v8, 32, v8
	v_min_u32_e32 v5, v5, v8
	v_lshlrev_b64 v[8:9], v5, v[0:1]
	v_sub_u32_e32 v5, 32, v5
	v_min_u32_e32 v8, 1, v8
	v_or_b32_e32 v8, v9, v8
	v_cvt_f32_i32_e32 v8, v8
	s_mov_b32 s10, 0x43800000
	v_mov_b32_e32 v9, 0x80
	v_ldexp_f32 v5, v8, v5
	v_and_b32_e32 v8, 0x7fffffff, v5
	v_cmp_gt_u32_e32 vcc, s10, v8
	s_and_saveexec_b64 s[10:11], vcc
	s_cbranch_execz .LBB198_1776
; %bb.1771:
	s_mov_b32 s12, 0x3bffffff
	v_cmp_lt_u32_e32 vcc, s12, v8
	s_mov_b64 s[12:13], 0
                                        ; implicit-def: $vgpr8
	s_and_saveexec_b64 s[18:19], vcc
	s_xor_b64 s[18:19], exec, s[18:19]
	s_cbranch_execz .LBB198_1997
; %bb.1772:
	v_bfe_u32 v8, v5, 20, 1
	s_mov_b32 s23, 0x487ffff
	v_add3_u32 v8, v5, v8, s23
	s_mov_b64 s[12:13], exec
	v_lshrrev_b32_e32 v8, 20, v8
	s_andn2_saveexec_b64 s[18:19], s[18:19]
	s_cbranch_execnz .LBB198_1998
.LBB198_1773:
	s_or_b64 exec, exec, s[18:19]
	v_mov_b32_e32 v9, 0
	s_and_saveexec_b64 s[18:19], s[12:13]
.LBB198_1774:
	v_lshrrev_b32_e32 v5, 24, v5
	s_movk_i32 s12, 0x80
	v_and_or_b32 v9, v5, s12, v8
.LBB198_1775:
	s_or_b64 exec, exec, s[18:19]
.LBB198_1776:
	s_or_b64 exec, exec, s[10:11]
	global_store_byte v[2:3], v9, off
.LBB198_1777:
	s_mov_b64 s[10:11], -1
.LBB198_1778:
	s_mov_b64 s[12:13], 0
.LBB198_1779:
	s_and_b64 vcc, exec, s[12:13]
	s_cbranch_vccz .LBB198_1819
; %bb.1780:
	s_cmp_gt_i32 s21, 22
	s_mov_b64 s[4:5], -1
	s_cbranch_scc0 .LBB198_1812
; %bb.1781:
	s_cmp_lt_i32 s21, 24
	s_cbranch_scc1 .LBB198_1801
; %bb.1782:
	s_cmp_gt_i32 s21, 24
	s_cbranch_scc0 .LBB198_1790
; %bb.1783:
	v_xor_b32_e32 v8, v0, v1
	v_ffbh_i32_e32 v5, v1
	v_ashrrev_i32_e32 v8, 31, v8
	v_add_u32_e32 v5, -1, v5
	v_add_u32_e32 v8, 32, v8
	v_min_u32_e32 v5, v5, v8
	v_lshlrev_b64 v[8:9], v5, v[0:1]
	v_sub_u32_e32 v5, 32, v5
	v_min_u32_e32 v8, 1, v8
	v_or_b32_e32 v8, v9, v8
	v_cvt_f32_i32_e32 v8, v8
	s_mov_b32 s4, 0x47800000
	v_mov_b32_e32 v9, 0x80
	v_ldexp_f32 v5, v8, v5
	v_and_b32_e32 v8, 0x7fffffff, v5
	v_cmp_gt_u32_e32 vcc, s4, v8
	s_and_saveexec_b64 s[4:5], vcc
	s_cbranch_execz .LBB198_1789
; %bb.1784:
	s_mov_b32 s10, 0x37ffffff
	v_cmp_lt_u32_e32 vcc, s10, v8
	s_mov_b64 s[10:11], 0
                                        ; implicit-def: $vgpr8
	s_and_saveexec_b64 s[12:13], vcc
	s_xor_b64 s[12:13], exec, s[12:13]
	s_cbranch_execz .LBB198_2000
; %bb.1785:
	v_bfe_u32 v8, v5, 21, 1
	s_mov_b32 s18, 0x88fffff
	v_add3_u32 v8, v5, v8, s18
	s_mov_b64 s[10:11], exec
	v_lshrrev_b32_e32 v8, 21, v8
	s_andn2_saveexec_b64 s[12:13], s[12:13]
	s_cbranch_execnz .LBB198_2001
.LBB198_1786:
	s_or_b64 exec, exec, s[12:13]
	v_mov_b32_e32 v9, 0
	s_and_saveexec_b64 s[12:13], s[10:11]
.LBB198_1787:
	v_lshrrev_b32_e32 v5, 24, v5
	s_movk_i32 s10, 0x80
	v_and_or_b32 v9, v5, s10, v8
.LBB198_1788:
	s_or_b64 exec, exec, s[12:13]
.LBB198_1789:
	s_or_b64 exec, exec, s[4:5]
	s_mov_b64 s[4:5], 0
	global_store_byte v[2:3], v9, off
.LBB198_1790:
	s_and_b64 vcc, exec, s[4:5]
	s_cbranch_vccz .LBB198_1800
; %bb.1791:
	v_xor_b32_e32 v8, v0, v1
	v_ffbh_i32_e32 v5, v1
	v_ashrrev_i32_e32 v8, 31, v8
	v_add_u32_e32 v5, -1, v5
	v_add_u32_e32 v8, 32, v8
	v_min_u32_e32 v5, v5, v8
	v_lshlrev_b64 v[8:9], v5, v[0:1]
	v_sub_u32_e32 v5, 32, v5
	v_min_u32_e32 v8, 1, v8
	v_or_b32_e32 v8, v9, v8
	v_cvt_f32_i32_e32 v8, v8
	s_mov_b32 s4, 0x43f00000
	v_ldexp_f32 v5, v8, v5
	v_and_b32_e32 v9, 0x7fffffff, v5
	v_cmp_gt_u32_e32 vcc, s4, v9
                                        ; implicit-def: $vgpr8
	s_and_saveexec_b64 s[4:5], vcc
	s_xor_b64 s[4:5], exec, s[4:5]
	s_cbranch_execz .LBB198_1797
; %bb.1792:
	s_mov_b32 s10, 0x3c7fffff
	v_cmp_lt_u32_e32 vcc, s10, v9
                                        ; implicit-def: $vgpr8
	s_and_saveexec_b64 s[10:11], vcc
	s_xor_b64 s[10:11], exec, s[10:11]
; %bb.1793:
	v_bfe_u32 v8, v5, 20, 1
	s_mov_b32 s12, 0x407ffff
	v_add3_u32 v8, v5, v8, s12
	v_lshrrev_b32_e32 v9, 20, v8
	v_and_b32_e32 v8, 0xff00000, v8
	s_mov_b32 s12, 0x7f00000
	v_mov_b32_e32 v10, 0x7e
	v_cmp_ne_u32_e32 vcc, s12, v8
	v_cndmask_b32_e32 v8, v10, v9, vcc
; %bb.1794:
	s_andn2_saveexec_b64 s[10:11], s[10:11]
; %bb.1795:
	s_mov_b32 s12, 0x46800000
	v_add_f32_e64 v8, |v5|, s12
; %bb.1796:
	s_or_b64 exec, exec, s[10:11]
                                        ; implicit-def: $vgpr9
.LBB198_1797:
	s_andn2_saveexec_b64 s[4:5], s[4:5]
; %bb.1798:
	s_mov_b32 s10, 0x7f800000
	v_mov_b32_e32 v8, 0x7e
	v_mov_b32_e32 v10, 0x7f
	v_cmp_lt_u32_e32 vcc, s10, v9
	v_cndmask_b32_e32 v8, v8, v10, vcc
; %bb.1799:
	s_or_b64 exec, exec, s[4:5]
	v_lshrrev_b32_e32 v5, 24, v5
	s_movk_i32 s4, 0x80
	v_and_or_b32 v5, v5, s4, v8
	global_store_byte v[2:3], v5, off
.LBB198_1800:
	s_mov_b64 s[4:5], 0
.LBB198_1801:
	s_andn2_b64 vcc, exec, s[4:5]
	s_cbranch_vccnz .LBB198_1811
; %bb.1802:
	v_xor_b32_e32 v8, v0, v1
	v_ffbh_i32_e32 v5, v1
	v_ashrrev_i32_e32 v8, 31, v8
	v_add_u32_e32 v5, -1, v5
	v_add_u32_e32 v8, 32, v8
	v_min_u32_e32 v5, v5, v8
	v_lshlrev_b64 v[8:9], v5, v[0:1]
	v_sub_u32_e32 v5, 32, v5
	v_min_u32_e32 v8, 1, v8
	v_or_b32_e32 v8, v9, v8
	v_cvt_f32_i32_e32 v8, v8
	s_mov_b32 s4, 0x47800000
	v_ldexp_f32 v5, v8, v5
	v_and_b32_e32 v9, 0x7fffffff, v5
	v_cmp_gt_u32_e32 vcc, s4, v9
                                        ; implicit-def: $vgpr8
	s_and_saveexec_b64 s[4:5], vcc
	s_xor_b64 s[4:5], exec, s[4:5]
	s_cbranch_execz .LBB198_1808
; %bb.1803:
	s_mov_b32 s10, 0x387fffff
	v_cmp_lt_u32_e32 vcc, s10, v9
                                        ; implicit-def: $vgpr8
	s_and_saveexec_b64 s[10:11], vcc
	s_xor_b64 s[10:11], exec, s[10:11]
; %bb.1804:
	v_bfe_u32 v8, v5, 21, 1
	s_mov_b32 s12, 0x80fffff
	v_add3_u32 v8, v5, v8, s12
	v_lshrrev_b32_e32 v8, 21, v8
; %bb.1805:
	s_andn2_saveexec_b64 s[10:11], s[10:11]
; %bb.1806:
	s_mov_b32 s12, 0x43000000
	v_add_f32_e64 v8, |v5|, s12
; %bb.1807:
	s_or_b64 exec, exec, s[10:11]
                                        ; implicit-def: $vgpr9
.LBB198_1808:
	s_andn2_saveexec_b64 s[4:5], s[4:5]
; %bb.1809:
	s_mov_b32 s10, 0x7f800000
	v_mov_b32_e32 v8, 0x7c
	v_mov_b32_e32 v10, 0x7f
	v_cmp_lt_u32_e32 vcc, s10, v9
	v_cndmask_b32_e32 v8, v8, v10, vcc
; %bb.1810:
	s_or_b64 exec, exec, s[4:5]
	v_lshrrev_b32_e32 v5, 24, v5
	s_movk_i32 s4, 0x80
	v_and_or_b32 v5, v5, s4, v8
	global_store_byte v[2:3], v5, off
.LBB198_1811:
	s_mov_b64 s[4:5], 0
	s_mov_b64 s[10:11], -1
.LBB198_1812:
	s_andn2_b64 vcc, exec, s[4:5]
	s_mov_b64 s[4:5], 0
	s_cbranch_vccnz .LBB198_1819
; %bb.1813:
	s_cmp_gt_i32 s21, 14
	s_mov_b64 s[12:13], -1
	s_cbranch_scc0 .LBB198_1817
; %bb.1814:
	s_cmp_eq_u32 s21, 15
	s_mov_b64 s[0:1], -1
	s_cbranch_scc0 .LBB198_1816
; %bb.1815:
	v_xor_b32_e32 v8, v0, v1
	v_ffbh_i32_e32 v5, v1
	v_ashrrev_i32_e32 v8, 31, v8
	v_add_u32_e32 v5, -1, v5
	v_add_u32_e32 v8, 32, v8
	v_min_u32_e32 v5, v5, v8
	v_lshlrev_b64 v[8:9], v5, v[0:1]
	v_sub_u32_e32 v5, 32, v5
	v_min_u32_e32 v8, 1, v8
	v_or_b32_e32 v8, v9, v8
	v_cvt_f32_i32_e32 v8, v8
	s_movk_i32 s0, 0x7fff
	s_mov_b64 s[10:11], -1
	v_ldexp_f32 v5, v8, v5
	v_bfe_u32 v8, v5, 16, 1
	v_add3_u32 v5, v5, v8, s0
	global_store_short_d16_hi v[2:3], v5, off
	s_mov_b64 s[0:1], 0
.LBB198_1816:
	s_mov_b64 s[12:13], 0
.LBB198_1817:
	s_and_b64 vcc, exec, s[12:13]
	s_cbranch_vccz .LBB198_1819
; %bb.1818:
	s_cmp_lg_u32 s21, 11
	s_mov_b64 s[4:5], -1
	s_cselect_b64 s[0:1], -1, 0
.LBB198_1819:
	s_and_b64 vcc, exec, s[0:1]
	s_cbranch_vccnz .LBB198_1999
; %bb.1820:
	s_andn2_b64 vcc, exec, s[4:5]
	s_cbranch_vccnz .LBB198_1822
.LBB198_1821:
	v_cmp_ne_u64_e32 vcc, 0, v[0:1]
	s_mov_b64 s[10:11], -1
	v_cndmask_b32_e64 v5, 0, 1, vcc
	global_store_byte v[2:3], v5, off
.LBB198_1822:
	s_mov_b64 s[0:1], 0
	s_branch .LBB198_1824
.LBB198_1823:
	s_mov_b64 s[0:1], -1
	s_mov_b64 s[10:11], 0
.LBB198_1824:
	s_and_b64 vcc, exec, s[0:1]
	s_cbranch_vccz .LBB198_1863
; %bb.1825:
	s_and_b32 s4, 0xffff, s22
	s_cmp_lt_i32 s4, 5
	s_mov_b64 s[0:1], -1
	s_cbranch_scc1 .LBB198_1846
; %bb.1826:
	s_cmp_lt_i32 s4, 8
	s_cbranch_scc1 .LBB198_1836
; %bb.1827:
	s_cmp_lt_i32 s4, 9
	s_cbranch_scc1 .LBB198_1833
; %bb.1828:
	s_cmp_gt_i32 s4, 9
	s_cbranch_scc0 .LBB198_1830
; %bb.1829:
	v_cvt_f64_i32_e32 v[8:9], v1
	v_cvt_f64_u32_e32 v[10:11], v0
	s_mov_b64 s[0:1], 0
	v_ldexp_f64 v[8:9], v[8:9], 32
	v_add_f64 v[8:9], v[8:9], v[10:11]
	v_mov_b32_e32 v10, 0
	v_mov_b32_e32 v11, v10
	global_store_dwordx4 v[2:3], v[8:11], off
.LBB198_1830:
	s_andn2_b64 vcc, exec, s[0:1]
	s_cbranch_vccnz .LBB198_1832
; %bb.1831:
	v_xor_b32_e32 v8, v0, v1
	v_ffbh_i32_e32 v5, v1
	v_ashrrev_i32_e32 v8, 31, v8
	v_add_u32_e32 v5, -1, v5
	v_add_u32_e32 v8, 32, v8
	v_min_u32_e32 v5, v5, v8
	v_lshlrev_b64 v[8:9], v5, v[0:1]
	v_sub_u32_e32 v5, 32, v5
	v_min_u32_e32 v8, 1, v8
	v_or_b32_e32 v8, v9, v8
	v_cvt_f32_i32_e32 v8, v8
	v_mov_b32_e32 v9, 0
	v_ldexp_f32 v8, v8, v5
	global_store_dwordx2 v[2:3], v[8:9], off
.LBB198_1832:
	s_mov_b64 s[0:1], 0
.LBB198_1833:
	s_andn2_b64 vcc, exec, s[0:1]
	s_cbranch_vccnz .LBB198_1835
; %bb.1834:
	v_xor_b32_e32 v8, v0, v1
	v_ffbh_i32_e32 v5, v1
	v_ashrrev_i32_e32 v8, 31, v8
	v_add_u32_e32 v5, -1, v5
	v_add_u32_e32 v8, 32, v8
	v_min_u32_e32 v5, v5, v8
	v_lshlrev_b64 v[8:9], v5, v[0:1]
	v_sub_u32_e32 v5, 32, v5
	v_min_u32_e32 v8, 1, v8
	v_or_b32_e32 v8, v9, v8
	v_cvt_f32_i32_e32 v8, v8
	v_ldexp_f32 v5, v8, v5
	v_cvt_f16_f32_e32 v5, v5
	global_store_dword v[2:3], v5, off
.LBB198_1835:
	s_mov_b64 s[0:1], 0
.LBB198_1836:
	s_andn2_b64 vcc, exec, s[0:1]
	s_cbranch_vccnz .LBB198_1845
; %bb.1837:
	s_cmp_lt_i32 s4, 6
	s_mov_b64 s[0:1], -1
	s_cbranch_scc1 .LBB198_1843
; %bb.1838:
	s_cmp_gt_i32 s4, 6
	s_cbranch_scc0 .LBB198_1840
; %bb.1839:
	v_cvt_f64_i32_e32 v[8:9], v1
	v_cvt_f64_u32_e32 v[10:11], v0
	s_mov_b64 s[0:1], 0
	v_ldexp_f64 v[8:9], v[8:9], 32
	v_add_f64 v[8:9], v[8:9], v[10:11]
	global_store_dwordx2 v[2:3], v[8:9], off
.LBB198_1840:
	s_andn2_b64 vcc, exec, s[0:1]
	s_cbranch_vccnz .LBB198_1842
; %bb.1841:
	v_xor_b32_e32 v8, v0, v1
	v_ffbh_i32_e32 v5, v1
	v_ashrrev_i32_e32 v8, 31, v8
	v_add_u32_e32 v5, -1, v5
	v_add_u32_e32 v8, 32, v8
	v_min_u32_e32 v5, v5, v8
	v_lshlrev_b64 v[8:9], v5, v[0:1]
	v_sub_u32_e32 v5, 32, v5
	v_min_u32_e32 v8, 1, v8
	v_or_b32_e32 v8, v9, v8
	v_cvt_f32_i32_e32 v8, v8
	v_ldexp_f32 v5, v8, v5
	global_store_dword v[2:3], v5, off
.LBB198_1842:
	s_mov_b64 s[0:1], 0
.LBB198_1843:
	s_andn2_b64 vcc, exec, s[0:1]
	s_cbranch_vccnz .LBB198_1845
; %bb.1844:
	v_xor_b32_e32 v8, v0, v1
	v_ffbh_i32_e32 v5, v1
	v_ashrrev_i32_e32 v8, 31, v8
	v_add_u32_e32 v5, -1, v5
	v_add_u32_e32 v8, 32, v8
	v_min_u32_e32 v5, v5, v8
	v_lshlrev_b64 v[8:9], v5, v[0:1]
	v_sub_u32_e32 v5, 32, v5
	v_min_u32_e32 v8, 1, v8
	v_or_b32_e32 v8, v9, v8
	v_cvt_f32_i32_e32 v8, v8
	v_ldexp_f32 v5, v8, v5
	v_cvt_f16_f32_e32 v5, v5
	global_store_short v[2:3], v5, off
.LBB198_1845:
	s_mov_b64 s[0:1], 0
.LBB198_1846:
	s_andn2_b64 vcc, exec, s[0:1]
	s_cbranch_vccnz .LBB198_1862
; %bb.1847:
	s_cmp_lt_i32 s4, 2
	s_mov_b64 s[0:1], -1
	s_cbranch_scc1 .LBB198_1857
; %bb.1848:
	s_cmp_lt_i32 s4, 3
	s_cbranch_scc1 .LBB198_1854
; %bb.1849:
	s_cmp_gt_i32 s4, 3
	s_cbranch_scc0 .LBB198_1851
; %bb.1850:
	global_store_dwordx2 v[2:3], v[0:1], off
	s_mov_b64 s[0:1], 0
.LBB198_1851:
	s_andn2_b64 vcc, exec, s[0:1]
	s_cbranch_vccnz .LBB198_1853
; %bb.1852:
	global_store_dword v[2:3], v0, off
.LBB198_1853:
	s_mov_b64 s[0:1], 0
.LBB198_1854:
	s_andn2_b64 vcc, exec, s[0:1]
	s_cbranch_vccnz .LBB198_1856
; %bb.1855:
	global_store_short v[2:3], v0, off
.LBB198_1856:
	s_mov_b64 s[0:1], 0
.LBB198_1857:
	s_andn2_b64 vcc, exec, s[0:1]
	s_cbranch_vccnz .LBB198_1862
; %bb.1858:
	s_cmp_gt_i32 s4, 0
	s_mov_b64 s[0:1], -1
	s_cbranch_scc0 .LBB198_1860
; %bb.1859:
	global_store_byte v[2:3], v0, off
	s_mov_b64 s[0:1], 0
.LBB198_1860:
	s_andn2_b64 vcc, exec, s[0:1]
	s_cbranch_vccnz .LBB198_1862
; %bb.1861:
	global_store_byte v[2:3], v0, off
.LBB198_1862:
	s_mov_b64 s[10:11], -1
.LBB198_1863:
	s_andn2_b64 vcc, exec, s[10:11]
	s_cbranch_vccnz .LBB198_1940
; %bb.1864:
	v_cmp_gt_u64_e32 vcc, 63, v[6:7]
	v_add_u32_e32 v2, s20, v4
	v_cndmask_b32_e32 v0, 63, v6, vcc
	v_ashrrev_i64 v[0:1], v0, s[2:3]
	v_ashrrev_i32_e32 v3, 31, v2
	v_mov_b32_e32 v4, s9
	v_add_co_u32_e32 v2, vcc, s8, v2
	s_cmp_lt_i32 s22, 11
	v_addc_co_u32_e32 v3, vcc, v4, v3, vcc
	s_cbranch_scc1 .LBB198_1985
; %bb.1865:
	s_and_b32 s12, 0xffff, s22
	s_mov_b64 s[4:5], -1
	s_mov_b64 s[2:3], 0
	s_cmp_gt_i32 s12, 25
	s_mov_b64 s[0:1], 0
	s_cbranch_scc0 .LBB198_1898
; %bb.1866:
	s_cmp_gt_i32 s12, 28
	s_cbranch_scc0 .LBB198_1882
; %bb.1867:
	s_cmp_gt_i32 s12, 43
	;; [unrolled: 3-line block ×3, first 2 shown]
	s_cbranch_scc0 .LBB198_1872
; %bb.1869:
	s_cmp_eq_u32 s12, 46
	s_mov_b64 s[0:1], -1
	s_cbranch_scc0 .LBB198_1871
; %bb.1870:
	v_xor_b32_e32 v5, v0, v1
	v_ffbh_i32_e32 v4, v1
	v_ashrrev_i32_e32 v5, 31, v5
	v_add_u32_e32 v4, -1, v4
	v_add_u32_e32 v5, 32, v5
	v_min_u32_e32 v6, v4, v5
	v_lshlrev_b64 v[4:5], v6, v[0:1]
	s_movk_i32 s0, 0x7fff
	v_min_u32_e32 v4, 1, v4
	v_or_b32_e32 v4, v5, v4
	v_cvt_f32_i32_e32 v4, v4
	v_sub_u32_e32 v5, 32, v6
	v_ldexp_f32 v4, v4, v5
	v_bfe_u32 v5, v4, 16, 1
	v_add3_u32 v4, v4, v5, s0
	v_lshrrev_b32_e32 v4, 16, v4
	global_store_dword v[2:3], v4, off
	s_mov_b64 s[0:1], 0
.LBB198_1871:
	s_mov_b64 s[4:5], 0
.LBB198_1872:
	s_and_b64 vcc, exec, s[4:5]
	s_cbranch_vccz .LBB198_1877
; %bb.1873:
	s_cmp_eq_u32 s12, 44
	s_mov_b64 s[0:1], -1
	s_cbranch_scc0 .LBB198_1877
; %bb.1874:
	v_xor_b32_e32 v5, v0, v1
	v_ffbh_i32_e32 v4, v1
	v_ashrrev_i32_e32 v5, 31, v5
	v_add_u32_e32 v4, -1, v4
	v_add_u32_e32 v5, 32, v5
	v_min_u32_e32 v6, v4, v5
	v_lshlrev_b64 v[4:5], v6, v[0:1]
	s_movk_i32 s0, 0xff
	v_min_u32_e32 v4, 1, v4
	v_or_b32_e32 v4, v5, v4
	v_cvt_f32_i32_e32 v4, v4
	v_sub_u32_e32 v5, 32, v6
	v_mov_b32_e32 v6, 0xff
	v_ldexp_f32 v4, v4, v5
	v_bfe_u32 v5, v4, 23, 8
	v_cmp_ne_u32_e32 vcc, s0, v5
	s_and_saveexec_b64 s[4:5], vcc
; %bb.1875:
	s_mov_b32 s0, 0x3fffff
	v_lshrrev_b32_e32 v6, 23, v4
	v_and_b32_e32 v7, 0x400000, v4
	v_and_or_b32 v4, v4, s0, v5
	v_cmp_ne_u32_e32 vcc, 0, v7
	v_cmp_ne_u32_e64 s[0:1], 0, v4
	s_and_b64 s[0:1], vcc, s[0:1]
	v_cndmask_b32_e64 v4, 0, 1, s[0:1]
	v_add_u32_e32 v6, v6, v4
; %bb.1876:
	s_or_b64 exec, exec, s[4:5]
	s_mov_b64 s[0:1], 0
	global_store_byte v[2:3], v6, off
.LBB198_1877:
	s_mov_b64 s[4:5], 0
.LBB198_1878:
	s_and_b64 vcc, exec, s[4:5]
	s_cbranch_vccz .LBB198_1881
; %bb.1879:
	s_cmp_eq_u32 s12, 29
	s_mov_b64 s[0:1], -1
	s_cbranch_scc0 .LBB198_1881
; %bb.1880:
	global_store_dwordx2 v[2:3], v[0:1], off
	s_mov_b64 s[0:1], 0
.LBB198_1881:
	s_mov_b64 s[4:5], 0
.LBB198_1882:
	s_and_b64 vcc, exec, s[4:5]
	s_cbranch_vccz .LBB198_1897
; %bb.1883:
	s_cmp_lt_i32 s12, 27
	s_mov_b64 s[4:5], -1
	s_cbranch_scc1 .LBB198_1889
; %bb.1884:
	s_cmp_gt_i32 s12, 27
	s_cbranch_scc0 .LBB198_1886
; %bb.1885:
	global_store_dword v[2:3], v0, off
	s_mov_b64 s[4:5], 0
.LBB198_1886:
	s_andn2_b64 vcc, exec, s[4:5]
	s_cbranch_vccnz .LBB198_1888
; %bb.1887:
	global_store_short v[2:3], v0, off
.LBB198_1888:
	s_mov_b64 s[4:5], 0
.LBB198_1889:
	s_andn2_b64 vcc, exec, s[4:5]
	s_cbranch_vccnz .LBB198_1897
; %bb.1890:
	v_xor_b32_e32 v5, v0, v1
	v_ffbh_i32_e32 v4, v1
	v_ashrrev_i32_e32 v5, 31, v5
	v_add_u32_e32 v4, -1, v4
	v_add_u32_e32 v5, 32, v5
	v_min_u32_e32 v6, v4, v5
	v_lshlrev_b64 v[4:5], v6, v[0:1]
	s_mov_b32 s4, 0x43800000
	v_min_u32_e32 v4, 1, v4
	v_or_b32_e32 v4, v5, v4
	v_cvt_f32_i32_e32 v4, v4
	v_sub_u32_e32 v5, 32, v6
	v_mov_b32_e32 v6, 0x80
	v_ldexp_f32 v4, v4, v5
	v_and_b32_e32 v5, 0x7fffffff, v4
	v_cmp_gt_u32_e32 vcc, s4, v5
	s_and_saveexec_b64 s[4:5], vcc
	s_cbranch_execz .LBB198_1896
; %bb.1891:
	s_mov_b32 s8, 0x3bffffff
	v_cmp_lt_u32_e32 vcc, s8, v5
	s_mov_b64 s[8:9], 0
                                        ; implicit-def: $vgpr5
	s_and_saveexec_b64 s[10:11], vcc
	s_xor_b64 s[10:11], exec, s[10:11]
	s_cbranch_execz .LBB198_2002
; %bb.1892:
	v_bfe_u32 v5, v4, 20, 1
	s_mov_b32 s13, 0x487ffff
	v_add3_u32 v5, v4, v5, s13
	s_mov_b64 s[8:9], exec
	v_lshrrev_b32_e32 v5, 20, v5
	s_andn2_saveexec_b64 s[10:11], s[10:11]
	s_cbranch_execnz .LBB198_2003
.LBB198_1893:
	s_or_b64 exec, exec, s[10:11]
	v_mov_b32_e32 v6, 0
	s_and_saveexec_b64 s[10:11], s[8:9]
.LBB198_1894:
	v_lshrrev_b32_e32 v4, 24, v4
	s_movk_i32 s8, 0x80
	v_and_or_b32 v6, v4, s8, v5
.LBB198_1895:
	s_or_b64 exec, exec, s[10:11]
.LBB198_1896:
	s_or_b64 exec, exec, s[4:5]
	global_store_byte v[2:3], v6, off
.LBB198_1897:
	s_mov_b64 s[4:5], 0
.LBB198_1898:
	s_and_b64 vcc, exec, s[4:5]
	s_cbranch_vccz .LBB198_1938
; %bb.1899:
	s_cmp_gt_i32 s12, 22
	s_mov_b64 s[2:3], -1
	s_cbranch_scc0 .LBB198_1931
; %bb.1900:
	s_cmp_lt_i32 s12, 24
	s_cbranch_scc1 .LBB198_1920
; %bb.1901:
	s_cmp_gt_i32 s12, 24
	s_cbranch_scc0 .LBB198_1909
; %bb.1902:
	v_xor_b32_e32 v5, v0, v1
	v_ffbh_i32_e32 v4, v1
	v_ashrrev_i32_e32 v5, 31, v5
	v_add_u32_e32 v4, -1, v4
	v_add_u32_e32 v5, 32, v5
	v_min_u32_e32 v6, v4, v5
	v_lshlrev_b64 v[4:5], v6, v[0:1]
	s_mov_b32 s2, 0x47800000
	v_min_u32_e32 v4, 1, v4
	v_or_b32_e32 v4, v5, v4
	v_cvt_f32_i32_e32 v4, v4
	v_sub_u32_e32 v5, 32, v6
	v_mov_b32_e32 v6, 0x80
	v_ldexp_f32 v4, v4, v5
	v_and_b32_e32 v5, 0x7fffffff, v4
	v_cmp_gt_u32_e32 vcc, s2, v5
	s_and_saveexec_b64 s[2:3], vcc
	s_cbranch_execz .LBB198_1908
; %bb.1903:
	s_mov_b32 s4, 0x37ffffff
	v_cmp_lt_u32_e32 vcc, s4, v5
	s_mov_b64 s[4:5], 0
                                        ; implicit-def: $vgpr5
	s_and_saveexec_b64 s[8:9], vcc
	s_xor_b64 s[8:9], exec, s[8:9]
	s_cbranch_execz .LBB198_2005
; %bb.1904:
	v_bfe_u32 v5, v4, 21, 1
	s_mov_b32 s10, 0x88fffff
	v_add3_u32 v5, v4, v5, s10
	s_mov_b64 s[4:5], exec
	v_lshrrev_b32_e32 v5, 21, v5
	s_andn2_saveexec_b64 s[8:9], s[8:9]
	s_cbranch_execnz .LBB198_2006
.LBB198_1905:
	s_or_b64 exec, exec, s[8:9]
	v_mov_b32_e32 v6, 0
	s_and_saveexec_b64 s[8:9], s[4:5]
.LBB198_1906:
	v_lshrrev_b32_e32 v4, 24, v4
	s_movk_i32 s4, 0x80
	v_and_or_b32 v6, v4, s4, v5
.LBB198_1907:
	s_or_b64 exec, exec, s[8:9]
.LBB198_1908:
	s_or_b64 exec, exec, s[2:3]
	s_mov_b64 s[2:3], 0
	global_store_byte v[2:3], v6, off
.LBB198_1909:
	s_and_b64 vcc, exec, s[2:3]
	s_cbranch_vccz .LBB198_1919
; %bb.1910:
	v_xor_b32_e32 v5, v0, v1
	v_ffbh_i32_e32 v4, v1
	v_ashrrev_i32_e32 v5, 31, v5
	v_add_u32_e32 v4, -1, v4
	v_add_u32_e32 v5, 32, v5
	v_min_u32_e32 v6, v4, v5
	v_lshlrev_b64 v[4:5], v6, v[0:1]
	s_mov_b32 s2, 0x43f00000
	v_min_u32_e32 v4, 1, v4
	v_or_b32_e32 v4, v5, v4
	v_cvt_f32_i32_e32 v4, v4
	v_sub_u32_e32 v5, 32, v6
	v_ldexp_f32 v4, v4, v5
	v_and_b32_e32 v6, 0x7fffffff, v4
	v_cmp_gt_u32_e32 vcc, s2, v6
                                        ; implicit-def: $vgpr5
	s_and_saveexec_b64 s[2:3], vcc
	s_xor_b64 s[2:3], exec, s[2:3]
	s_cbranch_execz .LBB198_1916
; %bb.1911:
	s_mov_b32 s4, 0x3c7fffff
	v_cmp_lt_u32_e32 vcc, s4, v6
                                        ; implicit-def: $vgpr5
	s_and_saveexec_b64 s[4:5], vcc
	s_xor_b64 s[4:5], exec, s[4:5]
; %bb.1912:
	v_bfe_u32 v5, v4, 20, 1
	s_mov_b32 s8, 0x407ffff
	v_add3_u32 v5, v4, v5, s8
	v_lshrrev_b32_e32 v6, 20, v5
	v_and_b32_e32 v5, 0xff00000, v5
	s_mov_b32 s8, 0x7f00000
	v_mov_b32_e32 v7, 0x7e
	v_cmp_ne_u32_e32 vcc, s8, v5
	v_cndmask_b32_e32 v5, v7, v6, vcc
; %bb.1913:
	s_andn2_saveexec_b64 s[4:5], s[4:5]
; %bb.1914:
	s_mov_b32 s8, 0x46800000
	v_add_f32_e64 v5, |v4|, s8
; %bb.1915:
	s_or_b64 exec, exec, s[4:5]
                                        ; implicit-def: $vgpr6
.LBB198_1916:
	s_andn2_saveexec_b64 s[2:3], s[2:3]
; %bb.1917:
	s_mov_b32 s4, 0x7f800000
	v_mov_b32_e32 v5, 0x7e
	v_mov_b32_e32 v7, 0x7f
	v_cmp_lt_u32_e32 vcc, s4, v6
	v_cndmask_b32_e32 v5, v5, v7, vcc
; %bb.1918:
	s_or_b64 exec, exec, s[2:3]
	v_lshrrev_b32_e32 v4, 24, v4
	s_movk_i32 s2, 0x80
	v_and_or_b32 v4, v4, s2, v5
	global_store_byte v[2:3], v4, off
.LBB198_1919:
	s_mov_b64 s[2:3], 0
.LBB198_1920:
	s_andn2_b64 vcc, exec, s[2:3]
	s_cbranch_vccnz .LBB198_1930
; %bb.1921:
	v_xor_b32_e32 v5, v0, v1
	v_ffbh_i32_e32 v4, v1
	v_ashrrev_i32_e32 v5, 31, v5
	v_add_u32_e32 v4, -1, v4
	v_add_u32_e32 v5, 32, v5
	v_min_u32_e32 v6, v4, v5
	v_lshlrev_b64 v[4:5], v6, v[0:1]
	s_mov_b32 s2, 0x47800000
	v_min_u32_e32 v4, 1, v4
	v_or_b32_e32 v4, v5, v4
	v_cvt_f32_i32_e32 v4, v4
	v_sub_u32_e32 v5, 32, v6
	v_ldexp_f32 v4, v4, v5
	v_and_b32_e32 v6, 0x7fffffff, v4
	v_cmp_gt_u32_e32 vcc, s2, v6
                                        ; implicit-def: $vgpr5
	s_and_saveexec_b64 s[2:3], vcc
	s_xor_b64 s[2:3], exec, s[2:3]
	s_cbranch_execz .LBB198_1927
; %bb.1922:
	s_mov_b32 s4, 0x387fffff
	v_cmp_lt_u32_e32 vcc, s4, v6
                                        ; implicit-def: $vgpr5
	s_and_saveexec_b64 s[4:5], vcc
	s_xor_b64 s[4:5], exec, s[4:5]
; %bb.1923:
	v_bfe_u32 v5, v4, 21, 1
	s_mov_b32 s8, 0x80fffff
	v_add3_u32 v5, v4, v5, s8
	v_lshrrev_b32_e32 v5, 21, v5
; %bb.1924:
	s_andn2_saveexec_b64 s[4:5], s[4:5]
; %bb.1925:
	s_mov_b32 s8, 0x43000000
	v_add_f32_e64 v5, |v4|, s8
; %bb.1926:
	s_or_b64 exec, exec, s[4:5]
                                        ; implicit-def: $vgpr6
.LBB198_1927:
	s_andn2_saveexec_b64 s[2:3], s[2:3]
; %bb.1928:
	s_mov_b32 s4, 0x7f800000
	v_mov_b32_e32 v5, 0x7c
	v_mov_b32_e32 v7, 0x7f
	v_cmp_lt_u32_e32 vcc, s4, v6
	v_cndmask_b32_e32 v5, v5, v7, vcc
; %bb.1929:
	s_or_b64 exec, exec, s[2:3]
	v_lshrrev_b32_e32 v4, 24, v4
	s_movk_i32 s2, 0x80
	v_and_or_b32 v4, v4, s2, v5
	global_store_byte v[2:3], v4, off
.LBB198_1930:
	s_mov_b64 s[2:3], 0
.LBB198_1931:
	s_andn2_b64 vcc, exec, s[2:3]
	s_mov_b64 s[2:3], 0
	s_cbranch_vccnz .LBB198_1938
; %bb.1932:
	s_cmp_gt_i32 s12, 14
	s_mov_b64 s[4:5], -1
	s_cbranch_scc0 .LBB198_1936
; %bb.1933:
	s_cmp_eq_u32 s12, 15
	s_mov_b64 s[0:1], -1
	s_cbranch_scc0 .LBB198_1935
; %bb.1934:
	v_xor_b32_e32 v5, v0, v1
	v_ffbh_i32_e32 v4, v1
	v_ashrrev_i32_e32 v5, 31, v5
	v_add_u32_e32 v4, -1, v4
	v_add_u32_e32 v5, 32, v5
	v_min_u32_e32 v6, v4, v5
	v_lshlrev_b64 v[4:5], v6, v[0:1]
	s_movk_i32 s0, 0x7fff
	v_min_u32_e32 v4, 1, v4
	v_or_b32_e32 v4, v5, v4
	v_cvt_f32_i32_e32 v4, v4
	v_sub_u32_e32 v5, 32, v6
	v_ldexp_f32 v4, v4, v5
	v_bfe_u32 v5, v4, 16, 1
	v_add3_u32 v4, v4, v5, s0
	global_store_short_d16_hi v[2:3], v4, off
	s_mov_b64 s[0:1], 0
.LBB198_1935:
	s_mov_b64 s[4:5], 0
.LBB198_1936:
	s_and_b64 vcc, exec, s[4:5]
	s_cbranch_vccz .LBB198_1938
; %bb.1937:
	s_cmp_lg_u32 s12, 11
	s_mov_b64 s[2:3], -1
	s_cselect_b64 s[0:1], -1, 0
.LBB198_1938:
	s_and_b64 vcc, exec, s[0:1]
	s_cbranch_vccnz .LBB198_2004
.LBB198_1939:
	s_mov_b64 s[0:1], 0
	s_branch .LBB198_1941
.LBB198_1940:
	s_mov_b64 s[0:1], 0
	s_mov_b64 s[2:3], 0
                                        ; implicit-def: $sgpr22
                                        ; implicit-def: $vgpr2_vgpr3
                                        ; implicit-def: $vgpr0_vgpr1
.LBB198_1941:
	s_and_b64 s[4:5], s[2:3], exec
	s_andn2_b64 s[2:3], s[14:15], exec
	s_and_b64 s[8:9], s[16:17], exec
	s_and_b64 s[0:1], s[0:1], exec
	s_or_b64 s[14:15], s[2:3], s[8:9]
.LBB198_1942:
	s_or_b64 exec, exec, s[6:7]
	s_and_saveexec_b64 s[2:3], s[14:15]
	s_cbranch_execz .LBB198_1945
; %bb.1943:
	; divergent unreachable
	s_or_b64 exec, exec, s[2:3]
	s_and_saveexec_b64 s[2:3], s[4:5]
	s_xor_b64 s[2:3], exec, s[2:3]
	s_cbranch_execnz .LBB198_1946
.LBB198_1944:
	s_or_b64 exec, exec, s[2:3]
	s_and_saveexec_b64 s[2:3], s[0:1]
	s_cbranch_execnz .LBB198_1947
	s_branch .LBB198_1984
.LBB198_1945:
	s_or_b64 exec, exec, s[2:3]
	s_and_saveexec_b64 s[2:3], s[4:5]
	s_xor_b64 s[2:3], exec, s[2:3]
	s_cbranch_execz .LBB198_1944
.LBB198_1946:
	s_waitcnt vmcnt(0)
	v_cmp_ne_u64_e32 vcc, 0, v[0:1]
	v_cndmask_b32_e64 v4, 0, 1, vcc
	global_store_byte v[2:3], v4, off
	s_or_b64 exec, exec, s[2:3]
	s_and_saveexec_b64 s[2:3], s[0:1]
	s_cbranch_execz .LBB198_1984
.LBB198_1947:
	s_sext_i32_i16 s2, s22
	s_cmp_lt_i32 s2, 5
	s_mov_b64 s[0:1], -1
	s_cbranch_scc1 .LBB198_1968
; %bb.1948:
	s_cmp_lt_i32 s2, 8
	s_cbranch_scc1 .LBB198_1958
; %bb.1949:
	s_cmp_lt_i32 s2, 9
	s_cbranch_scc1 .LBB198_1955
; %bb.1950:
	s_cmp_gt_i32 s2, 9
	s_cbranch_scc0 .LBB198_1952
; %bb.1951:
	s_waitcnt vmcnt(0)
	v_cvt_f64_i32_e32 v[4:5], v1
	v_cvt_f64_u32_e32 v[6:7], v0
	s_mov_b64 s[0:1], 0
	v_ldexp_f64 v[4:5], v[4:5], 32
	v_add_f64 v[4:5], v[4:5], v[6:7]
	v_mov_b32_e32 v6, 0
	v_mov_b32_e32 v7, v6
	global_store_dwordx4 v[2:3], v[4:7], off
.LBB198_1952:
	s_andn2_b64 vcc, exec, s[0:1]
	s_cbranch_vccnz .LBB198_1954
; %bb.1953:
	s_waitcnt vmcnt(0)
	v_xor_b32_e32 v5, v0, v1
	v_ffbh_i32_e32 v4, v1
	v_ashrrev_i32_e32 v5, 31, v5
	v_add_u32_e32 v4, -1, v4
	v_add_u32_e32 v5, 32, v5
	v_min_u32_e32 v6, v4, v5
	v_lshlrev_b64 v[4:5], v6, v[0:1]
	v_min_u32_e32 v4, 1, v4
	v_or_b32_e32 v4, v5, v4
	v_cvt_f32_i32_e32 v4, v4
	v_sub_u32_e32 v5, 32, v6
	v_ldexp_f32 v4, v4, v5
	v_mov_b32_e32 v5, 0
	global_store_dwordx2 v[2:3], v[4:5], off
.LBB198_1954:
	s_mov_b64 s[0:1], 0
.LBB198_1955:
	s_andn2_b64 vcc, exec, s[0:1]
	s_cbranch_vccnz .LBB198_1957
; %bb.1956:
	s_waitcnt vmcnt(0)
	v_xor_b32_e32 v5, v0, v1
	v_ffbh_i32_e32 v4, v1
	v_ashrrev_i32_e32 v5, 31, v5
	v_add_u32_e32 v4, -1, v4
	v_add_u32_e32 v5, 32, v5
	v_min_u32_e32 v6, v4, v5
	v_lshlrev_b64 v[4:5], v6, v[0:1]
	v_min_u32_e32 v4, 1, v4
	v_or_b32_e32 v4, v5, v4
	v_cvt_f32_i32_e32 v4, v4
	v_sub_u32_e32 v5, 32, v6
	v_ldexp_f32 v4, v4, v5
	v_cvt_f16_f32_e32 v4, v4
	global_store_dword v[2:3], v4, off
.LBB198_1957:
	s_mov_b64 s[0:1], 0
.LBB198_1958:
	s_andn2_b64 vcc, exec, s[0:1]
	s_cbranch_vccnz .LBB198_1967
; %bb.1959:
	s_sext_i32_i16 s2, s22
	s_cmp_lt_i32 s2, 6
	s_mov_b64 s[0:1], -1
	s_cbranch_scc1 .LBB198_1965
; %bb.1960:
	s_cmp_gt_i32 s2, 6
	s_cbranch_scc0 .LBB198_1962
; %bb.1961:
	s_waitcnt vmcnt(0)
	v_cvt_f64_i32_e32 v[4:5], v1
	v_cvt_f64_u32_e32 v[6:7], v0
	s_mov_b64 s[0:1], 0
	v_ldexp_f64 v[4:5], v[4:5], 32
	v_add_f64 v[4:5], v[4:5], v[6:7]
	global_store_dwordx2 v[2:3], v[4:5], off
.LBB198_1962:
	s_andn2_b64 vcc, exec, s[0:1]
	s_cbranch_vccnz .LBB198_1964
; %bb.1963:
	s_waitcnt vmcnt(0)
	v_xor_b32_e32 v5, v0, v1
	v_ffbh_i32_e32 v4, v1
	v_ashrrev_i32_e32 v5, 31, v5
	v_add_u32_e32 v4, -1, v4
	v_add_u32_e32 v5, 32, v5
	v_min_u32_e32 v6, v4, v5
	v_lshlrev_b64 v[4:5], v6, v[0:1]
	v_min_u32_e32 v4, 1, v4
	v_or_b32_e32 v4, v5, v4
	v_cvt_f32_i32_e32 v4, v4
	v_sub_u32_e32 v5, 32, v6
	v_ldexp_f32 v4, v4, v5
	global_store_dword v[2:3], v4, off
.LBB198_1964:
	s_mov_b64 s[0:1], 0
.LBB198_1965:
	s_andn2_b64 vcc, exec, s[0:1]
	s_cbranch_vccnz .LBB198_1967
; %bb.1966:
	s_waitcnt vmcnt(0)
	v_xor_b32_e32 v5, v0, v1
	v_ffbh_i32_e32 v4, v1
	v_ashrrev_i32_e32 v5, 31, v5
	v_add_u32_e32 v4, -1, v4
	v_add_u32_e32 v5, 32, v5
	v_min_u32_e32 v6, v4, v5
	v_lshlrev_b64 v[4:5], v6, v[0:1]
	v_min_u32_e32 v4, 1, v4
	v_or_b32_e32 v4, v5, v4
	v_cvt_f32_i32_e32 v4, v4
	v_sub_u32_e32 v5, 32, v6
	v_ldexp_f32 v4, v4, v5
	v_cvt_f16_f32_e32 v4, v4
	global_store_short v[2:3], v4, off
.LBB198_1967:
	s_mov_b64 s[0:1], 0
.LBB198_1968:
	s_andn2_b64 vcc, exec, s[0:1]
	s_cbranch_vccnz .LBB198_1984
; %bb.1969:
	s_sext_i32_i16 s2, s22
	s_cmp_lt_i32 s2, 2
	s_mov_b64 s[0:1], -1
	s_cbranch_scc1 .LBB198_1979
; %bb.1970:
	s_cmp_lt_i32 s2, 3
	s_cbranch_scc1 .LBB198_1976
; %bb.1971:
	s_cmp_gt_i32 s2, 3
	s_cbranch_scc0 .LBB198_1973
; %bb.1972:
	s_waitcnt vmcnt(0)
	global_store_dwordx2 v[2:3], v[0:1], off
	s_mov_b64 s[0:1], 0
.LBB198_1973:
	s_andn2_b64 vcc, exec, s[0:1]
	s_cbranch_vccnz .LBB198_1975
; %bb.1974:
	s_waitcnt vmcnt(0)
	global_store_dword v[2:3], v0, off
.LBB198_1975:
	s_mov_b64 s[0:1], 0
.LBB198_1976:
	s_andn2_b64 vcc, exec, s[0:1]
	s_cbranch_vccnz .LBB198_1978
; %bb.1977:
	s_waitcnt vmcnt(0)
	global_store_short v[2:3], v0, off
.LBB198_1978:
	s_mov_b64 s[0:1], 0
.LBB198_1979:
	s_andn2_b64 vcc, exec, s[0:1]
	s_cbranch_vccnz .LBB198_1984
; %bb.1980:
	s_sext_i32_i16 s0, s22
	s_cmp_gt_i32 s0, 0
	s_mov_b64 s[0:1], -1
	s_cbranch_scc0 .LBB198_1982
; %bb.1981:
	s_waitcnt vmcnt(0)
	global_store_byte v[2:3], v0, off
	s_mov_b64 s[0:1], 0
.LBB198_1982:
	s_andn2_b64 vcc, exec, s[0:1]
	s_cbranch_vccnz .LBB198_1984
; %bb.1983:
	s_waitcnt vmcnt(0)
	global_store_byte v[2:3], v0, off
	s_endpgm
.LBB198_1984:
	s_endpgm
.LBB198_1985:
	s_mov_b64 s[2:3], 0
	s_mov_b64 s[0:1], -1
	s_branch .LBB198_1941
.LBB198_1986:
	s_trap 2
	s_or_b64 s[16:17], s[16:17], exec
	s_cbranch_execz .LBB198_1455
	s_branch .LBB198_1456
.LBB198_1987:
	s_andn2_saveexec_b64 s[20:21], s[20:21]
	s_cbranch_execz .LBB198_1535
.LBB198_1988:
	s_mov_b32 s23, 0x46000000
	v_add_f32_e64 v12, |v11|, s23
	v_and_b32_e32 v12, 0xff, v12
	v_cmp_ne_u32_e32 vcc, 0, v12
	s_andn2_b64 s[18:19], s[18:19], exec
	s_and_b64 s[24:25], vcc, exec
	s_or_b64 s[18:19], s[18:19], s[24:25]
	s_or_b64 exec, exec, s[20:21]
	v_mov_b32_e32 v13, 0
	s_and_saveexec_b64 s[20:21], s[18:19]
	s_cbranch_execnz .LBB198_1536
	s_branch .LBB198_1537
.LBB198_1989:
	s_trap 2
	s_or_b64 s[16:17], s[16:17], exec
	s_cbranch_execz .LBB198_1583
	s_branch .LBB198_1584
.LBB198_1990:
	s_andn2_saveexec_b64 s[18:19], s[18:19]
	s_cbranch_execz .LBB198_1548
.LBB198_1991:
	s_mov_b32 s20, 0x42800000
	v_add_f32_e64 v12, |v11|, s20
	v_and_b32_e32 v12, 0xff, v12
	v_cmp_ne_u32_e32 vcc, 0, v12
	s_andn2_b64 s[10:11], s[10:11], exec
	s_and_b64 s[20:21], vcc, exec
	s_or_b64 s[10:11], s[10:11], s[20:21]
	s_or_b64 exec, exec, s[18:19]
	v_mov_b32_e32 v13, 0
	s_and_saveexec_b64 s[18:19], s[10:11]
	s_cbranch_execnz .LBB198_1549
	s_branch .LBB198_1550
.LBB198_1992:
	s_andn2_saveexec_b64 s[18:19], s[18:19]
	s_cbranch_execz .LBB198_1654
.LBB198_1993:
	s_mov_b32 s23, 0x46000000
	v_add_f32_e64 v10, |v9|, s23
	v_and_b32_e32 v10, 0xff, v10
	v_cmp_ne_u32_e32 vcc, 0, v10
	s_andn2_b64 s[12:13], s[12:13], exec
	s_and_b64 s[24:25], vcc, exec
	s_or_b64 s[12:13], s[12:13], s[24:25]
	s_or_b64 exec, exec, s[18:19]
	v_mov_b32_e32 v11, 0
	s_and_saveexec_b64 s[18:19], s[12:13]
	s_cbranch_execnz .LBB198_1655
	s_branch .LBB198_1656
.LBB198_1994:
	s_trap 2
	s_or_b64 s[16:17], s[16:17], exec
	s_cbranch_execz .LBB198_1702
	s_branch .LBB198_1703
.LBB198_1995:
	s_andn2_saveexec_b64 s[12:13], s[12:13]
	s_cbranch_execz .LBB198_1667
.LBB198_1996:
	s_mov_b32 s18, 0x42800000
	v_add_f32_e64 v10, |v9|, s18
	v_and_b32_e32 v10, 0xff, v10
	v_cmp_ne_u32_e32 vcc, 0, v10
	s_andn2_b64 s[10:11], s[10:11], exec
	s_and_b64 s[18:19], vcc, exec
	s_or_b64 s[10:11], s[10:11], s[18:19]
	s_or_b64 exec, exec, s[12:13]
	v_mov_b32_e32 v11, 0
	s_and_saveexec_b64 s[12:13], s[10:11]
	s_cbranch_execnz .LBB198_1668
	s_branch .LBB198_1669
.LBB198_1997:
	s_andn2_saveexec_b64 s[18:19], s[18:19]
	s_cbranch_execz .LBB198_1773
.LBB198_1998:
	s_mov_b32 s23, 0x46000000
	v_add_f32_e64 v8, |v5|, s23
	v_and_b32_e32 v8, 0xff, v8
	v_cmp_ne_u32_e32 vcc, 0, v8
	s_andn2_b64 s[12:13], s[12:13], exec
	s_and_b64 s[24:25], vcc, exec
	s_or_b64 s[12:13], s[12:13], s[24:25]
	s_or_b64 exec, exec, s[18:19]
	v_mov_b32_e32 v9, 0
	s_and_saveexec_b64 s[18:19], s[12:13]
	s_cbranch_execnz .LBB198_1774
	s_branch .LBB198_1775
.LBB198_1999:
	s_trap 2
	s_or_b64 s[16:17], s[16:17], exec
	s_cbranch_execz .LBB198_1821
	s_branch .LBB198_1822
.LBB198_2000:
	s_andn2_saveexec_b64 s[12:13], s[12:13]
	s_cbranch_execz .LBB198_1786
.LBB198_2001:
	s_mov_b32 s18, 0x42800000
	v_add_f32_e64 v8, |v5|, s18
	v_and_b32_e32 v8, 0xff, v8
	v_cmp_ne_u32_e32 vcc, 0, v8
	s_andn2_b64 s[10:11], s[10:11], exec
	s_and_b64 s[18:19], vcc, exec
	s_or_b64 s[10:11], s[10:11], s[18:19]
	s_or_b64 exec, exec, s[12:13]
	v_mov_b32_e32 v9, 0
	s_and_saveexec_b64 s[12:13], s[10:11]
	s_cbranch_execnz .LBB198_1787
	s_branch .LBB198_1788
.LBB198_2002:
	s_andn2_saveexec_b64 s[10:11], s[10:11]
	s_cbranch_execz .LBB198_1893
.LBB198_2003:
	s_mov_b32 s13, 0x46000000
	v_add_f32_e64 v5, |v4|, s13
	v_and_b32_e32 v5, 0xff, v5
	v_cmp_ne_u32_e32 vcc, 0, v5
	s_andn2_b64 s[8:9], s[8:9], exec
	s_and_b64 s[18:19], vcc, exec
	s_or_b64 s[8:9], s[8:9], s[18:19]
	s_or_b64 exec, exec, s[10:11]
	v_mov_b32_e32 v6, 0
	s_and_saveexec_b64 s[10:11], s[8:9]
	s_cbranch_execnz .LBB198_1894
	s_branch .LBB198_1895
.LBB198_2004:
	s_mov_b64 s[2:3], 0
	s_or_b64 s[16:17], s[16:17], exec
	s_trap 2
	s_branch .LBB198_1939
.LBB198_2005:
	s_andn2_saveexec_b64 s[8:9], s[8:9]
	s_cbranch_execz .LBB198_1905
.LBB198_2006:
	s_mov_b32 s10, 0x42800000
	v_add_f32_e64 v5, |v4|, s10
	v_and_b32_e32 v5, 0xff, v5
	v_cmp_ne_u32_e32 vcc, 0, v5
	s_andn2_b64 s[4:5], s[4:5], exec
	s_and_b64 s[10:11], vcc, exec
	s_or_b64 s[4:5], s[4:5], s[10:11]
	s_or_b64 exec, exec, s[8:9]
	v_mov_b32_e32 v6, 0
	s_and_saveexec_b64 s[8:9], s[4:5]
	s_cbranch_execnz .LBB198_1906
	s_branch .LBB198_1907
	.section	.rodata,"a",@progbits
	.p2align	6, 0x0
	.amdhsa_kernel _ZN2at6native32elementwise_kernel_manual_unrollILi128ELi4EZNS0_15gpu_kernel_implINS0_13AUnaryFunctorIlllZZZNS0_18rshift_kernel_cudaERNS_18TensorIteratorBaseEENKUlvE_clEvENKUlvE2_clEvEUlllE_EEEEvS5_RKT_EUlibE_EEviT1_
		.amdhsa_group_segment_fixed_size 0
		.amdhsa_private_segment_fixed_size 0
		.amdhsa_kernarg_size 56
		.amdhsa_user_sgpr_count 6
		.amdhsa_user_sgpr_private_segment_buffer 1
		.amdhsa_user_sgpr_dispatch_ptr 0
		.amdhsa_user_sgpr_queue_ptr 0
		.amdhsa_user_sgpr_kernarg_segment_ptr 1
		.amdhsa_user_sgpr_dispatch_id 0
		.amdhsa_user_sgpr_flat_scratch_init 0
		.amdhsa_user_sgpr_private_segment_size 0
		.amdhsa_uses_dynamic_stack 0
		.amdhsa_system_sgpr_private_segment_wavefront_offset 0
		.amdhsa_system_sgpr_workgroup_id_x 1
		.amdhsa_system_sgpr_workgroup_id_y 0
		.amdhsa_system_sgpr_workgroup_id_z 0
		.amdhsa_system_sgpr_workgroup_info 0
		.amdhsa_system_vgpr_workitem_id 0
		.amdhsa_next_free_vgpr 15
		.amdhsa_next_free_sgpr 48
		.amdhsa_reserve_vcc 1
		.amdhsa_reserve_flat_scratch 0
		.amdhsa_float_round_mode_32 0
		.amdhsa_float_round_mode_16_64 0
		.amdhsa_float_denorm_mode_32 3
		.amdhsa_float_denorm_mode_16_64 3
		.amdhsa_dx10_clamp 1
		.amdhsa_ieee_mode 1
		.amdhsa_fp16_overflow 0
		.amdhsa_exception_fp_ieee_invalid_op 0
		.amdhsa_exception_fp_denorm_src 0
		.amdhsa_exception_fp_ieee_div_zero 0
		.amdhsa_exception_fp_ieee_overflow 0
		.amdhsa_exception_fp_ieee_underflow 0
		.amdhsa_exception_fp_ieee_inexact 0
		.amdhsa_exception_int_div_zero 0
	.end_amdhsa_kernel
	.section	.text._ZN2at6native32elementwise_kernel_manual_unrollILi128ELi4EZNS0_15gpu_kernel_implINS0_13AUnaryFunctorIlllZZZNS0_18rshift_kernel_cudaERNS_18TensorIteratorBaseEENKUlvE_clEvENKUlvE2_clEvEUlllE_EEEEvS5_RKT_EUlibE_EEviT1_,"axG",@progbits,_ZN2at6native32elementwise_kernel_manual_unrollILi128ELi4EZNS0_15gpu_kernel_implINS0_13AUnaryFunctorIlllZZZNS0_18rshift_kernel_cudaERNS_18TensorIteratorBaseEENKUlvE_clEvENKUlvE2_clEvEUlllE_EEEEvS5_RKT_EUlibE_EEviT1_,comdat
.Lfunc_end198:
	.size	_ZN2at6native32elementwise_kernel_manual_unrollILi128ELi4EZNS0_15gpu_kernel_implINS0_13AUnaryFunctorIlllZZZNS0_18rshift_kernel_cudaERNS_18TensorIteratorBaseEENKUlvE_clEvENKUlvE2_clEvEUlllE_EEEEvS5_RKT_EUlibE_EEviT1_, .Lfunc_end198-_ZN2at6native32elementwise_kernel_manual_unrollILi128ELi4EZNS0_15gpu_kernel_implINS0_13AUnaryFunctorIlllZZZNS0_18rshift_kernel_cudaERNS_18TensorIteratorBaseEENKUlvE_clEvENKUlvE2_clEvEUlllE_EEEEvS5_RKT_EUlibE_EEviT1_
                                        ; -- End function
	.set _ZN2at6native32elementwise_kernel_manual_unrollILi128ELi4EZNS0_15gpu_kernel_implINS0_13AUnaryFunctorIlllZZZNS0_18rshift_kernel_cudaERNS_18TensorIteratorBaseEENKUlvE_clEvENKUlvE2_clEvEUlllE_EEEEvS5_RKT_EUlibE_EEviT1_.num_vgpr, 15
	.set _ZN2at6native32elementwise_kernel_manual_unrollILi128ELi4EZNS0_15gpu_kernel_implINS0_13AUnaryFunctorIlllZZZNS0_18rshift_kernel_cudaERNS_18TensorIteratorBaseEENKUlvE_clEvENKUlvE2_clEvEUlllE_EEEEvS5_RKT_EUlibE_EEviT1_.num_agpr, 0
	.set _ZN2at6native32elementwise_kernel_manual_unrollILi128ELi4EZNS0_15gpu_kernel_implINS0_13AUnaryFunctorIlllZZZNS0_18rshift_kernel_cudaERNS_18TensorIteratorBaseEENKUlvE_clEvENKUlvE2_clEvEUlllE_EEEEvS5_RKT_EUlibE_EEviT1_.numbered_sgpr, 48
	.set _ZN2at6native32elementwise_kernel_manual_unrollILi128ELi4EZNS0_15gpu_kernel_implINS0_13AUnaryFunctorIlllZZZNS0_18rshift_kernel_cudaERNS_18TensorIteratorBaseEENKUlvE_clEvENKUlvE2_clEvEUlllE_EEEEvS5_RKT_EUlibE_EEviT1_.num_named_barrier, 0
	.set _ZN2at6native32elementwise_kernel_manual_unrollILi128ELi4EZNS0_15gpu_kernel_implINS0_13AUnaryFunctorIlllZZZNS0_18rshift_kernel_cudaERNS_18TensorIteratorBaseEENKUlvE_clEvENKUlvE2_clEvEUlllE_EEEEvS5_RKT_EUlibE_EEviT1_.private_seg_size, 0
	.set _ZN2at6native32elementwise_kernel_manual_unrollILi128ELi4EZNS0_15gpu_kernel_implINS0_13AUnaryFunctorIlllZZZNS0_18rshift_kernel_cudaERNS_18TensorIteratorBaseEENKUlvE_clEvENKUlvE2_clEvEUlllE_EEEEvS5_RKT_EUlibE_EEviT1_.uses_vcc, 1
	.set _ZN2at6native32elementwise_kernel_manual_unrollILi128ELi4EZNS0_15gpu_kernel_implINS0_13AUnaryFunctorIlllZZZNS0_18rshift_kernel_cudaERNS_18TensorIteratorBaseEENKUlvE_clEvENKUlvE2_clEvEUlllE_EEEEvS5_RKT_EUlibE_EEviT1_.uses_flat_scratch, 0
	.set _ZN2at6native32elementwise_kernel_manual_unrollILi128ELi4EZNS0_15gpu_kernel_implINS0_13AUnaryFunctorIlllZZZNS0_18rshift_kernel_cudaERNS_18TensorIteratorBaseEENKUlvE_clEvENKUlvE2_clEvEUlllE_EEEEvS5_RKT_EUlibE_EEviT1_.has_dyn_sized_stack, 0
	.set _ZN2at6native32elementwise_kernel_manual_unrollILi128ELi4EZNS0_15gpu_kernel_implINS0_13AUnaryFunctorIlllZZZNS0_18rshift_kernel_cudaERNS_18TensorIteratorBaseEENKUlvE_clEvENKUlvE2_clEvEUlllE_EEEEvS5_RKT_EUlibE_EEviT1_.has_recursion, 0
	.set _ZN2at6native32elementwise_kernel_manual_unrollILi128ELi4EZNS0_15gpu_kernel_implINS0_13AUnaryFunctorIlllZZZNS0_18rshift_kernel_cudaERNS_18TensorIteratorBaseEENKUlvE_clEvENKUlvE2_clEvEUlllE_EEEEvS5_RKT_EUlibE_EEviT1_.has_indirect_call, 0
	.section	.AMDGPU.csdata,"",@progbits
; Kernel info:
; codeLenInByte = 40000
; TotalNumSgprs: 52
; NumVgprs: 15
; ScratchSize: 0
; MemoryBound: 1
; FloatMode: 240
; IeeeMode: 1
; LDSByteSize: 0 bytes/workgroup (compile time only)
; SGPRBlocks: 6
; VGPRBlocks: 3
; NumSGPRsForWavesPerEU: 52
; NumVGPRsForWavesPerEU: 15
; Occupancy: 10
; WaveLimiterHint : 0
; COMPUTE_PGM_RSRC2:SCRATCH_EN: 0
; COMPUTE_PGM_RSRC2:USER_SGPR: 6
; COMPUTE_PGM_RSRC2:TRAP_HANDLER: 0
; COMPUTE_PGM_RSRC2:TGID_X_EN: 1
; COMPUTE_PGM_RSRC2:TGID_Y_EN: 0
; COMPUTE_PGM_RSRC2:TGID_Z_EN: 0
; COMPUTE_PGM_RSRC2:TIDIG_COMP_CNT: 0
	.section	.text._ZN2at6native32elementwise_kernel_manual_unrollILi128ELi4EZNS0_15gpu_kernel_implINS0_13AUnaryFunctorIlllZZZNS0_18rshift_kernel_cudaERNS_18TensorIteratorBaseEENKUlvE_clEvENKUlvE2_clEvEUlllE_EEEEvS5_RKT_EUlibE0_EEviT1_,"axG",@progbits,_ZN2at6native32elementwise_kernel_manual_unrollILi128ELi4EZNS0_15gpu_kernel_implINS0_13AUnaryFunctorIlllZZZNS0_18rshift_kernel_cudaERNS_18TensorIteratorBaseEENKUlvE_clEvENKUlvE2_clEvEUlllE_EEEEvS5_RKT_EUlibE0_EEviT1_,comdat
	.globl	_ZN2at6native32elementwise_kernel_manual_unrollILi128ELi4EZNS0_15gpu_kernel_implINS0_13AUnaryFunctorIlllZZZNS0_18rshift_kernel_cudaERNS_18TensorIteratorBaseEENKUlvE_clEvENKUlvE2_clEvEUlllE_EEEEvS5_RKT_EUlibE0_EEviT1_ ; -- Begin function _ZN2at6native32elementwise_kernel_manual_unrollILi128ELi4EZNS0_15gpu_kernel_implINS0_13AUnaryFunctorIlllZZZNS0_18rshift_kernel_cudaERNS_18TensorIteratorBaseEENKUlvE_clEvENKUlvE2_clEvEUlllE_EEEEvS5_RKT_EUlibE0_EEviT1_
	.p2align	8
	.type	_ZN2at6native32elementwise_kernel_manual_unrollILi128ELi4EZNS0_15gpu_kernel_implINS0_13AUnaryFunctorIlllZZZNS0_18rshift_kernel_cudaERNS_18TensorIteratorBaseEENKUlvE_clEvENKUlvE2_clEvEUlllE_EEEEvS5_RKT_EUlibE0_EEviT1_,@function
_ZN2at6native32elementwise_kernel_manual_unrollILi128ELi4EZNS0_15gpu_kernel_implINS0_13AUnaryFunctorIlllZZZNS0_18rshift_kernel_cudaERNS_18TensorIteratorBaseEENKUlvE_clEvENKUlvE2_clEvEUlllE_EEEEvS5_RKT_EUlibE0_EEviT1_: ; @_ZN2at6native32elementwise_kernel_manual_unrollILi128ELi4EZNS0_15gpu_kernel_implINS0_13AUnaryFunctorIlllZZZNS0_18rshift_kernel_cudaERNS_18TensorIteratorBaseEENKUlvE_clEvENKUlvE2_clEvEUlllE_EEEEvS5_RKT_EUlibE0_EEviT1_
; %bb.0:
	s_load_dword s72, s[4:5], 0x0
	s_load_dword s33, s[4:5], 0x8
	s_add_u32 s34, s4, 8
	s_addc_u32 s35, s5, 0
	v_lshl_or_b32 v11, s6, 9, v0
	v_or_b32_e32 v15, 0x180, v11
	s_waitcnt lgkmcnt(0)
	s_add_i32 s74, s33, -1
	s_cmp_gt_u32 s74, 1
	v_cmp_le_i32_e32 vcc, s72, v15
	s_cselect_b64 s[40:41], -1, 0
	s_mov_b64 s[6:7], 0
	s_mov_b64 s[28:29], 0
	s_and_saveexec_b64 s[0:1], vcc
	s_xor_b64 s[42:43], exec, s[0:1]
	s_cbranch_execz .LBB199_1070
; %bb.1:
	s_load_dwordx4 s[28:31], s[34:35], 0x4
	s_load_dwordx2 s[46:47], s[34:35], 0x14
	s_load_dwordx2 s[44:45], s[34:35], 0x160
	s_load_dword s75, s[34:35], 0x168
	s_cmp_lg_u32 s33, 0
	s_load_dwordx4 s[36:39], s[34:35], 0xc4
	s_load_dwordx4 s[24:27], s[34:35], 0x148
	s_cselect_b64 s[52:53], -1, 0
	s_add_u32 s50, s34, 0xc4
	s_addc_u32 s51, s35, 0
	s_min_u32 s77, s74, 15
	s_cmp_gt_u32 s33, 1
	s_cselect_b64 s[48:49], -1, 0
	s_waitcnt lgkmcnt(0)
	s_bfe_u32 s76, s75, 0x80008
	v_cmp_gt_i32_e32 vcc, s72, v11
	s_mov_b64 s[2:3], -1
	s_mov_b64 s[62:63], 0
	s_mov_b64 s[56:57], 0
	;; [unrolled: 1-line block ×3, first 2 shown]
	s_and_saveexec_b64 s[58:59], vcc
	s_cbranch_execz .LBB199_262
; %bb.2:
	s_andn2_b64 vcc, exec, s[40:41]
	s_cbranch_vccnz .LBB199_7
; %bb.3:
	s_andn2_b64 vcc, exec, s[52:53]
	s_cbranch_vccnz .LBB199_8
; %bb.4:
	s_add_i32 s61, s77, 1
	s_cmp_eq_u32 s74, 2
	s_cbranch_scc1 .LBB199_9
; %bb.5:
	s_and_b32 s60, s61, 28
	v_mov_b32_e32 v2, 0
	s_mov_b32 s64, 0
	s_mov_b64 s[54:55], s[34:35]
	s_mov_b64 s[56:57], s[50:51]
	v_mov_b32_e32 v0, 0
	v_mov_b32_e32 v1, v11
.LBB199_6:                              ; =>This Inner Loop Header: Depth=1
	s_load_dwordx8 s[16:23], s[54:55], 0x4
	s_load_dwordx4 s[0:3], s[54:55], 0x24
	s_load_dwordx8 s[8:15], s[56:57], 0x0
	s_add_u32 s54, s54, 48
	s_addc_u32 s55, s55, 0
	s_waitcnt lgkmcnt(0)
	v_mul_hi_u32 v3, s17, v1
	s_add_i32 s64, s64, 4
	s_add_u32 s56, s56, 32
	s_addc_u32 s57, s57, 0
	v_add_u32_e32 v3, v1, v3
	v_lshrrev_b32_e32 v3, s18, v3
	v_mul_lo_u32 v4, v3, s16
	v_mul_hi_u32 v5, s20, v3
	s_cmp_lg_u32 s60, s64
	v_sub_u32_e32 v1, v1, v4
	v_add_u32_e32 v4, v3, v5
	v_mul_lo_u32 v5, v1, s8
	v_mul_lo_u32 v6, v1, s9
	v_lshrrev_b32_e32 v1, s21, v4
	v_mul_lo_u32 v4, v1, s19
	v_mul_hi_u32 v7, s23, v1
	v_sub_u32_e32 v3, v3, v4
	v_add_u32_e32 v4, v1, v7
	v_lshrrev_b32_e32 v4, s0, v4
	v_mul_hi_u32 v8, s2, v4
	v_mul_lo_u32 v9, v4, s22
	v_mul_lo_u32 v7, v3, s10
	;; [unrolled: 1-line block ×3, first 2 shown]
	v_sub_u32_e32 v9, v1, v9
	v_add_u32_e32 v1, v4, v8
	v_lshrrev_b32_e32 v1, s3, v1
	v_mul_lo_u32 v8, v1, s1
	v_mul_lo_u32 v10, v9, s12
	;; [unrolled: 1-line block ×3, first 2 shown]
	v_add3_u32 v0, v5, v0, v7
	v_sub_u32_e32 v4, v4, v8
	v_mul_lo_u32 v8, v4, s14
	v_mul_lo_u32 v4, v4, s15
	v_add3_u32 v2, v6, v2, v3
	v_add3_u32 v0, v10, v0, v8
	;; [unrolled: 1-line block ×3, first 2 shown]
	s_cbranch_scc1 .LBB199_6
	s_branch .LBB199_10
.LBB199_7:
                                        ; implicit-def: $vgpr0
                                        ; implicit-def: $vgpr2
	s_branch .LBB199_14
.LBB199_8:
	v_mov_b32_e32 v0, 0
	v_mov_b32_e32 v2, 0
	s_branch .LBB199_13
.LBB199_9:
	s_mov_b32 s60, 0
	v_mov_b32_e32 v0, 0
	v_mov_b32_e32 v2, 0
	;; [unrolled: 1-line block ×3, first 2 shown]
.LBB199_10:
	s_and_b32 s8, s61, 3
	s_cmp_eq_u32 s8, 0
	s_cbranch_scc1 .LBB199_13
; %bb.11:
	s_lshl_b32 s0, s60, 3
	s_add_u32 s0, s34, s0
	s_addc_u32 s1, s35, 0
	s_add_u32 s0, s0, 0xc4
	s_addc_u32 s1, s1, 0
	s_mul_i32 s2, s60, 12
	s_add_u32 s2, s34, s2
	s_addc_u32 s3, s35, 0
.LBB199_12:                             ; =>This Inner Loop Header: Depth=1
	s_load_dwordx2 s[10:11], s[2:3], 0x4
	s_load_dword s9, s[2:3], 0xc
	s_load_dwordx2 s[12:13], s[0:1], 0x0
	s_add_u32 s2, s2, 12
	s_addc_u32 s3, s3, 0
	s_waitcnt lgkmcnt(0)
	v_mul_hi_u32 v3, s11, v1
	s_add_u32 s0, s0, 8
	s_addc_u32 s1, s1, 0
	s_add_i32 s8, s8, -1
	v_add_u32_e32 v3, v1, v3
	v_lshrrev_b32_e32 v4, s9, v3
	v_mul_lo_u32 v3, v4, s10
	s_cmp_lg_u32 s8, 0
	v_sub_u32_e32 v3, v1, v3
	v_mad_u64_u32 v[0:1], s[10:11], v3, s12, v[0:1]
	v_mad_u64_u32 v[2:3], s[10:11], v3, s13, v[2:3]
	v_mov_b32_e32 v1, v4
	s_cbranch_scc1 .LBB199_12
.LBB199_13:
	s_cbranch_execnz .LBB199_16
.LBB199_14:
	v_mul_hi_u32 v0, s29, v11
	s_andn2_b64 vcc, exec, s[48:49]
	v_add_u32_e32 v0, v11, v0
	v_lshrrev_b32_e32 v1, s30, v0
	v_mul_lo_u32 v0, v1, s28
	v_sub_u32_e32 v2, v11, v0
	v_mul_lo_u32 v0, v2, s36
	v_mul_lo_u32 v2, v2, s37
	s_cbranch_vccnz .LBB199_16
; %bb.15:
	v_mul_hi_u32 v3, s46, v1
	v_add_u32_e32 v3, v1, v3
	v_lshrrev_b32_e32 v3, s47, v3
	v_mul_lo_u32 v3, v3, s31
	v_sub_u32_e32 v3, v1, v3
	v_mad_u64_u32 v[0:1], s[0:1], v3, s38, v[0:1]
	v_mad_u64_u32 v[2:3], s[0:1], v3, s39, v[2:3]
.LBB199_16:
	v_mov_b32_e32 v3, s27
	s_and_b32 s10, 0xffff, s76
	v_add_co_u32_e32 v1, vcc, s26, v2
	s_cmp_lt_i32 s10, 11
	v_addc_co_u32_e32 v2, vcc, 0, v3, vcc
	s_cbranch_scc1 .LBB199_23
; %bb.17:
	s_cmp_gt_i32 s10, 25
	s_cbranch_scc0 .LBB199_32
; %bb.18:
	s_cmp_gt_i32 s10, 28
	s_cbranch_scc0 .LBB199_35
	;; [unrolled: 3-line block ×4, first 2 shown]
; %bb.21:
	s_cmp_eq_u32 s10, 46
	s_mov_b64 s[8:9], 0
	s_cbranch_scc0 .LBB199_41
; %bb.22:
	global_load_dword v3, v[1:2], off
	s_mov_b32 s0, 0x2f800000
	s_mov_b32 s1, 0xcf800000
	s_mov_b64 s[2:3], 0
	s_waitcnt vmcnt(0)
	v_lshlrev_b32_e32 v3, 16, v3
	v_trunc_f32_e32 v3, v3
	v_mul_f32_e64 v4, |v3|, s0
	v_floor_f32_e32 v4, v4
	v_fma_f32 v5, v4, s1, |v3|
	v_cvt_u32_f32_e32 v5, v5
	v_cvt_u32_f32_e32 v4, v4
	v_ashrrev_i32_e32 v6, 31, v3
	s_mov_b64 s[0:1], -1
	v_xor_b32_e32 v3, v5, v6
	v_xor_b32_e32 v4, v4, v6
	v_sub_co_u32_e32 v3, vcc, v3, v6
	v_subb_co_u32_e32 v4, vcc, v4, v6, vcc
	s_branch .LBB199_43
.LBB199_23:
	s_mov_b64 s[2:3], 0
                                        ; implicit-def: $vgpr3_vgpr4
	s_mov_b64 s[0:1], 0
	s_cbranch_execnz .LBB199_212
.LBB199_24:
	s_andn2_b64 vcc, exec, s[0:1]
	s_cbranch_vccnz .LBB199_259
.LBB199_25:
	s_waitcnt vmcnt(0)
	v_cmp_gt_u64_e32 vcc, 63, v[3:4]
	v_mov_b32_e32 v4, s25
	v_cndmask_b32_e32 v1, 63, v3, vcc
	v_ashrrev_i64 v[1:2], v1, s[44:45]
	s_and_b32 s14, s75, 0xff
	v_add_co_u32_e32 v3, vcc, s24, v0
	s_cmp_lt_i32 s14, 11
	v_addc_co_u32_e32 v4, vcc, 0, v4, vcc
	s_cbranch_scc1 .LBB199_33
; %bb.26:
	s_and_b32 s15, 0xffff, s14
	s_cmp_gt_i32 s15, 25
	s_cbranch_scc0 .LBB199_36
; %bb.27:
	s_cmp_gt_i32 s15, 28
	s_cbranch_scc0 .LBB199_38
; %bb.28:
	;; [unrolled: 3-line block ×4, first 2 shown]
	s_mov_b64 s[10:11], 0
	s_mov_b64 s[0:1], -1
	s_cmp_eq_u32 s15, 46
	s_mov_b64 s[8:9], 0
	s_cbranch_scc0 .LBB199_47
; %bb.31:
	v_xor_b32_e32 v5, v1, v2
	v_ffbh_i32_e32 v0, v2
	v_ashrrev_i32_e32 v5, 31, v5
	v_add_u32_e32 v0, -1, v0
	v_add_u32_e32 v5, 32, v5
	v_min_u32_e32 v0, v0, v5
	v_lshlrev_b64 v[5:6], v0, v[1:2]
	v_sub_u32_e32 v0, 32, v0
	v_min_u32_e32 v5, 1, v5
	v_or_b32_e32 v5, v6, v5
	v_cvt_f32_i32_e32 v5, v5
	s_movk_i32 s0, 0x7fff
	s_mov_b64 s[8:9], -1
	v_ldexp_f32 v0, v5, v0
	v_bfe_u32 v5, v0, 16, 1
	v_add3_u32 v0, v0, v5, s0
	v_lshrrev_b32_e32 v0, 16, v0
	global_store_dword v[3:4], v0, off
	s_mov_b64 s[0:1], 0
	s_branch .LBB199_47
.LBB199_32:
	s_mov_b64 s[2:3], 0
	s_mov_b64 s[0:1], 0
                                        ; implicit-def: $vgpr3_vgpr4
	s_cbranch_execnz .LBB199_181
	s_branch .LBB199_211
.LBB199_33:
	s_mov_b64 s[0:1], 0
	s_mov_b64 s[8:9], 0
	s_cbranch_execnz .LBB199_116
.LBB199_34:
	s_andn2_b64 vcc, exec, s[8:9]
	s_cbranch_vccnz .LBB199_260
	s_branch .LBB199_154
.LBB199_35:
	s_mov_b64 s[8:9], -1
	s_mov_b64 s[2:3], 0
	s_mov_b64 s[0:1], 0
                                        ; implicit-def: $vgpr3_vgpr4
	s_branch .LBB199_162
.LBB199_36:
	s_mov_b64 s[10:11], -1
	s_mov_b64 s[0:1], 0
	s_mov_b64 s[8:9], 0
	s_branch .LBB199_74
.LBB199_37:
	s_mov_b64 s[8:9], -1
	s_mov_b64 s[2:3], 0
	s_mov_b64 s[0:1], 0
                                        ; implicit-def: $vgpr3_vgpr4
	s_branch .LBB199_157
.LBB199_38:
	s_mov_b64 s[10:11], -1
	s_mov_b64 s[0:1], 0
	s_mov_b64 s[8:9], 0
	s_branch .LBB199_57
.LBB199_39:
	s_mov_b64 s[8:9], -1
	s_mov_b64 s[2:3], 0
	s_branch .LBB199_42
.LBB199_40:
	s_mov_b64 s[10:11], -1
	s_mov_b64 s[0:1], 0
	s_mov_b64 s[8:9], 0
	s_branch .LBB199_53
.LBB199_41:
	s_mov_b64 s[2:3], -1
.LBB199_42:
	s_mov_b64 s[0:1], 0
                                        ; implicit-def: $vgpr3_vgpr4
.LBB199_43:
	s_and_b64 vcc, exec, s[8:9]
	s_cbranch_vccz .LBB199_156
; %bb.44:
	s_cmp_eq_u32 s10, 44
	s_cbranch_scc0 .LBB199_155
; %bb.45:
	global_load_ubyte v3, v[1:2], off
	s_mov_b32 s0, 0x2f800000
	s_mov_b32 s1, 0xcf800000
	s_mov_b64 s[2:3], 0
	s_waitcnt vmcnt(0)
	v_lshlrev_b32_e32 v4, 23, v3
	v_trunc_f32_e32 v4, v4
	v_mul_f32_e64 v5, |v4|, s0
	v_floor_f32_e32 v5, v5
	v_fma_f32 v6, v5, s1, |v4|
	v_cvt_u32_f32_e32 v6, v6
	v_cvt_u32_f32_e32 v5, v5
	v_ashrrev_i32_e32 v4, 31, v4
	s_mov_b64 s[0:1], -1
	v_xor_b32_e32 v6, v6, v4
	v_xor_b32_e32 v5, v5, v4
	v_sub_co_u32_e32 v6, vcc, v6, v4
	v_subb_co_u32_e32 v4, vcc, v5, v4, vcc
	v_cmp_ne_u32_e32 vcc, 0, v3
	v_cndmask_b32_e32 v4, 0, v4, vcc
	v_cndmask_b32_e32 v3, 0, v6, vcc
	s_branch .LBB199_156
.LBB199_46:
	s_mov_b64 s[10:11], -1
	s_mov_b64 s[0:1], 0
	s_mov_b64 s[8:9], 0
.LBB199_47:
	s_and_b64 vcc, exec, s[10:11]
	s_cbranch_vccz .LBB199_52
; %bb.48:
	s_cmp_eq_u32 s15, 44
	s_mov_b64 s[0:1], -1
	s_cbranch_scc0 .LBB199_52
; %bb.49:
	v_xor_b32_e32 v5, v1, v2
	v_ffbh_i32_e32 v0, v2
	v_ashrrev_i32_e32 v5, 31, v5
	v_add_u32_e32 v0, -1, v0
	v_add_u32_e32 v5, 32, v5
	v_min_u32_e32 v0, v0, v5
	v_lshlrev_b64 v[5:6], v0, v[1:2]
	v_sub_u32_e32 v0, 32, v0
	v_min_u32_e32 v5, 1, v5
	v_or_b32_e32 v5, v6, v5
	v_cvt_f32_i32_e32 v5, v5
	s_movk_i32 s0, 0xff
	v_mov_b32_e32 v6, 0xff
	v_ldexp_f32 v0, v5, v0
	v_bfe_u32 v5, v0, 23, 8
	v_cmp_ne_u32_e32 vcc, s0, v5
	s_and_saveexec_b64 s[8:9], vcc
; %bb.50:
	s_mov_b32 s0, 0x3fffff
	v_lshrrev_b32_e32 v6, 23, v0
	v_and_b32_e32 v7, 0x400000, v0
	v_and_or_b32 v0, v0, s0, v5
	v_cmp_ne_u32_e32 vcc, 0, v7
	v_cmp_ne_u32_e64 s[0:1], 0, v0
	s_and_b64 s[0:1], vcc, s[0:1]
	v_cndmask_b32_e64 v0, 0, 1, s[0:1]
	v_add_u32_e32 v6, v6, v0
; %bb.51:
	s_or_b64 exec, exec, s[8:9]
	s_mov_b64 s[8:9], -1
	s_mov_b64 s[0:1], 0
	global_store_byte v[3:4], v6, off
.LBB199_52:
	s_mov_b64 s[10:11], 0
.LBB199_53:
	s_and_b64 vcc, exec, s[10:11]
	s_cbranch_vccz .LBB199_56
; %bb.54:
	s_cmp_eq_u32 s15, 29
	s_mov_b64 s[0:1], -1
	s_cbranch_scc0 .LBB199_56
; %bb.55:
	global_store_dwordx2 v[3:4], v[1:2], off
	s_mov_b64 s[8:9], -1
	s_mov_b64 s[0:1], 0
.LBB199_56:
	s_mov_b64 s[10:11], 0
.LBB199_57:
	s_and_b64 vcc, exec, s[10:11]
	s_cbranch_vccz .LBB199_73
; %bb.58:
	s_cmp_lt_i32 s15, 27
	s_mov_b64 s[8:9], -1
	s_cbranch_scc1 .LBB199_64
; %bb.59:
	s_cmp_gt_i32 s15, 27
	s_cbranch_scc0 .LBB199_61
; %bb.60:
	s_mov_b64 s[8:9], 0
	global_store_dword v[3:4], v1, off
.LBB199_61:
	s_andn2_b64 vcc, exec, s[8:9]
	s_cbranch_vccnz .LBB199_63
; %bb.62:
	global_store_short v[3:4], v1, off
.LBB199_63:
	s_mov_b64 s[8:9], 0
.LBB199_64:
	s_andn2_b64 vcc, exec, s[8:9]
	s_cbranch_vccnz .LBB199_72
; %bb.65:
	v_xor_b32_e32 v5, v1, v2
	v_ffbh_i32_e32 v0, v2
	v_ashrrev_i32_e32 v5, 31, v5
	v_add_u32_e32 v0, -1, v0
	v_add_u32_e32 v5, 32, v5
	v_min_u32_e32 v0, v0, v5
	v_lshlrev_b64 v[5:6], v0, v[1:2]
	v_sub_u32_e32 v0, 32, v0
	v_min_u32_e32 v5, 1, v5
	v_or_b32_e32 v5, v6, v5
	v_cvt_f32_i32_e32 v5, v5
	s_mov_b32 s8, 0x43800000
	v_mov_b32_e32 v6, 0x80
	v_ldexp_f32 v0, v5, v0
	v_and_b32_e32 v5, 0x7fffffff, v0
	v_cmp_gt_u32_e32 vcc, s8, v5
	s_and_saveexec_b64 s[8:9], vcc
	s_cbranch_execz .LBB199_71
; %bb.66:
	s_mov_b32 s10, 0x3bffffff
	v_cmp_lt_u32_e32 vcc, s10, v5
	s_mov_b64 s[10:11], 0
                                        ; implicit-def: $vgpr5
	s_and_saveexec_b64 s[12:13], vcc
	s_xor_b64 s[12:13], exec, s[12:13]
	s_cbranch_execz .LBB199_303
; %bb.67:
	v_bfe_u32 v5, v0, 20, 1
	s_mov_b32 s16, 0x487ffff
	v_add3_u32 v5, v0, v5, s16
	s_mov_b64 s[10:11], exec
	v_lshrrev_b32_e32 v5, 20, v5
	s_andn2_saveexec_b64 s[12:13], s[12:13]
	s_cbranch_execnz .LBB199_304
.LBB199_68:
	s_or_b64 exec, exec, s[12:13]
	v_mov_b32_e32 v6, 0
	s_and_saveexec_b64 s[12:13], s[10:11]
.LBB199_69:
	v_lshrrev_b32_e32 v0, 24, v0
	s_movk_i32 s10, 0x80
	v_and_or_b32 v6, v0, s10, v5
.LBB199_70:
	s_or_b64 exec, exec, s[12:13]
.LBB199_71:
	s_or_b64 exec, exec, s[8:9]
	global_store_byte v[3:4], v6, off
.LBB199_72:
	s_mov_b64 s[8:9], -1
.LBB199_73:
	s_mov_b64 s[10:11], 0
.LBB199_74:
	s_and_b64 vcc, exec, s[10:11]
	s_cbranch_vccz .LBB199_115
; %bb.75:
	s_cmp_gt_i32 s15, 22
	s_mov_b64 s[10:11], -1
	s_cbranch_scc0 .LBB199_107
; %bb.76:
	s_cmp_lt_i32 s15, 24
	s_mov_b64 s[8:9], -1
	s_cbranch_scc1 .LBB199_96
; %bb.77:
	s_cmp_gt_i32 s15, 24
	s_cbranch_scc0 .LBB199_85
; %bb.78:
	v_xor_b32_e32 v5, v1, v2
	v_ffbh_i32_e32 v0, v2
	v_ashrrev_i32_e32 v5, 31, v5
	v_add_u32_e32 v0, -1, v0
	v_add_u32_e32 v5, 32, v5
	v_min_u32_e32 v0, v0, v5
	v_lshlrev_b64 v[5:6], v0, v[1:2]
	v_sub_u32_e32 v0, 32, v0
	v_min_u32_e32 v5, 1, v5
	v_or_b32_e32 v5, v6, v5
	v_cvt_f32_i32_e32 v5, v5
	s_mov_b32 s8, 0x47800000
	v_mov_b32_e32 v6, 0x80
	v_ldexp_f32 v0, v5, v0
	v_and_b32_e32 v5, 0x7fffffff, v0
	v_cmp_gt_u32_e32 vcc, s8, v5
	s_and_saveexec_b64 s[8:9], vcc
	s_cbranch_execz .LBB199_84
; %bb.79:
	s_mov_b32 s10, 0x37ffffff
	v_cmp_lt_u32_e32 vcc, s10, v5
	s_mov_b64 s[10:11], 0
                                        ; implicit-def: $vgpr5
	s_and_saveexec_b64 s[12:13], vcc
	s_xor_b64 s[12:13], exec, s[12:13]
	s_cbranch_execz .LBB199_307
; %bb.80:
	v_bfe_u32 v5, v0, 21, 1
	s_mov_b32 s16, 0x88fffff
	v_add3_u32 v5, v0, v5, s16
	s_mov_b64 s[10:11], exec
	v_lshrrev_b32_e32 v5, 21, v5
	s_andn2_saveexec_b64 s[12:13], s[12:13]
	s_cbranch_execnz .LBB199_308
.LBB199_81:
	s_or_b64 exec, exec, s[12:13]
	v_mov_b32_e32 v6, 0
	s_and_saveexec_b64 s[12:13], s[10:11]
.LBB199_82:
	v_lshrrev_b32_e32 v0, 24, v0
	s_movk_i32 s10, 0x80
	v_and_or_b32 v6, v0, s10, v5
.LBB199_83:
	s_or_b64 exec, exec, s[12:13]
.LBB199_84:
	s_or_b64 exec, exec, s[8:9]
	s_mov_b64 s[8:9], 0
	global_store_byte v[3:4], v6, off
.LBB199_85:
	s_and_b64 vcc, exec, s[8:9]
	s_cbranch_vccz .LBB199_95
; %bb.86:
	v_xor_b32_e32 v5, v1, v2
	v_ffbh_i32_e32 v0, v2
	v_ashrrev_i32_e32 v5, 31, v5
	v_add_u32_e32 v0, -1, v0
	v_add_u32_e32 v5, 32, v5
	v_min_u32_e32 v0, v0, v5
	v_lshlrev_b64 v[5:6], v0, v[1:2]
	v_sub_u32_e32 v0, 32, v0
	v_min_u32_e32 v5, 1, v5
	v_or_b32_e32 v5, v6, v5
	v_cvt_f32_i32_e32 v5, v5
	s_mov_b32 s8, 0x43f00000
	v_ldexp_f32 v0, v5, v0
	v_and_b32_e32 v6, 0x7fffffff, v0
	v_cmp_gt_u32_e32 vcc, s8, v6
                                        ; implicit-def: $vgpr5
	s_and_saveexec_b64 s[8:9], vcc
	s_xor_b64 s[8:9], exec, s[8:9]
	s_cbranch_execz .LBB199_92
; %bb.87:
	s_mov_b32 s10, 0x3c7fffff
	v_cmp_lt_u32_e32 vcc, s10, v6
                                        ; implicit-def: $vgpr5
	s_and_saveexec_b64 s[10:11], vcc
	s_xor_b64 s[10:11], exec, s[10:11]
; %bb.88:
	v_bfe_u32 v5, v0, 20, 1
	s_mov_b32 s12, 0x407ffff
	v_add3_u32 v5, v0, v5, s12
	v_lshrrev_b32_e32 v6, 20, v5
	v_and_b32_e32 v5, 0xff00000, v5
	s_mov_b32 s12, 0x7f00000
	v_mov_b32_e32 v7, 0x7e
	v_cmp_ne_u32_e32 vcc, s12, v5
	v_cndmask_b32_e32 v5, v7, v6, vcc
; %bb.89:
	s_andn2_saveexec_b64 s[10:11], s[10:11]
; %bb.90:
	s_mov_b32 s12, 0x46800000
	v_add_f32_e64 v5, |v0|, s12
; %bb.91:
	s_or_b64 exec, exec, s[10:11]
                                        ; implicit-def: $vgpr6
.LBB199_92:
	s_andn2_saveexec_b64 s[8:9], s[8:9]
; %bb.93:
	s_mov_b32 s10, 0x7f800000
	v_mov_b32_e32 v5, 0x7e
	v_mov_b32_e32 v7, 0x7f
	v_cmp_lt_u32_e32 vcc, s10, v6
	v_cndmask_b32_e32 v5, v5, v7, vcc
; %bb.94:
	s_or_b64 exec, exec, s[8:9]
	v_lshrrev_b32_e32 v0, 24, v0
	s_movk_i32 s8, 0x80
	v_and_or_b32 v0, v0, s8, v5
	global_store_byte v[3:4], v0, off
.LBB199_95:
	s_mov_b64 s[8:9], 0
.LBB199_96:
	s_andn2_b64 vcc, exec, s[8:9]
	s_cbranch_vccnz .LBB199_106
; %bb.97:
	v_xor_b32_e32 v5, v1, v2
	v_ffbh_i32_e32 v0, v2
	v_ashrrev_i32_e32 v5, 31, v5
	v_add_u32_e32 v0, -1, v0
	v_add_u32_e32 v5, 32, v5
	v_min_u32_e32 v0, v0, v5
	v_lshlrev_b64 v[5:6], v0, v[1:2]
	v_sub_u32_e32 v0, 32, v0
	v_min_u32_e32 v5, 1, v5
	v_or_b32_e32 v5, v6, v5
	v_cvt_f32_i32_e32 v5, v5
	s_mov_b32 s8, 0x47800000
	v_ldexp_f32 v0, v5, v0
	v_and_b32_e32 v6, 0x7fffffff, v0
	v_cmp_gt_u32_e32 vcc, s8, v6
                                        ; implicit-def: $vgpr5
	s_and_saveexec_b64 s[8:9], vcc
	s_xor_b64 s[8:9], exec, s[8:9]
	s_cbranch_execz .LBB199_103
; %bb.98:
	s_mov_b32 s10, 0x387fffff
	v_cmp_lt_u32_e32 vcc, s10, v6
                                        ; implicit-def: $vgpr5
	s_and_saveexec_b64 s[10:11], vcc
	s_xor_b64 s[10:11], exec, s[10:11]
; %bb.99:
	v_bfe_u32 v5, v0, 21, 1
	s_mov_b32 s12, 0x80fffff
	v_add3_u32 v5, v0, v5, s12
	v_lshrrev_b32_e32 v5, 21, v5
; %bb.100:
	s_andn2_saveexec_b64 s[10:11], s[10:11]
; %bb.101:
	s_mov_b32 s12, 0x43000000
	v_add_f32_e64 v5, |v0|, s12
; %bb.102:
	s_or_b64 exec, exec, s[10:11]
                                        ; implicit-def: $vgpr6
.LBB199_103:
	s_andn2_saveexec_b64 s[8:9], s[8:9]
; %bb.104:
	s_mov_b32 s10, 0x7f800000
	v_mov_b32_e32 v5, 0x7c
	v_mov_b32_e32 v7, 0x7f
	v_cmp_lt_u32_e32 vcc, s10, v6
	v_cndmask_b32_e32 v5, v5, v7, vcc
; %bb.105:
	s_or_b64 exec, exec, s[8:9]
	v_lshrrev_b32_e32 v0, 24, v0
	s_movk_i32 s8, 0x80
	v_and_or_b32 v0, v0, s8, v5
	global_store_byte v[3:4], v0, off
.LBB199_106:
	s_mov_b64 s[10:11], 0
	s_mov_b64 s[8:9], -1
.LBB199_107:
	s_andn2_b64 vcc, exec, s[10:11]
	s_cbranch_vccnz .LBB199_115
; %bb.108:
	s_cmp_gt_i32 s15, 14
	s_mov_b64 s[10:11], -1
	s_cbranch_scc0 .LBB199_112
; %bb.109:
	s_cmp_eq_u32 s15, 15
	s_mov_b64 s[0:1], -1
	s_cbranch_scc0 .LBB199_111
; %bb.110:
	v_xor_b32_e32 v5, v1, v2
	v_ffbh_i32_e32 v0, v2
	v_ashrrev_i32_e32 v5, 31, v5
	v_add_u32_e32 v0, -1, v0
	v_add_u32_e32 v5, 32, v5
	v_min_u32_e32 v0, v0, v5
	v_lshlrev_b64 v[5:6], v0, v[1:2]
	v_sub_u32_e32 v0, 32, v0
	v_min_u32_e32 v5, 1, v5
	v_or_b32_e32 v5, v6, v5
	v_cvt_f32_i32_e32 v5, v5
	s_movk_i32 s0, 0x7fff
	s_mov_b64 s[8:9], -1
	v_ldexp_f32 v0, v5, v0
	v_bfe_u32 v5, v0, 16, 1
	v_add3_u32 v0, v0, v5, s0
	global_store_short_d16_hi v[3:4], v0, off
	s_mov_b64 s[0:1], 0
.LBB199_111:
	s_mov_b64 s[10:11], 0
.LBB199_112:
	s_and_b64 vcc, exec, s[10:11]
	s_cbranch_vccz .LBB199_115
; %bb.113:
	s_cmp_eq_u32 s15, 11
	s_mov_b64 s[0:1], -1
	s_cbranch_scc0 .LBB199_115
; %bb.114:
	v_cmp_ne_u64_e32 vcc, 0, v[1:2]
	s_mov_b64 s[0:1], 0
	v_cndmask_b32_e64 v0, 0, 1, vcc
	s_mov_b64 s[8:9], -1
	global_store_byte v[3:4], v0, off
.LBB199_115:
	s_branch .LBB199_34
.LBB199_116:
	s_and_b32 s10, 0xffff, s14
	s_cmp_lt_i32 s10, 5
	s_mov_b64 s[8:9], -1
	s_cbranch_scc1 .LBB199_137
; %bb.117:
	s_cmp_lt_i32 s10, 8
	s_cbranch_scc1 .LBB199_127
; %bb.118:
	s_cmp_lt_i32 s10, 9
	s_cbranch_scc1 .LBB199_124
; %bb.119:
	s_cmp_gt_i32 s10, 9
	s_cbranch_scc0 .LBB199_121
; %bb.120:
	v_cvt_f64_i32_e32 v[5:6], v2
	v_cvt_f64_u32_e32 v[7:8], v1
	s_mov_b64 s[8:9], 0
	v_ldexp_f64 v[5:6], v[5:6], 32
	v_add_f64 v[5:6], v[5:6], v[7:8]
	v_mov_b32_e32 v7, 0
	v_mov_b32_e32 v8, v7
	global_store_dwordx4 v[3:4], v[5:8], off
.LBB199_121:
	s_andn2_b64 vcc, exec, s[8:9]
	s_cbranch_vccnz .LBB199_123
; %bb.122:
	v_xor_b32_e32 v5, v1, v2
	v_ffbh_i32_e32 v0, v2
	v_ashrrev_i32_e32 v5, 31, v5
	v_add_u32_e32 v0, -1, v0
	v_add_u32_e32 v5, 32, v5
	v_min_u32_e32 v0, v0, v5
	v_lshlrev_b64 v[5:6], v0, v[1:2]
	v_sub_u32_e32 v0, 32, v0
	v_min_u32_e32 v5, 1, v5
	v_or_b32_e32 v5, v6, v5
	v_cvt_f32_i32_e32 v5, v5
	v_mov_b32_e32 v6, 0
	v_ldexp_f32 v5, v5, v0
	global_store_dwordx2 v[3:4], v[5:6], off
.LBB199_123:
	s_mov_b64 s[8:9], 0
.LBB199_124:
	s_andn2_b64 vcc, exec, s[8:9]
	s_cbranch_vccnz .LBB199_126
; %bb.125:
	v_xor_b32_e32 v5, v1, v2
	v_ffbh_i32_e32 v0, v2
	v_ashrrev_i32_e32 v5, 31, v5
	v_add_u32_e32 v0, -1, v0
	v_add_u32_e32 v5, 32, v5
	v_min_u32_e32 v0, v0, v5
	v_lshlrev_b64 v[5:6], v0, v[1:2]
	v_sub_u32_e32 v0, 32, v0
	v_min_u32_e32 v5, 1, v5
	v_or_b32_e32 v5, v6, v5
	v_cvt_f32_i32_e32 v5, v5
	v_ldexp_f32 v0, v5, v0
	v_cvt_f16_f32_e32 v0, v0
	global_store_dword v[3:4], v0, off
.LBB199_126:
	s_mov_b64 s[8:9], 0
.LBB199_127:
	s_andn2_b64 vcc, exec, s[8:9]
	s_cbranch_vccnz .LBB199_136
; %bb.128:
	s_cmp_lt_i32 s10, 6
	s_mov_b64 s[8:9], -1
	s_cbranch_scc1 .LBB199_134
; %bb.129:
	s_cmp_gt_i32 s10, 6
	s_cbranch_scc0 .LBB199_131
; %bb.130:
	v_cvt_f64_i32_e32 v[5:6], v2
	v_cvt_f64_u32_e32 v[7:8], v1
	s_mov_b64 s[8:9], 0
	v_ldexp_f64 v[5:6], v[5:6], 32
	v_add_f64 v[5:6], v[5:6], v[7:8]
	global_store_dwordx2 v[3:4], v[5:6], off
.LBB199_131:
	s_andn2_b64 vcc, exec, s[8:9]
	s_cbranch_vccnz .LBB199_133
; %bb.132:
	v_xor_b32_e32 v5, v1, v2
	v_ffbh_i32_e32 v0, v2
	v_ashrrev_i32_e32 v5, 31, v5
	v_add_u32_e32 v0, -1, v0
	v_add_u32_e32 v5, 32, v5
	v_min_u32_e32 v0, v0, v5
	v_lshlrev_b64 v[5:6], v0, v[1:2]
	v_sub_u32_e32 v0, 32, v0
	v_min_u32_e32 v5, 1, v5
	v_or_b32_e32 v5, v6, v5
	v_cvt_f32_i32_e32 v5, v5
	v_ldexp_f32 v0, v5, v0
	global_store_dword v[3:4], v0, off
.LBB199_133:
	s_mov_b64 s[8:9], 0
.LBB199_134:
	s_andn2_b64 vcc, exec, s[8:9]
	s_cbranch_vccnz .LBB199_136
; %bb.135:
	v_xor_b32_e32 v5, v1, v2
	v_ffbh_i32_e32 v0, v2
	v_ashrrev_i32_e32 v5, 31, v5
	v_add_u32_e32 v0, -1, v0
	v_add_u32_e32 v5, 32, v5
	v_min_u32_e32 v0, v0, v5
	v_lshlrev_b64 v[5:6], v0, v[1:2]
	v_sub_u32_e32 v0, 32, v0
	v_min_u32_e32 v5, 1, v5
	v_or_b32_e32 v5, v6, v5
	v_cvt_f32_i32_e32 v5, v5
	v_ldexp_f32 v0, v5, v0
	v_cvt_f16_f32_e32 v0, v0
	global_store_short v[3:4], v0, off
.LBB199_136:
	s_mov_b64 s[8:9], 0
.LBB199_137:
	s_andn2_b64 vcc, exec, s[8:9]
	s_cbranch_vccnz .LBB199_153
; %bb.138:
	s_cmp_lt_i32 s10, 2
	s_mov_b64 s[8:9], -1
	s_cbranch_scc1 .LBB199_148
; %bb.139:
	s_cmp_lt_i32 s10, 3
	s_cbranch_scc1 .LBB199_145
; %bb.140:
	s_cmp_gt_i32 s10, 3
	s_cbranch_scc0 .LBB199_142
; %bb.141:
	global_store_dwordx2 v[3:4], v[1:2], off
	s_mov_b64 s[8:9], 0
.LBB199_142:
	s_andn2_b64 vcc, exec, s[8:9]
	s_cbranch_vccnz .LBB199_144
; %bb.143:
	global_store_dword v[3:4], v1, off
.LBB199_144:
	s_mov_b64 s[8:9], 0
.LBB199_145:
	s_andn2_b64 vcc, exec, s[8:9]
	s_cbranch_vccnz .LBB199_147
; %bb.146:
	global_store_short v[3:4], v1, off
.LBB199_147:
	s_mov_b64 s[8:9], 0
.LBB199_148:
	s_andn2_b64 vcc, exec, s[8:9]
	s_cbranch_vccnz .LBB199_153
; %bb.149:
	s_cmp_gt_i32 s10, 0
	s_mov_b64 s[8:9], -1
	s_cbranch_scc0 .LBB199_151
; %bb.150:
	global_store_byte v[3:4], v1, off
	s_mov_b64 s[8:9], 0
.LBB199_151:
	s_andn2_b64 vcc, exec, s[8:9]
	s_cbranch_vccnz .LBB199_153
; %bb.152:
	global_store_byte v[3:4], v1, off
.LBB199_153:
.LBB199_154:
	v_add_u32_e32 v11, 0x80, v11
	s_mov_b64 s[8:9], -1
	s_branch .LBB199_261
.LBB199_155:
	s_mov_b64 s[2:3], -1
                                        ; implicit-def: $vgpr3_vgpr4
.LBB199_156:
	s_mov_b64 s[8:9], 0
.LBB199_157:
	s_and_b64 vcc, exec, s[8:9]
	s_cbranch_vccz .LBB199_161
; %bb.158:
	s_cmp_eq_u32 s10, 29
	s_cbranch_scc0 .LBB199_160
; %bb.159:
	global_load_dwordx2 v[3:4], v[1:2], off
	s_mov_b64 s[0:1], -1
	s_mov_b64 s[2:3], 0
	s_branch .LBB199_161
.LBB199_160:
	s_mov_b64 s[2:3], -1
                                        ; implicit-def: $vgpr3_vgpr4
.LBB199_161:
	s_mov_b64 s[8:9], 0
.LBB199_162:
	s_and_b64 vcc, exec, s[8:9]
	s_cbranch_vccz .LBB199_180
; %bb.163:
	s_cmp_lt_i32 s10, 27
	s_cbranch_scc1 .LBB199_166
; %bb.164:
	s_cmp_gt_i32 s10, 27
	s_cbranch_scc0 .LBB199_167
; %bb.165:
	global_load_dword v3, v[1:2], off
	s_waitcnt vmcnt(1)
	v_mov_b32_e32 v4, 0
	s_mov_b64 s[0:1], 0
	s_branch .LBB199_168
.LBB199_166:
	s_mov_b64 s[0:1], -1
                                        ; implicit-def: $vgpr3_vgpr4
	s_branch .LBB199_171
.LBB199_167:
	s_mov_b64 s[0:1], -1
                                        ; implicit-def: $vgpr3_vgpr4
.LBB199_168:
	s_andn2_b64 vcc, exec, s[0:1]
	s_cbranch_vccnz .LBB199_170
; %bb.169:
	global_load_ushort v3, v[1:2], off
	s_mov_b32 s0, 0
	s_waitcnt vmcnt(1)
	v_mov_b32_e32 v4, s0
	s_waitcnt vmcnt(0)
	v_and_b32_e32 v3, 0xffff, v3
.LBB199_170:
	s_mov_b64 s[0:1], 0
.LBB199_171:
	s_andn2_b64 vcc, exec, s[0:1]
	s_cbranch_vccnz .LBB199_179
; %bb.172:
	global_load_ubyte v5, v[1:2], off
	s_movk_i32 s0, 0x7f
	s_mov_b64 s[8:9], 0
	s_waitcnt vmcnt(0)
	v_cmp_lt_i16_e32 vcc, s0, v5
	s_and_saveexec_b64 s[0:1], vcc
	s_xor_b64 s[0:1], exec, s[0:1]
; %bb.173:
	s_movk_i32 s8, 0x80
	v_cmp_ne_u16_e32 vcc, s8, v5
	s_and_b64 s[8:9], vcc, exec
; %bb.174:
	s_andn2_saveexec_b64 s[0:1], s[0:1]
; %bb.175:
	v_cmp_ne_u16_e32 vcc, 0, v5
	s_andn2_b64 s[8:9], s[8:9], exec
	s_and_b64 s[12:13], vcc, exec
	s_or_b64 s[8:9], s[8:9], s[12:13]
; %bb.176:
	s_or_b64 exec, exec, s[0:1]
	v_mov_b32_e32 v3, 0
	v_mov_b32_e32 v4, 0
	s_and_saveexec_b64 s[0:1], s[8:9]
	s_cbranch_execz .LBB199_178
; %bb.177:
	v_and_b32_e32 v4, 0xffff, v5
	v_lshlrev_b32_e32 v3, 24, v5
	v_and_b32_e32 v5, 7, v4
	v_ffbh_u32_e32 v7, v5
	v_min_u32_e32 v7, 32, v7
	v_subrev_u32_e32 v8, 28, v7
	v_bfe_u32 v6, v4, 3, 4
	v_lshlrev_b32_e32 v4, v8, v4
	v_sub_u32_e32 v7, 29, v7
	v_and_b32_e32 v4, 7, v4
	v_cmp_eq_u32_e32 vcc, 0, v6
	v_cndmask_b32_e32 v6, v6, v7, vcc
	v_cndmask_b32_e32 v4, v5, v4, vcc
	v_mov_b32_e32 v5, 0x3b800000
	v_lshlrev_b32_e32 v4, 20, v4
	v_and_b32_e32 v3, 0x80000000, v3
	v_lshl_add_u32 v5, v6, 23, v5
	v_or3_b32 v3, v3, v5, v4
	v_trunc_f32_e32 v3, v3
	s_mov_b32 s8, 0x2f800000
	v_mul_f32_e64 v4, |v3|, s8
	v_floor_f32_e32 v4, v4
	s_mov_b32 s8, 0xcf800000
	v_fma_f32 v5, v4, s8, |v3|
	v_cvt_u32_f32_e32 v5, v5
	v_cvt_u32_f32_e32 v4, v4
	v_ashrrev_i32_e32 v6, 31, v3
	v_xor_b32_e32 v3, v5, v6
	v_xor_b32_e32 v4, v4, v6
	v_sub_co_u32_e32 v3, vcc, v3, v6
	v_subb_co_u32_e32 v4, vcc, v4, v6, vcc
.LBB199_178:
	s_or_b64 exec, exec, s[0:1]
.LBB199_179:
	s_mov_b64 s[0:1], -1
.LBB199_180:
	s_branch .LBB199_211
.LBB199_181:
	s_cmp_gt_i32 s10, 22
	s_cbranch_scc0 .LBB199_191
; %bb.182:
	s_cmp_lt_i32 s10, 24
	s_cbranch_scc1 .LBB199_192
; %bb.183:
	s_cmp_gt_i32 s10, 24
	s_cbranch_scc0 .LBB199_193
; %bb.184:
	global_load_ubyte v5, v[1:2], off
	s_movk_i32 s0, 0x7f
	s_mov_b64 s[8:9], 0
	s_waitcnt vmcnt(0)
	v_cmp_lt_i16_e32 vcc, s0, v5
	s_and_saveexec_b64 s[0:1], vcc
	s_xor_b64 s[0:1], exec, s[0:1]
; %bb.185:
	s_movk_i32 s8, 0x80
	v_cmp_ne_u16_e32 vcc, s8, v5
	s_and_b64 s[8:9], vcc, exec
; %bb.186:
	s_andn2_saveexec_b64 s[0:1], s[0:1]
; %bb.187:
	v_cmp_ne_u16_e32 vcc, 0, v5
	s_andn2_b64 s[8:9], s[8:9], exec
	s_and_b64 s[12:13], vcc, exec
	s_or_b64 s[8:9], s[8:9], s[12:13]
; %bb.188:
	s_or_b64 exec, exec, s[0:1]
	v_mov_b32_e32 v3, 0
	v_mov_b32_e32 v4, 0
	s_and_saveexec_b64 s[0:1], s[8:9]
	s_cbranch_execz .LBB199_190
; %bb.189:
	v_and_b32_e32 v4, 0xffff, v5
	v_lshlrev_b32_e32 v3, 24, v5
	v_and_b32_e32 v5, 3, v4
	v_ffbh_u32_e32 v7, v5
	v_min_u32_e32 v7, 32, v7
	v_subrev_u32_e32 v8, 29, v7
	v_bfe_u32 v6, v4, 2, 5
	v_lshlrev_b32_e32 v4, v8, v4
	v_sub_u32_e32 v7, 30, v7
	v_and_b32_e32 v4, 3, v4
	v_cmp_eq_u32_e32 vcc, 0, v6
	v_cndmask_b32_e32 v6, v6, v7, vcc
	v_cndmask_b32_e32 v4, v5, v4, vcc
	v_mov_b32_e32 v5, 0x37800000
	v_lshlrev_b32_e32 v4, 21, v4
	v_and_b32_e32 v3, 0x80000000, v3
	v_lshl_add_u32 v5, v6, 23, v5
	v_or3_b32 v3, v3, v5, v4
	v_trunc_f32_e32 v3, v3
	s_mov_b32 s8, 0x2f800000
	v_mul_f32_e64 v4, |v3|, s8
	v_floor_f32_e32 v4, v4
	s_mov_b32 s8, 0xcf800000
	v_fma_f32 v5, v4, s8, |v3|
	v_cvt_u32_f32_e32 v5, v5
	v_cvt_u32_f32_e32 v4, v4
	v_ashrrev_i32_e32 v6, 31, v3
	v_xor_b32_e32 v3, v5, v6
	v_xor_b32_e32 v4, v4, v6
	v_sub_co_u32_e32 v3, vcc, v3, v6
	v_subb_co_u32_e32 v4, vcc, v4, v6, vcc
.LBB199_190:
	s_or_b64 exec, exec, s[0:1]
	s_mov_b64 s[0:1], 0
	s_branch .LBB199_194
.LBB199_191:
	s_mov_b64 s[8:9], -1
                                        ; implicit-def: $vgpr3_vgpr4
	s_branch .LBB199_200
.LBB199_192:
	s_mov_b64 s[0:1], -1
                                        ; implicit-def: $vgpr3_vgpr4
	s_branch .LBB199_197
.LBB199_193:
	s_mov_b64 s[0:1], -1
                                        ; implicit-def: $vgpr3_vgpr4
.LBB199_194:
	s_and_b64 vcc, exec, s[0:1]
	s_cbranch_vccz .LBB199_196
; %bb.195:
	global_load_ubyte v3, v[1:2], off
	s_mov_b32 s0, 0x7f800000
	s_brev_b32 s1, 1
	s_mov_b32 s8, 0x2f800000
	s_mov_b32 s9, 0xcf800000
	s_waitcnt vmcnt(0)
	v_lshlrev_b32_e32 v3, 24, v3
	v_and_b32_e32 v4, 0x7f000000, v3
	v_ffbh_u32_e32 v5, v4
	v_min_u32_e32 v5, 32, v5
	v_sub_u32_e64 v5, v5, 4 clamp
	v_lshlrev_b32_e32 v7, v5, v4
	v_lshlrev_b32_e32 v5, 23, v5
	v_lshrrev_b32_e32 v7, 4, v7
	v_add_u32_e32 v6, 0x1000000, v4
	v_sub_u32_e32 v5, v7, v5
	v_ashrrev_i32_e32 v6, 8, v6
	v_add_u32_e32 v5, 0x3c000000, v5
	v_and_or_b32 v5, v6, s0, v5
	v_cmp_ne_u32_e32 vcc, 0, v4
	v_cndmask_b32_e32 v4, 0, v5, vcc
	v_and_or_b32 v3, v3, s1, v4
	v_trunc_f32_e32 v3, v3
	v_mul_f32_e64 v4, |v3|, s8
	v_floor_f32_e32 v4, v4
	v_fma_f32 v5, v4, s9, |v3|
	v_cvt_u32_f32_e32 v5, v5
	v_cvt_u32_f32_e32 v4, v4
	v_ashrrev_i32_e32 v6, 31, v3
	v_xor_b32_e32 v3, v5, v6
	v_xor_b32_e32 v4, v4, v6
	v_sub_co_u32_e32 v3, vcc, v3, v6
	v_subb_co_u32_e32 v4, vcc, v4, v6, vcc
.LBB199_196:
	s_mov_b64 s[0:1], 0
.LBB199_197:
	s_andn2_b64 vcc, exec, s[0:1]
	s_cbranch_vccnz .LBB199_199
; %bb.198:
	global_load_ubyte v3, v[1:2], off
	s_movk_i32 s0, 0x7f00
	s_brev_b32 s1, 16
	s_brev_b32 s8, 1
	s_mov_b32 s9, 0x2f800000
	s_mov_b32 s11, 0xcf800000
	s_waitcnt vmcnt(0)
	v_lshlrev_b16_e32 v4, 8, v3
	v_lshlrev_b32_e32 v3, 25, v3
	v_lshrrev_b32_e32 v5, 4, v3
	v_and_or_b32 v6, v4, s0, 0.5
	v_or_b32_e32 v5, 0x70000000, v5
	v_add_f32_e32 v6, -0.5, v6
	v_mul_f32_e32 v5, 0x7800000, v5
	v_cmp_gt_u32_e32 vcc, s1, v3
	v_bfe_i32 v4, v4, 0, 16
	v_cndmask_b32_e32 v3, v5, v6, vcc
	v_and_or_b32 v3, v4, s8, v3
	v_trunc_f32_e32 v3, v3
	v_mul_f32_e64 v4, |v3|, s9
	v_floor_f32_e32 v4, v4
	v_fma_f32 v5, v4, s11, |v3|
	v_cvt_u32_f32_e32 v5, v5
	v_cvt_u32_f32_e32 v4, v4
	v_ashrrev_i32_e32 v6, 31, v3
	v_xor_b32_e32 v3, v5, v6
	v_xor_b32_e32 v4, v4, v6
	v_sub_co_u32_e32 v3, vcc, v3, v6
	v_subb_co_u32_e32 v4, vcc, v4, v6, vcc
.LBB199_199:
	s_mov_b64 s[8:9], 0
	s_mov_b64 s[0:1], -1
.LBB199_200:
	s_andn2_b64 vcc, exec, s[8:9]
	s_cbranch_vccnz .LBB199_211
; %bb.201:
	s_cmp_gt_i32 s10, 14
	s_cbranch_scc0 .LBB199_204
; %bb.202:
	s_cmp_eq_u32 s10, 15
	s_cbranch_scc0 .LBB199_205
; %bb.203:
	global_load_ushort v3, v[1:2], off
	s_mov_b32 s0, 0x2f800000
	s_mov_b32 s1, 0xcf800000
	s_mov_b64 s[2:3], 0
	s_waitcnt vmcnt(0)
	v_lshlrev_b32_e32 v3, 16, v3
	v_trunc_f32_e32 v3, v3
	v_mul_f32_e64 v4, |v3|, s0
	v_floor_f32_e32 v4, v4
	v_fma_f32 v5, v4, s1, |v3|
	v_cvt_u32_f32_e32 v5, v5
	v_cvt_u32_f32_e32 v4, v4
	v_ashrrev_i32_e32 v6, 31, v3
	s_mov_b64 s[0:1], -1
	v_xor_b32_e32 v3, v5, v6
	v_xor_b32_e32 v4, v4, v6
	v_sub_co_u32_e32 v3, vcc, v3, v6
	v_subb_co_u32_e32 v4, vcc, v4, v6, vcc
	s_branch .LBB199_206
.LBB199_204:
	s_mov_b64 s[8:9], -1
                                        ; implicit-def: $vgpr3_vgpr4
	s_branch .LBB199_207
.LBB199_205:
	s_mov_b64 s[2:3], -1
                                        ; implicit-def: $vgpr3_vgpr4
.LBB199_206:
	s_mov_b64 s[8:9], 0
.LBB199_207:
	s_and_b64 vcc, exec, s[8:9]
	s_cbranch_vccz .LBB199_211
; %bb.208:
	s_cmp_eq_u32 s10, 11
	s_cbranch_scc0 .LBB199_210
; %bb.209:
	global_load_ubyte v3, v[1:2], off
	s_mov_b32 s2, 0
	s_mov_b64 s[0:1], -1
	s_waitcnt vmcnt(1)
	v_mov_b32_e32 v4, s2
	s_mov_b64 s[2:3], 0
	s_waitcnt vmcnt(0)
	v_cmp_ne_u16_e32 vcc, 0, v3
	v_cndmask_b32_e64 v3, 0, 1, vcc
	s_branch .LBB199_211
.LBB199_210:
	s_mov_b64 s[2:3], -1
                                        ; implicit-def: $vgpr3_vgpr4
.LBB199_211:
	s_branch .LBB199_24
.LBB199_212:
	s_cmp_lt_i32 s10, 5
	s_cbranch_scc1 .LBB199_217
; %bb.213:
	s_cmp_lt_i32 s10, 8
	s_cbranch_scc1 .LBB199_218
; %bb.214:
	;; [unrolled: 3-line block ×3, first 2 shown]
	s_cmp_gt_i32 s10, 9
	s_cbranch_scc0 .LBB199_220
; %bb.216:
	global_load_dwordx2 v[3:4], v[1:2], off
	s_movk_i32 s0, 0xffe0
	s_waitcnt vmcnt(0)
	v_trunc_f64_e32 v[3:4], v[3:4]
	v_ldexp_f64 v[5:6], v[3:4], s0
	s_mov_b32 s0, 0
	s_mov_b32 s1, 0xc1f00000
	v_floor_f64_e32 v[5:6], v[5:6]
	v_fma_f64 v[7:8], v[5:6], s[0:1], v[3:4]
	v_cvt_i32_f64_e32 v4, v[5:6]
	s_mov_b64 s[0:1], 0
	v_cvt_u32_f64_e32 v3, v[7:8]
	s_branch .LBB199_221
.LBB199_217:
                                        ; implicit-def: $vgpr3_vgpr4
	s_branch .LBB199_239
.LBB199_218:
	s_mov_b64 s[0:1], -1
                                        ; implicit-def: $vgpr3_vgpr4
	s_branch .LBB199_227
.LBB199_219:
	s_mov_b64 s[0:1], -1
                                        ; implicit-def: $vgpr3_vgpr4
	s_branch .LBB199_224
.LBB199_220:
	s_mov_b64 s[0:1], -1
                                        ; implicit-def: $vgpr3_vgpr4
.LBB199_221:
	s_andn2_b64 vcc, exec, s[0:1]
	s_cbranch_vccnz .LBB199_223
; %bb.222:
	global_load_dword v3, v[1:2], off
	s_mov_b32 s0, 0x2f800000
	s_mov_b32 s1, 0xcf800000
	s_waitcnt vmcnt(0)
	v_trunc_f32_e32 v3, v3
	v_mul_f32_e64 v4, |v3|, s0
	v_floor_f32_e32 v4, v4
	v_cvt_u32_f32_e32 v5, v4
	v_fma_f32 v4, v4, s1, |v3|
	v_cvt_u32_f32_e32 v4, v4
	v_ashrrev_i32_e32 v6, 31, v3
	v_xor_b32_e32 v5, v5, v6
	v_xor_b32_e32 v3, v4, v6
	v_sub_co_u32_e32 v3, vcc, v3, v6
	v_subb_co_u32_e32 v4, vcc, v5, v6, vcc
.LBB199_223:
	s_mov_b64 s[0:1], 0
.LBB199_224:
	s_andn2_b64 vcc, exec, s[0:1]
	s_cbranch_vccnz .LBB199_226
; %bb.225:
	global_load_dword v3, v[1:2], off
	s_waitcnt vmcnt(0)
	v_cvt_f32_f16_e32 v3, v3
	v_cvt_i32_f32_e32 v3, v3
	v_ashrrev_i32_e32 v4, 31, v3
.LBB199_226:
	s_mov_b64 s[0:1], 0
.LBB199_227:
	s_andn2_b64 vcc, exec, s[0:1]
	s_cbranch_vccnz .LBB199_238
; %bb.228:
	s_cmp_lt_i32 s10, 6
	s_cbranch_scc1 .LBB199_231
; %bb.229:
	s_cmp_gt_i32 s10, 6
	s_cbranch_scc0 .LBB199_232
; %bb.230:
	global_load_dwordx2 v[3:4], v[1:2], off
	s_movk_i32 s0, 0xffe0
	s_waitcnt vmcnt(0)
	v_trunc_f64_e32 v[3:4], v[3:4]
	v_ldexp_f64 v[5:6], v[3:4], s0
	s_mov_b32 s0, 0
	s_mov_b32 s1, 0xc1f00000
	v_floor_f64_e32 v[5:6], v[5:6]
	v_fma_f64 v[7:8], v[5:6], s[0:1], v[3:4]
	v_cvt_i32_f64_e32 v4, v[5:6]
	s_mov_b64 s[0:1], 0
	v_cvt_u32_f64_e32 v3, v[7:8]
	s_branch .LBB199_233
.LBB199_231:
	s_mov_b64 s[0:1], -1
                                        ; implicit-def: $vgpr3_vgpr4
	s_branch .LBB199_236
.LBB199_232:
	s_mov_b64 s[0:1], -1
                                        ; implicit-def: $vgpr3_vgpr4
.LBB199_233:
	s_andn2_b64 vcc, exec, s[0:1]
	s_cbranch_vccnz .LBB199_235
; %bb.234:
	global_load_dword v3, v[1:2], off
	s_mov_b32 s0, 0x2f800000
	s_mov_b32 s1, 0xcf800000
	s_waitcnt vmcnt(0)
	v_trunc_f32_e32 v3, v3
	v_mul_f32_e64 v4, |v3|, s0
	v_floor_f32_e32 v4, v4
	v_cvt_u32_f32_e32 v5, v4
	v_fma_f32 v4, v4, s1, |v3|
	v_cvt_u32_f32_e32 v4, v4
	v_ashrrev_i32_e32 v6, 31, v3
	v_xor_b32_e32 v5, v5, v6
	v_xor_b32_e32 v3, v4, v6
	v_sub_co_u32_e32 v3, vcc, v3, v6
	v_subb_co_u32_e32 v4, vcc, v5, v6, vcc
.LBB199_235:
	s_mov_b64 s[0:1], 0
.LBB199_236:
	s_andn2_b64 vcc, exec, s[0:1]
	s_cbranch_vccnz .LBB199_238
; %bb.237:
	global_load_ushort v3, v[1:2], off
	s_waitcnt vmcnt(0)
	v_cvt_f32_f16_e32 v3, v3
	v_cvt_i32_f32_e32 v3, v3
	v_ashrrev_i32_e32 v4, 31, v3
.LBB199_238:
	s_cbranch_execnz .LBB199_258
.LBB199_239:
	s_cmp_lt_i32 s10, 2
	s_cbranch_scc1 .LBB199_243
; %bb.240:
	s_cmp_lt_i32 s10, 3
	s_cbranch_scc1 .LBB199_244
; %bb.241:
	s_cmp_gt_i32 s10, 3
	s_cbranch_scc0 .LBB199_245
; %bb.242:
	global_load_dwordx2 v[3:4], v[1:2], off
	s_mov_b64 s[0:1], 0
	s_branch .LBB199_246
.LBB199_243:
	s_mov_b64 s[0:1], -1
                                        ; implicit-def: $vgpr3_vgpr4
	s_branch .LBB199_252
.LBB199_244:
	s_mov_b64 s[0:1], -1
                                        ; implicit-def: $vgpr3_vgpr4
	s_branch .LBB199_249
.LBB199_245:
	s_mov_b64 s[0:1], -1
                                        ; implicit-def: $vgpr3_vgpr4
.LBB199_246:
	s_andn2_b64 vcc, exec, s[0:1]
	s_cbranch_vccnz .LBB199_248
; %bb.247:
	global_load_dword v3, v[1:2], off
	s_waitcnt vmcnt(0)
	v_ashrrev_i32_e32 v4, 31, v3
.LBB199_248:
	s_mov_b64 s[0:1], 0
.LBB199_249:
	s_andn2_b64 vcc, exec, s[0:1]
	s_cbranch_vccnz .LBB199_251
; %bb.250:
	global_load_ushort v3, v[1:2], off
	s_waitcnt vmcnt(0)
	v_bfe_i32 v3, v3, 0, 16
	v_ashrrev_i32_e32 v4, 31, v3
.LBB199_251:
	s_mov_b64 s[0:1], 0
.LBB199_252:
	s_andn2_b64 vcc, exec, s[0:1]
	s_cbranch_vccnz .LBB199_258
; %bb.253:
	s_cmp_gt_i32 s10, 0
	s_cbranch_scc0 .LBB199_255
; %bb.254:
	global_load_sbyte v3, v[1:2], off
	s_mov_b64 s[0:1], 0
	s_waitcnt vmcnt(0)
	v_bfe_i32 v3, v3, 0, 16
	v_ashrrev_i32_e32 v4, 31, v3
	s_branch .LBB199_256
.LBB199_255:
	s_mov_b64 s[0:1], -1
                                        ; implicit-def: $vgpr3_vgpr4
.LBB199_256:
	s_andn2_b64 vcc, exec, s[0:1]
	s_cbranch_vccnz .LBB199_258
; %bb.257:
	global_load_ubyte v1, v[1:2], off
	s_mov_b32 s0, 0
	s_waitcnt vmcnt(1)
	v_mov_b32_e32 v4, s0
	s_waitcnt vmcnt(0)
	v_and_b32_e32 v3, 0xffff, v1
.LBB199_258:
	s_branch .LBB199_25
.LBB199_259:
	s_mov_b64 s[0:1], 0
.LBB199_260:
	s_mov_b64 s[8:9], 0
                                        ; implicit-def: $vgpr11
.LBB199_261:
	s_and_b64 s[54:55], s[0:1], exec
	s_and_b64 s[56:57], s[2:3], exec
	s_orn2_b64 s[2:3], s[8:9], exec
.LBB199_262:
	s_or_b64 exec, exec, s[58:59]
	s_mov_b64 s[10:11], 0
	s_mov_b64 s[0:1], 0
                                        ; implicit-def: $vgpr1_vgpr2
                                        ; implicit-def: $vgpr0
                                        ; implicit-def: $vgpr5_vgpr6
	s_and_saveexec_b64 s[58:59], s[2:3]
	s_cbranch_execz .LBB199_269
; %bb.263:
	v_cmp_gt_i32_e32 vcc, s72, v11
	s_mov_b64 s[0:1], -1
	s_mov_b64 s[60:61], s[56:57]
	s_mov_b64 s[62:63], s[54:55]
	s_and_saveexec_b64 s[64:65], vcc
	s_cbranch_execz .LBB199_534
; %bb.264:
	s_andn2_b64 vcc, exec, s[40:41]
	s_cbranch_vccnz .LBB199_272
; %bb.265:
	s_andn2_b64 vcc, exec, s[52:53]
	s_cbranch_vccnz .LBB199_273
; %bb.266:
	s_add_i32 s67, s77, 1
	s_cmp_eq_u32 s74, 2
	s_cbranch_scc1 .LBB199_274
; %bb.267:
	s_and_b32 s66, s67, 28
	v_mov_b32_e32 v2, 0
	s_mov_b32 s68, 0
	s_mov_b64 s[60:61], s[34:35]
	s_mov_b64 s[62:63], s[50:51]
	v_mov_b32_e32 v0, 0
	v_mov_b32_e32 v1, v11
.LBB199_268:                            ; =>This Inner Loop Header: Depth=1
	s_load_dwordx8 s[16:23], s[60:61], 0x4
	s_load_dwordx4 s[0:3], s[60:61], 0x24
	s_load_dwordx8 s[8:15], s[62:63], 0x0
	s_add_u32 s60, s60, 48
	s_addc_u32 s61, s61, 0
	s_waitcnt vmcnt(0) lgkmcnt(0)
	v_mul_hi_u32 v3, s17, v1
	s_add_i32 s68, s68, 4
	s_add_u32 s62, s62, 32
	s_addc_u32 s63, s63, 0
	v_add_u32_e32 v3, v1, v3
	v_lshrrev_b32_e32 v3, s18, v3
	v_mul_lo_u32 v4, v3, s16
	v_mul_hi_u32 v5, s20, v3
	s_cmp_eq_u32 s66, s68
	v_sub_u32_e32 v1, v1, v4
	v_add_u32_e32 v4, v3, v5
	v_mul_lo_u32 v5, v1, s8
	v_mul_lo_u32 v6, v1, s9
	v_lshrrev_b32_e32 v1, s21, v4
	v_mul_lo_u32 v4, v1, s19
	v_mul_hi_u32 v7, s23, v1
	v_sub_u32_e32 v3, v3, v4
	v_add_u32_e32 v4, v1, v7
	v_lshrrev_b32_e32 v4, s0, v4
	v_mul_hi_u32 v8, s2, v4
	v_mul_lo_u32 v9, v4, s22
	v_mul_lo_u32 v7, v3, s10
	v_mul_lo_u32 v3, v3, s11
	v_sub_u32_e32 v9, v1, v9
	v_add_u32_e32 v1, v4, v8
	v_lshrrev_b32_e32 v1, s3, v1
	v_mul_lo_u32 v8, v1, s1
	v_mul_lo_u32 v10, v9, s12
	;; [unrolled: 1-line block ×3, first 2 shown]
	v_add3_u32 v0, v5, v0, v7
	v_sub_u32_e32 v4, v4, v8
	v_mul_lo_u32 v8, v4, s14
	v_mul_lo_u32 v4, v4, s15
	v_add3_u32 v2, v6, v2, v3
	v_add3_u32 v0, v10, v0, v8
	;; [unrolled: 1-line block ×3, first 2 shown]
	s_cbranch_scc0 .LBB199_268
	s_branch .LBB199_275
.LBB199_269:
	s_or_b64 exec, exec, s[58:59]
	s_mov_b64 s[2:3], 0
	s_and_saveexec_b64 s[8:9], s[56:57]
	s_cbranch_execnz .LBB199_902
.LBB199_270:
	s_or_b64 exec, exec, s[8:9]
	s_and_saveexec_b64 s[8:9], s[62:63]
	s_xor_b64 s[8:9], exec, s[8:9]
	s_cbranch_execz .LBB199_903
.LBB199_271:
	global_load_ubyte v3, v[1:2], off
	s_mov_b32 s12, 0
	s_waitcnt vmcnt(1)
	v_mov_b32_e32 v6, s12
	s_or_b64 s[0:1], s[0:1], exec
	s_waitcnt vmcnt(0)
	v_cmp_ne_u16_e32 vcc, 0, v3
	v_cndmask_b32_e64 v5, 0, 1, vcc
	s_or_b64 exec, exec, s[8:9]
	s_and_saveexec_b64 s[8:9], s[10:11]
	s_cbranch_execz .LBB199_949
	s_branch .LBB199_904
.LBB199_272:
                                        ; implicit-def: $vgpr0
                                        ; implicit-def: $vgpr2
	s_andn2_b64 vcc, exec, s[0:1]
	s_cbranch_vccz .LBB199_279
	s_branch .LBB199_281
.LBB199_273:
	v_mov_b32_e32 v0, 0
	v_mov_b32_e32 v2, 0
	s_branch .LBB199_278
.LBB199_274:
	s_mov_b32 s66, 0
	v_mov_b32_e32 v0, 0
	v_mov_b32_e32 v2, 0
	;; [unrolled: 1-line block ×3, first 2 shown]
.LBB199_275:
	s_and_b32 s8, s67, 3
	s_cmp_eq_u32 s8, 0
	s_cbranch_scc1 .LBB199_278
; %bb.276:
	s_lshl_b32 s0, s66, 3
	s_add_u32 s0, s34, s0
	s_addc_u32 s1, s35, 0
	s_add_u32 s0, s0, 0xc4
	s_addc_u32 s1, s1, 0
	s_mul_i32 s2, s66, 12
	s_add_u32 s2, s34, s2
	s_addc_u32 s3, s35, 0
.LBB199_277:                            ; =>This Inner Loop Header: Depth=1
	s_load_dwordx2 s[10:11], s[2:3], 0x4
	s_load_dword s9, s[2:3], 0xc
	s_load_dwordx2 s[12:13], s[0:1], 0x0
	s_add_u32 s2, s2, 12
	s_addc_u32 s3, s3, 0
	s_waitcnt vmcnt(0) lgkmcnt(0)
	v_mul_hi_u32 v3, s11, v1
	s_add_u32 s0, s0, 8
	s_addc_u32 s1, s1, 0
	s_add_i32 s8, s8, -1
	v_add_u32_e32 v3, v1, v3
	v_lshrrev_b32_e32 v4, s9, v3
	v_mul_lo_u32 v3, v4, s10
	s_cmp_lg_u32 s8, 0
	v_sub_u32_e32 v3, v1, v3
	v_mad_u64_u32 v[0:1], s[10:11], v3, s12, v[0:1]
	v_mad_u64_u32 v[2:3], s[10:11], v3, s13, v[2:3]
	v_mov_b32_e32 v1, v4
	s_cbranch_scc1 .LBB199_277
.LBB199_278:
	s_cbranch_execnz .LBB199_281
.LBB199_279:
	v_mul_hi_u32 v0, s29, v11
	s_andn2_b64 vcc, exec, s[48:49]
	v_add_u32_e32 v0, v11, v0
	v_lshrrev_b32_e32 v1, s30, v0
	v_mul_lo_u32 v0, v1, s28
	v_sub_u32_e32 v2, v11, v0
	v_mul_lo_u32 v0, v2, s36
	v_mul_lo_u32 v2, v2, s37
	s_cbranch_vccnz .LBB199_281
; %bb.280:
	s_waitcnt vmcnt(0)
	v_mul_hi_u32 v3, s46, v1
	v_add_u32_e32 v3, v1, v3
	v_lshrrev_b32_e32 v3, s47, v3
	v_mul_lo_u32 v3, v3, s31
	v_sub_u32_e32 v3, v1, v3
	v_mad_u64_u32 v[0:1], s[0:1], v3, s38, v[0:1]
	v_mad_u64_u32 v[2:3], s[0:1], v3, s39, v[2:3]
.LBB199_281:
	s_waitcnt vmcnt(0)
	v_mov_b32_e32 v3, s27
	s_and_b32 s10, 0xffff, s76
	v_add_co_u32_e32 v1, vcc, s26, v2
	s_cmp_lt_i32 s10, 11
	v_addc_co_u32_e32 v2, vcc, 0, v3, vcc
	s_cbranch_scc1 .LBB199_288
; %bb.282:
	s_cmp_gt_i32 s10, 25
	s_cbranch_scc0 .LBB199_297
; %bb.283:
	s_cmp_gt_i32 s10, 28
	s_cbranch_scc0 .LBB199_299
	;; [unrolled: 3-line block ×4, first 2 shown]
; %bb.286:
	s_cmp_eq_u32 s10, 46
	s_mov_b64 s[8:9], 0
	s_cbranch_scc0 .LBB199_309
; %bb.287:
	global_load_dword v3, v[1:2], off
	s_mov_b32 s0, 0x2f800000
	s_mov_b32 s1, 0xcf800000
	s_mov_b64 s[2:3], 0
	s_waitcnt vmcnt(0)
	v_lshlrev_b32_e32 v3, 16, v3
	v_trunc_f32_e32 v3, v3
	v_mul_f32_e64 v4, |v3|, s0
	v_floor_f32_e32 v4, v4
	v_fma_f32 v5, v4, s1, |v3|
	v_cvt_u32_f32_e32 v5, v5
	v_cvt_u32_f32_e32 v4, v4
	v_ashrrev_i32_e32 v6, 31, v3
	s_mov_b64 s[0:1], -1
	v_xor_b32_e32 v3, v5, v6
	v_xor_b32_e32 v4, v4, v6
	v_sub_co_u32_e32 v3, vcc, v3, v6
	v_subb_co_u32_e32 v4, vcc, v4, v6, vcc
	s_branch .LBB199_310
.LBB199_288:
	s_mov_b64 s[0:1], 0
                                        ; implicit-def: $vgpr3_vgpr4
	s_mov_b64 s[2:3], s[56:57]
	s_cbranch_execnz .LBB199_483
.LBB199_289:
	s_andn2_b64 vcc, exec, s[0:1]
	s_cbranch_vccnz .LBB199_531
.LBB199_290:
	s_waitcnt vmcnt(0)
	v_cmp_gt_u64_e32 vcc, 63, v[3:4]
	v_mov_b32_e32 v4, s25
	v_cndmask_b32_e32 v1, 63, v3, vcc
	v_ashrrev_i64 v[1:2], v1, s[44:45]
	s_and_b32 s14, s75, 0xff
	v_add_co_u32_e32 v3, vcc, s24, v0
	s_cmp_lt_i32 s14, 11
	v_addc_co_u32_e32 v4, vcc, 0, v4, vcc
	s_cbranch_scc1 .LBB199_298
; %bb.291:
	s_and_b32 s15, 0xffff, s14
	s_cmp_gt_i32 s15, 25
	s_cbranch_scc0 .LBB199_300
; %bb.292:
	s_cmp_gt_i32 s15, 28
	s_cbranch_scc0 .LBB199_302
; %bb.293:
	;; [unrolled: 3-line block ×4, first 2 shown]
	s_mov_b64 s[10:11], 0
	s_mov_b64 s[0:1], -1
	s_cmp_eq_u32 s15, 46
	s_mov_b64 s[8:9], 0
	s_cbranch_scc0 .LBB199_314
; %bb.296:
	v_xor_b32_e32 v5, v1, v2
	v_ffbh_i32_e32 v0, v2
	v_ashrrev_i32_e32 v5, 31, v5
	v_add_u32_e32 v0, -1, v0
	v_add_u32_e32 v5, 32, v5
	v_min_u32_e32 v0, v0, v5
	v_lshlrev_b64 v[5:6], v0, v[1:2]
	v_sub_u32_e32 v0, 32, v0
	v_min_u32_e32 v5, 1, v5
	v_or_b32_e32 v5, v6, v5
	v_cvt_f32_i32_e32 v5, v5
	s_movk_i32 s0, 0x7fff
	s_mov_b64 s[8:9], -1
	v_ldexp_f32 v0, v5, v0
	v_bfe_u32 v5, v0, 16, 1
	v_add3_u32 v0, v0, v5, s0
	v_lshrrev_b32_e32 v0, 16, v0
	global_store_dword v[3:4], v0, off
	s_mov_b64 s[0:1], 0
	s_branch .LBB199_314
.LBB199_297:
	s_mov_b64 s[8:9], -1
	s_mov_b64 s[0:1], 0
	s_mov_b64 s[2:3], s[56:57]
                                        ; implicit-def: $vgpr3_vgpr4
	s_branch .LBB199_451
.LBB199_298:
	s_mov_b64 s[10:11], -1
	s_mov_b64 s[8:9], 0
	s_mov_b64 s[0:1], s[54:55]
	s_branch .LBB199_383
.LBB199_299:
	s_mov_b64 s[8:9], -1
	s_mov_b64 s[0:1], 0
	s_mov_b64 s[2:3], s[56:57]
                                        ; implicit-def: $vgpr3_vgpr4
	s_branch .LBB199_432
.LBB199_300:
	s_mov_b64 s[10:11], -1
	s_mov_b64 s[8:9], 0
	s_mov_b64 s[0:1], s[54:55]
	s_branch .LBB199_341
.LBB199_301:
	s_mov_b64 s[8:9], -1
	s_mov_b64 s[0:1], 0
	s_mov_b64 s[2:3], s[56:57]
                                        ; implicit-def: $vgpr3_vgpr4
	s_branch .LBB199_427
.LBB199_302:
	s_mov_b64 s[10:11], -1
	s_mov_b64 s[8:9], 0
	s_mov_b64 s[0:1], s[54:55]
	s_branch .LBB199_324
.LBB199_303:
	s_andn2_saveexec_b64 s[12:13], s[12:13]
	s_cbranch_execz .LBB199_68
.LBB199_304:
	s_mov_b32 s16, 0x46000000
	v_add_f32_e64 v5, |v0|, s16
	v_and_b32_e32 v5, 0xff, v5
	v_cmp_ne_u32_e32 vcc, 0, v5
	s_andn2_b64 s[10:11], s[10:11], exec
	s_and_b64 s[16:17], vcc, exec
	s_or_b64 s[10:11], s[10:11], s[16:17]
	s_or_b64 exec, exec, s[12:13]
	v_mov_b32_e32 v6, 0
	s_and_saveexec_b64 s[12:13], s[10:11]
	s_cbranch_execnz .LBB199_69
	s_branch .LBB199_70
.LBB199_305:
	s_mov_b64 s[8:9], -1
	s_mov_b64 s[0:1], 0
	s_mov_b64 s[2:3], s[56:57]
                                        ; implicit-def: $vgpr3_vgpr4
	s_branch .LBB199_310
.LBB199_306:
	s_mov_b64 s[10:11], -1
	s_mov_b64 s[8:9], 0
	s_mov_b64 s[0:1], s[54:55]
	s_branch .LBB199_320
.LBB199_307:
	s_andn2_saveexec_b64 s[12:13], s[12:13]
	s_cbranch_execz .LBB199_81
.LBB199_308:
	s_mov_b32 s16, 0x42800000
	v_add_f32_e64 v5, |v0|, s16
	v_and_b32_e32 v5, 0xff, v5
	v_cmp_ne_u32_e32 vcc, 0, v5
	s_andn2_b64 s[10:11], s[10:11], exec
	s_and_b64 s[16:17], vcc, exec
	s_or_b64 s[10:11], s[10:11], s[16:17]
	s_or_b64 exec, exec, s[12:13]
	v_mov_b32_e32 v6, 0
	s_and_saveexec_b64 s[12:13], s[10:11]
	s_cbranch_execnz .LBB199_82
	s_branch .LBB199_83
.LBB199_309:
	s_mov_b64 s[2:3], -1
                                        ; implicit-def: $vgpr3_vgpr4
	s_mov_b64 s[0:1], 0
.LBB199_310:
	s_and_b64 vcc, exec, s[8:9]
	s_cbranch_vccz .LBB199_426
; %bb.311:
	s_cmp_eq_u32 s10, 44
	s_cbranch_scc0 .LBB199_425
; %bb.312:
	global_load_ubyte v3, v[1:2], off
	s_mov_b32 s0, 0x2f800000
	s_mov_b32 s1, 0xcf800000
	s_mov_b64 s[2:3], 0
	s_waitcnt vmcnt(0)
	v_lshlrev_b32_e32 v4, 23, v3
	v_trunc_f32_e32 v4, v4
	v_mul_f32_e64 v5, |v4|, s0
	v_floor_f32_e32 v5, v5
	v_fma_f32 v6, v5, s1, |v4|
	v_cvt_u32_f32_e32 v6, v6
	v_cvt_u32_f32_e32 v5, v5
	v_ashrrev_i32_e32 v4, 31, v4
	s_mov_b64 s[0:1], -1
	v_xor_b32_e32 v6, v6, v4
	v_xor_b32_e32 v5, v5, v4
	v_sub_co_u32_e32 v6, vcc, v6, v4
	v_subb_co_u32_e32 v4, vcc, v5, v4, vcc
	v_cmp_ne_u32_e32 vcc, 0, v3
	v_cndmask_b32_e32 v4, 0, v4, vcc
	v_cndmask_b32_e32 v3, 0, v6, vcc
	s_branch .LBB199_426
.LBB199_313:
	s_mov_b64 s[10:11], -1
	s_mov_b64 s[8:9], 0
	s_mov_b64 s[0:1], s[54:55]
.LBB199_314:
	s_and_b64 vcc, exec, s[10:11]
	s_cbranch_vccz .LBB199_319
; %bb.315:
	s_cmp_eq_u32 s15, 44
	s_mov_b64 s[0:1], -1
	s_cbranch_scc0 .LBB199_319
; %bb.316:
	v_xor_b32_e32 v5, v1, v2
	v_ffbh_i32_e32 v0, v2
	v_ashrrev_i32_e32 v5, 31, v5
	v_add_u32_e32 v0, -1, v0
	v_add_u32_e32 v5, 32, v5
	v_min_u32_e32 v0, v0, v5
	v_lshlrev_b64 v[5:6], v0, v[1:2]
	v_sub_u32_e32 v0, 32, v0
	v_min_u32_e32 v5, 1, v5
	v_or_b32_e32 v5, v6, v5
	v_cvt_f32_i32_e32 v5, v5
	s_movk_i32 s0, 0xff
	v_mov_b32_e32 v6, 0xff
	v_ldexp_f32 v0, v5, v0
	v_bfe_u32 v5, v0, 23, 8
	v_cmp_ne_u32_e32 vcc, s0, v5
	s_and_saveexec_b64 s[8:9], vcc
; %bb.317:
	s_mov_b32 s0, 0x3fffff
	v_lshrrev_b32_e32 v6, 23, v0
	v_and_b32_e32 v7, 0x400000, v0
	v_and_or_b32 v0, v0, s0, v5
	v_cmp_ne_u32_e32 vcc, 0, v7
	v_cmp_ne_u32_e64 s[0:1], 0, v0
	s_and_b64 s[0:1], vcc, s[0:1]
	v_cndmask_b32_e64 v0, 0, 1, s[0:1]
	v_add_u32_e32 v6, v6, v0
; %bb.318:
	s_or_b64 exec, exec, s[8:9]
	s_mov_b64 s[8:9], -1
	s_mov_b64 s[0:1], 0
	global_store_byte v[3:4], v6, off
.LBB199_319:
	s_mov_b64 s[10:11], 0
.LBB199_320:
	s_and_b64 vcc, exec, s[10:11]
	s_cbranch_vccz .LBB199_323
; %bb.321:
	s_cmp_eq_u32 s15, 29
	s_mov_b64 s[0:1], -1
	s_cbranch_scc0 .LBB199_323
; %bb.322:
	global_store_dwordx2 v[3:4], v[1:2], off
	s_mov_b64 s[8:9], -1
	s_mov_b64 s[0:1], 0
.LBB199_323:
	s_mov_b64 s[10:11], 0
.LBB199_324:
	s_and_b64 vcc, exec, s[10:11]
	s_cbranch_vccz .LBB199_340
; %bb.325:
	s_cmp_lt_i32 s15, 27
	s_mov_b64 s[8:9], -1
	s_cbranch_scc1 .LBB199_331
; %bb.326:
	s_cmp_gt_i32 s15, 27
	s_cbranch_scc0 .LBB199_328
; %bb.327:
	s_mov_b64 s[8:9], 0
	global_store_dword v[3:4], v1, off
.LBB199_328:
	s_andn2_b64 vcc, exec, s[8:9]
	s_cbranch_vccnz .LBB199_330
; %bb.329:
	global_store_short v[3:4], v1, off
.LBB199_330:
	s_mov_b64 s[8:9], 0
.LBB199_331:
	s_andn2_b64 vcc, exec, s[8:9]
	s_cbranch_vccnz .LBB199_339
; %bb.332:
	v_xor_b32_e32 v5, v1, v2
	v_ffbh_i32_e32 v0, v2
	v_ashrrev_i32_e32 v5, 31, v5
	v_add_u32_e32 v0, -1, v0
	v_add_u32_e32 v5, 32, v5
	v_min_u32_e32 v0, v0, v5
	v_lshlrev_b64 v[5:6], v0, v[1:2]
	v_sub_u32_e32 v0, 32, v0
	v_min_u32_e32 v5, 1, v5
	v_or_b32_e32 v5, v6, v5
	v_cvt_f32_i32_e32 v5, v5
	s_mov_b32 s8, 0x43800000
	v_mov_b32_e32 v6, 0x80
	v_ldexp_f32 v0, v5, v0
	v_and_b32_e32 v5, 0x7fffffff, v0
	v_cmp_gt_u32_e32 vcc, s8, v5
	s_and_saveexec_b64 s[8:9], vcc
	s_cbranch_execz .LBB199_338
; %bb.333:
	s_mov_b32 s10, 0x3bffffff
	v_cmp_lt_u32_e32 vcc, s10, v5
	s_mov_b64 s[10:11], 0
                                        ; implicit-def: $vgpr5
	s_and_saveexec_b64 s[12:13], vcc
	s_xor_b64 s[12:13], exec, s[12:13]
	s_cbranch_execz .LBB199_562
; %bb.334:
	v_bfe_u32 v5, v0, 20, 1
	s_mov_b32 s16, 0x487ffff
	v_add3_u32 v5, v0, v5, s16
	s_mov_b64 s[10:11], exec
	v_lshrrev_b32_e32 v5, 20, v5
	s_andn2_saveexec_b64 s[12:13], s[12:13]
	s_cbranch_execnz .LBB199_563
.LBB199_335:
	s_or_b64 exec, exec, s[12:13]
	v_mov_b32_e32 v6, 0
	s_and_saveexec_b64 s[12:13], s[10:11]
.LBB199_336:
	v_lshrrev_b32_e32 v0, 24, v0
	s_movk_i32 s10, 0x80
	v_and_or_b32 v6, v0, s10, v5
.LBB199_337:
	s_or_b64 exec, exec, s[12:13]
.LBB199_338:
	s_or_b64 exec, exec, s[8:9]
	global_store_byte v[3:4], v6, off
.LBB199_339:
	s_mov_b64 s[8:9], -1
.LBB199_340:
	s_mov_b64 s[10:11], 0
.LBB199_341:
	s_and_b64 vcc, exec, s[10:11]
	s_cbranch_vccz .LBB199_382
; %bb.342:
	s_cmp_gt_i32 s15, 22
	s_mov_b64 s[10:11], -1
	s_cbranch_scc0 .LBB199_374
; %bb.343:
	s_cmp_lt_i32 s15, 24
	s_mov_b64 s[8:9], -1
	s_cbranch_scc1 .LBB199_363
; %bb.344:
	s_cmp_gt_i32 s15, 24
	s_cbranch_scc0 .LBB199_352
; %bb.345:
	v_xor_b32_e32 v5, v1, v2
	v_ffbh_i32_e32 v0, v2
	v_ashrrev_i32_e32 v5, 31, v5
	v_add_u32_e32 v0, -1, v0
	v_add_u32_e32 v5, 32, v5
	v_min_u32_e32 v0, v0, v5
	v_lshlrev_b64 v[5:6], v0, v[1:2]
	v_sub_u32_e32 v0, 32, v0
	v_min_u32_e32 v5, 1, v5
	v_or_b32_e32 v5, v6, v5
	v_cvt_f32_i32_e32 v5, v5
	s_mov_b32 s8, 0x47800000
	v_mov_b32_e32 v6, 0x80
	v_ldexp_f32 v0, v5, v0
	v_and_b32_e32 v5, 0x7fffffff, v0
	v_cmp_gt_u32_e32 vcc, s8, v5
	s_and_saveexec_b64 s[8:9], vcc
	s_cbranch_execz .LBB199_351
; %bb.346:
	s_mov_b32 s10, 0x37ffffff
	v_cmp_lt_u32_e32 vcc, s10, v5
	s_mov_b64 s[10:11], 0
                                        ; implicit-def: $vgpr5
	s_and_saveexec_b64 s[12:13], vcc
	s_xor_b64 s[12:13], exec, s[12:13]
	s_cbranch_execz .LBB199_565
; %bb.347:
	v_bfe_u32 v5, v0, 21, 1
	s_mov_b32 s16, 0x88fffff
	v_add3_u32 v5, v0, v5, s16
	s_mov_b64 s[10:11], exec
	v_lshrrev_b32_e32 v5, 21, v5
	s_andn2_saveexec_b64 s[12:13], s[12:13]
	s_cbranch_execnz .LBB199_566
.LBB199_348:
	s_or_b64 exec, exec, s[12:13]
	v_mov_b32_e32 v6, 0
	s_and_saveexec_b64 s[12:13], s[10:11]
.LBB199_349:
	v_lshrrev_b32_e32 v0, 24, v0
	s_movk_i32 s10, 0x80
	v_and_or_b32 v6, v0, s10, v5
.LBB199_350:
	s_or_b64 exec, exec, s[12:13]
.LBB199_351:
	s_or_b64 exec, exec, s[8:9]
	s_mov_b64 s[8:9], 0
	global_store_byte v[3:4], v6, off
.LBB199_352:
	s_and_b64 vcc, exec, s[8:9]
	s_cbranch_vccz .LBB199_362
; %bb.353:
	v_xor_b32_e32 v5, v1, v2
	v_ffbh_i32_e32 v0, v2
	v_ashrrev_i32_e32 v5, 31, v5
	v_add_u32_e32 v0, -1, v0
	v_add_u32_e32 v5, 32, v5
	v_min_u32_e32 v0, v0, v5
	v_lshlrev_b64 v[5:6], v0, v[1:2]
	v_sub_u32_e32 v0, 32, v0
	v_min_u32_e32 v5, 1, v5
	v_or_b32_e32 v5, v6, v5
	v_cvt_f32_i32_e32 v5, v5
	s_mov_b32 s8, 0x43f00000
	v_ldexp_f32 v0, v5, v0
	v_and_b32_e32 v6, 0x7fffffff, v0
	v_cmp_gt_u32_e32 vcc, s8, v6
                                        ; implicit-def: $vgpr5
	s_and_saveexec_b64 s[8:9], vcc
	s_xor_b64 s[8:9], exec, s[8:9]
	s_cbranch_execz .LBB199_359
; %bb.354:
	s_mov_b32 s10, 0x3c7fffff
	v_cmp_lt_u32_e32 vcc, s10, v6
                                        ; implicit-def: $vgpr5
	s_and_saveexec_b64 s[10:11], vcc
	s_xor_b64 s[10:11], exec, s[10:11]
; %bb.355:
	v_bfe_u32 v5, v0, 20, 1
	s_mov_b32 s12, 0x407ffff
	v_add3_u32 v5, v0, v5, s12
	v_lshrrev_b32_e32 v6, 20, v5
	v_and_b32_e32 v5, 0xff00000, v5
	s_mov_b32 s12, 0x7f00000
	v_mov_b32_e32 v7, 0x7e
	v_cmp_ne_u32_e32 vcc, s12, v5
	v_cndmask_b32_e32 v5, v7, v6, vcc
; %bb.356:
	s_andn2_saveexec_b64 s[10:11], s[10:11]
; %bb.357:
	s_mov_b32 s12, 0x46800000
	v_add_f32_e64 v5, |v0|, s12
; %bb.358:
	s_or_b64 exec, exec, s[10:11]
                                        ; implicit-def: $vgpr6
.LBB199_359:
	s_andn2_saveexec_b64 s[8:9], s[8:9]
; %bb.360:
	s_mov_b32 s10, 0x7f800000
	v_mov_b32_e32 v5, 0x7e
	v_mov_b32_e32 v7, 0x7f
	v_cmp_lt_u32_e32 vcc, s10, v6
	v_cndmask_b32_e32 v5, v5, v7, vcc
; %bb.361:
	s_or_b64 exec, exec, s[8:9]
	v_lshrrev_b32_e32 v0, 24, v0
	s_movk_i32 s8, 0x80
	v_and_or_b32 v0, v0, s8, v5
	global_store_byte v[3:4], v0, off
.LBB199_362:
	s_mov_b64 s[8:9], 0
.LBB199_363:
	s_andn2_b64 vcc, exec, s[8:9]
	s_cbranch_vccnz .LBB199_373
; %bb.364:
	v_xor_b32_e32 v5, v1, v2
	v_ffbh_i32_e32 v0, v2
	v_ashrrev_i32_e32 v5, 31, v5
	v_add_u32_e32 v0, -1, v0
	v_add_u32_e32 v5, 32, v5
	v_min_u32_e32 v0, v0, v5
	v_lshlrev_b64 v[5:6], v0, v[1:2]
	v_sub_u32_e32 v0, 32, v0
	v_min_u32_e32 v5, 1, v5
	v_or_b32_e32 v5, v6, v5
	v_cvt_f32_i32_e32 v5, v5
	s_mov_b32 s8, 0x47800000
	v_ldexp_f32 v0, v5, v0
	v_and_b32_e32 v6, 0x7fffffff, v0
	v_cmp_gt_u32_e32 vcc, s8, v6
                                        ; implicit-def: $vgpr5
	s_and_saveexec_b64 s[8:9], vcc
	s_xor_b64 s[8:9], exec, s[8:9]
	s_cbranch_execz .LBB199_370
; %bb.365:
	s_mov_b32 s10, 0x387fffff
	v_cmp_lt_u32_e32 vcc, s10, v6
                                        ; implicit-def: $vgpr5
	s_and_saveexec_b64 s[10:11], vcc
	s_xor_b64 s[10:11], exec, s[10:11]
; %bb.366:
	v_bfe_u32 v5, v0, 21, 1
	s_mov_b32 s12, 0x80fffff
	v_add3_u32 v5, v0, v5, s12
	v_lshrrev_b32_e32 v5, 21, v5
; %bb.367:
	s_andn2_saveexec_b64 s[10:11], s[10:11]
; %bb.368:
	s_mov_b32 s12, 0x43000000
	v_add_f32_e64 v5, |v0|, s12
; %bb.369:
	s_or_b64 exec, exec, s[10:11]
                                        ; implicit-def: $vgpr6
.LBB199_370:
	s_andn2_saveexec_b64 s[8:9], s[8:9]
; %bb.371:
	s_mov_b32 s10, 0x7f800000
	v_mov_b32_e32 v5, 0x7c
	v_mov_b32_e32 v7, 0x7f
	v_cmp_lt_u32_e32 vcc, s10, v6
	v_cndmask_b32_e32 v5, v5, v7, vcc
; %bb.372:
	s_or_b64 exec, exec, s[8:9]
	v_lshrrev_b32_e32 v0, 24, v0
	s_movk_i32 s8, 0x80
	v_and_or_b32 v0, v0, s8, v5
	global_store_byte v[3:4], v0, off
.LBB199_373:
	s_mov_b64 s[10:11], 0
	s_mov_b64 s[8:9], -1
.LBB199_374:
	s_andn2_b64 vcc, exec, s[10:11]
	s_cbranch_vccnz .LBB199_382
; %bb.375:
	s_cmp_gt_i32 s15, 14
	s_mov_b64 s[10:11], -1
	s_cbranch_scc0 .LBB199_379
; %bb.376:
	s_cmp_eq_u32 s15, 15
	s_mov_b64 s[0:1], -1
	s_cbranch_scc0 .LBB199_378
; %bb.377:
	v_xor_b32_e32 v5, v1, v2
	v_ffbh_i32_e32 v0, v2
	v_ashrrev_i32_e32 v5, 31, v5
	v_add_u32_e32 v0, -1, v0
	v_add_u32_e32 v5, 32, v5
	v_min_u32_e32 v0, v0, v5
	v_lshlrev_b64 v[5:6], v0, v[1:2]
	v_sub_u32_e32 v0, 32, v0
	v_min_u32_e32 v5, 1, v5
	v_or_b32_e32 v5, v6, v5
	v_cvt_f32_i32_e32 v5, v5
	s_movk_i32 s0, 0x7fff
	s_mov_b64 s[8:9], -1
	v_ldexp_f32 v0, v5, v0
	v_bfe_u32 v5, v0, 16, 1
	v_add3_u32 v0, v0, v5, s0
	global_store_short_d16_hi v[3:4], v0, off
	s_mov_b64 s[0:1], 0
.LBB199_378:
	s_mov_b64 s[10:11], 0
.LBB199_379:
	s_and_b64 vcc, exec, s[10:11]
	s_cbranch_vccz .LBB199_382
; %bb.380:
	s_cmp_eq_u32 s15, 11
	s_mov_b64 s[0:1], -1
	s_cbranch_scc0 .LBB199_382
; %bb.381:
	v_cmp_ne_u64_e32 vcc, 0, v[1:2]
	s_mov_b64 s[0:1], 0
	v_cndmask_b32_e64 v0, 0, 1, vcc
	s_mov_b64 s[8:9], -1
	global_store_byte v[3:4], v0, off
.LBB199_382:
	s_mov_b64 s[10:11], 0
.LBB199_383:
	s_and_b64 vcc, exec, s[10:11]
	s_cbranch_vccz .LBB199_422
; %bb.384:
	s_and_b32 s10, 0xffff, s14
	s_cmp_lt_i32 s10, 5
	s_mov_b64 s[8:9], -1
	s_cbranch_scc1 .LBB199_405
; %bb.385:
	s_cmp_lt_i32 s10, 8
	s_cbranch_scc1 .LBB199_395
; %bb.386:
	s_cmp_lt_i32 s10, 9
	s_cbranch_scc1 .LBB199_392
; %bb.387:
	s_cmp_gt_i32 s10, 9
	s_cbranch_scc0 .LBB199_389
; %bb.388:
	v_cvt_f64_i32_e32 v[5:6], v2
	v_cvt_f64_u32_e32 v[7:8], v1
	s_mov_b64 s[8:9], 0
	v_ldexp_f64 v[5:6], v[5:6], 32
	v_add_f64 v[5:6], v[5:6], v[7:8]
	v_mov_b32_e32 v7, 0
	v_mov_b32_e32 v8, v7
	global_store_dwordx4 v[3:4], v[5:8], off
.LBB199_389:
	s_andn2_b64 vcc, exec, s[8:9]
	s_cbranch_vccnz .LBB199_391
; %bb.390:
	v_xor_b32_e32 v5, v1, v2
	v_ffbh_i32_e32 v0, v2
	v_ashrrev_i32_e32 v5, 31, v5
	v_add_u32_e32 v0, -1, v0
	v_add_u32_e32 v5, 32, v5
	v_min_u32_e32 v0, v0, v5
	v_lshlrev_b64 v[5:6], v0, v[1:2]
	v_sub_u32_e32 v0, 32, v0
	v_min_u32_e32 v5, 1, v5
	v_or_b32_e32 v5, v6, v5
	v_cvt_f32_i32_e32 v5, v5
	v_mov_b32_e32 v6, 0
	v_ldexp_f32 v5, v5, v0
	global_store_dwordx2 v[3:4], v[5:6], off
.LBB199_391:
	s_mov_b64 s[8:9], 0
.LBB199_392:
	s_andn2_b64 vcc, exec, s[8:9]
	s_cbranch_vccnz .LBB199_394
; %bb.393:
	v_xor_b32_e32 v5, v1, v2
	v_ffbh_i32_e32 v0, v2
	v_ashrrev_i32_e32 v5, 31, v5
	v_add_u32_e32 v0, -1, v0
	v_add_u32_e32 v5, 32, v5
	v_min_u32_e32 v0, v0, v5
	v_lshlrev_b64 v[5:6], v0, v[1:2]
	v_sub_u32_e32 v0, 32, v0
	v_min_u32_e32 v5, 1, v5
	v_or_b32_e32 v5, v6, v5
	v_cvt_f32_i32_e32 v5, v5
	v_ldexp_f32 v0, v5, v0
	v_cvt_f16_f32_e32 v0, v0
	global_store_dword v[3:4], v0, off
.LBB199_394:
	s_mov_b64 s[8:9], 0
.LBB199_395:
	s_andn2_b64 vcc, exec, s[8:9]
	s_cbranch_vccnz .LBB199_404
; %bb.396:
	s_cmp_lt_i32 s10, 6
	s_mov_b64 s[8:9], -1
	s_cbranch_scc1 .LBB199_402
; %bb.397:
	s_cmp_gt_i32 s10, 6
	s_cbranch_scc0 .LBB199_399
; %bb.398:
	v_cvt_f64_i32_e32 v[5:6], v2
	v_cvt_f64_u32_e32 v[7:8], v1
	s_mov_b64 s[8:9], 0
	v_ldexp_f64 v[5:6], v[5:6], 32
	v_add_f64 v[5:6], v[5:6], v[7:8]
	global_store_dwordx2 v[3:4], v[5:6], off
.LBB199_399:
	s_andn2_b64 vcc, exec, s[8:9]
	s_cbranch_vccnz .LBB199_401
; %bb.400:
	v_xor_b32_e32 v5, v1, v2
	v_ffbh_i32_e32 v0, v2
	v_ashrrev_i32_e32 v5, 31, v5
	v_add_u32_e32 v0, -1, v0
	v_add_u32_e32 v5, 32, v5
	v_min_u32_e32 v0, v0, v5
	v_lshlrev_b64 v[5:6], v0, v[1:2]
	v_sub_u32_e32 v0, 32, v0
	v_min_u32_e32 v5, 1, v5
	v_or_b32_e32 v5, v6, v5
	v_cvt_f32_i32_e32 v5, v5
	v_ldexp_f32 v0, v5, v0
	global_store_dword v[3:4], v0, off
.LBB199_401:
	s_mov_b64 s[8:9], 0
.LBB199_402:
	s_andn2_b64 vcc, exec, s[8:9]
	s_cbranch_vccnz .LBB199_404
; %bb.403:
	v_xor_b32_e32 v5, v1, v2
	v_ffbh_i32_e32 v0, v2
	v_ashrrev_i32_e32 v5, 31, v5
	v_add_u32_e32 v0, -1, v0
	v_add_u32_e32 v5, 32, v5
	v_min_u32_e32 v0, v0, v5
	v_lshlrev_b64 v[5:6], v0, v[1:2]
	v_sub_u32_e32 v0, 32, v0
	v_min_u32_e32 v5, 1, v5
	v_or_b32_e32 v5, v6, v5
	v_cvt_f32_i32_e32 v5, v5
	v_ldexp_f32 v0, v5, v0
	v_cvt_f16_f32_e32 v0, v0
	global_store_short v[3:4], v0, off
.LBB199_404:
	s_mov_b64 s[8:9], 0
.LBB199_405:
	s_andn2_b64 vcc, exec, s[8:9]
	s_cbranch_vccnz .LBB199_421
; %bb.406:
	s_cmp_lt_i32 s10, 2
	s_mov_b64 s[8:9], -1
	s_cbranch_scc1 .LBB199_416
; %bb.407:
	s_cmp_lt_i32 s10, 3
	s_cbranch_scc1 .LBB199_413
; %bb.408:
	s_cmp_gt_i32 s10, 3
	s_cbranch_scc0 .LBB199_410
; %bb.409:
	s_mov_b64 s[8:9], 0
	global_store_dwordx2 v[3:4], v[1:2], off
.LBB199_410:
	s_andn2_b64 vcc, exec, s[8:9]
	s_cbranch_vccnz .LBB199_412
; %bb.411:
	global_store_dword v[3:4], v1, off
.LBB199_412:
	s_mov_b64 s[8:9], 0
.LBB199_413:
	s_andn2_b64 vcc, exec, s[8:9]
	s_cbranch_vccnz .LBB199_415
; %bb.414:
	global_store_short v[3:4], v1, off
.LBB199_415:
	s_mov_b64 s[8:9], 0
.LBB199_416:
	s_andn2_b64 vcc, exec, s[8:9]
	s_cbranch_vccnz .LBB199_421
; %bb.417:
	s_cmp_gt_i32 s10, 0
	s_mov_b64 s[8:9], -1
	s_cbranch_scc0 .LBB199_419
; %bb.418:
	s_mov_b64 s[8:9], 0
	global_store_byte v[3:4], v1, off
.LBB199_419:
	s_andn2_b64 vcc, exec, s[8:9]
	s_cbranch_vccnz .LBB199_421
; %bb.420:
	global_store_byte v[3:4], v1, off
.LBB199_421:
	s_mov_b64 s[8:9], -1
.LBB199_422:
	s_andn2_b64 vcc, exec, s[8:9]
	s_cbranch_vccnz .LBB199_424
; %bb.423:
	v_add_u32_e32 v11, 0x80, v11
	s_mov_b64 s[8:9], -1
	s_branch .LBB199_533
.LBB199_424:
	s_mov_b64 s[8:9], 0
	s_branch .LBB199_532
.LBB199_425:
	s_mov_b64 s[2:3], -1
                                        ; implicit-def: $vgpr3_vgpr4
.LBB199_426:
	s_mov_b64 s[8:9], 0
.LBB199_427:
	s_and_b64 vcc, exec, s[8:9]
	s_cbranch_vccz .LBB199_431
; %bb.428:
	s_cmp_eq_u32 s10, 29
	s_cbranch_scc0 .LBB199_430
; %bb.429:
	global_load_dwordx2 v[3:4], v[1:2], off
	s_mov_b64 s[0:1], -1
	s_mov_b64 s[2:3], 0
	s_branch .LBB199_431
.LBB199_430:
	s_mov_b64 s[2:3], -1
                                        ; implicit-def: $vgpr3_vgpr4
.LBB199_431:
	s_mov_b64 s[8:9], 0
.LBB199_432:
	s_and_b64 vcc, exec, s[8:9]
	s_cbranch_vccz .LBB199_450
; %bb.433:
	s_cmp_lt_i32 s10, 27
	s_cbranch_scc1 .LBB199_436
; %bb.434:
	s_cmp_gt_i32 s10, 27
	s_cbranch_scc0 .LBB199_437
; %bb.435:
	global_load_dword v3, v[1:2], off
	s_waitcnt vmcnt(1)
	v_mov_b32_e32 v4, 0
	s_mov_b64 s[0:1], 0
	s_branch .LBB199_438
.LBB199_436:
	s_mov_b64 s[0:1], -1
                                        ; implicit-def: $vgpr3_vgpr4
	s_branch .LBB199_441
.LBB199_437:
	s_mov_b64 s[0:1], -1
                                        ; implicit-def: $vgpr3_vgpr4
.LBB199_438:
	s_andn2_b64 vcc, exec, s[0:1]
	s_cbranch_vccnz .LBB199_440
; %bb.439:
	global_load_ushort v3, v[1:2], off
	s_mov_b32 s0, 0
	s_waitcnt vmcnt(1)
	v_mov_b32_e32 v4, s0
	s_waitcnt vmcnt(0)
	v_and_b32_e32 v3, 0xffff, v3
.LBB199_440:
	s_mov_b64 s[0:1], 0
.LBB199_441:
	s_andn2_b64 vcc, exec, s[0:1]
	s_cbranch_vccnz .LBB199_449
; %bb.442:
	global_load_ubyte v5, v[1:2], off
	s_movk_i32 s0, 0x7f
	s_mov_b64 s[8:9], 0
	s_waitcnt vmcnt(0)
	v_cmp_lt_i16_e32 vcc, s0, v5
	s_and_saveexec_b64 s[0:1], vcc
	s_xor_b64 s[0:1], exec, s[0:1]
; %bb.443:
	s_movk_i32 s8, 0x80
	v_cmp_ne_u16_e32 vcc, s8, v5
	s_and_b64 s[8:9], vcc, exec
; %bb.444:
	s_andn2_saveexec_b64 s[0:1], s[0:1]
; %bb.445:
	v_cmp_ne_u16_e32 vcc, 0, v5
	s_andn2_b64 s[8:9], s[8:9], exec
	s_and_b64 s[12:13], vcc, exec
	s_or_b64 s[8:9], s[8:9], s[12:13]
; %bb.446:
	s_or_b64 exec, exec, s[0:1]
	v_mov_b32_e32 v3, 0
	v_mov_b32_e32 v4, 0
	s_and_saveexec_b64 s[0:1], s[8:9]
	s_cbranch_execz .LBB199_448
; %bb.447:
	v_and_b32_e32 v4, 0xffff, v5
	v_lshlrev_b32_e32 v3, 24, v5
	v_and_b32_e32 v5, 7, v4
	v_ffbh_u32_e32 v7, v5
	v_min_u32_e32 v7, 32, v7
	v_subrev_u32_e32 v8, 28, v7
	v_bfe_u32 v6, v4, 3, 4
	v_lshlrev_b32_e32 v4, v8, v4
	v_sub_u32_e32 v7, 29, v7
	v_and_b32_e32 v4, 7, v4
	v_cmp_eq_u32_e32 vcc, 0, v6
	v_cndmask_b32_e32 v6, v6, v7, vcc
	v_cndmask_b32_e32 v4, v5, v4, vcc
	v_mov_b32_e32 v5, 0x3b800000
	v_lshlrev_b32_e32 v4, 20, v4
	v_and_b32_e32 v3, 0x80000000, v3
	v_lshl_add_u32 v5, v6, 23, v5
	v_or3_b32 v3, v3, v5, v4
	v_trunc_f32_e32 v3, v3
	s_mov_b32 s8, 0x2f800000
	v_mul_f32_e64 v4, |v3|, s8
	v_floor_f32_e32 v4, v4
	s_mov_b32 s8, 0xcf800000
	v_fma_f32 v5, v4, s8, |v3|
	v_cvt_u32_f32_e32 v5, v5
	v_cvt_u32_f32_e32 v4, v4
	v_ashrrev_i32_e32 v6, 31, v3
	v_xor_b32_e32 v3, v5, v6
	v_xor_b32_e32 v4, v4, v6
	v_sub_co_u32_e32 v3, vcc, v3, v6
	v_subb_co_u32_e32 v4, vcc, v4, v6, vcc
.LBB199_448:
	s_or_b64 exec, exec, s[0:1]
.LBB199_449:
	s_mov_b64 s[0:1], -1
.LBB199_450:
	s_mov_b64 s[8:9], 0
.LBB199_451:
	s_and_b64 vcc, exec, s[8:9]
	s_cbranch_vccz .LBB199_482
; %bb.452:
	s_cmp_gt_i32 s10, 22
	s_cbranch_scc0 .LBB199_462
; %bb.453:
	s_cmp_lt_i32 s10, 24
	s_cbranch_scc1 .LBB199_463
; %bb.454:
	s_cmp_gt_i32 s10, 24
	s_cbranch_scc0 .LBB199_464
; %bb.455:
	global_load_ubyte v5, v[1:2], off
	s_movk_i32 s0, 0x7f
	s_mov_b64 s[8:9], 0
	s_waitcnt vmcnt(0)
	v_cmp_lt_i16_e32 vcc, s0, v5
	s_and_saveexec_b64 s[0:1], vcc
	s_xor_b64 s[0:1], exec, s[0:1]
; %bb.456:
	s_movk_i32 s8, 0x80
	v_cmp_ne_u16_e32 vcc, s8, v5
	s_and_b64 s[8:9], vcc, exec
; %bb.457:
	s_andn2_saveexec_b64 s[0:1], s[0:1]
; %bb.458:
	v_cmp_ne_u16_e32 vcc, 0, v5
	s_andn2_b64 s[8:9], s[8:9], exec
	s_and_b64 s[12:13], vcc, exec
	s_or_b64 s[8:9], s[8:9], s[12:13]
; %bb.459:
	s_or_b64 exec, exec, s[0:1]
	v_mov_b32_e32 v3, 0
	v_mov_b32_e32 v4, 0
	s_and_saveexec_b64 s[0:1], s[8:9]
	s_cbranch_execz .LBB199_461
; %bb.460:
	v_and_b32_e32 v4, 0xffff, v5
	v_lshlrev_b32_e32 v3, 24, v5
	v_and_b32_e32 v5, 3, v4
	v_ffbh_u32_e32 v7, v5
	v_min_u32_e32 v7, 32, v7
	v_subrev_u32_e32 v8, 29, v7
	v_bfe_u32 v6, v4, 2, 5
	v_lshlrev_b32_e32 v4, v8, v4
	v_sub_u32_e32 v7, 30, v7
	v_and_b32_e32 v4, 3, v4
	v_cmp_eq_u32_e32 vcc, 0, v6
	v_cndmask_b32_e32 v6, v6, v7, vcc
	v_cndmask_b32_e32 v4, v5, v4, vcc
	v_mov_b32_e32 v5, 0x37800000
	v_lshlrev_b32_e32 v4, 21, v4
	v_and_b32_e32 v3, 0x80000000, v3
	v_lshl_add_u32 v5, v6, 23, v5
	v_or3_b32 v3, v3, v5, v4
	v_trunc_f32_e32 v3, v3
	s_mov_b32 s8, 0x2f800000
	v_mul_f32_e64 v4, |v3|, s8
	v_floor_f32_e32 v4, v4
	s_mov_b32 s8, 0xcf800000
	v_fma_f32 v5, v4, s8, |v3|
	v_cvt_u32_f32_e32 v5, v5
	v_cvt_u32_f32_e32 v4, v4
	v_ashrrev_i32_e32 v6, 31, v3
	v_xor_b32_e32 v3, v5, v6
	v_xor_b32_e32 v4, v4, v6
	v_sub_co_u32_e32 v3, vcc, v3, v6
	v_subb_co_u32_e32 v4, vcc, v4, v6, vcc
.LBB199_461:
	s_or_b64 exec, exec, s[0:1]
	s_mov_b64 s[0:1], 0
	s_branch .LBB199_465
.LBB199_462:
	s_mov_b64 s[8:9], -1
                                        ; implicit-def: $vgpr3_vgpr4
	s_branch .LBB199_471
.LBB199_463:
	s_mov_b64 s[0:1], -1
                                        ; implicit-def: $vgpr3_vgpr4
	s_branch .LBB199_468
.LBB199_464:
	s_mov_b64 s[0:1], -1
                                        ; implicit-def: $vgpr3_vgpr4
.LBB199_465:
	s_and_b64 vcc, exec, s[0:1]
	s_cbranch_vccz .LBB199_467
; %bb.466:
	global_load_ubyte v3, v[1:2], off
	s_mov_b32 s0, 0x7f800000
	s_brev_b32 s1, 1
	s_mov_b32 s8, 0x2f800000
	s_mov_b32 s9, 0xcf800000
	s_waitcnt vmcnt(0)
	v_lshlrev_b32_e32 v3, 24, v3
	v_and_b32_e32 v4, 0x7f000000, v3
	v_ffbh_u32_e32 v5, v4
	v_min_u32_e32 v5, 32, v5
	v_sub_u32_e64 v5, v5, 4 clamp
	v_lshlrev_b32_e32 v7, v5, v4
	v_lshlrev_b32_e32 v5, 23, v5
	v_lshrrev_b32_e32 v7, 4, v7
	v_add_u32_e32 v6, 0x1000000, v4
	v_sub_u32_e32 v5, v7, v5
	v_ashrrev_i32_e32 v6, 8, v6
	v_add_u32_e32 v5, 0x3c000000, v5
	v_and_or_b32 v5, v6, s0, v5
	v_cmp_ne_u32_e32 vcc, 0, v4
	v_cndmask_b32_e32 v4, 0, v5, vcc
	v_and_or_b32 v3, v3, s1, v4
	v_trunc_f32_e32 v3, v3
	v_mul_f32_e64 v4, |v3|, s8
	v_floor_f32_e32 v4, v4
	v_fma_f32 v5, v4, s9, |v3|
	v_cvt_u32_f32_e32 v5, v5
	v_cvt_u32_f32_e32 v4, v4
	v_ashrrev_i32_e32 v6, 31, v3
	v_xor_b32_e32 v3, v5, v6
	v_xor_b32_e32 v4, v4, v6
	v_sub_co_u32_e32 v3, vcc, v3, v6
	v_subb_co_u32_e32 v4, vcc, v4, v6, vcc
.LBB199_467:
	s_mov_b64 s[0:1], 0
.LBB199_468:
	s_andn2_b64 vcc, exec, s[0:1]
	s_cbranch_vccnz .LBB199_470
; %bb.469:
	global_load_ubyte v3, v[1:2], off
	s_movk_i32 s0, 0x7f00
	s_brev_b32 s1, 16
	s_brev_b32 s8, 1
	s_mov_b32 s9, 0x2f800000
	s_mov_b32 s11, 0xcf800000
	s_waitcnt vmcnt(0)
	v_lshlrev_b16_e32 v4, 8, v3
	v_lshlrev_b32_e32 v3, 25, v3
	v_lshrrev_b32_e32 v5, 4, v3
	v_and_or_b32 v6, v4, s0, 0.5
	v_or_b32_e32 v5, 0x70000000, v5
	v_add_f32_e32 v6, -0.5, v6
	v_mul_f32_e32 v5, 0x7800000, v5
	v_cmp_gt_u32_e32 vcc, s1, v3
	v_bfe_i32 v4, v4, 0, 16
	v_cndmask_b32_e32 v3, v5, v6, vcc
	v_and_or_b32 v3, v4, s8, v3
	v_trunc_f32_e32 v3, v3
	v_mul_f32_e64 v4, |v3|, s9
	v_floor_f32_e32 v4, v4
	v_fma_f32 v5, v4, s11, |v3|
	v_cvt_u32_f32_e32 v5, v5
	v_cvt_u32_f32_e32 v4, v4
	v_ashrrev_i32_e32 v6, 31, v3
	v_xor_b32_e32 v3, v5, v6
	v_xor_b32_e32 v4, v4, v6
	v_sub_co_u32_e32 v3, vcc, v3, v6
	v_subb_co_u32_e32 v4, vcc, v4, v6, vcc
.LBB199_470:
	s_mov_b64 s[8:9], 0
	s_mov_b64 s[0:1], -1
.LBB199_471:
	s_andn2_b64 vcc, exec, s[8:9]
	s_cbranch_vccnz .LBB199_482
; %bb.472:
	s_cmp_gt_i32 s10, 14
	s_cbranch_scc0 .LBB199_475
; %bb.473:
	s_cmp_eq_u32 s10, 15
	s_cbranch_scc0 .LBB199_476
; %bb.474:
	global_load_ushort v3, v[1:2], off
	s_mov_b32 s0, 0x2f800000
	s_mov_b32 s1, 0xcf800000
	s_mov_b64 s[2:3], 0
	s_waitcnt vmcnt(0)
	v_lshlrev_b32_e32 v3, 16, v3
	v_trunc_f32_e32 v3, v3
	v_mul_f32_e64 v4, |v3|, s0
	v_floor_f32_e32 v4, v4
	v_fma_f32 v5, v4, s1, |v3|
	v_cvt_u32_f32_e32 v5, v5
	v_cvt_u32_f32_e32 v4, v4
	v_ashrrev_i32_e32 v6, 31, v3
	s_mov_b64 s[0:1], -1
	v_xor_b32_e32 v3, v5, v6
	v_xor_b32_e32 v4, v4, v6
	v_sub_co_u32_e32 v3, vcc, v3, v6
	v_subb_co_u32_e32 v4, vcc, v4, v6, vcc
	s_branch .LBB199_477
.LBB199_475:
	s_mov_b64 s[8:9], -1
                                        ; implicit-def: $vgpr3_vgpr4
	s_branch .LBB199_478
.LBB199_476:
	s_mov_b64 s[2:3], -1
                                        ; implicit-def: $vgpr3_vgpr4
.LBB199_477:
	s_mov_b64 s[8:9], 0
.LBB199_478:
	s_and_b64 vcc, exec, s[8:9]
	s_cbranch_vccz .LBB199_482
; %bb.479:
	s_cmp_eq_u32 s10, 11
	s_cbranch_scc0 .LBB199_481
; %bb.480:
	global_load_ubyte v3, v[1:2], off
	s_mov_b32 s2, 0
	s_mov_b64 s[0:1], -1
	s_waitcnt vmcnt(1)
	v_mov_b32_e32 v4, s2
	s_mov_b64 s[2:3], 0
	s_waitcnt vmcnt(0)
	v_cmp_ne_u16_e32 vcc, 0, v3
	v_cndmask_b32_e64 v3, 0, 1, vcc
	s_branch .LBB199_482
.LBB199_481:
	s_mov_b64 s[2:3], -1
                                        ; implicit-def: $vgpr3_vgpr4
.LBB199_482:
	s_branch .LBB199_289
.LBB199_483:
	s_cmp_lt_i32 s10, 5
	s_cbranch_scc1 .LBB199_488
; %bb.484:
	s_cmp_lt_i32 s10, 8
	s_cbranch_scc1 .LBB199_489
; %bb.485:
	;; [unrolled: 3-line block ×3, first 2 shown]
	s_cmp_gt_i32 s10, 9
	s_cbranch_scc0 .LBB199_491
; %bb.487:
	global_load_dwordx2 v[3:4], v[1:2], off
	s_movk_i32 s0, 0xffe0
	s_waitcnt vmcnt(0)
	v_trunc_f64_e32 v[3:4], v[3:4]
	v_ldexp_f64 v[5:6], v[3:4], s0
	s_mov_b32 s0, 0
	s_mov_b32 s1, 0xc1f00000
	v_floor_f64_e32 v[5:6], v[5:6]
	v_fma_f64 v[7:8], v[5:6], s[0:1], v[3:4]
	v_cvt_i32_f64_e32 v4, v[5:6]
	s_mov_b64 s[0:1], 0
	v_cvt_u32_f64_e32 v3, v[7:8]
	s_branch .LBB199_492
.LBB199_488:
	s_mov_b64 s[0:1], -1
                                        ; implicit-def: $vgpr3_vgpr4
	s_branch .LBB199_510
.LBB199_489:
	s_mov_b64 s[0:1], -1
                                        ; implicit-def: $vgpr3_vgpr4
	s_branch .LBB199_498
.LBB199_490:
	s_mov_b64 s[0:1], -1
                                        ; implicit-def: $vgpr3_vgpr4
	s_branch .LBB199_495
.LBB199_491:
	s_mov_b64 s[0:1], -1
                                        ; implicit-def: $vgpr3_vgpr4
.LBB199_492:
	s_andn2_b64 vcc, exec, s[0:1]
	s_cbranch_vccnz .LBB199_494
; %bb.493:
	global_load_dword v3, v[1:2], off
	s_mov_b32 s0, 0x2f800000
	s_mov_b32 s1, 0xcf800000
	s_waitcnt vmcnt(0)
	v_trunc_f32_e32 v3, v3
	v_mul_f32_e64 v4, |v3|, s0
	v_floor_f32_e32 v4, v4
	v_cvt_u32_f32_e32 v5, v4
	v_fma_f32 v4, v4, s1, |v3|
	v_cvt_u32_f32_e32 v4, v4
	v_ashrrev_i32_e32 v6, 31, v3
	v_xor_b32_e32 v5, v5, v6
	v_xor_b32_e32 v3, v4, v6
	v_sub_co_u32_e32 v3, vcc, v3, v6
	v_subb_co_u32_e32 v4, vcc, v5, v6, vcc
.LBB199_494:
	s_mov_b64 s[0:1], 0
.LBB199_495:
	s_andn2_b64 vcc, exec, s[0:1]
	s_cbranch_vccnz .LBB199_497
; %bb.496:
	global_load_dword v3, v[1:2], off
	s_waitcnt vmcnt(0)
	v_cvt_f32_f16_e32 v3, v3
	v_cvt_i32_f32_e32 v3, v3
	v_ashrrev_i32_e32 v4, 31, v3
.LBB199_497:
	s_mov_b64 s[0:1], 0
.LBB199_498:
	s_andn2_b64 vcc, exec, s[0:1]
	s_cbranch_vccnz .LBB199_509
; %bb.499:
	s_cmp_lt_i32 s10, 6
	s_cbranch_scc1 .LBB199_502
; %bb.500:
	s_cmp_gt_i32 s10, 6
	s_cbranch_scc0 .LBB199_503
; %bb.501:
	global_load_dwordx2 v[3:4], v[1:2], off
	s_movk_i32 s0, 0xffe0
	s_waitcnt vmcnt(0)
	v_trunc_f64_e32 v[3:4], v[3:4]
	v_ldexp_f64 v[5:6], v[3:4], s0
	s_mov_b32 s0, 0
	s_mov_b32 s1, 0xc1f00000
	v_floor_f64_e32 v[5:6], v[5:6]
	v_fma_f64 v[7:8], v[5:6], s[0:1], v[3:4]
	v_cvt_i32_f64_e32 v4, v[5:6]
	s_mov_b64 s[0:1], 0
	v_cvt_u32_f64_e32 v3, v[7:8]
	s_branch .LBB199_504
.LBB199_502:
	s_mov_b64 s[0:1], -1
                                        ; implicit-def: $vgpr3_vgpr4
	s_branch .LBB199_507
.LBB199_503:
	s_mov_b64 s[0:1], -1
                                        ; implicit-def: $vgpr3_vgpr4
.LBB199_504:
	s_andn2_b64 vcc, exec, s[0:1]
	s_cbranch_vccnz .LBB199_506
; %bb.505:
	global_load_dword v3, v[1:2], off
	s_mov_b32 s0, 0x2f800000
	s_mov_b32 s1, 0xcf800000
	s_waitcnt vmcnt(0)
	v_trunc_f32_e32 v3, v3
	v_mul_f32_e64 v4, |v3|, s0
	v_floor_f32_e32 v4, v4
	v_cvt_u32_f32_e32 v5, v4
	v_fma_f32 v4, v4, s1, |v3|
	v_cvt_u32_f32_e32 v4, v4
	v_ashrrev_i32_e32 v6, 31, v3
	v_xor_b32_e32 v5, v5, v6
	v_xor_b32_e32 v3, v4, v6
	v_sub_co_u32_e32 v3, vcc, v3, v6
	v_subb_co_u32_e32 v4, vcc, v5, v6, vcc
.LBB199_506:
	s_mov_b64 s[0:1], 0
.LBB199_507:
	s_andn2_b64 vcc, exec, s[0:1]
	s_cbranch_vccnz .LBB199_509
; %bb.508:
	global_load_ushort v3, v[1:2], off
	s_waitcnt vmcnt(0)
	v_cvt_f32_f16_e32 v3, v3
	v_cvt_i32_f32_e32 v3, v3
	v_ashrrev_i32_e32 v4, 31, v3
.LBB199_509:
	s_mov_b64 s[0:1], 0
.LBB199_510:
	s_andn2_b64 vcc, exec, s[0:1]
	s_cbranch_vccnz .LBB199_530
; %bb.511:
	s_cmp_lt_i32 s10, 2
	s_cbranch_scc1 .LBB199_515
; %bb.512:
	s_cmp_lt_i32 s10, 3
	s_cbranch_scc1 .LBB199_516
; %bb.513:
	s_cmp_gt_i32 s10, 3
	s_cbranch_scc0 .LBB199_517
; %bb.514:
	global_load_dwordx2 v[3:4], v[1:2], off
	s_mov_b64 s[0:1], 0
	s_branch .LBB199_518
.LBB199_515:
	s_mov_b64 s[0:1], -1
                                        ; implicit-def: $vgpr3_vgpr4
	s_branch .LBB199_524
.LBB199_516:
	s_mov_b64 s[0:1], -1
                                        ; implicit-def: $vgpr3_vgpr4
	s_branch .LBB199_521
.LBB199_517:
	s_mov_b64 s[0:1], -1
                                        ; implicit-def: $vgpr3_vgpr4
.LBB199_518:
	s_andn2_b64 vcc, exec, s[0:1]
	s_cbranch_vccnz .LBB199_520
; %bb.519:
	global_load_dword v3, v[1:2], off
	s_waitcnt vmcnt(0)
	v_ashrrev_i32_e32 v4, 31, v3
.LBB199_520:
	s_mov_b64 s[0:1], 0
.LBB199_521:
	s_andn2_b64 vcc, exec, s[0:1]
	s_cbranch_vccnz .LBB199_523
; %bb.522:
	global_load_ushort v3, v[1:2], off
	s_waitcnt vmcnt(0)
	v_bfe_i32 v3, v3, 0, 16
	v_ashrrev_i32_e32 v4, 31, v3
.LBB199_523:
	s_mov_b64 s[0:1], 0
.LBB199_524:
	s_andn2_b64 vcc, exec, s[0:1]
	s_cbranch_vccnz .LBB199_530
; %bb.525:
	s_cmp_gt_i32 s10, 0
	s_cbranch_scc0 .LBB199_527
; %bb.526:
	global_load_sbyte v3, v[1:2], off
	s_mov_b64 s[0:1], 0
	s_waitcnt vmcnt(0)
	v_bfe_i32 v3, v3, 0, 16
	v_ashrrev_i32_e32 v4, 31, v3
	s_branch .LBB199_528
.LBB199_527:
	s_mov_b64 s[0:1], -1
                                        ; implicit-def: $vgpr3_vgpr4
.LBB199_528:
	s_andn2_b64 vcc, exec, s[0:1]
	s_cbranch_vccnz .LBB199_530
; %bb.529:
	global_load_ubyte v1, v[1:2], off
	s_mov_b32 s0, 0
	s_waitcnt vmcnt(1)
	v_mov_b32_e32 v4, s0
	s_waitcnt vmcnt(0)
	v_and_b32_e32 v3, 0xffff, v1
.LBB199_530:
	s_branch .LBB199_290
.LBB199_531:
	s_mov_b64 s[8:9], 0
	s_mov_b64 s[0:1], s[54:55]
.LBB199_532:
                                        ; implicit-def: $vgpr11
.LBB199_533:
	s_andn2_b64 s[10:11], s[54:55], exec
	s_and_b64 s[0:1], s[0:1], exec
	s_or_b64 s[62:63], s[10:11], s[0:1]
	s_andn2_b64 s[0:1], s[56:57], exec
	s_and_b64 s[2:3], s[2:3], exec
	s_or_b64 s[60:61], s[0:1], s[2:3]
	s_orn2_b64 s[0:1], s[8:9], exec
.LBB199_534:
	s_or_b64 exec, exec, s[64:65]
	s_mov_b64 s[2:3], 0
	s_mov_b64 s[8:9], 0
	;; [unrolled: 1-line block ×3, first 2 shown]
                                        ; implicit-def: $vgpr1_vgpr2
                                        ; implicit-def: $vgpr0
                                        ; implicit-def: $vgpr5_vgpr6
	s_and_saveexec_b64 s[64:65], s[0:1]
	s_cbranch_execz .LBB199_901
; %bb.535:
	v_cmp_gt_i32_e32 vcc, s72, v11
	s_mov_b64 s[2:3], -1
	s_mov_b64 s[68:69], s[60:61]
	s_mov_b64 s[70:71], s[62:63]
	s_and_saveexec_b64 s[66:67], vcc
	s_cbranch_execz .LBB199_805
; %bb.536:
	s_andn2_b64 vcc, exec, s[40:41]
	s_cbranch_vccnz .LBB199_541
; %bb.537:
	s_andn2_b64 vcc, exec, s[52:53]
	s_cbranch_vccnz .LBB199_542
; %bb.538:
	s_add_i32 s78, s77, 1
	s_cmp_eq_u32 s74, 2
	s_cbranch_scc1 .LBB199_543
; %bb.539:
	s_and_b32 s73, s78, 28
	v_mov_b32_e32 v2, 0
	s_mov_b32 s79, 0
	s_mov_b64 s[68:69], s[34:35]
	s_mov_b64 s[70:71], s[50:51]
	v_mov_b32_e32 v0, 0
	v_mov_b32_e32 v1, v11
.LBB199_540:                            ; =>This Inner Loop Header: Depth=1
	s_load_dwordx8 s[16:23], s[68:69], 0x4
	s_load_dwordx4 s[0:3], s[68:69], 0x24
	s_load_dwordx8 s[8:15], s[70:71], 0x0
	s_add_u32 s68, s68, 48
	s_addc_u32 s69, s69, 0
	s_waitcnt vmcnt(0) lgkmcnt(0)
	v_mul_hi_u32 v3, s17, v1
	s_add_i32 s79, s79, 4
	s_add_u32 s70, s70, 32
	s_addc_u32 s71, s71, 0
	v_add_u32_e32 v3, v1, v3
	v_lshrrev_b32_e32 v3, s18, v3
	v_mul_lo_u32 v4, v3, s16
	v_mul_hi_u32 v5, s20, v3
	s_cmp_eq_u32 s73, s79
	v_sub_u32_e32 v1, v1, v4
	v_add_u32_e32 v4, v3, v5
	v_mul_lo_u32 v5, v1, s8
	v_mul_lo_u32 v6, v1, s9
	v_lshrrev_b32_e32 v1, s21, v4
	v_mul_lo_u32 v4, v1, s19
	v_mul_hi_u32 v7, s23, v1
	v_sub_u32_e32 v3, v3, v4
	v_add_u32_e32 v4, v1, v7
	v_lshrrev_b32_e32 v4, s0, v4
	v_mul_hi_u32 v8, s2, v4
	v_mul_lo_u32 v9, v4, s22
	v_mul_lo_u32 v7, v3, s10
	;; [unrolled: 1-line block ×3, first 2 shown]
	v_sub_u32_e32 v9, v1, v9
	v_add_u32_e32 v1, v4, v8
	v_lshrrev_b32_e32 v1, s3, v1
	v_mul_lo_u32 v8, v1, s1
	v_mul_lo_u32 v10, v9, s12
	;; [unrolled: 1-line block ×3, first 2 shown]
	v_add3_u32 v0, v5, v0, v7
	v_sub_u32_e32 v4, v4, v8
	v_mul_lo_u32 v8, v4, s14
	v_mul_lo_u32 v4, v4, s15
	v_add3_u32 v2, v6, v2, v3
	v_add3_u32 v0, v10, v0, v8
	;; [unrolled: 1-line block ×3, first 2 shown]
	s_cbranch_scc0 .LBB199_540
	s_branch .LBB199_544
.LBB199_541:
	s_mov_b64 s[0:1], -1
                                        ; implicit-def: $vgpr0
                                        ; implicit-def: $vgpr2
	s_branch .LBB199_548
.LBB199_542:
	v_mov_b32_e32 v0, 0
	v_mov_b32_e32 v2, 0
	s_branch .LBB199_547
.LBB199_543:
	s_mov_b32 s73, 0
	v_mov_b32_e32 v0, 0
	v_mov_b32_e32 v2, 0
	;; [unrolled: 1-line block ×3, first 2 shown]
.LBB199_544:
	s_and_b32 s8, s78, 3
	s_cmp_eq_u32 s8, 0
	s_cbranch_scc1 .LBB199_547
; %bb.545:
	s_lshl_b32 s0, s73, 3
	s_add_u32 s0, s34, s0
	s_addc_u32 s1, s35, 0
	s_add_u32 s0, s0, 0xc4
	s_addc_u32 s1, s1, 0
	s_mul_i32 s2, s73, 12
	s_add_u32 s2, s34, s2
	s_addc_u32 s3, s35, 0
.LBB199_546:                            ; =>This Inner Loop Header: Depth=1
	s_load_dwordx2 s[10:11], s[2:3], 0x4
	s_load_dword s9, s[2:3], 0xc
	s_load_dwordx2 s[12:13], s[0:1], 0x0
	s_add_u32 s2, s2, 12
	s_addc_u32 s3, s3, 0
	s_waitcnt vmcnt(0) lgkmcnt(0)
	v_mul_hi_u32 v3, s11, v1
	s_add_u32 s0, s0, 8
	s_addc_u32 s1, s1, 0
	s_add_i32 s8, s8, -1
	v_add_u32_e32 v3, v1, v3
	v_lshrrev_b32_e32 v4, s9, v3
	v_mul_lo_u32 v3, v4, s10
	s_cmp_lg_u32 s8, 0
	v_sub_u32_e32 v3, v1, v3
	v_mad_u64_u32 v[0:1], s[10:11], v3, s12, v[0:1]
	v_mad_u64_u32 v[2:3], s[10:11], v3, s13, v[2:3]
	v_mov_b32_e32 v1, v4
	s_cbranch_scc1 .LBB199_546
.LBB199_547:
	s_mov_b64 s[0:1], 0
.LBB199_548:
	s_andn2_b64 vcc, exec, s[0:1]
	s_cbranch_vccnz .LBB199_551
; %bb.549:
	v_mul_hi_u32 v0, s29, v11
	s_andn2_b64 vcc, exec, s[48:49]
	v_add_u32_e32 v0, v11, v0
	v_lshrrev_b32_e32 v1, s30, v0
	v_mul_lo_u32 v0, v1, s28
	v_sub_u32_e32 v2, v11, v0
	v_mul_lo_u32 v0, v2, s36
	v_mul_lo_u32 v2, v2, s37
	s_cbranch_vccnz .LBB199_551
; %bb.550:
	s_waitcnt vmcnt(0)
	v_mul_hi_u32 v3, s46, v1
	v_add_u32_e32 v3, v1, v3
	v_lshrrev_b32_e32 v3, s47, v3
	v_mul_lo_u32 v3, v3, s31
	v_sub_u32_e32 v3, v1, v3
	v_mad_u64_u32 v[0:1], s[0:1], v3, s38, v[0:1]
	v_mad_u64_u32 v[2:3], s[0:1], v3, s39, v[2:3]
.LBB199_551:
	s_waitcnt vmcnt(0)
	v_mov_b32_e32 v3, s27
	s_and_b32 s10, 0xffff, s76
	v_add_co_u32_e32 v1, vcc, s26, v2
	s_cmp_lt_i32 s10, 11
	v_addc_co_u32_e32 v2, vcc, 0, v3, vcc
	s_cbranch_scc1 .LBB199_558
; %bb.552:
	s_cmp_gt_i32 s10, 25
	s_cbranch_scc0 .LBB199_559
; %bb.553:
	s_cmp_gt_i32 s10, 28
	s_cbranch_scc0 .LBB199_560
	;; [unrolled: 3-line block ×4, first 2 shown]
; %bb.556:
	s_cmp_eq_u32 s10, 46
	s_mov_b64 s[8:9], 0
	s_cbranch_scc0 .LBB199_567
; %bb.557:
	global_load_dword v3, v[1:2], off
	s_mov_b32 s0, 0x2f800000
	s_mov_b32 s1, 0xcf800000
	s_mov_b64 s[2:3], 0
	s_waitcnt vmcnt(0)
	v_lshlrev_b32_e32 v3, 16, v3
	v_trunc_f32_e32 v3, v3
	v_mul_f32_e64 v4, |v3|, s0
	v_floor_f32_e32 v4, v4
	v_fma_f32 v5, v4, s1, |v3|
	v_cvt_u32_f32_e32 v5, v5
	v_cvt_u32_f32_e32 v4, v4
	v_ashrrev_i32_e32 v6, 31, v3
	s_mov_b64 s[0:1], -1
	v_xor_b32_e32 v3, v5, v6
	v_xor_b32_e32 v4, v4, v6
	v_sub_co_u32_e32 v3, vcc, v3, v6
	v_subb_co_u32_e32 v4, vcc, v4, v6, vcc
	s_branch .LBB199_568
.LBB199_558:
	s_mov_b64 s[8:9], -1
	s_mov_b64 s[0:1], 0
                                        ; implicit-def: $vgpr3_vgpr4
	s_mov_b64 s[2:3], s[60:61]
	s_branch .LBB199_629
.LBB199_559:
	s_mov_b64 s[8:9], -1
	s_mov_b64 s[0:1], 0
	s_mov_b64 s[2:3], s[60:61]
                                        ; implicit-def: $vgpr3_vgpr4
	s_branch .LBB199_597
.LBB199_560:
	s_mov_b64 s[8:9], -1
	s_mov_b64 s[0:1], 0
	s_mov_b64 s[2:3], s[60:61]
                                        ; implicit-def: $vgpr3_vgpr4
	s_branch .LBB199_578
.LBB199_561:
	s_mov_b64 s[8:9], -1
	s_mov_b64 s[0:1], 0
	s_mov_b64 s[2:3], s[60:61]
                                        ; implicit-def: $vgpr3_vgpr4
	s_branch .LBB199_573
.LBB199_562:
	s_andn2_saveexec_b64 s[12:13], s[12:13]
	s_cbranch_execz .LBB199_335
.LBB199_563:
	s_mov_b32 s16, 0x46000000
	v_add_f32_e64 v5, |v0|, s16
	v_and_b32_e32 v5, 0xff, v5
	v_cmp_ne_u32_e32 vcc, 0, v5
	s_andn2_b64 s[10:11], s[10:11], exec
	s_and_b64 s[16:17], vcc, exec
	s_or_b64 s[10:11], s[10:11], s[16:17]
	s_or_b64 exec, exec, s[12:13]
	v_mov_b32_e32 v6, 0
	s_and_saveexec_b64 s[12:13], s[10:11]
	s_cbranch_execnz .LBB199_336
	s_branch .LBB199_337
.LBB199_564:
	s_mov_b64 s[8:9], -1
	s_mov_b64 s[0:1], 0
	s_mov_b64 s[2:3], s[60:61]
                                        ; implicit-def: $vgpr3_vgpr4
	s_branch .LBB199_568
.LBB199_565:
	s_andn2_saveexec_b64 s[12:13], s[12:13]
	s_cbranch_execz .LBB199_348
.LBB199_566:
	s_mov_b32 s16, 0x42800000
	v_add_f32_e64 v5, |v0|, s16
	v_and_b32_e32 v5, 0xff, v5
	v_cmp_ne_u32_e32 vcc, 0, v5
	s_andn2_b64 s[10:11], s[10:11], exec
	s_and_b64 s[16:17], vcc, exec
	s_or_b64 s[10:11], s[10:11], s[16:17]
	s_or_b64 exec, exec, s[12:13]
	v_mov_b32_e32 v6, 0
	s_and_saveexec_b64 s[12:13], s[10:11]
	s_cbranch_execnz .LBB199_349
	s_branch .LBB199_350
.LBB199_567:
	s_mov_b64 s[2:3], -1
                                        ; implicit-def: $vgpr3_vgpr4
	s_mov_b64 s[0:1], 0
.LBB199_568:
	s_and_b64 vcc, exec, s[8:9]
	s_cbranch_vccz .LBB199_572
; %bb.569:
	s_cmp_eq_u32 s10, 44
	s_cbranch_scc0 .LBB199_571
; %bb.570:
	global_load_ubyte v3, v[1:2], off
	s_mov_b32 s0, 0x2f800000
	s_mov_b32 s1, 0xcf800000
	s_mov_b64 s[2:3], 0
	s_waitcnt vmcnt(0)
	v_lshlrev_b32_e32 v4, 23, v3
	v_trunc_f32_e32 v4, v4
	v_mul_f32_e64 v5, |v4|, s0
	v_floor_f32_e32 v5, v5
	v_fma_f32 v6, v5, s1, |v4|
	v_cvt_u32_f32_e32 v6, v6
	v_cvt_u32_f32_e32 v5, v5
	v_ashrrev_i32_e32 v4, 31, v4
	s_mov_b64 s[0:1], -1
	v_xor_b32_e32 v6, v6, v4
	v_xor_b32_e32 v5, v5, v4
	v_sub_co_u32_e32 v6, vcc, v6, v4
	v_subb_co_u32_e32 v4, vcc, v5, v4, vcc
	v_cmp_ne_u32_e32 vcc, 0, v3
	v_cndmask_b32_e32 v4, 0, v4, vcc
	v_cndmask_b32_e32 v3, 0, v6, vcc
	s_branch .LBB199_572
.LBB199_571:
	s_mov_b64 s[2:3], -1
                                        ; implicit-def: $vgpr3_vgpr4
.LBB199_572:
	s_mov_b64 s[8:9], 0
.LBB199_573:
	s_and_b64 vcc, exec, s[8:9]
	s_cbranch_vccz .LBB199_577
; %bb.574:
	s_cmp_eq_u32 s10, 29
	s_cbranch_scc0 .LBB199_576
; %bb.575:
	global_load_dwordx2 v[3:4], v[1:2], off
	s_mov_b64 s[0:1], -1
	s_mov_b64 s[2:3], 0
	s_branch .LBB199_577
.LBB199_576:
	s_mov_b64 s[2:3], -1
                                        ; implicit-def: $vgpr3_vgpr4
.LBB199_577:
	s_mov_b64 s[8:9], 0
.LBB199_578:
	s_and_b64 vcc, exec, s[8:9]
	s_cbranch_vccz .LBB199_596
; %bb.579:
	s_cmp_lt_i32 s10, 27
	s_cbranch_scc1 .LBB199_582
; %bb.580:
	s_cmp_gt_i32 s10, 27
	s_cbranch_scc0 .LBB199_583
; %bb.581:
	global_load_dword v3, v[1:2], off
	s_waitcnt vmcnt(1)
	v_mov_b32_e32 v4, 0
	s_mov_b64 s[0:1], 0
	s_branch .LBB199_584
.LBB199_582:
	s_mov_b64 s[0:1], -1
                                        ; implicit-def: $vgpr3_vgpr4
	s_branch .LBB199_587
.LBB199_583:
	s_mov_b64 s[0:1], -1
                                        ; implicit-def: $vgpr3_vgpr4
.LBB199_584:
	s_andn2_b64 vcc, exec, s[0:1]
	s_cbranch_vccnz .LBB199_586
; %bb.585:
	global_load_ushort v3, v[1:2], off
	s_mov_b32 s0, 0
	s_waitcnt vmcnt(1)
	v_mov_b32_e32 v4, s0
	s_waitcnt vmcnt(0)
	v_and_b32_e32 v3, 0xffff, v3
.LBB199_586:
	s_mov_b64 s[0:1], 0
.LBB199_587:
	s_andn2_b64 vcc, exec, s[0:1]
	s_cbranch_vccnz .LBB199_595
; %bb.588:
	global_load_ubyte v5, v[1:2], off
	s_movk_i32 s0, 0x7f
	s_mov_b64 s[8:9], 0
	s_waitcnt vmcnt(0)
	v_cmp_lt_i16_e32 vcc, s0, v5
	s_and_saveexec_b64 s[0:1], vcc
	s_xor_b64 s[0:1], exec, s[0:1]
; %bb.589:
	s_movk_i32 s8, 0x80
	v_cmp_ne_u16_e32 vcc, s8, v5
	s_and_b64 s[8:9], vcc, exec
; %bb.590:
	s_andn2_saveexec_b64 s[0:1], s[0:1]
; %bb.591:
	v_cmp_ne_u16_e32 vcc, 0, v5
	s_andn2_b64 s[8:9], s[8:9], exec
	s_and_b64 s[12:13], vcc, exec
	s_or_b64 s[8:9], s[8:9], s[12:13]
; %bb.592:
	s_or_b64 exec, exec, s[0:1]
	v_mov_b32_e32 v3, 0
	v_mov_b32_e32 v4, 0
	s_and_saveexec_b64 s[0:1], s[8:9]
	s_cbranch_execz .LBB199_594
; %bb.593:
	v_and_b32_e32 v4, 0xffff, v5
	v_lshlrev_b32_e32 v3, 24, v5
	v_and_b32_e32 v5, 7, v4
	v_ffbh_u32_e32 v7, v5
	v_min_u32_e32 v7, 32, v7
	v_subrev_u32_e32 v8, 28, v7
	v_bfe_u32 v6, v4, 3, 4
	v_lshlrev_b32_e32 v4, v8, v4
	v_sub_u32_e32 v7, 29, v7
	v_and_b32_e32 v4, 7, v4
	v_cmp_eq_u32_e32 vcc, 0, v6
	v_cndmask_b32_e32 v6, v6, v7, vcc
	v_cndmask_b32_e32 v4, v5, v4, vcc
	v_mov_b32_e32 v5, 0x3b800000
	v_lshlrev_b32_e32 v4, 20, v4
	v_and_b32_e32 v3, 0x80000000, v3
	v_lshl_add_u32 v5, v6, 23, v5
	v_or3_b32 v3, v3, v5, v4
	v_trunc_f32_e32 v3, v3
	s_mov_b32 s8, 0x2f800000
	v_mul_f32_e64 v4, |v3|, s8
	v_floor_f32_e32 v4, v4
	s_mov_b32 s8, 0xcf800000
	v_fma_f32 v5, v4, s8, |v3|
	v_cvt_u32_f32_e32 v5, v5
	v_cvt_u32_f32_e32 v4, v4
	v_ashrrev_i32_e32 v6, 31, v3
	v_xor_b32_e32 v3, v5, v6
	v_xor_b32_e32 v4, v4, v6
	v_sub_co_u32_e32 v3, vcc, v3, v6
	v_subb_co_u32_e32 v4, vcc, v4, v6, vcc
.LBB199_594:
	s_or_b64 exec, exec, s[0:1]
.LBB199_595:
	s_mov_b64 s[0:1], -1
.LBB199_596:
	s_mov_b64 s[8:9], 0
.LBB199_597:
	s_and_b64 vcc, exec, s[8:9]
	s_cbranch_vccz .LBB199_628
; %bb.598:
	s_cmp_gt_i32 s10, 22
	s_cbranch_scc0 .LBB199_608
; %bb.599:
	s_cmp_lt_i32 s10, 24
	s_cbranch_scc1 .LBB199_609
; %bb.600:
	s_cmp_gt_i32 s10, 24
	s_cbranch_scc0 .LBB199_610
; %bb.601:
	global_load_ubyte v5, v[1:2], off
	s_movk_i32 s0, 0x7f
	s_mov_b64 s[8:9], 0
	s_waitcnt vmcnt(0)
	v_cmp_lt_i16_e32 vcc, s0, v5
	s_and_saveexec_b64 s[0:1], vcc
	s_xor_b64 s[0:1], exec, s[0:1]
; %bb.602:
	s_movk_i32 s8, 0x80
	v_cmp_ne_u16_e32 vcc, s8, v5
	s_and_b64 s[8:9], vcc, exec
; %bb.603:
	s_andn2_saveexec_b64 s[0:1], s[0:1]
; %bb.604:
	v_cmp_ne_u16_e32 vcc, 0, v5
	s_andn2_b64 s[8:9], s[8:9], exec
	s_and_b64 s[12:13], vcc, exec
	s_or_b64 s[8:9], s[8:9], s[12:13]
; %bb.605:
	s_or_b64 exec, exec, s[0:1]
	v_mov_b32_e32 v3, 0
	v_mov_b32_e32 v4, 0
	s_and_saveexec_b64 s[0:1], s[8:9]
	s_cbranch_execz .LBB199_607
; %bb.606:
	v_and_b32_e32 v4, 0xffff, v5
	v_lshlrev_b32_e32 v3, 24, v5
	v_and_b32_e32 v5, 3, v4
	v_ffbh_u32_e32 v7, v5
	v_min_u32_e32 v7, 32, v7
	v_subrev_u32_e32 v8, 29, v7
	v_bfe_u32 v6, v4, 2, 5
	v_lshlrev_b32_e32 v4, v8, v4
	v_sub_u32_e32 v7, 30, v7
	v_and_b32_e32 v4, 3, v4
	v_cmp_eq_u32_e32 vcc, 0, v6
	v_cndmask_b32_e32 v6, v6, v7, vcc
	v_cndmask_b32_e32 v4, v5, v4, vcc
	v_mov_b32_e32 v5, 0x37800000
	v_lshlrev_b32_e32 v4, 21, v4
	v_and_b32_e32 v3, 0x80000000, v3
	v_lshl_add_u32 v5, v6, 23, v5
	v_or3_b32 v3, v3, v5, v4
	v_trunc_f32_e32 v3, v3
	s_mov_b32 s8, 0x2f800000
	v_mul_f32_e64 v4, |v3|, s8
	v_floor_f32_e32 v4, v4
	s_mov_b32 s8, 0xcf800000
	v_fma_f32 v5, v4, s8, |v3|
	v_cvt_u32_f32_e32 v5, v5
	v_cvt_u32_f32_e32 v4, v4
	v_ashrrev_i32_e32 v6, 31, v3
	v_xor_b32_e32 v3, v5, v6
	v_xor_b32_e32 v4, v4, v6
	v_sub_co_u32_e32 v3, vcc, v3, v6
	v_subb_co_u32_e32 v4, vcc, v4, v6, vcc
.LBB199_607:
	s_or_b64 exec, exec, s[0:1]
	s_mov_b64 s[0:1], 0
	s_branch .LBB199_611
.LBB199_608:
	s_mov_b64 s[8:9], -1
                                        ; implicit-def: $vgpr3_vgpr4
	s_branch .LBB199_617
.LBB199_609:
	s_mov_b64 s[0:1], -1
                                        ; implicit-def: $vgpr3_vgpr4
	s_branch .LBB199_614
.LBB199_610:
	s_mov_b64 s[0:1], -1
                                        ; implicit-def: $vgpr3_vgpr4
.LBB199_611:
	s_and_b64 vcc, exec, s[0:1]
	s_cbranch_vccz .LBB199_613
; %bb.612:
	global_load_ubyte v3, v[1:2], off
	s_mov_b32 s0, 0x7f800000
	s_brev_b32 s1, 1
	s_mov_b32 s8, 0x2f800000
	s_mov_b32 s9, 0xcf800000
	s_waitcnt vmcnt(0)
	v_lshlrev_b32_e32 v3, 24, v3
	v_and_b32_e32 v4, 0x7f000000, v3
	v_ffbh_u32_e32 v5, v4
	v_min_u32_e32 v5, 32, v5
	v_sub_u32_e64 v5, v5, 4 clamp
	v_lshlrev_b32_e32 v7, v5, v4
	v_lshlrev_b32_e32 v5, 23, v5
	v_lshrrev_b32_e32 v7, 4, v7
	v_add_u32_e32 v6, 0x1000000, v4
	v_sub_u32_e32 v5, v7, v5
	v_ashrrev_i32_e32 v6, 8, v6
	v_add_u32_e32 v5, 0x3c000000, v5
	v_and_or_b32 v5, v6, s0, v5
	v_cmp_ne_u32_e32 vcc, 0, v4
	v_cndmask_b32_e32 v4, 0, v5, vcc
	v_and_or_b32 v3, v3, s1, v4
	v_trunc_f32_e32 v3, v3
	v_mul_f32_e64 v4, |v3|, s8
	v_floor_f32_e32 v4, v4
	v_fma_f32 v5, v4, s9, |v3|
	v_cvt_u32_f32_e32 v5, v5
	v_cvt_u32_f32_e32 v4, v4
	v_ashrrev_i32_e32 v6, 31, v3
	v_xor_b32_e32 v3, v5, v6
	v_xor_b32_e32 v4, v4, v6
	v_sub_co_u32_e32 v3, vcc, v3, v6
	v_subb_co_u32_e32 v4, vcc, v4, v6, vcc
.LBB199_613:
	s_mov_b64 s[0:1], 0
.LBB199_614:
	s_andn2_b64 vcc, exec, s[0:1]
	s_cbranch_vccnz .LBB199_616
; %bb.615:
	global_load_ubyte v3, v[1:2], off
	s_movk_i32 s0, 0x7f00
	s_brev_b32 s1, 16
	s_brev_b32 s8, 1
	s_mov_b32 s9, 0x2f800000
	s_mov_b32 s11, 0xcf800000
	s_waitcnt vmcnt(0)
	v_lshlrev_b16_e32 v4, 8, v3
	v_lshlrev_b32_e32 v3, 25, v3
	v_lshrrev_b32_e32 v5, 4, v3
	v_and_or_b32 v6, v4, s0, 0.5
	v_or_b32_e32 v5, 0x70000000, v5
	v_add_f32_e32 v6, -0.5, v6
	v_mul_f32_e32 v5, 0x7800000, v5
	v_cmp_gt_u32_e32 vcc, s1, v3
	v_bfe_i32 v4, v4, 0, 16
	v_cndmask_b32_e32 v3, v5, v6, vcc
	v_and_or_b32 v3, v4, s8, v3
	v_trunc_f32_e32 v3, v3
	v_mul_f32_e64 v4, |v3|, s9
	v_floor_f32_e32 v4, v4
	v_fma_f32 v5, v4, s11, |v3|
	v_cvt_u32_f32_e32 v5, v5
	v_cvt_u32_f32_e32 v4, v4
	v_ashrrev_i32_e32 v6, 31, v3
	v_xor_b32_e32 v3, v5, v6
	v_xor_b32_e32 v4, v4, v6
	v_sub_co_u32_e32 v3, vcc, v3, v6
	v_subb_co_u32_e32 v4, vcc, v4, v6, vcc
.LBB199_616:
	s_mov_b64 s[8:9], 0
	s_mov_b64 s[0:1], -1
.LBB199_617:
	s_andn2_b64 vcc, exec, s[8:9]
	s_cbranch_vccnz .LBB199_628
; %bb.618:
	s_cmp_gt_i32 s10, 14
	s_cbranch_scc0 .LBB199_621
; %bb.619:
	s_cmp_eq_u32 s10, 15
	s_cbranch_scc0 .LBB199_622
; %bb.620:
	global_load_ushort v3, v[1:2], off
	s_mov_b32 s0, 0x2f800000
	s_mov_b32 s1, 0xcf800000
	s_mov_b64 s[2:3], 0
	s_waitcnt vmcnt(0)
	v_lshlrev_b32_e32 v3, 16, v3
	v_trunc_f32_e32 v3, v3
	v_mul_f32_e64 v4, |v3|, s0
	v_floor_f32_e32 v4, v4
	v_fma_f32 v5, v4, s1, |v3|
	v_cvt_u32_f32_e32 v5, v5
	v_cvt_u32_f32_e32 v4, v4
	v_ashrrev_i32_e32 v6, 31, v3
	s_mov_b64 s[0:1], -1
	v_xor_b32_e32 v3, v5, v6
	v_xor_b32_e32 v4, v4, v6
	v_sub_co_u32_e32 v3, vcc, v3, v6
	v_subb_co_u32_e32 v4, vcc, v4, v6, vcc
	s_branch .LBB199_623
.LBB199_621:
	s_mov_b64 s[8:9], -1
                                        ; implicit-def: $vgpr3_vgpr4
	s_branch .LBB199_624
.LBB199_622:
	s_mov_b64 s[2:3], -1
                                        ; implicit-def: $vgpr3_vgpr4
.LBB199_623:
	s_mov_b64 s[8:9], 0
.LBB199_624:
	s_and_b64 vcc, exec, s[8:9]
	s_cbranch_vccz .LBB199_628
; %bb.625:
	s_cmp_eq_u32 s10, 11
	s_cbranch_scc0 .LBB199_627
; %bb.626:
	global_load_ubyte v3, v[1:2], off
	s_mov_b32 s2, 0
	s_mov_b64 s[0:1], -1
	s_waitcnt vmcnt(1)
	v_mov_b32_e32 v4, s2
	s_mov_b64 s[2:3], 0
	s_waitcnt vmcnt(0)
	v_cmp_ne_u16_e32 vcc, 0, v3
	v_cndmask_b32_e64 v3, 0, 1, vcc
	s_branch .LBB199_628
.LBB199_627:
	s_mov_b64 s[2:3], -1
                                        ; implicit-def: $vgpr3_vgpr4
.LBB199_628:
	s_mov_b64 s[8:9], 0
.LBB199_629:
	s_and_b64 vcc, exec, s[8:9]
	s_cbranch_vccz .LBB199_678
; %bb.630:
	s_cmp_lt_i32 s10, 5
	s_cbranch_scc1 .LBB199_635
; %bb.631:
	s_cmp_lt_i32 s10, 8
	s_cbranch_scc1 .LBB199_636
	;; [unrolled: 3-line block ×3, first 2 shown]
; %bb.633:
	s_cmp_gt_i32 s10, 9
	s_cbranch_scc0 .LBB199_638
; %bb.634:
	global_load_dwordx2 v[3:4], v[1:2], off
	s_movk_i32 s0, 0xffe0
	s_waitcnt vmcnt(0)
	v_trunc_f64_e32 v[3:4], v[3:4]
	v_ldexp_f64 v[5:6], v[3:4], s0
	s_mov_b32 s0, 0
	s_mov_b32 s1, 0xc1f00000
	v_floor_f64_e32 v[5:6], v[5:6]
	v_fma_f64 v[7:8], v[5:6], s[0:1], v[3:4]
	v_cvt_i32_f64_e32 v4, v[5:6]
	s_mov_b64 s[0:1], 0
	v_cvt_u32_f64_e32 v3, v[7:8]
	s_branch .LBB199_639
.LBB199_635:
	s_mov_b64 s[0:1], -1
                                        ; implicit-def: $vgpr3_vgpr4
	s_branch .LBB199_657
.LBB199_636:
	s_mov_b64 s[0:1], -1
                                        ; implicit-def: $vgpr3_vgpr4
	s_branch .LBB199_645
.LBB199_637:
	s_mov_b64 s[0:1], -1
                                        ; implicit-def: $vgpr3_vgpr4
	s_branch .LBB199_642
.LBB199_638:
	s_mov_b64 s[0:1], -1
                                        ; implicit-def: $vgpr3_vgpr4
.LBB199_639:
	s_andn2_b64 vcc, exec, s[0:1]
	s_cbranch_vccnz .LBB199_641
; %bb.640:
	global_load_dword v3, v[1:2], off
	s_mov_b32 s0, 0x2f800000
	s_mov_b32 s1, 0xcf800000
	s_waitcnt vmcnt(0)
	v_trunc_f32_e32 v3, v3
	v_mul_f32_e64 v4, |v3|, s0
	v_floor_f32_e32 v4, v4
	v_cvt_u32_f32_e32 v5, v4
	v_fma_f32 v4, v4, s1, |v3|
	v_cvt_u32_f32_e32 v4, v4
	v_ashrrev_i32_e32 v6, 31, v3
	v_xor_b32_e32 v5, v5, v6
	v_xor_b32_e32 v3, v4, v6
	v_sub_co_u32_e32 v3, vcc, v3, v6
	v_subb_co_u32_e32 v4, vcc, v5, v6, vcc
.LBB199_641:
	s_mov_b64 s[0:1], 0
.LBB199_642:
	s_andn2_b64 vcc, exec, s[0:1]
	s_cbranch_vccnz .LBB199_644
; %bb.643:
	global_load_dword v3, v[1:2], off
	s_waitcnt vmcnt(0)
	v_cvt_f32_f16_e32 v3, v3
	v_cvt_i32_f32_e32 v3, v3
	v_ashrrev_i32_e32 v4, 31, v3
.LBB199_644:
	s_mov_b64 s[0:1], 0
.LBB199_645:
	s_andn2_b64 vcc, exec, s[0:1]
	s_cbranch_vccnz .LBB199_656
; %bb.646:
	s_cmp_lt_i32 s10, 6
	s_cbranch_scc1 .LBB199_649
; %bb.647:
	s_cmp_gt_i32 s10, 6
	s_cbranch_scc0 .LBB199_650
; %bb.648:
	global_load_dwordx2 v[3:4], v[1:2], off
	s_movk_i32 s0, 0xffe0
	s_waitcnt vmcnt(0)
	v_trunc_f64_e32 v[3:4], v[3:4]
	v_ldexp_f64 v[5:6], v[3:4], s0
	s_mov_b32 s0, 0
	s_mov_b32 s1, 0xc1f00000
	v_floor_f64_e32 v[5:6], v[5:6]
	v_fma_f64 v[7:8], v[5:6], s[0:1], v[3:4]
	v_cvt_i32_f64_e32 v4, v[5:6]
	s_mov_b64 s[0:1], 0
	v_cvt_u32_f64_e32 v3, v[7:8]
	s_branch .LBB199_651
.LBB199_649:
	s_mov_b64 s[0:1], -1
                                        ; implicit-def: $vgpr3_vgpr4
	s_branch .LBB199_654
.LBB199_650:
	s_mov_b64 s[0:1], -1
                                        ; implicit-def: $vgpr3_vgpr4
.LBB199_651:
	s_andn2_b64 vcc, exec, s[0:1]
	s_cbranch_vccnz .LBB199_653
; %bb.652:
	global_load_dword v3, v[1:2], off
	s_mov_b32 s0, 0x2f800000
	s_mov_b32 s1, 0xcf800000
	s_waitcnt vmcnt(0)
	v_trunc_f32_e32 v3, v3
	v_mul_f32_e64 v4, |v3|, s0
	v_floor_f32_e32 v4, v4
	v_cvt_u32_f32_e32 v5, v4
	v_fma_f32 v4, v4, s1, |v3|
	v_cvt_u32_f32_e32 v4, v4
	v_ashrrev_i32_e32 v6, 31, v3
	v_xor_b32_e32 v5, v5, v6
	v_xor_b32_e32 v3, v4, v6
	v_sub_co_u32_e32 v3, vcc, v3, v6
	v_subb_co_u32_e32 v4, vcc, v5, v6, vcc
.LBB199_653:
	s_mov_b64 s[0:1], 0
.LBB199_654:
	s_andn2_b64 vcc, exec, s[0:1]
	s_cbranch_vccnz .LBB199_656
; %bb.655:
	global_load_ushort v3, v[1:2], off
	s_waitcnt vmcnt(0)
	v_cvt_f32_f16_e32 v3, v3
	v_cvt_i32_f32_e32 v3, v3
	v_ashrrev_i32_e32 v4, 31, v3
.LBB199_656:
	s_mov_b64 s[0:1], 0
.LBB199_657:
	s_andn2_b64 vcc, exec, s[0:1]
	s_cbranch_vccnz .LBB199_677
; %bb.658:
	s_cmp_lt_i32 s10, 2
	s_cbranch_scc1 .LBB199_662
; %bb.659:
	s_cmp_lt_i32 s10, 3
	s_cbranch_scc1 .LBB199_663
; %bb.660:
	s_cmp_gt_i32 s10, 3
	s_cbranch_scc0 .LBB199_664
; %bb.661:
	global_load_dwordx2 v[3:4], v[1:2], off
	s_mov_b64 s[0:1], 0
	s_branch .LBB199_665
.LBB199_662:
	s_mov_b64 s[0:1], -1
                                        ; implicit-def: $vgpr3_vgpr4
	s_branch .LBB199_671
.LBB199_663:
	s_mov_b64 s[0:1], -1
                                        ; implicit-def: $vgpr3_vgpr4
	s_branch .LBB199_668
.LBB199_664:
	s_mov_b64 s[0:1], -1
                                        ; implicit-def: $vgpr3_vgpr4
.LBB199_665:
	s_andn2_b64 vcc, exec, s[0:1]
	s_cbranch_vccnz .LBB199_667
; %bb.666:
	global_load_dword v3, v[1:2], off
	s_waitcnt vmcnt(0)
	v_ashrrev_i32_e32 v4, 31, v3
.LBB199_667:
	s_mov_b64 s[0:1], 0
.LBB199_668:
	s_andn2_b64 vcc, exec, s[0:1]
	s_cbranch_vccnz .LBB199_670
; %bb.669:
	global_load_ushort v3, v[1:2], off
	s_waitcnt vmcnt(0)
	v_bfe_i32 v3, v3, 0, 16
	v_ashrrev_i32_e32 v4, 31, v3
.LBB199_670:
	s_mov_b64 s[0:1], 0
.LBB199_671:
	s_andn2_b64 vcc, exec, s[0:1]
	s_cbranch_vccnz .LBB199_677
; %bb.672:
	s_cmp_gt_i32 s10, 0
	s_cbranch_scc0 .LBB199_674
; %bb.673:
	global_load_sbyte v3, v[1:2], off
	s_mov_b64 s[0:1], 0
	s_waitcnt vmcnt(0)
	v_bfe_i32 v3, v3, 0, 16
	v_ashrrev_i32_e32 v4, 31, v3
	s_branch .LBB199_675
.LBB199_674:
	s_mov_b64 s[0:1], -1
                                        ; implicit-def: $vgpr3_vgpr4
.LBB199_675:
	s_andn2_b64 vcc, exec, s[0:1]
	s_cbranch_vccnz .LBB199_677
; %bb.676:
	global_load_ubyte v1, v[1:2], off
	s_mov_b32 s0, 0
	s_waitcnt vmcnt(1)
	v_mov_b32_e32 v4, s0
	s_waitcnt vmcnt(0)
	v_and_b32_e32 v3, 0xffff, v1
.LBB199_677:
	s_mov_b64 s[0:1], -1
.LBB199_678:
	s_andn2_b64 vcc, exec, s[0:1]
	s_cbranch_vccnz .LBB199_686
; %bb.679:
	s_waitcnt vmcnt(0)
	v_cmp_gt_u64_e32 vcc, 63, v[3:4]
	v_mov_b32_e32 v4, s25
	v_cndmask_b32_e32 v1, 63, v3, vcc
	v_ashrrev_i64 v[1:2], v1, s[44:45]
	s_and_b32 s14, s75, 0xff
	v_add_co_u32_e32 v3, vcc, s24, v0
	s_cmp_lt_i32 s14, 11
	v_addc_co_u32_e32 v4, vcc, 0, v4, vcc
	s_cbranch_scc1 .LBB199_687
; %bb.680:
	s_and_b32 s15, 0xffff, s14
	s_cmp_gt_i32 s15, 25
	s_cbranch_scc0 .LBB199_688
; %bb.681:
	s_cmp_gt_i32 s15, 28
	s_cbranch_scc0 .LBB199_689
; %bb.682:
	;; [unrolled: 3-line block ×4, first 2 shown]
	s_mov_b64 s[10:11], 0
	s_mov_b64 s[0:1], -1
	s_cmp_eq_u32 s15, 46
	s_mov_b64 s[8:9], 0
	s_cbranch_scc0 .LBB199_692
; %bb.685:
	v_xor_b32_e32 v5, v1, v2
	v_ffbh_i32_e32 v0, v2
	v_ashrrev_i32_e32 v5, 31, v5
	v_add_u32_e32 v0, -1, v0
	v_add_u32_e32 v5, 32, v5
	v_min_u32_e32 v0, v0, v5
	v_lshlrev_b64 v[5:6], v0, v[1:2]
	v_sub_u32_e32 v0, 32, v0
	v_min_u32_e32 v5, 1, v5
	v_or_b32_e32 v5, v6, v5
	v_cvt_f32_i32_e32 v5, v5
	s_movk_i32 s0, 0x7fff
	s_mov_b64 s[8:9], -1
	v_ldexp_f32 v0, v5, v0
	v_bfe_u32 v5, v0, 16, 1
	v_add3_u32 v0, v0, v5, s0
	v_lshrrev_b32_e32 v0, 16, v0
	global_store_dword v[3:4], v0, off
	s_mov_b64 s[0:1], 0
	s_branch .LBB199_692
.LBB199_686:
	s_mov_b64 s[8:9], 0
	s_mov_b64 s[0:1], s[62:63]
	s_branch .LBB199_803
.LBB199_687:
	s_mov_b64 s[10:11], -1
	s_mov_b64 s[8:9], 0
	s_mov_b64 s[0:1], s[62:63]
	s_branch .LBB199_761
.LBB199_688:
	s_mov_b64 s[10:11], -1
	s_mov_b64 s[8:9], 0
	s_mov_b64 s[0:1], s[62:63]
	s_branch .LBB199_719
.LBB199_689:
	s_mov_b64 s[10:11], -1
	s_mov_b64 s[8:9], 0
	s_mov_b64 s[0:1], s[62:63]
	s_branch .LBB199_702
.LBB199_690:
	s_mov_b64 s[10:11], -1
	s_mov_b64 s[8:9], 0
	s_mov_b64 s[0:1], s[62:63]
	s_branch .LBB199_698
.LBB199_691:
	s_mov_b64 s[10:11], -1
	s_mov_b64 s[8:9], 0
	s_mov_b64 s[0:1], s[62:63]
.LBB199_692:
	s_and_b64 vcc, exec, s[10:11]
	s_cbranch_vccz .LBB199_697
; %bb.693:
	s_cmp_eq_u32 s15, 44
	s_mov_b64 s[0:1], -1
	s_cbranch_scc0 .LBB199_697
; %bb.694:
	v_xor_b32_e32 v5, v1, v2
	v_ffbh_i32_e32 v0, v2
	v_ashrrev_i32_e32 v5, 31, v5
	v_add_u32_e32 v0, -1, v0
	v_add_u32_e32 v5, 32, v5
	v_min_u32_e32 v0, v0, v5
	v_lshlrev_b64 v[5:6], v0, v[1:2]
	v_sub_u32_e32 v0, 32, v0
	v_min_u32_e32 v5, 1, v5
	v_or_b32_e32 v5, v6, v5
	v_cvt_f32_i32_e32 v5, v5
	s_movk_i32 s0, 0xff
	v_mov_b32_e32 v6, 0xff
	v_ldexp_f32 v0, v5, v0
	v_bfe_u32 v5, v0, 23, 8
	v_cmp_ne_u32_e32 vcc, s0, v5
	s_and_saveexec_b64 s[8:9], vcc
; %bb.695:
	s_mov_b32 s0, 0x3fffff
	v_lshrrev_b32_e32 v6, 23, v0
	v_and_b32_e32 v7, 0x400000, v0
	v_and_or_b32 v0, v0, s0, v5
	v_cmp_ne_u32_e32 vcc, 0, v7
	v_cmp_ne_u32_e64 s[0:1], 0, v0
	s_and_b64 s[0:1], vcc, s[0:1]
	v_cndmask_b32_e64 v0, 0, 1, s[0:1]
	v_add_u32_e32 v6, v6, v0
; %bb.696:
	s_or_b64 exec, exec, s[8:9]
	s_mov_b64 s[8:9], -1
	s_mov_b64 s[0:1], 0
	global_store_byte v[3:4], v6, off
.LBB199_697:
	s_mov_b64 s[10:11], 0
.LBB199_698:
	s_and_b64 vcc, exec, s[10:11]
	s_cbranch_vccz .LBB199_701
; %bb.699:
	s_cmp_eq_u32 s15, 29
	s_mov_b64 s[0:1], -1
	s_cbranch_scc0 .LBB199_701
; %bb.700:
	global_store_dwordx2 v[3:4], v[1:2], off
	s_mov_b64 s[8:9], -1
	s_mov_b64 s[0:1], 0
.LBB199_701:
	s_mov_b64 s[10:11], 0
.LBB199_702:
	s_and_b64 vcc, exec, s[10:11]
	s_cbranch_vccz .LBB199_718
; %bb.703:
	s_cmp_lt_i32 s15, 27
	s_mov_b64 s[8:9], -1
	s_cbranch_scc1 .LBB199_709
; %bb.704:
	s_cmp_gt_i32 s15, 27
	s_cbranch_scc0 .LBB199_706
; %bb.705:
	s_mov_b64 s[8:9], 0
	global_store_dword v[3:4], v1, off
.LBB199_706:
	s_andn2_b64 vcc, exec, s[8:9]
	s_cbranch_vccnz .LBB199_708
; %bb.707:
	global_store_short v[3:4], v1, off
.LBB199_708:
	s_mov_b64 s[8:9], 0
.LBB199_709:
	s_andn2_b64 vcc, exec, s[8:9]
	s_cbranch_vccnz .LBB199_717
; %bb.710:
	v_xor_b32_e32 v5, v1, v2
	v_ffbh_i32_e32 v0, v2
	v_ashrrev_i32_e32 v5, 31, v5
	v_add_u32_e32 v0, -1, v0
	v_add_u32_e32 v5, 32, v5
	v_min_u32_e32 v0, v0, v5
	v_lshlrev_b64 v[5:6], v0, v[1:2]
	v_sub_u32_e32 v0, 32, v0
	v_min_u32_e32 v5, 1, v5
	v_or_b32_e32 v5, v6, v5
	v_cvt_f32_i32_e32 v5, v5
	s_mov_b32 s8, 0x43800000
	v_mov_b32_e32 v6, 0x80
	v_ldexp_f32 v0, v5, v0
	v_and_b32_e32 v5, 0x7fffffff, v0
	v_cmp_gt_u32_e32 vcc, s8, v5
	s_and_saveexec_b64 s[8:9], vcc
	s_cbranch_execz .LBB199_716
; %bb.711:
	s_mov_b32 s10, 0x3bffffff
	v_cmp_lt_u32_e32 vcc, s10, v5
	s_mov_b64 s[10:11], 0
                                        ; implicit-def: $vgpr5
	s_and_saveexec_b64 s[12:13], vcc
	s_xor_b64 s[12:13], exec, s[12:13]
	s_cbranch_execz .LBB199_833
; %bb.712:
	v_bfe_u32 v5, v0, 20, 1
	s_mov_b32 s16, 0x487ffff
	v_add3_u32 v5, v0, v5, s16
	s_mov_b64 s[10:11], exec
	v_lshrrev_b32_e32 v5, 20, v5
	s_andn2_saveexec_b64 s[12:13], s[12:13]
	s_cbranch_execnz .LBB199_834
.LBB199_713:
	s_or_b64 exec, exec, s[12:13]
	v_mov_b32_e32 v6, 0
	s_and_saveexec_b64 s[12:13], s[10:11]
.LBB199_714:
	v_lshrrev_b32_e32 v0, 24, v0
	s_movk_i32 s10, 0x80
	v_and_or_b32 v6, v0, s10, v5
.LBB199_715:
	s_or_b64 exec, exec, s[12:13]
.LBB199_716:
	s_or_b64 exec, exec, s[8:9]
	global_store_byte v[3:4], v6, off
.LBB199_717:
	s_mov_b64 s[8:9], -1
.LBB199_718:
	s_mov_b64 s[10:11], 0
.LBB199_719:
	s_and_b64 vcc, exec, s[10:11]
	s_cbranch_vccz .LBB199_760
; %bb.720:
	s_cmp_gt_i32 s15, 22
	s_mov_b64 s[10:11], -1
	s_cbranch_scc0 .LBB199_752
; %bb.721:
	s_cmp_lt_i32 s15, 24
	s_mov_b64 s[8:9], -1
	s_cbranch_scc1 .LBB199_741
; %bb.722:
	s_cmp_gt_i32 s15, 24
	s_cbranch_scc0 .LBB199_730
; %bb.723:
	v_xor_b32_e32 v5, v1, v2
	v_ffbh_i32_e32 v0, v2
	v_ashrrev_i32_e32 v5, 31, v5
	v_add_u32_e32 v0, -1, v0
	v_add_u32_e32 v5, 32, v5
	v_min_u32_e32 v0, v0, v5
	v_lshlrev_b64 v[5:6], v0, v[1:2]
	v_sub_u32_e32 v0, 32, v0
	v_min_u32_e32 v5, 1, v5
	v_or_b32_e32 v5, v6, v5
	v_cvt_f32_i32_e32 v5, v5
	s_mov_b32 s8, 0x47800000
	v_mov_b32_e32 v6, 0x80
	v_ldexp_f32 v0, v5, v0
	v_and_b32_e32 v5, 0x7fffffff, v0
	v_cmp_gt_u32_e32 vcc, s8, v5
	s_and_saveexec_b64 s[8:9], vcc
	s_cbranch_execz .LBB199_729
; %bb.724:
	s_mov_b32 s10, 0x37ffffff
	v_cmp_lt_u32_e32 vcc, s10, v5
	s_mov_b64 s[10:11], 0
                                        ; implicit-def: $vgpr5
	s_and_saveexec_b64 s[12:13], vcc
	s_xor_b64 s[12:13], exec, s[12:13]
	s_cbranch_execz .LBB199_836
; %bb.725:
	v_bfe_u32 v5, v0, 21, 1
	s_mov_b32 s16, 0x88fffff
	v_add3_u32 v5, v0, v5, s16
	s_mov_b64 s[10:11], exec
	v_lshrrev_b32_e32 v5, 21, v5
	s_andn2_saveexec_b64 s[12:13], s[12:13]
	s_cbranch_execnz .LBB199_837
.LBB199_726:
	s_or_b64 exec, exec, s[12:13]
	v_mov_b32_e32 v6, 0
	s_and_saveexec_b64 s[12:13], s[10:11]
.LBB199_727:
	v_lshrrev_b32_e32 v0, 24, v0
	s_movk_i32 s10, 0x80
	v_and_or_b32 v6, v0, s10, v5
.LBB199_728:
	s_or_b64 exec, exec, s[12:13]
.LBB199_729:
	s_or_b64 exec, exec, s[8:9]
	s_mov_b64 s[8:9], 0
	global_store_byte v[3:4], v6, off
.LBB199_730:
	s_and_b64 vcc, exec, s[8:9]
	s_cbranch_vccz .LBB199_740
; %bb.731:
	v_xor_b32_e32 v5, v1, v2
	v_ffbh_i32_e32 v0, v2
	v_ashrrev_i32_e32 v5, 31, v5
	v_add_u32_e32 v0, -1, v0
	v_add_u32_e32 v5, 32, v5
	v_min_u32_e32 v0, v0, v5
	v_lshlrev_b64 v[5:6], v0, v[1:2]
	v_sub_u32_e32 v0, 32, v0
	v_min_u32_e32 v5, 1, v5
	v_or_b32_e32 v5, v6, v5
	v_cvt_f32_i32_e32 v5, v5
	s_mov_b32 s8, 0x43f00000
	v_ldexp_f32 v0, v5, v0
	v_and_b32_e32 v6, 0x7fffffff, v0
	v_cmp_gt_u32_e32 vcc, s8, v6
                                        ; implicit-def: $vgpr5
	s_and_saveexec_b64 s[8:9], vcc
	s_xor_b64 s[8:9], exec, s[8:9]
	s_cbranch_execz .LBB199_737
; %bb.732:
	s_mov_b32 s10, 0x3c7fffff
	v_cmp_lt_u32_e32 vcc, s10, v6
                                        ; implicit-def: $vgpr5
	s_and_saveexec_b64 s[10:11], vcc
	s_xor_b64 s[10:11], exec, s[10:11]
; %bb.733:
	v_bfe_u32 v5, v0, 20, 1
	s_mov_b32 s12, 0x407ffff
	v_add3_u32 v5, v0, v5, s12
	v_lshrrev_b32_e32 v6, 20, v5
	v_and_b32_e32 v5, 0xff00000, v5
	s_mov_b32 s12, 0x7f00000
	v_mov_b32_e32 v7, 0x7e
	v_cmp_ne_u32_e32 vcc, s12, v5
	v_cndmask_b32_e32 v5, v7, v6, vcc
; %bb.734:
	s_andn2_saveexec_b64 s[10:11], s[10:11]
; %bb.735:
	s_mov_b32 s12, 0x46800000
	v_add_f32_e64 v5, |v0|, s12
; %bb.736:
	s_or_b64 exec, exec, s[10:11]
                                        ; implicit-def: $vgpr6
.LBB199_737:
	s_andn2_saveexec_b64 s[8:9], s[8:9]
; %bb.738:
	s_mov_b32 s10, 0x7f800000
	v_mov_b32_e32 v5, 0x7e
	v_mov_b32_e32 v7, 0x7f
	v_cmp_lt_u32_e32 vcc, s10, v6
	v_cndmask_b32_e32 v5, v5, v7, vcc
; %bb.739:
	s_or_b64 exec, exec, s[8:9]
	v_lshrrev_b32_e32 v0, 24, v0
	s_movk_i32 s8, 0x80
	v_and_or_b32 v0, v0, s8, v5
	global_store_byte v[3:4], v0, off
.LBB199_740:
	s_mov_b64 s[8:9], 0
.LBB199_741:
	s_andn2_b64 vcc, exec, s[8:9]
	s_cbranch_vccnz .LBB199_751
; %bb.742:
	v_xor_b32_e32 v5, v1, v2
	v_ffbh_i32_e32 v0, v2
	v_ashrrev_i32_e32 v5, 31, v5
	v_add_u32_e32 v0, -1, v0
	v_add_u32_e32 v5, 32, v5
	v_min_u32_e32 v0, v0, v5
	v_lshlrev_b64 v[5:6], v0, v[1:2]
	v_sub_u32_e32 v0, 32, v0
	v_min_u32_e32 v5, 1, v5
	v_or_b32_e32 v5, v6, v5
	v_cvt_f32_i32_e32 v5, v5
	s_mov_b32 s8, 0x47800000
	v_ldexp_f32 v0, v5, v0
	v_and_b32_e32 v6, 0x7fffffff, v0
	v_cmp_gt_u32_e32 vcc, s8, v6
                                        ; implicit-def: $vgpr5
	s_and_saveexec_b64 s[8:9], vcc
	s_xor_b64 s[8:9], exec, s[8:9]
	s_cbranch_execz .LBB199_748
; %bb.743:
	s_mov_b32 s10, 0x387fffff
	v_cmp_lt_u32_e32 vcc, s10, v6
                                        ; implicit-def: $vgpr5
	s_and_saveexec_b64 s[10:11], vcc
	s_xor_b64 s[10:11], exec, s[10:11]
; %bb.744:
	v_bfe_u32 v5, v0, 21, 1
	s_mov_b32 s12, 0x80fffff
	v_add3_u32 v5, v0, v5, s12
	v_lshrrev_b32_e32 v5, 21, v5
; %bb.745:
	s_andn2_saveexec_b64 s[10:11], s[10:11]
; %bb.746:
	s_mov_b32 s12, 0x43000000
	v_add_f32_e64 v5, |v0|, s12
; %bb.747:
	s_or_b64 exec, exec, s[10:11]
                                        ; implicit-def: $vgpr6
.LBB199_748:
	s_andn2_saveexec_b64 s[8:9], s[8:9]
; %bb.749:
	s_mov_b32 s10, 0x7f800000
	v_mov_b32_e32 v5, 0x7c
	v_mov_b32_e32 v7, 0x7f
	v_cmp_lt_u32_e32 vcc, s10, v6
	v_cndmask_b32_e32 v5, v5, v7, vcc
; %bb.750:
	s_or_b64 exec, exec, s[8:9]
	v_lshrrev_b32_e32 v0, 24, v0
	s_movk_i32 s8, 0x80
	v_and_or_b32 v0, v0, s8, v5
	global_store_byte v[3:4], v0, off
.LBB199_751:
	s_mov_b64 s[10:11], 0
	s_mov_b64 s[8:9], -1
.LBB199_752:
	s_andn2_b64 vcc, exec, s[10:11]
	s_cbranch_vccnz .LBB199_760
; %bb.753:
	s_cmp_gt_i32 s15, 14
	s_mov_b64 s[10:11], -1
	s_cbranch_scc0 .LBB199_757
; %bb.754:
	s_cmp_eq_u32 s15, 15
	s_mov_b64 s[0:1], -1
	s_cbranch_scc0 .LBB199_756
; %bb.755:
	v_xor_b32_e32 v5, v1, v2
	v_ffbh_i32_e32 v0, v2
	v_ashrrev_i32_e32 v5, 31, v5
	v_add_u32_e32 v0, -1, v0
	v_add_u32_e32 v5, 32, v5
	v_min_u32_e32 v0, v0, v5
	v_lshlrev_b64 v[5:6], v0, v[1:2]
	v_sub_u32_e32 v0, 32, v0
	v_min_u32_e32 v5, 1, v5
	v_or_b32_e32 v5, v6, v5
	v_cvt_f32_i32_e32 v5, v5
	s_movk_i32 s0, 0x7fff
	s_mov_b64 s[8:9], -1
	v_ldexp_f32 v0, v5, v0
	v_bfe_u32 v5, v0, 16, 1
	v_add3_u32 v0, v0, v5, s0
	global_store_short_d16_hi v[3:4], v0, off
	s_mov_b64 s[0:1], 0
.LBB199_756:
	s_mov_b64 s[10:11], 0
.LBB199_757:
	s_and_b64 vcc, exec, s[10:11]
	s_cbranch_vccz .LBB199_760
; %bb.758:
	s_cmp_eq_u32 s15, 11
	s_mov_b64 s[0:1], -1
	s_cbranch_scc0 .LBB199_760
; %bb.759:
	v_cmp_ne_u64_e32 vcc, 0, v[1:2]
	s_mov_b64 s[0:1], 0
	v_cndmask_b32_e64 v0, 0, 1, vcc
	s_mov_b64 s[8:9], -1
	global_store_byte v[3:4], v0, off
.LBB199_760:
	s_mov_b64 s[10:11], 0
.LBB199_761:
	s_and_b64 vcc, exec, s[10:11]
	s_cbranch_vccz .LBB199_800
; %bb.762:
	s_and_b32 s10, 0xffff, s14
	s_cmp_lt_i32 s10, 5
	s_mov_b64 s[8:9], -1
	s_cbranch_scc1 .LBB199_783
; %bb.763:
	s_cmp_lt_i32 s10, 8
	s_cbranch_scc1 .LBB199_773
; %bb.764:
	s_cmp_lt_i32 s10, 9
	s_cbranch_scc1 .LBB199_770
; %bb.765:
	s_cmp_gt_i32 s10, 9
	s_cbranch_scc0 .LBB199_767
; %bb.766:
	v_cvt_f64_i32_e32 v[5:6], v2
	v_cvt_f64_u32_e32 v[7:8], v1
	s_mov_b64 s[8:9], 0
	v_ldexp_f64 v[5:6], v[5:6], 32
	v_add_f64 v[5:6], v[5:6], v[7:8]
	v_mov_b32_e32 v7, 0
	v_mov_b32_e32 v8, v7
	global_store_dwordx4 v[3:4], v[5:8], off
.LBB199_767:
	s_andn2_b64 vcc, exec, s[8:9]
	s_cbranch_vccnz .LBB199_769
; %bb.768:
	v_xor_b32_e32 v5, v1, v2
	v_ffbh_i32_e32 v0, v2
	v_ashrrev_i32_e32 v5, 31, v5
	v_add_u32_e32 v0, -1, v0
	v_add_u32_e32 v5, 32, v5
	v_min_u32_e32 v0, v0, v5
	v_lshlrev_b64 v[5:6], v0, v[1:2]
	v_sub_u32_e32 v0, 32, v0
	v_min_u32_e32 v5, 1, v5
	v_or_b32_e32 v5, v6, v5
	v_cvt_f32_i32_e32 v5, v5
	v_mov_b32_e32 v6, 0
	v_ldexp_f32 v5, v5, v0
	global_store_dwordx2 v[3:4], v[5:6], off
.LBB199_769:
	s_mov_b64 s[8:9], 0
.LBB199_770:
	s_andn2_b64 vcc, exec, s[8:9]
	s_cbranch_vccnz .LBB199_772
; %bb.771:
	v_xor_b32_e32 v5, v1, v2
	v_ffbh_i32_e32 v0, v2
	v_ashrrev_i32_e32 v5, 31, v5
	v_add_u32_e32 v0, -1, v0
	v_add_u32_e32 v5, 32, v5
	v_min_u32_e32 v0, v0, v5
	v_lshlrev_b64 v[5:6], v0, v[1:2]
	v_sub_u32_e32 v0, 32, v0
	v_min_u32_e32 v5, 1, v5
	v_or_b32_e32 v5, v6, v5
	v_cvt_f32_i32_e32 v5, v5
	v_ldexp_f32 v0, v5, v0
	v_cvt_f16_f32_e32 v0, v0
	global_store_dword v[3:4], v0, off
.LBB199_772:
	s_mov_b64 s[8:9], 0
.LBB199_773:
	s_andn2_b64 vcc, exec, s[8:9]
	s_cbranch_vccnz .LBB199_782
; %bb.774:
	s_cmp_lt_i32 s10, 6
	s_mov_b64 s[8:9], -1
	s_cbranch_scc1 .LBB199_780
; %bb.775:
	s_cmp_gt_i32 s10, 6
	s_cbranch_scc0 .LBB199_777
; %bb.776:
	v_cvt_f64_i32_e32 v[5:6], v2
	v_cvt_f64_u32_e32 v[7:8], v1
	s_mov_b64 s[8:9], 0
	v_ldexp_f64 v[5:6], v[5:6], 32
	v_add_f64 v[5:6], v[5:6], v[7:8]
	global_store_dwordx2 v[3:4], v[5:6], off
.LBB199_777:
	s_andn2_b64 vcc, exec, s[8:9]
	s_cbranch_vccnz .LBB199_779
; %bb.778:
	v_xor_b32_e32 v5, v1, v2
	v_ffbh_i32_e32 v0, v2
	v_ashrrev_i32_e32 v5, 31, v5
	v_add_u32_e32 v0, -1, v0
	v_add_u32_e32 v5, 32, v5
	v_min_u32_e32 v0, v0, v5
	v_lshlrev_b64 v[5:6], v0, v[1:2]
	v_sub_u32_e32 v0, 32, v0
	v_min_u32_e32 v5, 1, v5
	v_or_b32_e32 v5, v6, v5
	v_cvt_f32_i32_e32 v5, v5
	v_ldexp_f32 v0, v5, v0
	global_store_dword v[3:4], v0, off
.LBB199_779:
	s_mov_b64 s[8:9], 0
.LBB199_780:
	s_andn2_b64 vcc, exec, s[8:9]
	s_cbranch_vccnz .LBB199_782
; %bb.781:
	v_xor_b32_e32 v5, v1, v2
	v_ffbh_i32_e32 v0, v2
	v_ashrrev_i32_e32 v5, 31, v5
	v_add_u32_e32 v0, -1, v0
	v_add_u32_e32 v5, 32, v5
	v_min_u32_e32 v0, v0, v5
	v_lshlrev_b64 v[5:6], v0, v[1:2]
	v_sub_u32_e32 v0, 32, v0
	v_min_u32_e32 v5, 1, v5
	v_or_b32_e32 v5, v6, v5
	v_cvt_f32_i32_e32 v5, v5
	v_ldexp_f32 v0, v5, v0
	v_cvt_f16_f32_e32 v0, v0
	global_store_short v[3:4], v0, off
.LBB199_782:
	s_mov_b64 s[8:9], 0
.LBB199_783:
	s_andn2_b64 vcc, exec, s[8:9]
	s_cbranch_vccnz .LBB199_799
; %bb.784:
	s_cmp_lt_i32 s10, 2
	s_mov_b64 s[8:9], -1
	s_cbranch_scc1 .LBB199_794
; %bb.785:
	s_cmp_lt_i32 s10, 3
	s_cbranch_scc1 .LBB199_791
; %bb.786:
	s_cmp_gt_i32 s10, 3
	s_cbranch_scc0 .LBB199_788
; %bb.787:
	s_mov_b64 s[8:9], 0
	global_store_dwordx2 v[3:4], v[1:2], off
.LBB199_788:
	s_andn2_b64 vcc, exec, s[8:9]
	s_cbranch_vccnz .LBB199_790
; %bb.789:
	global_store_dword v[3:4], v1, off
.LBB199_790:
	s_mov_b64 s[8:9], 0
.LBB199_791:
	s_andn2_b64 vcc, exec, s[8:9]
	s_cbranch_vccnz .LBB199_793
; %bb.792:
	global_store_short v[3:4], v1, off
.LBB199_793:
	s_mov_b64 s[8:9], 0
.LBB199_794:
	s_andn2_b64 vcc, exec, s[8:9]
	s_cbranch_vccnz .LBB199_799
; %bb.795:
	s_cmp_gt_i32 s10, 0
	s_mov_b64 s[8:9], -1
	s_cbranch_scc0 .LBB199_797
; %bb.796:
	s_mov_b64 s[8:9], 0
	global_store_byte v[3:4], v1, off
.LBB199_797:
	s_andn2_b64 vcc, exec, s[8:9]
	s_cbranch_vccnz .LBB199_799
; %bb.798:
	global_store_byte v[3:4], v1, off
.LBB199_799:
	s_mov_b64 s[8:9], -1
.LBB199_800:
	s_andn2_b64 vcc, exec, s[8:9]
	s_cbranch_vccnz .LBB199_802
; %bb.801:
	v_add_u32_e32 v11, 0x80, v11
	s_mov_b64 s[8:9], -1
	s_branch .LBB199_804
.LBB199_802:
	s_mov_b64 s[8:9], 0
.LBB199_803:
                                        ; implicit-def: $vgpr11
.LBB199_804:
	s_andn2_b64 s[10:11], s[62:63], exec
	s_and_b64 s[0:1], s[0:1], exec
	s_or_b64 s[70:71], s[10:11], s[0:1]
	s_andn2_b64 s[0:1], s[60:61], exec
	s_and_b64 s[2:3], s[2:3], exec
	s_or_b64 s[68:69], s[0:1], s[2:3]
	s_orn2_b64 s[2:3], s[8:9], exec
.LBB199_805:
	s_or_b64 exec, exec, s[66:67]
	s_mov_b64 s[0:1], 0
	s_mov_b64 s[8:9], 0
	;; [unrolled: 1-line block ×3, first 2 shown]
                                        ; implicit-def: $vgpr1_vgpr2
                                        ; implicit-def: $vgpr0
                                        ; implicit-def: $vgpr5_vgpr6
	s_and_saveexec_b64 s[66:67], s[2:3]
	s_cbranch_execz .LBB199_900
; %bb.806:
	v_cmp_gt_i32_e32 vcc, s72, v11
	s_mov_b64 s[2:3], 0
	s_mov_b64 s[12:13], s[68:69]
                                        ; implicit-def: $vgpr1_vgpr2
                                        ; implicit-def: $vgpr0
                                        ; implicit-def: $vgpr5_vgpr6
	s_and_saveexec_b64 s[72:73], vcc
	s_cbranch_execz .LBB199_899
; %bb.807:
	s_andn2_b64 vcc, exec, s[40:41]
	s_cbranch_vccnz .LBB199_812
; %bb.808:
	s_andn2_b64 vcc, exec, s[52:53]
	s_cbranch_vccnz .LBB199_813
; %bb.809:
	s_add_i32 s78, s77, 1
	s_cmp_eq_u32 s74, 2
	s_cbranch_scc1 .LBB199_814
; %bb.810:
	s_and_b32 s77, s78, 28
	v_mov_b32_e32 v2, 0
	s_mov_b32 s79, 0
	s_mov_b64 s[52:53], s[34:35]
	v_mov_b32_e32 v0, 0
	v_mov_b32_e32 v1, v11
.LBB199_811:                            ; =>This Inner Loop Header: Depth=1
	s_load_dwordx8 s[16:23], s[52:53], 0x4
	s_load_dwordx4 s[0:3], s[52:53], 0x24
	s_load_dwordx8 s[8:15], s[50:51], 0x0
	s_add_u32 s52, s52, 48
	s_addc_u32 s53, s53, 0
	s_waitcnt vmcnt(0) lgkmcnt(0)
	v_mul_hi_u32 v3, s17, v1
	s_add_i32 s79, s79, 4
	s_add_u32 s50, s50, 32
	s_addc_u32 s51, s51, 0
	v_add_u32_e32 v3, v1, v3
	v_lshrrev_b32_e32 v3, s18, v3
	v_mul_lo_u32 v4, v3, s16
	v_mul_hi_u32 v5, s20, v3
	s_cmp_eq_u32 s77, s79
	v_sub_u32_e32 v1, v1, v4
	v_add_u32_e32 v4, v3, v5
	v_mul_lo_u32 v5, v1, s8
	v_mul_lo_u32 v6, v1, s9
	v_lshrrev_b32_e32 v1, s21, v4
	v_mul_lo_u32 v4, v1, s19
	v_mul_hi_u32 v7, s23, v1
	v_sub_u32_e32 v3, v3, v4
	v_add_u32_e32 v4, v1, v7
	v_lshrrev_b32_e32 v4, s0, v4
	v_mul_hi_u32 v8, s2, v4
	v_mul_lo_u32 v9, v4, s22
	v_mul_lo_u32 v7, v3, s10
	;; [unrolled: 1-line block ×3, first 2 shown]
	v_sub_u32_e32 v9, v1, v9
	v_add_u32_e32 v1, v4, v8
	v_lshrrev_b32_e32 v1, s3, v1
	v_mul_lo_u32 v8, v1, s1
	v_mul_lo_u32 v10, v9, s12
	;; [unrolled: 1-line block ×3, first 2 shown]
	v_add3_u32 v0, v5, v0, v7
	v_sub_u32_e32 v4, v4, v8
	v_mul_lo_u32 v8, v4, s14
	v_mul_lo_u32 v4, v4, s15
	v_add3_u32 v2, v6, v2, v3
	v_add3_u32 v0, v10, v0, v8
	;; [unrolled: 1-line block ×3, first 2 shown]
	s_cbranch_scc0 .LBB199_811
	s_branch .LBB199_815
.LBB199_812:
	s_mov_b64 s[0:1], -1
                                        ; implicit-def: $vgpr0
                                        ; implicit-def: $vgpr2
	s_branch .LBB199_819
.LBB199_813:
	v_mov_b32_e32 v0, 0
	v_mov_b32_e32 v2, 0
	s_branch .LBB199_818
.LBB199_814:
	s_mov_b32 s77, 0
	v_mov_b32_e32 v0, 0
	v_mov_b32_e32 v2, 0
	;; [unrolled: 1-line block ×3, first 2 shown]
.LBB199_815:
	s_and_b32 s8, s78, 3
	s_cmp_eq_u32 s8, 0
	s_cbranch_scc1 .LBB199_818
; %bb.816:
	s_lshl_b32 s0, s77, 3
	s_add_u32 s0, s34, s0
	s_addc_u32 s1, s35, 0
	s_add_u32 s0, s0, 0xc4
	s_addc_u32 s1, s1, 0
	s_mul_i32 s2, s77, 12
	s_add_u32 s2, s34, s2
	s_addc_u32 s3, s35, 0
.LBB199_817:                            ; =>This Inner Loop Header: Depth=1
	s_load_dwordx2 s[10:11], s[2:3], 0x4
	s_load_dword s9, s[2:3], 0xc
	s_load_dwordx2 s[12:13], s[0:1], 0x0
	s_add_u32 s2, s2, 12
	s_addc_u32 s3, s3, 0
	s_waitcnt vmcnt(0) lgkmcnt(0)
	v_mul_hi_u32 v3, s11, v1
	s_add_u32 s0, s0, 8
	s_addc_u32 s1, s1, 0
	s_add_i32 s8, s8, -1
	v_add_u32_e32 v3, v1, v3
	v_lshrrev_b32_e32 v4, s9, v3
	v_mul_lo_u32 v3, v4, s10
	s_cmp_lg_u32 s8, 0
	v_sub_u32_e32 v3, v1, v3
	v_mad_u64_u32 v[0:1], s[10:11], v3, s12, v[0:1]
	v_mad_u64_u32 v[2:3], s[10:11], v3, s13, v[2:3]
	v_mov_b32_e32 v1, v4
	s_cbranch_scc1 .LBB199_817
.LBB199_818:
	s_mov_b64 s[0:1], 0
.LBB199_819:
	s_andn2_b64 vcc, exec, s[0:1]
	s_cbranch_vccnz .LBB199_822
; %bb.820:
	v_mul_hi_u32 v0, s29, v11
	s_andn2_b64 vcc, exec, s[48:49]
	v_add_u32_e32 v0, v11, v0
	v_lshrrev_b32_e32 v1, s30, v0
	v_mul_lo_u32 v0, v1, s28
	v_sub_u32_e32 v2, v11, v0
	v_mul_lo_u32 v0, v2, s36
	v_mul_lo_u32 v2, v2, s37
	s_cbranch_vccnz .LBB199_822
; %bb.821:
	s_waitcnt vmcnt(0)
	v_mul_hi_u32 v3, s46, v1
	v_add_u32_e32 v3, v1, v3
	v_lshrrev_b32_e32 v3, s47, v3
	v_mul_lo_u32 v3, v3, s31
	v_sub_u32_e32 v3, v1, v3
	v_mad_u64_u32 v[0:1], s[0:1], v3, s38, v[0:1]
	v_mad_u64_u32 v[2:3], s[0:1], v3, s39, v[2:3]
.LBB199_822:
	s_waitcnt vmcnt(0)
	v_mov_b32_e32 v3, s27
	s_and_b32 s12, 0xffff, s76
	v_add_co_u32_e32 v1, vcc, s26, v2
	s_cmp_lt_i32 s12, 11
	v_addc_co_u32_e32 v2, vcc, 0, v3, vcc
	s_cbranch_scc1 .LBB199_829
; %bb.823:
	s_cmp_gt_i32 s12, 25
	s_mov_b64 s[2:3], 0
	s_cbranch_scc0 .LBB199_830
; %bb.824:
	s_cmp_gt_i32 s12, 28
	s_cbranch_scc0 .LBB199_831
; %bb.825:
	s_cmp_gt_i32 s12, 43
	;; [unrolled: 3-line block ×3, first 2 shown]
	s_cbranch_scc0 .LBB199_835
; %bb.827:
	s_cmp_eq_u32 s12, 46
	s_mov_b64 s[10:11], 0
	s_cbranch_scc0 .LBB199_838
; %bb.828:
	global_load_dword v3, v[1:2], off
	s_mov_b32 s0, 0x2f800000
	s_mov_b32 s1, 0xcf800000
	s_mov_b64 s[8:9], -1
	s_waitcnt vmcnt(0)
	v_lshlrev_b32_e32 v3, 16, v3
	v_trunc_f32_e32 v3, v3
	v_mul_f32_e64 v4, |v3|, s0
	v_floor_f32_e32 v4, v4
	v_fma_f32 v5, v4, s1, |v3|
	v_cvt_u32_f32_e32 v5, v5
	v_cvt_u32_f32_e32 v4, v4
	v_ashrrev_i32_e32 v3, 31, v3
	s_mov_b64 s[0:1], 0
	v_xor_b32_e32 v5, v5, v3
	v_xor_b32_e32 v4, v4, v3
	v_sub_co_u32_e32 v5, vcc, v5, v3
	v_subb_co_u32_e32 v6, vcc, v4, v3, vcc
	s_branch .LBB199_839
.LBB199_829:
	s_mov_b64 s[12:13], -1
	s_mov_b64 s[8:9], 0
	s_mov_b64 s[2:3], 0
	;; [unrolled: 1-line block ×3, first 2 shown]
                                        ; implicit-def: $vgpr5_vgpr6
	s_branch .LBB199_898
.LBB199_830:
	s_mov_b64 s[10:11], -1
	s_mov_b64 s[8:9], 0
	s_mov_b64 s[0:1], s[68:69]
                                        ; implicit-def: $vgpr5_vgpr6
	s_branch .LBB199_868
.LBB199_831:
	s_mov_b64 s[10:11], -1
	s_mov_b64 s[8:9], 0
	s_mov_b64 s[0:1], s[68:69]
                                        ; implicit-def: $vgpr5_vgpr6
	s_branch .LBB199_849
.LBB199_832:
	s_mov_b64 s[10:11], -1
	s_mov_b64 s[8:9], 0
	s_mov_b64 s[0:1], s[68:69]
                                        ; implicit-def: $vgpr5_vgpr6
	s_branch .LBB199_844
.LBB199_833:
	s_andn2_saveexec_b64 s[12:13], s[12:13]
	s_cbranch_execz .LBB199_713
.LBB199_834:
	s_mov_b32 s16, 0x46000000
	v_add_f32_e64 v5, |v0|, s16
	v_and_b32_e32 v5, 0xff, v5
	v_cmp_ne_u32_e32 vcc, 0, v5
	s_andn2_b64 s[10:11], s[10:11], exec
	s_and_b64 s[16:17], vcc, exec
	s_or_b64 s[10:11], s[10:11], s[16:17]
	s_or_b64 exec, exec, s[12:13]
	v_mov_b32_e32 v6, 0
	s_and_saveexec_b64 s[12:13], s[10:11]
	s_cbranch_execnz .LBB199_714
	s_branch .LBB199_715
.LBB199_835:
	s_mov_b64 s[10:11], -1
	s_mov_b64 s[8:9], 0
	s_mov_b64 s[0:1], s[68:69]
                                        ; implicit-def: $vgpr5_vgpr6
	s_branch .LBB199_839
.LBB199_836:
	s_andn2_saveexec_b64 s[12:13], s[12:13]
	s_cbranch_execz .LBB199_726
.LBB199_837:
	s_mov_b32 s16, 0x42800000
	v_add_f32_e64 v5, |v0|, s16
	v_and_b32_e32 v5, 0xff, v5
	v_cmp_ne_u32_e32 vcc, 0, v5
	s_andn2_b64 s[10:11], s[10:11], exec
	s_and_b64 s[16:17], vcc, exec
	s_or_b64 s[10:11], s[10:11], s[16:17]
	s_or_b64 exec, exec, s[12:13]
	v_mov_b32_e32 v6, 0
	s_and_saveexec_b64 s[12:13], s[10:11]
	s_cbranch_execnz .LBB199_727
	s_branch .LBB199_728
.LBB199_838:
	s_mov_b64 s[0:1], -1
                                        ; implicit-def: $vgpr5_vgpr6
	s_mov_b64 s[8:9], 0
.LBB199_839:
	s_and_b64 vcc, exec, s[10:11]
	s_cbranch_vccz .LBB199_843
; %bb.840:
	s_cmp_eq_u32 s12, 44
	s_cbranch_scc0 .LBB199_842
; %bb.841:
	global_load_ubyte v3, v[1:2], off
	s_mov_b32 s0, 0x2f800000
	s_mov_b32 s1, 0xcf800000
	s_mov_b64 s[8:9], -1
	s_waitcnt vmcnt(0)
	v_lshlrev_b32_e32 v4, 23, v3
	v_trunc_f32_e32 v4, v4
	v_mul_f32_e64 v5, |v4|, s0
	v_floor_f32_e32 v5, v5
	v_fma_f32 v6, v5, s1, |v4|
	v_cvt_u32_f32_e32 v6, v6
	v_cvt_u32_f32_e32 v5, v5
	v_ashrrev_i32_e32 v4, 31, v4
	s_mov_b64 s[0:1], 0
	v_xor_b32_e32 v6, v6, v4
	v_xor_b32_e32 v5, v5, v4
	v_sub_co_u32_e32 v7, vcc, v6, v4
	v_subb_co_u32_e32 v4, vcc, v5, v4, vcc
	v_cmp_ne_u32_e32 vcc, 0, v3
	v_cndmask_b32_e32 v6, 0, v4, vcc
	v_cndmask_b32_e32 v5, 0, v7, vcc
	s_branch .LBB199_843
.LBB199_842:
	s_mov_b64 s[0:1], -1
                                        ; implicit-def: $vgpr5_vgpr6
.LBB199_843:
	s_mov_b64 s[10:11], 0
.LBB199_844:
	s_and_b64 vcc, exec, s[10:11]
	s_cbranch_vccz .LBB199_848
; %bb.845:
	s_cmp_eq_u32 s12, 29
	s_cbranch_scc0 .LBB199_847
; %bb.846:
	global_load_dwordx2 v[5:6], v[1:2], off
	s_mov_b64 s[0:1], 0
	s_mov_b64 s[8:9], -1
	s_branch .LBB199_848
.LBB199_847:
	s_mov_b64 s[0:1], -1
                                        ; implicit-def: $vgpr5_vgpr6
.LBB199_848:
	s_mov_b64 s[10:11], 0
.LBB199_849:
	s_and_b64 vcc, exec, s[10:11]
	s_cbranch_vccz .LBB199_867
; %bb.850:
	s_cmp_lt_i32 s12, 27
	s_cbranch_scc1 .LBB199_853
; %bb.851:
	s_cmp_gt_i32 s12, 27
	s_cbranch_scc0 .LBB199_854
; %bb.852:
	global_load_dword v5, v[1:2], off
	s_waitcnt vmcnt(1)
	v_mov_b32_e32 v6, 0
	s_mov_b64 s[8:9], 0
	s_branch .LBB199_855
.LBB199_853:
	s_mov_b64 s[8:9], -1
                                        ; implicit-def: $vgpr5_vgpr6
	s_branch .LBB199_858
.LBB199_854:
	s_mov_b64 s[8:9], -1
                                        ; implicit-def: $vgpr5_vgpr6
.LBB199_855:
	s_andn2_b64 vcc, exec, s[8:9]
	s_cbranch_vccnz .LBB199_857
; %bb.856:
	global_load_ushort v3, v[1:2], off
	s_mov_b32 s8, 0
	s_waitcnt vmcnt(1)
	v_mov_b32_e32 v6, s8
	s_waitcnt vmcnt(0)
	v_and_b32_e32 v5, 0xffff, v3
.LBB199_857:
	s_mov_b64 s[8:9], 0
.LBB199_858:
	s_andn2_b64 vcc, exec, s[8:9]
	s_cbranch_vccnz .LBB199_866
; %bb.859:
	global_load_ubyte v3, v[1:2], off
	s_movk_i32 s8, 0x7f
	s_mov_b64 s[10:11], 0
	s_waitcnt vmcnt(0)
	v_cmp_lt_i16_e32 vcc, s8, v3
	s_and_saveexec_b64 s[8:9], vcc
	s_xor_b64 s[8:9], exec, s[8:9]
; %bb.860:
	s_movk_i32 s10, 0x80
	v_cmp_ne_u16_e32 vcc, s10, v3
	s_and_b64 s[10:11], vcc, exec
; %bb.861:
	s_andn2_saveexec_b64 s[8:9], s[8:9]
; %bb.862:
	v_cmp_ne_u16_e32 vcc, 0, v3
	s_andn2_b64 s[10:11], s[10:11], exec
	s_and_b64 s[14:15], vcc, exec
	s_or_b64 s[10:11], s[10:11], s[14:15]
; %bb.863:
	s_or_b64 exec, exec, s[8:9]
	v_mov_b32_e32 v5, 0
	v_mov_b32_e32 v6, 0
	s_and_saveexec_b64 s[8:9], s[10:11]
	s_cbranch_execz .LBB199_865
; %bb.864:
	v_lshlrev_b32_e32 v4, 24, v3
	v_and_b32_e32 v3, 0xffff, v3
	v_and_b32_e32 v5, 7, v3
	v_ffbh_u32_e32 v7, v5
	v_min_u32_e32 v7, 32, v7
	v_subrev_u32_e32 v8, 28, v7
	v_bfe_u32 v6, v3, 3, 4
	v_lshlrev_b32_e32 v3, v8, v3
	v_sub_u32_e32 v7, 29, v7
	v_and_b32_e32 v3, 7, v3
	v_cmp_eq_u32_e32 vcc, 0, v6
	v_cndmask_b32_e32 v6, v6, v7, vcc
	v_cndmask_b32_e32 v3, v5, v3, vcc
	v_mov_b32_e32 v5, 0x3b800000
	v_lshlrev_b32_e32 v3, 20, v3
	v_and_b32_e32 v4, 0x80000000, v4
	v_lshl_add_u32 v5, v6, 23, v5
	v_or3_b32 v3, v4, v5, v3
	v_trunc_f32_e32 v3, v3
	s_mov_b32 s10, 0x2f800000
	v_mul_f32_e64 v4, |v3|, s10
	v_floor_f32_e32 v4, v4
	s_mov_b32 s10, 0xcf800000
	v_fma_f32 v5, v4, s10, |v3|
	v_cvt_u32_f32_e32 v5, v5
	v_cvt_u32_f32_e32 v4, v4
	v_ashrrev_i32_e32 v3, 31, v3
	v_xor_b32_e32 v5, v5, v3
	v_xor_b32_e32 v4, v4, v3
	v_sub_co_u32_e32 v5, vcc, v5, v3
	v_subb_co_u32_e32 v6, vcc, v4, v3, vcc
.LBB199_865:
	s_or_b64 exec, exec, s[8:9]
.LBB199_866:
	s_mov_b64 s[8:9], -1
.LBB199_867:
	s_mov_b64 s[10:11], 0
.LBB199_868:
	s_and_b64 vcc, exec, s[10:11]
	s_cbranch_vccz .LBB199_897
; %bb.869:
	s_cmp_gt_i32 s12, 22
	s_cbranch_scc0 .LBB199_879
; %bb.870:
	s_cmp_lt_i32 s12, 24
	s_cbranch_scc1 .LBB199_880
; %bb.871:
	s_cmp_gt_i32 s12, 24
	s_cbranch_scc0 .LBB199_881
; %bb.872:
	global_load_ubyte v3, v[1:2], off
	s_movk_i32 s2, 0x7f
	s_mov_b64 s[8:9], 0
	s_waitcnt vmcnt(0)
	v_cmp_lt_i16_e32 vcc, s2, v3
	s_and_saveexec_b64 s[2:3], vcc
	s_xor_b64 s[2:3], exec, s[2:3]
; %bb.873:
	s_movk_i32 s8, 0x80
	v_cmp_ne_u16_e32 vcc, s8, v3
	s_and_b64 s[8:9], vcc, exec
; %bb.874:
	s_andn2_saveexec_b64 s[2:3], s[2:3]
; %bb.875:
	v_cmp_ne_u16_e32 vcc, 0, v3
	s_andn2_b64 s[8:9], s[8:9], exec
	s_and_b64 s[10:11], vcc, exec
	s_or_b64 s[8:9], s[8:9], s[10:11]
; %bb.876:
	s_or_b64 exec, exec, s[2:3]
	v_mov_b32_e32 v5, 0
	v_mov_b32_e32 v6, 0
	s_and_saveexec_b64 s[2:3], s[8:9]
	s_cbranch_execz .LBB199_878
; %bb.877:
	v_lshlrev_b32_e32 v4, 24, v3
	v_and_b32_e32 v3, 0xffff, v3
	v_and_b32_e32 v5, 3, v3
	v_ffbh_u32_e32 v7, v5
	v_min_u32_e32 v7, 32, v7
	v_subrev_u32_e32 v8, 29, v7
	v_bfe_u32 v6, v3, 2, 5
	v_lshlrev_b32_e32 v3, v8, v3
	v_sub_u32_e32 v7, 30, v7
	v_and_b32_e32 v3, 3, v3
	v_cmp_eq_u32_e32 vcc, 0, v6
	v_cndmask_b32_e32 v6, v6, v7, vcc
	v_cndmask_b32_e32 v3, v5, v3, vcc
	v_mov_b32_e32 v5, 0x37800000
	v_lshlrev_b32_e32 v3, 21, v3
	v_and_b32_e32 v4, 0x80000000, v4
	v_lshl_add_u32 v5, v6, 23, v5
	v_or3_b32 v3, v4, v5, v3
	v_trunc_f32_e32 v3, v3
	s_mov_b32 s8, 0x2f800000
	v_mul_f32_e64 v4, |v3|, s8
	v_floor_f32_e32 v4, v4
	s_mov_b32 s8, 0xcf800000
	v_fma_f32 v5, v4, s8, |v3|
	v_cvt_u32_f32_e32 v5, v5
	v_cvt_u32_f32_e32 v4, v4
	v_ashrrev_i32_e32 v3, 31, v3
	v_xor_b32_e32 v5, v5, v3
	v_xor_b32_e32 v4, v4, v3
	v_sub_co_u32_e32 v5, vcc, v5, v3
	v_subb_co_u32_e32 v6, vcc, v4, v3, vcc
.LBB199_878:
	s_or_b64 exec, exec, s[2:3]
	s_mov_b64 s[2:3], 0
	s_branch .LBB199_882
.LBB199_879:
	s_mov_b64 s[2:3], -1
                                        ; implicit-def: $vgpr5_vgpr6
	s_branch .LBB199_888
.LBB199_880:
	s_mov_b64 s[2:3], -1
                                        ; implicit-def: $vgpr5_vgpr6
	s_branch .LBB199_885
.LBB199_881:
	s_mov_b64 s[2:3], -1
                                        ; implicit-def: $vgpr5_vgpr6
.LBB199_882:
	s_and_b64 vcc, exec, s[2:3]
	s_cbranch_vccz .LBB199_884
; %bb.883:
	global_load_ubyte v3, v[1:2], off
	s_mov_b32 s2, 0x7f800000
	s_brev_b32 s3, 1
	s_mov_b32 s8, 0x2f800000
	s_mov_b32 s9, 0xcf800000
	s_waitcnt vmcnt(0)
	v_lshlrev_b32_e32 v3, 24, v3
	v_and_b32_e32 v4, 0x7f000000, v3
	v_ffbh_u32_e32 v5, v4
	v_min_u32_e32 v5, 32, v5
	v_sub_u32_e64 v5, v5, 4 clamp
	v_lshlrev_b32_e32 v7, v5, v4
	v_lshlrev_b32_e32 v5, 23, v5
	v_lshrrev_b32_e32 v7, 4, v7
	v_add_u32_e32 v6, 0x1000000, v4
	v_sub_u32_e32 v5, v7, v5
	v_ashrrev_i32_e32 v6, 8, v6
	v_add_u32_e32 v5, 0x3c000000, v5
	v_and_or_b32 v5, v6, s2, v5
	v_cmp_ne_u32_e32 vcc, 0, v4
	v_cndmask_b32_e32 v4, 0, v5, vcc
	v_and_or_b32 v3, v3, s3, v4
	v_trunc_f32_e32 v3, v3
	v_mul_f32_e64 v4, |v3|, s8
	v_floor_f32_e32 v4, v4
	v_fma_f32 v5, v4, s9, |v3|
	v_cvt_u32_f32_e32 v5, v5
	v_cvt_u32_f32_e32 v4, v4
	v_ashrrev_i32_e32 v3, 31, v3
	v_xor_b32_e32 v5, v5, v3
	v_xor_b32_e32 v4, v4, v3
	v_sub_co_u32_e32 v5, vcc, v5, v3
	v_subb_co_u32_e32 v6, vcc, v4, v3, vcc
.LBB199_884:
	s_mov_b64 s[2:3], 0
.LBB199_885:
	s_andn2_b64 vcc, exec, s[2:3]
	s_cbranch_vccnz .LBB199_887
; %bb.886:
	global_load_ubyte v3, v[1:2], off
	s_movk_i32 s2, 0x7f00
	s_brev_b32 s3, 16
	s_brev_b32 s8, 1
	s_mov_b32 s9, 0x2f800000
	s_mov_b32 s10, 0xcf800000
	s_waitcnt vmcnt(0)
	v_lshlrev_b16_e32 v4, 8, v3
	v_lshlrev_b32_e32 v3, 25, v3
	v_lshrrev_b32_e32 v5, 4, v3
	v_and_or_b32 v6, v4, s2, 0.5
	v_or_b32_e32 v5, 0x70000000, v5
	v_add_f32_e32 v6, -0.5, v6
	v_mul_f32_e32 v5, 0x7800000, v5
	v_cmp_gt_u32_e32 vcc, s3, v3
	v_bfe_i32 v4, v4, 0, 16
	v_cndmask_b32_e32 v3, v5, v6, vcc
	v_and_or_b32 v3, v4, s8, v3
	v_trunc_f32_e32 v3, v3
	v_mul_f32_e64 v4, |v3|, s9
	v_floor_f32_e32 v4, v4
	v_fma_f32 v5, v4, s10, |v3|
	v_cvt_u32_f32_e32 v5, v5
	v_cvt_u32_f32_e32 v4, v4
	v_ashrrev_i32_e32 v3, 31, v3
	v_xor_b32_e32 v5, v5, v3
	v_xor_b32_e32 v4, v4, v3
	v_sub_co_u32_e32 v5, vcc, v5, v3
	v_subb_co_u32_e32 v6, vcc, v4, v3, vcc
.LBB199_887:
	s_mov_b64 s[2:3], 0
	s_mov_b64 s[8:9], -1
.LBB199_888:
	s_andn2_b64 vcc, exec, s[2:3]
	s_mov_b64 s[2:3], 0
	s_cbranch_vccnz .LBB199_897
; %bb.889:
	s_cmp_gt_i32 s12, 14
	s_cbranch_scc0 .LBB199_892
; %bb.890:
	s_cmp_eq_u32 s12, 15
	s_cbranch_scc0 .LBB199_893
; %bb.891:
	global_load_ushort v3, v[1:2], off
	s_mov_b32 s0, 0x2f800000
	s_mov_b32 s1, 0xcf800000
	s_mov_b64 s[8:9], -1
	s_waitcnt vmcnt(0)
	v_lshlrev_b32_e32 v3, 16, v3
	v_trunc_f32_e32 v3, v3
	v_mul_f32_e64 v4, |v3|, s0
	v_floor_f32_e32 v4, v4
	v_fma_f32 v5, v4, s1, |v3|
	v_cvt_u32_f32_e32 v5, v5
	v_cvt_u32_f32_e32 v4, v4
	v_ashrrev_i32_e32 v3, 31, v3
	s_mov_b64 s[0:1], 0
	v_xor_b32_e32 v5, v5, v3
	v_xor_b32_e32 v4, v4, v3
	v_sub_co_u32_e32 v5, vcc, v5, v3
	v_subb_co_u32_e32 v6, vcc, v4, v3, vcc
	s_branch .LBB199_894
.LBB199_892:
	s_mov_b64 s[10:11], -1
                                        ; implicit-def: $vgpr5_vgpr6
	s_branch .LBB199_895
.LBB199_893:
	s_mov_b64 s[0:1], -1
                                        ; implicit-def: $vgpr5_vgpr6
.LBB199_894:
	s_mov_b64 s[10:11], 0
.LBB199_895:
	s_and_b64 vcc, exec, s[10:11]
	s_cbranch_vccz .LBB199_897
; %bb.896:
	s_cmp_lg_u32 s12, 11
	s_cselect_b64 s[10:11], -1, 0
	s_andn2_b64 s[0:1], s[0:1], exec
	s_and_b64 s[10:11], s[10:11], exec
	s_mov_b64 s[2:3], -1
	s_or_b64 s[0:1], s[0:1], s[10:11]
.LBB199_897:
	s_mov_b64 s[12:13], 0
.LBB199_898:
	s_and_b64 s[10:11], s[8:9], exec
	s_and_b64 s[8:9], s[12:13], exec
	s_andn2_b64 s[12:13], s[68:69], exec
	s_and_b64 s[0:1], s[0:1], exec
	s_and_b64 s[2:3], s[2:3], exec
	s_or_b64 s[12:13], s[12:13], s[0:1]
.LBB199_899:
	s_or_b64 exec, exec, s[72:73]
	s_and_b64 s[0:1], s[2:3], exec
	s_andn2_b64 s[2:3], s[68:69], exec
	s_and_b64 s[12:13], s[12:13], exec
	s_and_b64 s[10:11], s[10:11], exec
	;; [unrolled: 1-line block ×3, first 2 shown]
	s_or_b64 s[68:69], s[2:3], s[12:13]
.LBB199_900:
	s_or_b64 exec, exec, s[66:67]
	s_andn2_b64 s[2:3], s[62:63], exec
	s_and_b64 s[12:13], s[70:71], exec
	s_or_b64 s[62:63], s[2:3], s[12:13]
	s_and_b64 s[2:3], s[0:1], exec
	s_andn2_b64 s[0:1], s[60:61], exec
	s_and_b64 s[12:13], s[68:69], exec
	s_and_b64 s[10:11], s[10:11], exec
	;; [unrolled: 1-line block ×3, first 2 shown]
	s_or_b64 s[60:61], s[0:1], s[12:13]
.LBB199_901:
	s_or_b64 exec, exec, s[64:65]
	s_andn2_b64 s[0:1], s[54:55], exec
	s_and_b64 s[12:13], s[62:63], exec
	s_or_b64 s[54:55], s[0:1], s[12:13]
	s_and_b64 s[0:1], s[10:11], exec
	s_and_b64 s[10:11], s[8:9], exec
	;; [unrolled: 1-line block ×3, first 2 shown]
	s_andn2_b64 s[2:3], s[56:57], exec
	s_and_b64 s[8:9], s[60:61], exec
	s_or_b64 s[56:57], s[2:3], s[8:9]
	s_or_b64 exec, exec, s[58:59]
	s_mov_b64 s[2:3], 0
	s_and_saveexec_b64 s[8:9], s[56:57]
	s_cbranch_execz .LBB199_270
.LBB199_902:
	s_mov_b64 s[2:3], exec
	s_andn2_b64 s[62:63], s[62:63], exec
	s_trap 2
	s_or_b64 exec, exec, s[8:9]
	s_and_saveexec_b64 s[8:9], s[62:63]
	s_xor_b64 s[8:9], exec, s[8:9]
	s_cbranch_execnz .LBB199_271
.LBB199_903:
	s_or_b64 exec, exec, s[8:9]
	s_and_saveexec_b64 s[8:9], s[10:11]
	s_cbranch_execz .LBB199_949
.LBB199_904:
	s_sext_i32_i16 s10, s76
	s_cmp_lt_i32 s10, 5
	s_cbranch_scc1 .LBB199_909
; %bb.905:
	s_cmp_lt_i32 s10, 8
	s_cbranch_scc1 .LBB199_910
; %bb.906:
	;; [unrolled: 3-line block ×3, first 2 shown]
	s_cmp_gt_i32 s10, 9
	s_cbranch_scc0 .LBB199_912
; %bb.908:
	global_load_dwordx2 v[3:4], v[1:2], off
	s_movk_i32 s10, 0xffe0
	s_waitcnt vmcnt(0)
	v_trunc_f64_e32 v[3:4], v[3:4]
	v_ldexp_f64 v[5:6], v[3:4], s10
	s_mov_b32 s10, 0
	s_mov_b32 s11, 0xc1f00000
	v_floor_f64_e32 v[5:6], v[5:6]
	v_fma_f64 v[3:4], v[5:6], s[10:11], v[3:4]
	v_cvt_i32_f64_e32 v6, v[5:6]
	s_mov_b64 s[10:11], 0
	v_cvt_u32_f64_e32 v5, v[3:4]
	s_branch .LBB199_913
.LBB199_909:
                                        ; implicit-def: $vgpr5_vgpr6
	s_branch .LBB199_930
.LBB199_910:
                                        ; implicit-def: $vgpr5_vgpr6
	s_branch .LBB199_919
.LBB199_911:
	s_mov_b64 s[10:11], -1
                                        ; implicit-def: $vgpr5_vgpr6
	s_branch .LBB199_916
.LBB199_912:
	s_mov_b64 s[10:11], -1
                                        ; implicit-def: $vgpr5_vgpr6
.LBB199_913:
	s_andn2_b64 vcc, exec, s[10:11]
	s_cbranch_vccnz .LBB199_915
; %bb.914:
	global_load_dword v3, v[1:2], off
	s_mov_b32 s10, 0x2f800000
	s_mov_b32 s11, 0xcf800000
	s_waitcnt vmcnt(0)
	v_trunc_f32_e32 v3, v3
	v_mul_f32_e64 v4, |v3|, s10
	v_floor_f32_e32 v4, v4
	v_cvt_u32_f32_e32 v5, v4
	v_fma_f32 v4, v4, s11, |v3|
	v_cvt_u32_f32_e32 v4, v4
	v_ashrrev_i32_e32 v3, 31, v3
	v_xor_b32_e32 v6, v5, v3
	v_xor_b32_e32 v4, v4, v3
	v_sub_co_u32_e32 v5, vcc, v4, v3
	v_subb_co_u32_e32 v6, vcc, v6, v3, vcc
.LBB199_915:
	s_mov_b64 s[10:11], 0
.LBB199_916:
	s_andn2_b64 vcc, exec, s[10:11]
	s_cbranch_vccnz .LBB199_918
; %bb.917:
	global_load_dword v3, v[1:2], off
	s_waitcnt vmcnt(0)
	v_cvt_f32_f16_e32 v3, v3
	v_cvt_i32_f32_e32 v5, v3
	v_ashrrev_i32_e32 v6, 31, v5
.LBB199_918:
	s_cbranch_execnz .LBB199_929
.LBB199_919:
	s_sext_i32_i16 s10, s76
	s_cmp_lt_i32 s10, 6
	s_cbranch_scc1 .LBB199_922
; %bb.920:
	s_cmp_gt_i32 s10, 6
	s_cbranch_scc0 .LBB199_923
; %bb.921:
	global_load_dwordx2 v[3:4], v[1:2], off
	s_movk_i32 s10, 0xffe0
	s_waitcnt vmcnt(0)
	v_trunc_f64_e32 v[3:4], v[3:4]
	v_ldexp_f64 v[5:6], v[3:4], s10
	s_mov_b32 s10, 0
	s_mov_b32 s11, 0xc1f00000
	v_floor_f64_e32 v[5:6], v[5:6]
	v_fma_f64 v[3:4], v[5:6], s[10:11], v[3:4]
	v_cvt_i32_f64_e32 v6, v[5:6]
	s_mov_b64 s[10:11], 0
	v_cvt_u32_f64_e32 v5, v[3:4]
	s_branch .LBB199_924
.LBB199_922:
	s_mov_b64 s[10:11], -1
                                        ; implicit-def: $vgpr5_vgpr6
	s_branch .LBB199_927
.LBB199_923:
	s_mov_b64 s[10:11], -1
                                        ; implicit-def: $vgpr5_vgpr6
.LBB199_924:
	s_andn2_b64 vcc, exec, s[10:11]
	s_cbranch_vccnz .LBB199_926
; %bb.925:
	global_load_dword v3, v[1:2], off
	s_mov_b32 s10, 0x2f800000
	s_mov_b32 s11, 0xcf800000
	s_waitcnt vmcnt(0)
	v_trunc_f32_e32 v3, v3
	v_mul_f32_e64 v4, |v3|, s10
	v_floor_f32_e32 v4, v4
	v_cvt_u32_f32_e32 v5, v4
	v_fma_f32 v4, v4, s11, |v3|
	v_cvt_u32_f32_e32 v4, v4
	v_ashrrev_i32_e32 v3, 31, v3
	v_xor_b32_e32 v6, v5, v3
	v_xor_b32_e32 v4, v4, v3
	v_sub_co_u32_e32 v5, vcc, v4, v3
	v_subb_co_u32_e32 v6, vcc, v6, v3, vcc
.LBB199_926:
	s_mov_b64 s[10:11], 0
.LBB199_927:
	s_andn2_b64 vcc, exec, s[10:11]
	s_cbranch_vccnz .LBB199_929
; %bb.928:
	global_load_ushort v3, v[1:2], off
	s_waitcnt vmcnt(0)
	v_cvt_f32_f16_e32 v3, v3
	v_cvt_i32_f32_e32 v5, v3
	v_ashrrev_i32_e32 v6, 31, v5
.LBB199_929:
	s_cbranch_execnz .LBB199_948
.LBB199_930:
	s_sext_i32_i16 s10, s76
	s_cmp_lt_i32 s10, 2
	s_cbranch_scc1 .LBB199_934
; %bb.931:
	s_cmp_lt_i32 s10, 3
	s_cbranch_scc1 .LBB199_935
; %bb.932:
	s_cmp_gt_i32 s10, 3
	s_cbranch_scc0 .LBB199_936
; %bb.933:
	global_load_dwordx2 v[5:6], v[1:2], off
	s_mov_b64 s[10:11], 0
	s_branch .LBB199_937
.LBB199_934:
                                        ; implicit-def: $vgpr5_vgpr6
	s_branch .LBB199_943
.LBB199_935:
	s_mov_b64 s[10:11], -1
                                        ; implicit-def: $vgpr5_vgpr6
	s_branch .LBB199_940
.LBB199_936:
	s_mov_b64 s[10:11], -1
                                        ; implicit-def: $vgpr5_vgpr6
.LBB199_937:
	s_andn2_b64 vcc, exec, s[10:11]
	s_cbranch_vccnz .LBB199_939
; %bb.938:
	global_load_dword v5, v[1:2], off
	s_waitcnt vmcnt(0)
	v_ashrrev_i32_e32 v6, 31, v5
.LBB199_939:
	s_mov_b64 s[10:11], 0
.LBB199_940:
	s_andn2_b64 vcc, exec, s[10:11]
	s_cbranch_vccnz .LBB199_942
; %bb.941:
	global_load_ushort v3, v[1:2], off
	s_waitcnt vmcnt(0)
	v_bfe_i32 v5, v3, 0, 16
	v_ashrrev_i32_e32 v6, 31, v5
.LBB199_942:
	s_cbranch_execnz .LBB199_948
.LBB199_943:
	s_sext_i32_i16 s10, s76
	s_cmp_gt_i32 s10, 0
	s_cbranch_scc0 .LBB199_945
; %bb.944:
	global_load_sbyte v3, v[1:2], off
	s_mov_b64 s[10:11], 0
	s_waitcnt vmcnt(0)
	v_bfe_i32 v5, v3, 0, 16
	v_ashrrev_i32_e32 v6, 31, v5
	s_branch .LBB199_946
.LBB199_945:
	s_mov_b64 s[10:11], -1
                                        ; implicit-def: $vgpr5_vgpr6
.LBB199_946:
	s_andn2_b64 vcc, exec, s[10:11]
	s_cbranch_vccnz .LBB199_948
; %bb.947:
	global_load_ubyte v1, v[1:2], off
	s_mov_b32 s10, 0
	s_waitcnt vmcnt(1)
	v_mov_b32_e32 v6, s10
	s_waitcnt vmcnt(0)
	v_and_b32_e32 v5, 0xffff, v1
.LBB199_948:
	s_or_b64 s[0:1], s[0:1], exec
.LBB199_949:
	s_or_b64 exec, exec, s[8:9]
	s_mov_b64 s[12:13], 0
	s_mov_b64 s[10:11], 0
                                        ; implicit-def: $sgpr18
                                        ; implicit-def: $vgpr3_vgpr4
                                        ; implicit-def: $vgpr1_vgpr2
	s_and_saveexec_b64 s[8:9], s[0:1]
	s_cbranch_execz .LBB199_957
; %bb.950:
	s_waitcnt vmcnt(0)
	v_cmp_gt_u64_e32 vcc, 63, v[5:6]
	v_mov_b32_e32 v4, s25
	v_cndmask_b32_e32 v1, 63, v5, vcc
	v_ashrrev_i64 v[1:2], v1, s[44:45]
	s_and_b32 s18, s75, 0xff
	v_add_co_u32_e32 v3, vcc, s24, v0
	s_cmp_lt_i32 s18, 11
	v_addc_co_u32_e32 v4, vcc, 0, v4, vcc
	s_cbranch_scc1 .LBB199_960
; %bb.951:
	s_and_b32 s19, 0xffff, s18
	s_mov_b64 s[12:13], -1
	s_cmp_gt_i32 s19, 25
	s_mov_b64 s[0:1], s[54:55]
	s_cbranch_scc0 .LBB199_988
; %bb.952:
	s_mov_b64 s[10:11], -1
	s_cmp_gt_i32 s19, 28
	s_mov_b64 s[0:1], s[54:55]
	s_cbranch_scc0 .LBB199_972
; %bb.953:
	s_cmp_gt_i32 s19, 43
	s_mov_b64 s[0:1], s[54:55]
	s_cbranch_scc0 .LBB199_968
; %bb.954:
	;; [unrolled: 4-line block ×3, first 2 shown]
	s_cmp_eq_u32 s19, 46
	s_mov_b64 s[0:1], -1
	s_cbranch_scc0 .LBB199_961
; %bb.956:
	v_xor_b32_e32 v5, v1, v2
	v_ffbh_i32_e32 v0, v2
	v_ashrrev_i32_e32 v5, 31, v5
	v_add_u32_e32 v0, -1, v0
	v_add_u32_e32 v5, 32, v5
	v_min_u32_e32 v0, v0, v5
	v_lshlrev_b64 v[5:6], v0, v[1:2]
	v_sub_u32_e32 v0, 32, v0
	v_min_u32_e32 v5, 1, v5
	v_or_b32_e32 v5, v6, v5
	v_cvt_f32_i32_e32 v5, v5
	s_movk_i32 s0, 0x7fff
	s_mov_b64 s[10:11], 0
	v_ldexp_f32 v0, v5, v0
	v_bfe_u32 v5, v0, 16, 1
	v_add3_u32 v0, v0, v5, s0
	v_lshrrev_b32_e32 v0, 16, v0
	global_store_dword v[3:4], v0, off
	s_mov_b64 s[0:1], 0
	s_branch .LBB199_962
.LBB199_957:
	s_or_b64 exec, exec, s[8:9]
	s_and_saveexec_b64 s[0:1], s[54:55]
	s_cbranch_execnz .LBB199_1030
.LBB199_958:
	s_or_b64 exec, exec, s[0:1]
	s_and_saveexec_b64 s[0:1], s[12:13]
	s_xor_b64 s[0:1], exec, s[0:1]
	s_cbranch_execz .LBB199_1031
.LBB199_959:
	v_cmp_ne_u64_e32 vcc, 0, v[1:2]
	v_cndmask_b32_e64 v0, 0, 1, vcc
	s_waitcnt vmcnt(0)
	global_store_byte v[3:4], v0, off
	s_or_b64 exec, exec, s[0:1]
	s_and_saveexec_b64 s[0:1], s[10:11]
	s_xor_b64 s[0:1], exec, s[0:1]
	s_cbranch_execz .LBB199_1069
	s_branch .LBB199_1032
.LBB199_960:
	s_mov_b64 s[10:11], -1
	s_mov_b64 s[0:1], s[54:55]
	s_branch .LBB199_1029
.LBB199_961:
	s_mov_b64 s[10:11], 0
.LBB199_962:
	s_and_b64 vcc, exec, s[10:11]
	s_cbranch_vccz .LBB199_967
; %bb.963:
	s_cmp_eq_u32 s19, 44
	s_mov_b64 s[0:1], -1
	s_cbranch_scc0 .LBB199_967
; %bb.964:
	v_xor_b32_e32 v5, v1, v2
	v_ffbh_i32_e32 v0, v2
	v_ashrrev_i32_e32 v5, 31, v5
	v_add_u32_e32 v0, -1, v0
	v_add_u32_e32 v5, 32, v5
	v_min_u32_e32 v0, v0, v5
	v_lshlrev_b64 v[5:6], v0, v[1:2]
	v_sub_u32_e32 v0, 32, v0
	v_min_u32_e32 v5, 1, v5
	v_or_b32_e32 v5, v6, v5
	v_cvt_f32_i32_e32 v5, v5
	s_movk_i32 s0, 0xff
	v_mov_b32_e32 v6, 0xff
	v_ldexp_f32 v0, v5, v0
	v_bfe_u32 v5, v0, 23, 8
	v_cmp_ne_u32_e32 vcc, s0, v5
	s_and_saveexec_b64 s[10:11], vcc
; %bb.965:
	s_mov_b32 s0, 0x3fffff
	v_lshrrev_b32_e32 v6, 23, v0
	v_and_b32_e32 v7, 0x400000, v0
	v_and_or_b32 v0, v0, s0, v5
	v_cmp_ne_u32_e32 vcc, 0, v7
	v_cmp_ne_u32_e64 s[0:1], 0, v0
	s_and_b64 s[0:1], vcc, s[0:1]
	v_cndmask_b32_e64 v0, 0, 1, s[0:1]
	v_add_u32_e32 v6, v6, v0
; %bb.966:
	s_or_b64 exec, exec, s[10:11]
	s_mov_b64 s[0:1], 0
	global_store_byte v[3:4], v6, off
.LBB199_967:
	s_mov_b64 s[10:11], 0
.LBB199_968:
	s_and_b64 vcc, exec, s[10:11]
	s_cbranch_vccz .LBB199_971
; %bb.969:
	s_cmp_eq_u32 s19, 29
	s_mov_b64 s[0:1], -1
	s_cbranch_scc0 .LBB199_971
; %bb.970:
	global_store_dwordx2 v[3:4], v[1:2], off
	s_mov_b64 s[0:1], 0
.LBB199_971:
	s_mov_b64 s[10:11], 0
.LBB199_972:
	s_and_b64 vcc, exec, s[10:11]
	s_cbranch_vccz .LBB199_987
; %bb.973:
	s_cmp_lt_i32 s19, 27
	s_mov_b64 s[10:11], -1
	s_cbranch_scc1 .LBB199_979
; %bb.974:
	s_cmp_gt_i32 s19, 27
	s_cbranch_scc0 .LBB199_976
; %bb.975:
	s_mov_b64 s[10:11], 0
	global_store_dword v[3:4], v1, off
.LBB199_976:
	s_andn2_b64 vcc, exec, s[10:11]
	s_cbranch_vccnz .LBB199_978
; %bb.977:
	global_store_short v[3:4], v1, off
.LBB199_978:
	s_mov_b64 s[10:11], 0
.LBB199_979:
	s_andn2_b64 vcc, exec, s[10:11]
	s_cbranch_vccnz .LBB199_987
; %bb.980:
	v_xor_b32_e32 v5, v1, v2
	v_ffbh_i32_e32 v0, v2
	v_ashrrev_i32_e32 v5, 31, v5
	v_add_u32_e32 v0, -1, v0
	v_add_u32_e32 v5, 32, v5
	v_min_u32_e32 v0, v0, v5
	v_lshlrev_b64 v[5:6], v0, v[1:2]
	v_sub_u32_e32 v0, 32, v0
	v_min_u32_e32 v5, 1, v5
	v_or_b32_e32 v5, v6, v5
	v_cvt_f32_i32_e32 v5, v5
	s_mov_b32 s10, 0x43800000
	v_mov_b32_e32 v6, 0x80
	v_ldexp_f32 v0, v5, v0
	v_and_b32_e32 v5, 0x7fffffff, v0
	v_cmp_gt_u32_e32 vcc, s10, v5
	s_and_saveexec_b64 s[10:11], vcc
	s_cbranch_execz .LBB199_986
; %bb.981:
	s_mov_b32 s12, 0x3bffffff
	v_cmp_lt_u32_e32 vcc, s12, v5
	s_mov_b64 s[12:13], 0
                                        ; implicit-def: $vgpr5
	s_and_saveexec_b64 s[14:15], vcc
	s_xor_b64 s[14:15], exec, s[14:15]
	s_cbranch_execz .LBB199_1140
; %bb.982:
	v_bfe_u32 v5, v0, 20, 1
	s_mov_b32 s16, 0x487ffff
	v_add3_u32 v5, v0, v5, s16
	s_mov_b64 s[12:13], exec
	v_lshrrev_b32_e32 v5, 20, v5
	s_andn2_saveexec_b64 s[14:15], s[14:15]
	s_cbranch_execnz .LBB199_1141
.LBB199_983:
	s_or_b64 exec, exec, s[14:15]
	v_mov_b32_e32 v6, 0
	s_and_saveexec_b64 s[14:15], s[12:13]
.LBB199_984:
	v_lshrrev_b32_e32 v0, 24, v0
	s_movk_i32 s12, 0x80
	v_and_or_b32 v6, v0, s12, v5
.LBB199_985:
	s_or_b64 exec, exec, s[14:15]
.LBB199_986:
	s_or_b64 exec, exec, s[10:11]
	global_store_byte v[3:4], v6, off
.LBB199_987:
	s_mov_b64 s[12:13], 0
.LBB199_988:
	s_mov_b64 s[10:11], 0
	s_and_b64 vcc, exec, s[12:13]
	s_cbranch_vccz .LBB199_1028
; %bb.989:
	s_cmp_gt_i32 s19, 22
	s_mov_b64 s[12:13], -1
	s_cbranch_scc0 .LBB199_1021
; %bb.990:
	s_cmp_lt_i32 s19, 24
	s_cbranch_scc1 .LBB199_1010
; %bb.991:
	s_cmp_gt_i32 s19, 24
	s_cbranch_scc0 .LBB199_999
; %bb.992:
	v_xor_b32_e32 v5, v1, v2
	v_ffbh_i32_e32 v0, v2
	v_ashrrev_i32_e32 v5, 31, v5
	v_add_u32_e32 v0, -1, v0
	v_add_u32_e32 v5, 32, v5
	v_min_u32_e32 v0, v0, v5
	v_lshlrev_b64 v[5:6], v0, v[1:2]
	v_sub_u32_e32 v0, 32, v0
	v_min_u32_e32 v5, 1, v5
	v_or_b32_e32 v5, v6, v5
	v_cvt_f32_i32_e32 v5, v5
	s_mov_b32 s12, 0x47800000
	v_mov_b32_e32 v6, 0x80
	v_ldexp_f32 v0, v5, v0
	v_and_b32_e32 v5, 0x7fffffff, v0
	v_cmp_gt_u32_e32 vcc, s12, v5
	s_and_saveexec_b64 s[12:13], vcc
	s_cbranch_execz .LBB199_998
; %bb.993:
	s_mov_b32 s14, 0x37ffffff
	v_cmp_lt_u32_e32 vcc, s14, v5
	s_mov_b64 s[14:15], 0
                                        ; implicit-def: $vgpr5
	s_and_saveexec_b64 s[16:17], vcc
	s_xor_b64 s[16:17], exec, s[16:17]
	s_cbranch_execz .LBB199_1260
; %bb.994:
	v_bfe_u32 v5, v0, 21, 1
	s_mov_b32 s20, 0x88fffff
	v_add3_u32 v5, v0, v5, s20
	s_mov_b64 s[14:15], exec
	v_lshrrev_b32_e32 v5, 21, v5
	s_andn2_saveexec_b64 s[16:17], s[16:17]
	s_cbranch_execnz .LBB199_1261
.LBB199_995:
	s_or_b64 exec, exec, s[16:17]
	v_mov_b32_e32 v6, 0
	s_and_saveexec_b64 s[16:17], s[14:15]
.LBB199_996:
	v_lshrrev_b32_e32 v0, 24, v0
	s_movk_i32 s14, 0x80
	v_and_or_b32 v6, v0, s14, v5
.LBB199_997:
	s_or_b64 exec, exec, s[16:17]
.LBB199_998:
	s_or_b64 exec, exec, s[12:13]
	s_mov_b64 s[12:13], 0
	global_store_byte v[3:4], v6, off
.LBB199_999:
	s_and_b64 vcc, exec, s[12:13]
	s_cbranch_vccz .LBB199_1009
; %bb.1000:
	v_xor_b32_e32 v5, v1, v2
	v_ffbh_i32_e32 v0, v2
	v_ashrrev_i32_e32 v5, 31, v5
	v_add_u32_e32 v0, -1, v0
	v_add_u32_e32 v5, 32, v5
	v_min_u32_e32 v0, v0, v5
	v_lshlrev_b64 v[5:6], v0, v[1:2]
	v_sub_u32_e32 v0, 32, v0
	v_min_u32_e32 v5, 1, v5
	v_or_b32_e32 v5, v6, v5
	v_cvt_f32_i32_e32 v5, v5
	s_mov_b32 s12, 0x43f00000
	v_ldexp_f32 v0, v5, v0
	v_and_b32_e32 v6, 0x7fffffff, v0
	v_cmp_gt_u32_e32 vcc, s12, v6
                                        ; implicit-def: $vgpr5
	s_and_saveexec_b64 s[12:13], vcc
	s_xor_b64 s[12:13], exec, s[12:13]
	s_cbranch_execz .LBB199_1006
; %bb.1001:
	s_mov_b32 s14, 0x3c7fffff
	v_cmp_lt_u32_e32 vcc, s14, v6
                                        ; implicit-def: $vgpr5
	s_and_saveexec_b64 s[14:15], vcc
	s_xor_b64 s[14:15], exec, s[14:15]
; %bb.1002:
	v_bfe_u32 v5, v0, 20, 1
	s_mov_b32 s16, 0x407ffff
	v_add3_u32 v5, v0, v5, s16
	v_lshrrev_b32_e32 v6, 20, v5
	v_and_b32_e32 v5, 0xff00000, v5
	s_mov_b32 s16, 0x7f00000
	v_mov_b32_e32 v7, 0x7e
	v_cmp_ne_u32_e32 vcc, s16, v5
	v_cndmask_b32_e32 v5, v7, v6, vcc
; %bb.1003:
	s_andn2_saveexec_b64 s[14:15], s[14:15]
; %bb.1004:
	s_mov_b32 s16, 0x46800000
	v_add_f32_e64 v5, |v0|, s16
; %bb.1005:
	s_or_b64 exec, exec, s[14:15]
                                        ; implicit-def: $vgpr6
.LBB199_1006:
	s_andn2_saveexec_b64 s[12:13], s[12:13]
; %bb.1007:
	s_mov_b32 s14, 0x7f800000
	v_mov_b32_e32 v5, 0x7e
	v_mov_b32_e32 v7, 0x7f
	v_cmp_lt_u32_e32 vcc, s14, v6
	v_cndmask_b32_e32 v5, v5, v7, vcc
; %bb.1008:
	s_or_b64 exec, exec, s[12:13]
	v_lshrrev_b32_e32 v0, 24, v0
	s_movk_i32 s12, 0x80
	v_and_or_b32 v0, v0, s12, v5
	global_store_byte v[3:4], v0, off
.LBB199_1009:
	s_mov_b64 s[12:13], 0
.LBB199_1010:
	s_andn2_b64 vcc, exec, s[12:13]
	s_cbranch_vccnz .LBB199_1020
; %bb.1011:
	v_xor_b32_e32 v5, v1, v2
	v_ffbh_i32_e32 v0, v2
	v_ashrrev_i32_e32 v5, 31, v5
	v_add_u32_e32 v0, -1, v0
	v_add_u32_e32 v5, 32, v5
	v_min_u32_e32 v0, v0, v5
	v_lshlrev_b64 v[5:6], v0, v[1:2]
	v_sub_u32_e32 v0, 32, v0
	v_min_u32_e32 v5, 1, v5
	v_or_b32_e32 v5, v6, v5
	v_cvt_f32_i32_e32 v5, v5
	s_mov_b32 s12, 0x47800000
	v_ldexp_f32 v0, v5, v0
	v_and_b32_e32 v6, 0x7fffffff, v0
	v_cmp_gt_u32_e32 vcc, s12, v6
                                        ; implicit-def: $vgpr5
	s_and_saveexec_b64 s[12:13], vcc
	s_xor_b64 s[12:13], exec, s[12:13]
	s_cbranch_execz .LBB199_1017
; %bb.1012:
	s_mov_b32 s14, 0x387fffff
	v_cmp_lt_u32_e32 vcc, s14, v6
                                        ; implicit-def: $vgpr5
	s_and_saveexec_b64 s[14:15], vcc
	s_xor_b64 s[14:15], exec, s[14:15]
; %bb.1013:
	v_bfe_u32 v5, v0, 21, 1
	s_mov_b32 s16, 0x80fffff
	v_add3_u32 v5, v0, v5, s16
	v_lshrrev_b32_e32 v5, 21, v5
; %bb.1014:
	s_andn2_saveexec_b64 s[14:15], s[14:15]
; %bb.1015:
	s_mov_b32 s16, 0x43000000
	v_add_f32_e64 v5, |v0|, s16
; %bb.1016:
	s_or_b64 exec, exec, s[14:15]
                                        ; implicit-def: $vgpr6
.LBB199_1017:
	s_andn2_saveexec_b64 s[12:13], s[12:13]
; %bb.1018:
	s_mov_b32 s14, 0x7f800000
	v_mov_b32_e32 v5, 0x7c
	v_mov_b32_e32 v7, 0x7f
	v_cmp_lt_u32_e32 vcc, s14, v6
	v_cndmask_b32_e32 v5, v5, v7, vcc
; %bb.1019:
	s_or_b64 exec, exec, s[12:13]
	v_lshrrev_b32_e32 v0, 24, v0
	s_movk_i32 s12, 0x80
	v_and_or_b32 v0, v0, s12, v5
	global_store_byte v[3:4], v0, off
.LBB199_1020:
	s_mov_b64 s[12:13], 0
.LBB199_1021:
	s_andn2_b64 vcc, exec, s[12:13]
	s_mov_b64 s[12:13], 0
	s_cbranch_vccnz .LBB199_1029
; %bb.1022:
	s_cmp_gt_i32 s19, 14
	s_mov_b64 s[14:15], -1
	s_cbranch_scc0 .LBB199_1026
; %bb.1023:
	s_cmp_eq_u32 s19, 15
	s_mov_b64 s[0:1], -1
	s_cbranch_scc0 .LBB199_1025
; %bb.1024:
	v_xor_b32_e32 v5, v1, v2
	v_ffbh_i32_e32 v0, v2
	v_ashrrev_i32_e32 v5, 31, v5
	v_add_u32_e32 v0, -1, v0
	v_add_u32_e32 v5, 32, v5
	v_min_u32_e32 v0, v0, v5
	v_lshlrev_b64 v[5:6], v0, v[1:2]
	v_sub_u32_e32 v0, 32, v0
	v_min_u32_e32 v5, 1, v5
	v_or_b32_e32 v5, v6, v5
	v_cvt_f32_i32_e32 v5, v5
	s_movk_i32 s0, 0x7fff
	v_ldexp_f32 v0, v5, v0
	v_bfe_u32 v5, v0, 16, 1
	v_add3_u32 v0, v0, v5, s0
	global_store_short_d16_hi v[3:4], v0, off
	s_mov_b64 s[0:1], 0
.LBB199_1025:
	s_mov_b64 s[14:15], 0
.LBB199_1026:
	s_and_b64 vcc, exec, s[14:15]
	s_cbranch_vccz .LBB199_1029
; %bb.1027:
	s_cmp_lg_u32 s19, 11
	s_cselect_b64 s[14:15], -1, 0
	s_andn2_b64 s[0:1], s[0:1], exec
	s_and_b64 s[14:15], s[14:15], exec
	s_mov_b64 s[12:13], -1
	s_or_b64 s[0:1], s[0:1], s[14:15]
	s_branch .LBB199_1029
.LBB199_1028:
	s_mov_b64 s[12:13], 0
.LBB199_1029:
	s_andn2_b64 s[14:15], s[54:55], exec
	s_and_b64 s[0:1], s[0:1], exec
	s_and_b64 s[10:11], s[10:11], exec
	;; [unrolled: 1-line block ×3, first 2 shown]
	s_or_b64 s[54:55], s[14:15], s[0:1]
	s_or_b64 exec, exec, s[8:9]
	s_and_saveexec_b64 s[0:1], s[54:55]
	s_cbranch_execz .LBB199_958
.LBB199_1030:
	s_or_b64 s[2:3], s[2:3], exec
	s_andn2_b64 s[12:13], s[12:13], exec
	s_trap 2
	s_or_b64 exec, exec, s[0:1]
	s_and_saveexec_b64 s[0:1], s[12:13]
	s_xor_b64 s[0:1], exec, s[0:1]
	s_cbranch_execnz .LBB199_959
.LBB199_1031:
	s_or_b64 exec, exec, s[0:1]
	s_and_saveexec_b64 s[0:1], s[10:11]
	s_xor_b64 s[0:1], exec, s[0:1]
	s_cbranch_execz .LBB199_1069
.LBB199_1032:
	s_sext_i32_i16 s10, s18
	s_cmp_lt_i32 s10, 5
	s_mov_b64 s[8:9], -1
	s_cbranch_scc1 .LBB199_1053
; %bb.1033:
	s_cmp_lt_i32 s10, 8
	s_cbranch_scc1 .LBB199_1043
; %bb.1034:
	s_cmp_lt_i32 s10, 9
	s_cbranch_scc1 .LBB199_1040
; %bb.1035:
	s_cmp_gt_i32 s10, 9
	s_cbranch_scc0 .LBB199_1037
; %bb.1036:
	s_waitcnt vmcnt(0)
	v_cvt_f64_i32_e32 v[5:6], v2
	v_cvt_f64_u32_e32 v[7:8], v1
	s_mov_b64 s[8:9], 0
	v_ldexp_f64 v[5:6], v[5:6], 32
	v_add_f64 v[5:6], v[5:6], v[7:8]
	v_mov_b32_e32 v7, 0
	v_mov_b32_e32 v8, v7
	global_store_dwordx4 v[3:4], v[5:8], off
.LBB199_1037:
	s_andn2_b64 vcc, exec, s[8:9]
	s_cbranch_vccnz .LBB199_1039
; %bb.1038:
	s_waitcnt vmcnt(0)
	v_xor_b32_e32 v5, v1, v2
	v_ffbh_i32_e32 v0, v2
	v_ashrrev_i32_e32 v5, 31, v5
	v_add_u32_e32 v0, -1, v0
	v_add_u32_e32 v5, 32, v5
	v_min_u32_e32 v0, v0, v5
	v_lshlrev_b64 v[5:6], v0, v[1:2]
	v_sub_u32_e32 v0, 32, v0
	v_min_u32_e32 v5, 1, v5
	v_or_b32_e32 v5, v6, v5
	v_cvt_f32_i32_e32 v5, v5
	v_mov_b32_e32 v6, 0
	v_ldexp_f32 v5, v5, v0
	global_store_dwordx2 v[3:4], v[5:6], off
.LBB199_1039:
	s_mov_b64 s[8:9], 0
.LBB199_1040:
	s_andn2_b64 vcc, exec, s[8:9]
	s_cbranch_vccnz .LBB199_1042
; %bb.1041:
	s_waitcnt vmcnt(0)
	v_xor_b32_e32 v5, v1, v2
	v_ffbh_i32_e32 v0, v2
	v_ashrrev_i32_e32 v5, 31, v5
	v_add_u32_e32 v0, -1, v0
	v_add_u32_e32 v5, 32, v5
	v_min_u32_e32 v0, v0, v5
	v_lshlrev_b64 v[5:6], v0, v[1:2]
	v_sub_u32_e32 v0, 32, v0
	v_min_u32_e32 v5, 1, v5
	v_or_b32_e32 v5, v6, v5
	v_cvt_f32_i32_e32 v5, v5
	v_ldexp_f32 v0, v5, v0
	v_cvt_f16_f32_e32 v0, v0
	global_store_dword v[3:4], v0, off
.LBB199_1042:
	s_mov_b64 s[8:9], 0
.LBB199_1043:
	s_andn2_b64 vcc, exec, s[8:9]
	s_cbranch_vccnz .LBB199_1052
; %bb.1044:
	s_sext_i32_i16 s10, s18
	s_cmp_lt_i32 s10, 6
	s_mov_b64 s[8:9], -1
	s_cbranch_scc1 .LBB199_1050
; %bb.1045:
	s_cmp_gt_i32 s10, 6
	s_cbranch_scc0 .LBB199_1047
; %bb.1046:
	s_waitcnt vmcnt(0)
	v_cvt_f64_i32_e32 v[5:6], v2
	v_cvt_f64_u32_e32 v[7:8], v1
	s_mov_b64 s[8:9], 0
	v_ldexp_f64 v[5:6], v[5:6], 32
	v_add_f64 v[5:6], v[5:6], v[7:8]
	global_store_dwordx2 v[3:4], v[5:6], off
.LBB199_1047:
	s_andn2_b64 vcc, exec, s[8:9]
	s_cbranch_vccnz .LBB199_1049
; %bb.1048:
	s_waitcnt vmcnt(0)
	v_xor_b32_e32 v5, v1, v2
	v_ffbh_i32_e32 v0, v2
	v_ashrrev_i32_e32 v5, 31, v5
	v_add_u32_e32 v0, -1, v0
	v_add_u32_e32 v5, 32, v5
	v_min_u32_e32 v0, v0, v5
	v_lshlrev_b64 v[5:6], v0, v[1:2]
	v_sub_u32_e32 v0, 32, v0
	v_min_u32_e32 v5, 1, v5
	v_or_b32_e32 v5, v6, v5
	v_cvt_f32_i32_e32 v5, v5
	v_ldexp_f32 v0, v5, v0
	global_store_dword v[3:4], v0, off
.LBB199_1049:
	s_mov_b64 s[8:9], 0
.LBB199_1050:
	s_andn2_b64 vcc, exec, s[8:9]
	s_cbranch_vccnz .LBB199_1052
; %bb.1051:
	s_waitcnt vmcnt(0)
	v_xor_b32_e32 v5, v1, v2
	v_ffbh_i32_e32 v0, v2
	v_ashrrev_i32_e32 v5, 31, v5
	v_add_u32_e32 v0, -1, v0
	v_add_u32_e32 v5, 32, v5
	v_min_u32_e32 v0, v0, v5
	v_lshlrev_b64 v[5:6], v0, v[1:2]
	v_sub_u32_e32 v0, 32, v0
	v_min_u32_e32 v5, 1, v5
	v_or_b32_e32 v5, v6, v5
	v_cvt_f32_i32_e32 v5, v5
	v_ldexp_f32 v0, v5, v0
	v_cvt_f16_f32_e32 v0, v0
	global_store_short v[3:4], v0, off
.LBB199_1052:
	s_mov_b64 s[8:9], 0
.LBB199_1053:
	s_andn2_b64 vcc, exec, s[8:9]
	s_cbranch_vccnz .LBB199_1069
; %bb.1054:
	s_sext_i32_i16 s10, s18
	s_cmp_lt_i32 s10, 2
	s_mov_b64 s[8:9], -1
	s_cbranch_scc1 .LBB199_1064
; %bb.1055:
	s_cmp_lt_i32 s10, 3
	s_cbranch_scc1 .LBB199_1061
; %bb.1056:
	s_cmp_gt_i32 s10, 3
	s_cbranch_scc0 .LBB199_1058
; %bb.1057:
	s_mov_b64 s[8:9], 0
	s_waitcnt vmcnt(0)
	global_store_dwordx2 v[3:4], v[1:2], off
.LBB199_1058:
	s_andn2_b64 vcc, exec, s[8:9]
	s_cbranch_vccnz .LBB199_1060
; %bb.1059:
	s_waitcnt vmcnt(0)
	global_store_dword v[3:4], v1, off
.LBB199_1060:
	s_mov_b64 s[8:9], 0
.LBB199_1061:
	s_andn2_b64 vcc, exec, s[8:9]
	s_cbranch_vccnz .LBB199_1063
; %bb.1062:
	s_waitcnt vmcnt(0)
	global_store_short v[3:4], v1, off
.LBB199_1063:
	s_mov_b64 s[8:9], 0
.LBB199_1064:
	s_andn2_b64 vcc, exec, s[8:9]
	s_cbranch_vccnz .LBB199_1069
; %bb.1065:
	s_sext_i32_i16 s8, s18
	s_cmp_gt_i32 s8, 0
	s_mov_b64 s[8:9], -1
	s_cbranch_scc0 .LBB199_1067
; %bb.1066:
	s_mov_b64 s[8:9], 0
	s_waitcnt vmcnt(0)
	global_store_byte v[3:4], v1, off
.LBB199_1067:
	s_andn2_b64 vcc, exec, s[8:9]
	s_cbranch_vccnz .LBB199_1069
; %bb.1068:
	s_waitcnt vmcnt(0)
	global_store_byte v[3:4], v1, off
.LBB199_1069:
	s_or_b64 exec, exec, s[0:1]
	s_and_b64 s[28:29], s[2:3], exec
                                        ; implicit-def: $vgpr15
                                        ; implicit-def: $vgpr11
.LBB199_1070:
	s_or_saveexec_b64 s[30:31], s[42:43]
	s_mov_b64 s[0:1], 0
                                        ; implicit-def: $vgpr0_vgpr1
                                        ; implicit-def: $sgpr16
                                        ; implicit-def: $vgpr2_vgpr3
	s_xor_b64 exec, exec, s[30:31]
	s_cbranch_execz .LBB199_2057
; %bb.1071:
	v_cndmask_b32_e64 v0, 0, 1, s[40:41]
	v_cmp_ne_u32_e64 s[0:1], 1, v0
	s_andn2_b64 vcc, exec, s[40:41]
	s_cbranch_vccnz .LBB199_1077
; %bb.1072:
	s_cmp_lg_u32 s33, 0
	s_mov_b32 s36, 0
	s_cbranch_scc0 .LBB199_1078
; %bb.1073:
	s_min_u32 s37, s74, 15
	s_add_i32 s37, s37, 1
	s_cmp_eq_u32 s74, 2
	s_cbranch_scc1 .LBB199_1079
; %bb.1074:
	s_and_b32 s36, s37, 28
	s_add_u32 s2, s34, 0xc4
	s_addc_u32 s3, s35, 0
	v_mov_b32_e32 v8, 0
	s_mov_b32 s38, 0
	s_mov_b64 s[6:7], s[34:35]
	s_waitcnt vmcnt(0)
	v_mov_b32_e32 v6, 0
	v_mov_b32_e32 v0, v11
.LBB199_1075:                           ; =>This Inner Loop Header: Depth=1
	s_load_dwordx8 s[16:23], s[6:7], 0x4
	s_load_dwordx4 s[24:27], s[6:7], 0x24
	s_load_dwordx8 s[8:15], s[2:3], 0x0
	s_add_u32 s6, s6, 48
	s_addc_u32 s7, s7, 0
	s_waitcnt lgkmcnt(0)
	v_mul_hi_u32 v1, s17, v0
	s_add_i32 s38, s38, 4
	s_add_u32 s2, s2, 32
	s_addc_u32 s3, s3, 0
	v_add_u32_e32 v1, v0, v1
	v_lshrrev_b32_e32 v1, s18, v1
	v_mul_lo_u32 v2, v1, s16
	v_mul_hi_u32 v3, s20, v1
	s_cmp_lg_u32 s36, s38
	v_sub_u32_e32 v0, v0, v2
	v_add_u32_e32 v2, v1, v3
	v_mul_lo_u32 v3, v0, s8
	v_mul_lo_u32 v4, v0, s9
	v_lshrrev_b32_e32 v0, s21, v2
	v_mul_lo_u32 v2, v0, s19
	v_mul_hi_u32 v5, s23, v0
	v_sub_u32_e32 v1, v1, v2
	v_add_u32_e32 v2, v0, v5
	v_lshrrev_b32_e32 v2, s24, v2
	v_mul_hi_u32 v7, s26, v2
	v_mul_lo_u32 v9, v2, s22
	v_mul_lo_u32 v5, v1, s10
	;; [unrolled: 1-line block ×3, first 2 shown]
	v_sub_u32_e32 v9, v0, v9
	v_add_u32_e32 v0, v2, v7
	v_lshrrev_b32_e32 v0, s27, v0
	v_mul_lo_u32 v7, v0, s25
	v_mul_lo_u32 v10, v9, s12
	;; [unrolled: 1-line block ×3, first 2 shown]
	v_add3_u32 v3, v3, v6, v5
	v_sub_u32_e32 v2, v2, v7
	v_mul_lo_u32 v7, v2, s14
	v_mul_lo_u32 v2, v2, s15
	v_add3_u32 v1, v4, v8, v1
	v_add3_u32 v6, v10, v3, v7
	;; [unrolled: 1-line block ×3, first 2 shown]
	s_cbranch_scc1 .LBB199_1075
; %bb.1076:
	s_and_b32 s8, s37, 3
	s_cmp_eq_u32 s8, 0
	s_cbranch_scc0 .LBB199_1080
	s_branch .LBB199_1082
.LBB199_1077:
                                        ; implicit-def: $vgpr6
                                        ; implicit-def: $vgpr8
	s_branch .LBB199_1083
.LBB199_1078:
	s_waitcnt vmcnt(0)
	v_mov_b32_e32 v6, 0
	v_mov_b32_e32 v8, 0
	s_branch .LBB199_1082
.LBB199_1079:
	s_waitcnt vmcnt(0)
	v_mov_b32_e32 v6, 0
	v_mov_b32_e32 v8, 0
	v_mov_b32_e32 v0, v11
	s_and_b32 s8, s37, 3
	s_cmp_eq_u32 s8, 0
	s_cbranch_scc1 .LBB199_1082
.LBB199_1080:
	s_lshl_b32 s2, s36, 3
	s_add_u32 s2, s34, s2
	s_addc_u32 s3, s35, 0
	s_add_u32 s2, s2, 0xc4
	s_addc_u32 s3, s3, 0
	s_mul_i32 s6, s36, 12
	s_add_u32 s6, s34, s6
	s_addc_u32 s7, s35, 0
.LBB199_1081:                           ; =>This Inner Loop Header: Depth=1
	s_load_dwordx2 s[10:11], s[6:7], 0x4
	s_load_dword s9, s[6:7], 0xc
	s_load_dwordx2 s[12:13], s[2:3], 0x0
	s_add_u32 s6, s6, 12
	s_addc_u32 s7, s7, 0
	s_waitcnt lgkmcnt(0)
	v_mul_hi_u32 v1, s11, v0
	s_add_u32 s2, s2, 8
	s_addc_u32 s3, s3, 0
	s_add_i32 s8, s8, -1
	v_add_u32_e32 v1, v0, v1
	v_lshrrev_b32_e32 v1, s9, v1
	v_mul_lo_u32 v2, v1, s10
	s_cmp_lg_u32 s8, 0
	v_sub_u32_e32 v0, v0, v2
	v_mad_u64_u32 v[6:7], s[10:11], v0, s12, v[6:7]
	v_mad_u64_u32 v[8:9], s[10:11], v0, s13, v[8:9]
	v_mov_b32_e32 v0, v1
	s_cbranch_scc1 .LBB199_1081
.LBB199_1082:
	s_cbranch_execnz .LBB199_1085
.LBB199_1083:
	s_load_dwordx4 s[8:11], s[34:35], 0x4
	s_load_dwordx2 s[2:3], s[34:35], 0xc4
	s_cmp_lt_u32 s33, 2
	s_waitcnt lgkmcnt(0)
	v_mul_hi_u32 v0, s9, v11
	v_add_u32_e32 v0, v11, v0
	v_lshrrev_b32_e32 v0, s10, v0
	v_mul_lo_u32 v1, v0, s8
	v_sub_u32_e32 v1, v11, v1
	s_waitcnt vmcnt(0)
	v_mul_lo_u32 v6, v1, s2
	v_mul_lo_u32 v8, v1, s3
	s_cbranch_scc1 .LBB199_1085
; %bb.1084:
	s_load_dwordx4 s[8:11], s[34:35], 0x10
	s_load_dwordx2 s[2:3], s[34:35], 0xcc
	s_waitcnt lgkmcnt(0)
	v_mul_hi_u32 v1, s9, v0
	v_add_u32_e32 v1, v0, v1
	v_lshrrev_b32_e32 v1, s10, v1
	v_mul_lo_u32 v1, v1, s8
	v_sub_u32_e32 v0, v0, v1
	v_mad_u64_u32 v[6:7], s[6:7], v0, s2, v[6:7]
	v_mad_u64_u32 v[8:9], s[2:3], v0, s3, v[8:9]
.LBB199_1085:
	s_and_b64 vcc, exec, s[0:1]
	v_add_u32_e32 v0, 0x80, v11
	s_cbranch_vccnz .LBB199_1091
; %bb.1086:
	s_cmp_lg_u32 s33, 0
	s_mov_b32 s36, 0
	s_cbranch_scc0 .LBB199_1092
; %bb.1087:
	s_min_u32 s37, s74, 15
	s_add_i32 s37, s37, 1
	s_cmp_eq_u32 s74, 2
	s_cbranch_scc1 .LBB199_1093
; %bb.1088:
	s_and_b32 s36, s37, 28
	s_add_u32 s2, s34, 0xc4
	s_addc_u32 s3, s35, 0
	v_mov_b32_e32 v9, 0
	s_mov_b32 s38, 0
	s_mov_b64 s[6:7], s[34:35]
	s_waitcnt vmcnt(0)
	v_mov_b32_e32 v4, 0
	v_mov_b32_e32 v1, v0
.LBB199_1089:                           ; =>This Inner Loop Header: Depth=1
	s_load_dwordx8 s[16:23], s[6:7], 0x4
	s_load_dwordx4 s[24:27], s[6:7], 0x24
	s_load_dwordx8 s[8:15], s[2:3], 0x0
	s_add_u32 s6, s6, 48
	s_addc_u32 s7, s7, 0
	s_waitcnt lgkmcnt(0)
	v_mul_hi_u32 v2, s17, v1
	s_add_i32 s38, s38, 4
	s_add_u32 s2, s2, 32
	s_addc_u32 s3, s3, 0
	v_add_u32_e32 v2, v1, v2
	v_lshrrev_b32_e32 v2, s18, v2
	v_mul_lo_u32 v3, v2, s16
	v_mul_hi_u32 v5, s20, v2
	s_cmp_lg_u32 s36, s38
	v_sub_u32_e32 v1, v1, v3
	v_add_u32_e32 v3, v2, v5
	v_mul_lo_u32 v5, v1, s8
	v_mul_lo_u32 v7, v1, s9
	v_lshrrev_b32_e32 v1, s21, v3
	v_mul_lo_u32 v3, v1, s19
	v_mul_hi_u32 v10, s23, v1
	v_sub_u32_e32 v2, v2, v3
	v_add_u32_e32 v3, v1, v10
	v_lshrrev_b32_e32 v3, s24, v3
	v_mul_hi_u32 v12, s26, v3
	v_mul_lo_u32 v13, v3, s22
	v_mul_lo_u32 v10, v2, s10
	;; [unrolled: 1-line block ×3, first 2 shown]
	v_sub_u32_e32 v13, v1, v13
	v_add_u32_e32 v1, v3, v12
	v_lshrrev_b32_e32 v1, s27, v1
	v_mul_lo_u32 v12, v1, s25
	v_mul_lo_u32 v14, v13, s12
	;; [unrolled: 1-line block ×3, first 2 shown]
	v_add3_u32 v4, v5, v4, v10
	v_sub_u32_e32 v3, v3, v12
	v_mul_lo_u32 v12, v3, s14
	v_mul_lo_u32 v3, v3, s15
	v_add3_u32 v2, v7, v9, v2
	v_add3_u32 v4, v14, v4, v12
	;; [unrolled: 1-line block ×3, first 2 shown]
	s_cbranch_scc1 .LBB199_1089
; %bb.1090:
	s_and_b32 s8, s37, 3
	s_cmp_eq_u32 s8, 0
	s_cbranch_scc0 .LBB199_1094
	s_branch .LBB199_1096
.LBB199_1091:
                                        ; implicit-def: $vgpr4
                                        ; implicit-def: $vgpr9
	s_branch .LBB199_1097
.LBB199_1092:
	s_waitcnt vmcnt(0)
	v_mov_b32_e32 v4, 0
	v_mov_b32_e32 v9, 0
	s_branch .LBB199_1096
.LBB199_1093:
	s_waitcnt vmcnt(0)
	v_mov_b32_e32 v4, 0
	v_mov_b32_e32 v9, 0
	;; [unrolled: 1-line block ×3, first 2 shown]
	s_and_b32 s8, s37, 3
	s_cmp_eq_u32 s8, 0
	s_cbranch_scc1 .LBB199_1096
.LBB199_1094:
	s_lshl_b32 s2, s36, 3
	s_add_u32 s2, s34, s2
	s_addc_u32 s3, s35, 0
	s_add_u32 s2, s2, 0xc4
	s_addc_u32 s3, s3, 0
	s_mul_i32 s6, s36, 12
	s_add_u32 s6, s34, s6
	s_addc_u32 s7, s35, 0
.LBB199_1095:                           ; =>This Inner Loop Header: Depth=1
	s_load_dwordx2 s[10:11], s[6:7], 0x4
	s_load_dword s9, s[6:7], 0xc
	s_load_dwordx2 s[12:13], s[2:3], 0x0
	s_add_u32 s6, s6, 12
	s_addc_u32 s7, s7, 0
	s_waitcnt lgkmcnt(0)
	v_mul_hi_u32 v2, s11, v1
	s_add_u32 s2, s2, 8
	s_addc_u32 s3, s3, 0
	s_add_i32 s8, s8, -1
	v_add_u32_e32 v2, v1, v2
	v_lshrrev_b32_e32 v2, s9, v2
	v_mul_lo_u32 v3, v2, s10
	s_cmp_lg_u32 s8, 0
	v_sub_u32_e32 v1, v1, v3
	v_mad_u64_u32 v[4:5], s[10:11], v1, s12, v[4:5]
	v_mad_u64_u32 v[9:10], s[10:11], v1, s13, v[9:10]
	v_mov_b32_e32 v1, v2
	s_cbranch_scc1 .LBB199_1095
.LBB199_1096:
	s_cbranch_execnz .LBB199_1099
.LBB199_1097:
	s_load_dwordx4 s[8:11], s[34:35], 0x4
	s_load_dwordx2 s[2:3], s[34:35], 0xc4
	s_cmp_lt_u32 s33, 2
	s_waitcnt lgkmcnt(0)
	v_mul_hi_u32 v1, s9, v0
	v_add_u32_e32 v1, v0, v1
	v_lshrrev_b32_e32 v1, s10, v1
	v_mul_lo_u32 v2, v1, s8
	v_sub_u32_e32 v0, v0, v2
	s_waitcnt vmcnt(0)
	v_mul_lo_u32 v4, v0, s2
	v_mul_lo_u32 v9, v0, s3
	s_cbranch_scc1 .LBB199_1099
; %bb.1098:
	s_load_dwordx4 s[8:11], s[34:35], 0x10
	s_load_dwordx2 s[2:3], s[34:35], 0xcc
	s_waitcnt lgkmcnt(0)
	v_mul_hi_u32 v0, s9, v1
	v_add_u32_e32 v0, v1, v0
	v_lshrrev_b32_e32 v0, s10, v0
	v_mul_lo_u32 v0, v0, s8
	v_sub_u32_e32 v0, v1, v0
	v_mad_u64_u32 v[4:5], s[6:7], v0, s2, v[4:5]
	v_mad_u64_u32 v[9:10], s[2:3], v0, s3, v[9:10]
.LBB199_1099:
	s_and_b64 vcc, exec, s[0:1]
	v_add_u32_e32 v0, 0x100, v11
	s_cbranch_vccnz .LBB199_1105
; %bb.1100:
	s_cmp_lg_u32 s33, 0
	s_mov_b32 s36, 0
	s_cbranch_scc0 .LBB199_1106
; %bb.1101:
	s_min_u32 s37, s74, 15
	s_add_i32 s37, s37, 1
	s_cmp_eq_u32 s74, 2
	s_cbranch_scc1 .LBB199_1107
; %bb.1102:
	s_and_b32 s36, s37, 28
	s_add_u32 s2, s34, 0xc4
	s_addc_u32 s3, s35, 0
	v_mov_b32_e32 v11, 0
	s_mov_b32 s38, 0
	s_mov_b64 s[6:7], s[34:35]
	v_mov_b32_e32 v2, 0
	v_mov_b32_e32 v1, v0
.LBB199_1103:                           ; =>This Inner Loop Header: Depth=1
	s_load_dwordx8 s[16:23], s[6:7], 0x4
	s_load_dwordx4 s[24:27], s[6:7], 0x24
	s_load_dwordx8 s[8:15], s[2:3], 0x0
	s_add_u32 s6, s6, 48
	s_addc_u32 s7, s7, 0
	s_waitcnt vmcnt(0) lgkmcnt(0)
	v_mul_hi_u32 v3, s17, v1
	s_add_i32 s38, s38, 4
	s_add_u32 s2, s2, 32
	s_addc_u32 s3, s3, 0
	v_add_u32_e32 v3, v1, v3
	v_lshrrev_b32_e32 v3, s18, v3
	v_mul_lo_u32 v5, v3, s16
	v_mul_hi_u32 v7, s20, v3
	s_cmp_lg_u32 s36, s38
	v_sub_u32_e32 v1, v1, v5
	v_add_u32_e32 v5, v3, v7
	v_mul_lo_u32 v7, v1, s8
	v_mul_lo_u32 v10, v1, s9
	v_lshrrev_b32_e32 v1, s21, v5
	v_mul_lo_u32 v5, v1, s19
	v_mul_hi_u32 v12, s23, v1
	v_sub_u32_e32 v3, v3, v5
	v_add_u32_e32 v5, v1, v12
	v_lshrrev_b32_e32 v5, s24, v5
	v_mul_hi_u32 v13, s26, v5
	v_mul_lo_u32 v14, v5, s22
	v_mul_lo_u32 v12, v3, s10
	;; [unrolled: 1-line block ×3, first 2 shown]
	v_sub_u32_e32 v14, v1, v14
	v_add_u32_e32 v1, v5, v13
	v_lshrrev_b32_e32 v1, s27, v1
	v_mul_lo_u32 v13, v1, s25
	v_mul_lo_u32 v16, v14, s12
	;; [unrolled: 1-line block ×3, first 2 shown]
	v_add3_u32 v2, v7, v2, v12
	v_sub_u32_e32 v5, v5, v13
	v_mul_lo_u32 v13, v5, s14
	v_mul_lo_u32 v5, v5, s15
	v_add3_u32 v3, v10, v11, v3
	v_add3_u32 v2, v16, v2, v13
	;; [unrolled: 1-line block ×3, first 2 shown]
	s_cbranch_scc1 .LBB199_1103
; %bb.1104:
	s_and_b32 s8, s37, 3
	s_cmp_eq_u32 s8, 0
	s_cbranch_scc0 .LBB199_1108
	s_branch .LBB199_1110
.LBB199_1105:
                                        ; implicit-def: $vgpr2
                                        ; implicit-def: $vgpr11
	s_branch .LBB199_1111
.LBB199_1106:
	v_mov_b32_e32 v2, 0
	v_mov_b32_e32 v11, 0
	s_branch .LBB199_1110
.LBB199_1107:
	v_mov_b32_e32 v2, 0
	v_mov_b32_e32 v11, 0
	;; [unrolled: 1-line block ×3, first 2 shown]
	s_and_b32 s8, s37, 3
	s_cmp_eq_u32 s8, 0
	s_cbranch_scc1 .LBB199_1110
.LBB199_1108:
	s_lshl_b32 s2, s36, 3
	s_add_u32 s2, s34, s2
	s_addc_u32 s3, s35, 0
	s_add_u32 s2, s2, 0xc4
	s_addc_u32 s3, s3, 0
	s_mul_i32 s6, s36, 12
	s_add_u32 s6, s34, s6
	s_addc_u32 s7, s35, 0
.LBB199_1109:                           ; =>This Inner Loop Header: Depth=1
	s_load_dwordx2 s[10:11], s[6:7], 0x4
	s_load_dword s9, s[6:7], 0xc
	s_load_dwordx2 s[12:13], s[2:3], 0x0
	s_add_u32 s6, s6, 12
	s_addc_u32 s7, s7, 0
	s_waitcnt vmcnt(0) lgkmcnt(0)
	v_mul_hi_u32 v3, s11, v1
	s_add_u32 s2, s2, 8
	s_addc_u32 s3, s3, 0
	s_add_i32 s8, s8, -1
	v_add_u32_e32 v3, v1, v3
	v_lshrrev_b32_e32 v5, s9, v3
	v_mul_lo_u32 v3, v5, s10
	s_cmp_lg_u32 s8, 0
	v_sub_u32_e32 v1, v1, v3
	v_mad_u64_u32 v[2:3], s[10:11], v1, s12, v[2:3]
	v_mad_u64_u32 v[11:12], s[10:11], v1, s13, v[11:12]
	v_mov_b32_e32 v1, v5
	s_cbranch_scc1 .LBB199_1109
.LBB199_1110:
	s_cbranch_execnz .LBB199_1113
.LBB199_1111:
	s_load_dwordx4 s[8:11], s[34:35], 0x4
	s_load_dwordx2 s[2:3], s[34:35], 0xc4
	s_cmp_lt_u32 s33, 2
	s_waitcnt lgkmcnt(0)
	v_mul_hi_u32 v1, s9, v0
	v_add_u32_e32 v1, v0, v1
	v_lshrrev_b32_e32 v1, s10, v1
	v_mul_lo_u32 v2, v1, s8
	v_sub_u32_e32 v0, v0, v2
	v_mul_lo_u32 v2, v0, s2
	v_mul_lo_u32 v11, v0, s3
	s_cbranch_scc1 .LBB199_1113
; %bb.1112:
	s_load_dwordx4 s[8:11], s[34:35], 0x10
	s_load_dwordx2 s[2:3], s[34:35], 0xcc
	s_waitcnt lgkmcnt(0)
	v_mul_hi_u32 v0, s9, v1
	v_add_u32_e32 v0, v1, v0
	v_lshrrev_b32_e32 v0, s10, v0
	v_mul_lo_u32 v0, v0, s8
	v_sub_u32_e32 v0, v1, v0
	s_waitcnt vmcnt(0)
	v_mad_u64_u32 v[2:3], s[6:7], v0, s2, v[2:3]
	v_mad_u64_u32 v[11:12], s[2:3], v0, s3, v[11:12]
.LBB199_1113:
	s_and_b64 vcc, exec, s[0:1]
	s_cbranch_vccnz .LBB199_1119
; %bb.1114:
	s_cmp_lg_u32 s33, 0
	s_mov_b32 s26, 0
	s_cbranch_scc0 .LBB199_1120
; %bb.1115:
	s_min_u32 s27, s74, 15
	s_add_i32 s27, s27, 1
	s_cmp_eq_u32 s74, 2
	s_cbranch_scc1 .LBB199_1121
; %bb.1116:
	s_and_b32 s26, s27, 28
	s_add_u32 s6, s34, 0xc4
	s_addc_u32 s7, s35, 0
	v_mov_b32_e32 v13, 0
	s_mov_b32 s36, 0
	s_mov_b64 s[24:25], s[34:35]
	v_mov_b32_e32 v0, 0
	v_mov_b32_e32 v1, v15
.LBB199_1117:                           ; =>This Inner Loop Header: Depth=1
	s_load_dwordx8 s[16:23], s[24:25], 0x4
	s_load_dwordx4 s[0:3], s[24:25], 0x24
	s_load_dwordx8 s[8:15], s[6:7], 0x0
	s_add_u32 s24, s24, 48
	s_addc_u32 s25, s25, 0
	s_waitcnt vmcnt(0) lgkmcnt(0)
	v_mul_hi_u32 v3, s17, v1
	s_add_i32 s36, s36, 4
	s_add_u32 s6, s6, 32
	s_addc_u32 s7, s7, 0
	v_add_u32_e32 v3, v1, v3
	v_lshrrev_b32_e32 v3, s18, v3
	v_mul_lo_u32 v5, v3, s16
	v_mul_hi_u32 v7, s20, v3
	s_cmp_lg_u32 s26, s36
	v_sub_u32_e32 v1, v1, v5
	v_add_u32_e32 v5, v3, v7
	v_mul_lo_u32 v7, v1, s8
	v_mul_lo_u32 v10, v1, s9
	v_lshrrev_b32_e32 v1, s21, v5
	v_mul_lo_u32 v5, v1, s19
	v_mul_hi_u32 v12, s23, v1
	v_sub_u32_e32 v3, v3, v5
	v_add_u32_e32 v5, v1, v12
	v_lshrrev_b32_e32 v5, s0, v5
	v_mul_hi_u32 v14, s2, v5
	v_mul_lo_u32 v16, v5, s22
	v_mul_lo_u32 v12, v3, s10
	;; [unrolled: 1-line block ×3, first 2 shown]
	v_sub_u32_e32 v16, v1, v16
	v_add_u32_e32 v1, v5, v14
	v_lshrrev_b32_e32 v1, s3, v1
	v_mul_lo_u32 v14, v1, s1
	v_mul_lo_u32 v17, v16, s12
	;; [unrolled: 1-line block ×3, first 2 shown]
	v_add3_u32 v0, v7, v0, v12
	v_sub_u32_e32 v5, v5, v14
	v_mul_lo_u32 v14, v5, s14
	v_mul_lo_u32 v5, v5, s15
	v_add3_u32 v3, v10, v13, v3
	v_add3_u32 v0, v17, v0, v14
	;; [unrolled: 1-line block ×3, first 2 shown]
	s_cbranch_scc1 .LBB199_1117
; %bb.1118:
	s_and_b32 s6, s27, 3
	s_cmp_eq_u32 s6, 0
	s_cbranch_scc0 .LBB199_1122
	s_branch .LBB199_1124
.LBB199_1119:
                                        ; implicit-def: $vgpr0
                                        ; implicit-def: $vgpr13
	s_branch .LBB199_1125
.LBB199_1120:
	v_mov_b32_e32 v0, 0
	v_mov_b32_e32 v13, 0
	s_branch .LBB199_1124
.LBB199_1121:
	v_mov_b32_e32 v0, 0
	v_mov_b32_e32 v13, 0
	;; [unrolled: 1-line block ×3, first 2 shown]
	s_and_b32 s6, s27, 3
	s_cmp_eq_u32 s6, 0
	s_cbranch_scc1 .LBB199_1124
.LBB199_1122:
	s_lshl_b32 s0, s26, 3
	s_add_u32 s0, s34, s0
	s_addc_u32 s1, s35, 0
	s_add_u32 s0, s0, 0xc4
	s_addc_u32 s1, s1, 0
	s_mul_i32 s2, s26, 12
	s_add_u32 s2, s34, s2
	s_addc_u32 s3, s35, 0
.LBB199_1123:                           ; =>This Inner Loop Header: Depth=1
	s_load_dwordx2 s[8:9], s[2:3], 0x4
	s_load_dword s7, s[2:3], 0xc
	s_load_dwordx2 s[10:11], s[0:1], 0x0
	s_add_u32 s2, s2, 12
	s_addc_u32 s3, s3, 0
	s_waitcnt vmcnt(0) lgkmcnt(0)
	v_mul_hi_u32 v3, s9, v1
	s_add_u32 s0, s0, 8
	s_addc_u32 s1, s1, 0
	s_add_i32 s6, s6, -1
	v_add_u32_e32 v3, v1, v3
	v_lshrrev_b32_e32 v3, s7, v3
	v_mul_lo_u32 v5, v3, s8
	s_cmp_lg_u32 s6, 0
	v_sub_u32_e32 v5, v1, v5
	v_mad_u64_u32 v[0:1], s[8:9], v5, s10, v[0:1]
	v_mad_u64_u32 v[13:14], s[8:9], v5, s11, v[13:14]
	v_mov_b32_e32 v1, v3
	s_cbranch_scc1 .LBB199_1123
.LBB199_1124:
	s_cbranch_execnz .LBB199_1127
.LBB199_1125:
	s_load_dwordx4 s[0:3], s[34:35], 0x4
	s_load_dwordx2 s[6:7], s[34:35], 0xc4
	s_cmp_lt_u32 s33, 2
	s_waitcnt lgkmcnt(0)
	v_mul_hi_u32 v0, s1, v15
	v_add_u32_e32 v0, v15, v0
	v_lshrrev_b32_e32 v1, s2, v0
	v_mul_lo_u32 v0, v1, s0
	s_waitcnt vmcnt(0)
	v_sub_u32_e32 v3, v15, v0
	v_mul_lo_u32 v0, v3, s6
	v_mul_lo_u32 v13, v3, s7
	s_cbranch_scc1 .LBB199_1127
; %bb.1126:
	s_load_dwordx4 s[0:3], s[34:35], 0x10
	s_load_dwordx2 s[6:7], s[34:35], 0xcc
	s_waitcnt lgkmcnt(0)
	v_mul_hi_u32 v3, s1, v1
	v_add_u32_e32 v3, v1, v3
	v_lshrrev_b32_e32 v3, s2, v3
	v_mul_lo_u32 v3, v3, s0
	v_sub_u32_e32 v3, v1, v3
	v_mad_u64_u32 v[0:1], s[0:1], v3, s6, v[0:1]
	v_mad_u64_u32 v[13:14], s[0:1], v3, s7, v[13:14]
.LBB199_1127:
	s_load_dwordx4 s[8:11], s[34:35], 0x148
	s_load_dword s12, s[4:5], 0x170
	s_waitcnt lgkmcnt(0)
	v_mov_b32_e32 v1, s11
	s_bfe_u32 s13, s12, 0x80008
	v_add_co_u32_e32 v14, vcc, s10, v8
	s_cmp_lt_i32 s13, 11
	v_addc_co_u32_e32 v15, vcc, 0, v1, vcc
	s_cbranch_scc1 .LBB199_1134
; %bb.1128:
	s_and_b32 s14, 0xffff, s13
	s_cmp_gt_i32 s14, 25
	s_mov_b64 s[4:5], 0
	s_cbranch_scc0 .LBB199_1136
; %bb.1129:
	s_cmp_gt_i32 s14, 28
	s_cbranch_scc0 .LBB199_1137
; %bb.1130:
	s_cmp_gt_i32 s14, 43
	;; [unrolled: 3-line block ×3, first 2 shown]
	s_cbranch_scc0 .LBB199_1139
; %bb.1132:
	s_cmp_eq_u32 s14, 46
	s_mov_b64 s[2:3], 0
	s_cbranch_scc0 .LBB199_1142
; %bb.1133:
	global_load_dword v1, v[14:15], off
	s_mov_b32 s0, 0x2f800000
	s_mov_b32 s1, 0xcf800000
	s_mov_b64 s[6:7], -1
	s_waitcnt vmcnt(0)
	v_lshlrev_b32_e32 v1, 16, v1
	v_trunc_f32_e32 v1, v1
	v_mul_f32_e64 v3, |v1|, s0
	v_floor_f32_e32 v3, v3
	v_fma_f32 v5, v3, s1, |v1|
	v_cvt_u32_f32_e32 v5, v5
	v_cvt_u32_f32_e32 v3, v3
	v_ashrrev_i32_e32 v1, 31, v1
	s_mov_b64 s[0:1], 0
	v_xor_b32_e32 v5, v5, v1
	v_xor_b32_e32 v3, v3, v1
	v_sub_co_u32_e32 v7, vcc, v5, v1
	v_subb_co_u32_e32 v8, vcc, v3, v1, vcc
	s_branch .LBB199_1143
.LBB199_1134:
	s_mov_b64 s[6:7], 0
                                        ; implicit-def: $vgpr7_vgpr8
	s_mov_b64 s[2:3], s[28:29]
	s_cbranch_execnz .LBB199_1201
.LBB199_1135:
	s_andn2_b64 vcc, exec, s[6:7]
	s_cbranch_vccz .LBB199_1246
	s_branch .LBB199_2055
.LBB199_1136:
	s_mov_b64 s[6:7], 0
	s_mov_b64 s[0:1], 0
                                        ; implicit-def: $vgpr7_vgpr8
	s_cbranch_execnz .LBB199_1170
	s_branch .LBB199_1197
.LBB199_1137:
	s_mov_b64 s[6:7], 0
	s_mov_b64 s[0:1], 0
                                        ; implicit-def: $vgpr7_vgpr8
	s_cbranch_execz .LBB199_1169
	s_branch .LBB199_1152
.LBB199_1138:
	s_mov_b64 s[6:7], 0
	s_mov_b64 s[0:1], 0
                                        ; implicit-def: $vgpr7_vgpr8
	s_cbranch_execnz .LBB199_1148
	s_branch .LBB199_1151
.LBB199_1139:
	s_mov_b64 s[2:3], -1
	s_mov_b64 s[6:7], 0
	s_mov_b64 s[0:1], 0
                                        ; implicit-def: $vgpr7_vgpr8
	s_branch .LBB199_1143
.LBB199_1140:
	s_andn2_saveexec_b64 s[14:15], s[14:15]
	s_cbranch_execz .LBB199_983
.LBB199_1141:
	s_mov_b32 s16, 0x46000000
	v_add_f32_e64 v5, |v0|, s16
	v_and_b32_e32 v5, 0xff, v5
	v_cmp_ne_u32_e32 vcc, 0, v5
	s_andn2_b64 s[12:13], s[12:13], exec
	s_and_b64 s[16:17], vcc, exec
	s_or_b64 s[12:13], s[12:13], s[16:17]
	s_or_b64 exec, exec, s[14:15]
	v_mov_b32_e32 v6, 0
	s_and_saveexec_b64 s[14:15], s[12:13]
	s_cbranch_execnz .LBB199_984
	s_branch .LBB199_985
.LBB199_1142:
	s_mov_b64 s[0:1], -1
                                        ; implicit-def: $vgpr7_vgpr8
	s_mov_b64 s[6:7], 0
.LBB199_1143:
	s_and_b64 vcc, exec, s[2:3]
	s_cbranch_vccz .LBB199_1146
; %bb.1144:
	s_cmp_eq_u32 s14, 44
	s_cbranch_scc0 .LBB199_1147
; %bb.1145:
	global_load_ubyte v1, v[14:15], off
	s_mov_b32 s0, 0x2f800000
	s_mov_b32 s1, 0xcf800000
	s_mov_b64 s[6:7], -1
	s_waitcnt vmcnt(0)
	v_lshlrev_b32_e32 v3, 23, v1
	v_trunc_f32_e32 v3, v3
	v_mul_f32_e64 v5, |v3|, s0
	v_floor_f32_e32 v5, v5
	v_fma_f32 v7, v5, s1, |v3|
	v_cvt_u32_f32_e32 v7, v7
	v_cvt_u32_f32_e32 v5, v5
	v_ashrrev_i32_e32 v3, 31, v3
	s_mov_b64 s[0:1], 0
	v_xor_b32_e32 v7, v7, v3
	v_xor_b32_e32 v5, v5, v3
	v_sub_co_u32_e32 v7, vcc, v7, v3
	v_subb_co_u32_e32 v3, vcc, v5, v3, vcc
	v_cmp_ne_u32_e32 vcc, 0, v1
	v_cndmask_b32_e32 v8, 0, v3, vcc
	v_cndmask_b32_e32 v7, 0, v7, vcc
.LBB199_1146:
	s_branch .LBB199_1151
.LBB199_1147:
	s_mov_b64 s[0:1], -1
                                        ; implicit-def: $vgpr7_vgpr8
	s_branch .LBB199_1151
.LBB199_1148:
	s_cmp_eq_u32 s14, 29
	s_cbranch_scc0 .LBB199_1150
; %bb.1149:
	global_load_dwordx2 v[7:8], v[14:15], off
	s_mov_b64 s[0:1], 0
	s_mov_b64 s[6:7], -1
	s_branch .LBB199_1151
.LBB199_1150:
	s_mov_b64 s[0:1], -1
                                        ; implicit-def: $vgpr7_vgpr8
.LBB199_1151:
	s_branch .LBB199_1169
.LBB199_1152:
	s_cmp_lt_i32 s14, 27
	s_cbranch_scc1 .LBB199_1155
; %bb.1153:
	s_cmp_gt_i32 s14, 27
	s_cbranch_scc0 .LBB199_1156
; %bb.1154:
	global_load_dword v7, v[14:15], off
	s_waitcnt vmcnt(1)
	v_mov_b32_e32 v8, 0
	s_mov_b64 s[2:3], 0
	s_branch .LBB199_1157
.LBB199_1155:
	s_mov_b64 s[2:3], -1
                                        ; implicit-def: $vgpr7_vgpr8
	s_branch .LBB199_1160
.LBB199_1156:
	s_mov_b64 s[2:3], -1
                                        ; implicit-def: $vgpr7_vgpr8
.LBB199_1157:
	s_andn2_b64 vcc, exec, s[2:3]
	s_cbranch_vccnz .LBB199_1159
; %bb.1158:
	global_load_ushort v1, v[14:15], off
	s_mov_b32 s2, 0
	s_waitcnt vmcnt(1)
	v_mov_b32_e32 v8, s2
	s_waitcnt vmcnt(0)
	v_and_b32_e32 v7, 0xffff, v1
.LBB199_1159:
	s_mov_b64 s[2:3], 0
.LBB199_1160:
	s_andn2_b64 vcc, exec, s[2:3]
	s_cbranch_vccnz .LBB199_1168
; %bb.1161:
	global_load_ubyte v1, v[14:15], off
	s_movk_i32 s2, 0x7f
	s_mov_b64 s[6:7], 0
	s_waitcnt vmcnt(0)
	v_cmp_lt_i16_e32 vcc, s2, v1
	s_and_saveexec_b64 s[2:3], vcc
	s_xor_b64 s[2:3], exec, s[2:3]
; %bb.1162:
	s_movk_i32 s6, 0x80
	v_cmp_ne_u16_e32 vcc, s6, v1
	s_and_b64 s[6:7], vcc, exec
; %bb.1163:
	s_andn2_saveexec_b64 s[2:3], s[2:3]
; %bb.1164:
	v_cmp_ne_u16_e32 vcc, 0, v1
	s_andn2_b64 s[6:7], s[6:7], exec
	s_and_b64 s[16:17], vcc, exec
	s_or_b64 s[6:7], s[6:7], s[16:17]
; %bb.1165:
	s_or_b64 exec, exec, s[2:3]
	v_mov_b32_e32 v7, 0
	v_mov_b32_e32 v8, 0
	s_and_saveexec_b64 s[2:3], s[6:7]
	s_cbranch_execz .LBB199_1167
; %bb.1166:
	v_lshlrev_b32_e32 v3, 24, v1
	v_and_b32_e32 v1, 0xffff, v1
	v_and_b32_e32 v5, 7, v1
	v_ffbh_u32_e32 v8, v5
	v_min_u32_e32 v8, 32, v8
	v_subrev_u32_e32 v10, 28, v8
	v_bfe_u32 v7, v1, 3, 4
	v_lshlrev_b32_e32 v1, v10, v1
	v_sub_u32_e32 v8, 29, v8
	v_and_b32_e32 v1, 7, v1
	v_cmp_eq_u32_e32 vcc, 0, v7
	v_cndmask_b32_e32 v7, v7, v8, vcc
	v_cndmask_b32_e32 v1, v5, v1, vcc
	v_mov_b32_e32 v5, 0x3b800000
	v_lshlrev_b32_e32 v1, 20, v1
	v_and_b32_e32 v3, 0x80000000, v3
	v_lshl_add_u32 v5, v7, 23, v5
	v_or3_b32 v1, v3, v5, v1
	v_trunc_f32_e32 v1, v1
	s_mov_b32 s6, 0x2f800000
	v_mul_f32_e64 v3, |v1|, s6
	v_floor_f32_e32 v3, v3
	s_mov_b32 s6, 0xcf800000
	v_fma_f32 v5, v3, s6, |v1|
	v_cvt_u32_f32_e32 v5, v5
	v_cvt_u32_f32_e32 v3, v3
	v_ashrrev_i32_e32 v1, 31, v1
	v_xor_b32_e32 v5, v5, v1
	v_xor_b32_e32 v3, v3, v1
	v_sub_co_u32_e32 v7, vcc, v5, v1
	v_subb_co_u32_e32 v8, vcc, v3, v1, vcc
.LBB199_1167:
	s_or_b64 exec, exec, s[2:3]
.LBB199_1168:
	s_mov_b64 s[6:7], -1
.LBB199_1169:
	s_branch .LBB199_1197
.LBB199_1170:
	s_cmp_gt_i32 s14, 22
	s_cbranch_scc0 .LBB199_1180
; %bb.1171:
	s_cmp_lt_i32 s14, 24
	s_cbranch_scc1 .LBB199_1181
; %bb.1172:
	s_cmp_gt_i32 s14, 24
	s_cbranch_scc0 .LBB199_1182
; %bb.1173:
	global_load_ubyte v1, v[14:15], off
	s_movk_i32 s2, 0x7f
	s_waitcnt vmcnt(0)
	v_cmp_lt_i16_e32 vcc, s2, v1
	s_and_saveexec_b64 s[2:3], vcc
	s_xor_b64 s[2:3], exec, s[2:3]
; %bb.1174:
	s_movk_i32 s4, 0x80
	v_cmp_ne_u16_e32 vcc, s4, v1
	s_and_b64 s[4:5], vcc, exec
; %bb.1175:
	s_andn2_saveexec_b64 s[2:3], s[2:3]
; %bb.1176:
	v_cmp_ne_u16_e32 vcc, 0, v1
	s_andn2_b64 s[4:5], s[4:5], exec
	s_and_b64 s[6:7], vcc, exec
	s_or_b64 s[4:5], s[4:5], s[6:7]
; %bb.1177:
	s_or_b64 exec, exec, s[2:3]
	v_mov_b32_e32 v7, 0
	v_mov_b32_e32 v8, 0
	s_and_saveexec_b64 s[2:3], s[4:5]
	s_cbranch_execz .LBB199_1179
; %bb.1178:
	v_lshlrev_b32_e32 v3, 24, v1
	v_and_b32_e32 v1, 0xffff, v1
	v_and_b32_e32 v5, 3, v1
	v_ffbh_u32_e32 v8, v5
	v_min_u32_e32 v8, 32, v8
	v_subrev_u32_e32 v10, 29, v8
	v_bfe_u32 v7, v1, 2, 5
	v_lshlrev_b32_e32 v1, v10, v1
	v_sub_u32_e32 v8, 30, v8
	v_and_b32_e32 v1, 3, v1
	v_cmp_eq_u32_e32 vcc, 0, v7
	v_cndmask_b32_e32 v7, v7, v8, vcc
	v_cndmask_b32_e32 v1, v5, v1, vcc
	v_mov_b32_e32 v5, 0x37800000
	v_lshlrev_b32_e32 v1, 21, v1
	v_and_b32_e32 v3, 0x80000000, v3
	v_lshl_add_u32 v5, v7, 23, v5
	v_or3_b32 v1, v3, v5, v1
	v_trunc_f32_e32 v1, v1
	s_mov_b32 s4, 0x2f800000
	v_mul_f32_e64 v3, |v1|, s4
	v_floor_f32_e32 v3, v3
	s_mov_b32 s4, 0xcf800000
	v_fma_f32 v5, v3, s4, |v1|
	v_cvt_u32_f32_e32 v5, v5
	v_cvt_u32_f32_e32 v3, v3
	v_ashrrev_i32_e32 v1, 31, v1
	v_xor_b32_e32 v5, v5, v1
	v_xor_b32_e32 v3, v3, v1
	v_sub_co_u32_e32 v7, vcc, v5, v1
	v_subb_co_u32_e32 v8, vcc, v3, v1, vcc
.LBB199_1179:
	s_or_b64 exec, exec, s[2:3]
	s_mov_b64 s[2:3], 0
	s_branch .LBB199_1183
.LBB199_1180:
                                        ; implicit-def: $vgpr7_vgpr8
	s_mov_b64 s[4:5], 0
	s_branch .LBB199_1189
.LBB199_1181:
	s_mov_b64 s[2:3], -1
                                        ; implicit-def: $vgpr7_vgpr8
	s_branch .LBB199_1186
.LBB199_1182:
	s_mov_b64 s[2:3], -1
                                        ; implicit-def: $vgpr7_vgpr8
.LBB199_1183:
	s_and_b64 vcc, exec, s[2:3]
	s_cbranch_vccz .LBB199_1185
; %bb.1184:
	global_load_ubyte v1, v[14:15], off
	s_mov_b32 s2, 0x7f800000
	s_brev_b32 s3, 1
	s_mov_b32 s4, 0x2f800000
	s_mov_b32 s5, 0xcf800000
	s_waitcnt vmcnt(0)
	v_lshlrev_b32_e32 v1, 24, v1
	v_and_b32_e32 v3, 0x7f000000, v1
	v_ffbh_u32_e32 v5, v3
	v_min_u32_e32 v5, 32, v5
	v_sub_u32_e64 v5, v5, 4 clamp
	v_lshlrev_b32_e32 v8, v5, v3
	v_lshlrev_b32_e32 v5, 23, v5
	v_lshrrev_b32_e32 v8, 4, v8
	v_add_u32_e32 v7, 0x1000000, v3
	v_sub_u32_e32 v5, v8, v5
	v_ashrrev_i32_e32 v7, 8, v7
	v_add_u32_e32 v5, 0x3c000000, v5
	v_and_or_b32 v5, v7, s2, v5
	v_cmp_ne_u32_e32 vcc, 0, v3
	v_cndmask_b32_e32 v3, 0, v5, vcc
	v_and_or_b32 v1, v1, s3, v3
	v_trunc_f32_e32 v1, v1
	v_mul_f32_e64 v3, |v1|, s4
	v_floor_f32_e32 v3, v3
	v_fma_f32 v5, v3, s5, |v1|
	v_cvt_u32_f32_e32 v5, v5
	v_cvt_u32_f32_e32 v3, v3
	v_ashrrev_i32_e32 v1, 31, v1
	v_xor_b32_e32 v5, v5, v1
	v_xor_b32_e32 v3, v3, v1
	v_sub_co_u32_e32 v7, vcc, v5, v1
	v_subb_co_u32_e32 v8, vcc, v3, v1, vcc
.LBB199_1185:
	s_mov_b64 s[2:3], 0
.LBB199_1186:
	s_andn2_b64 vcc, exec, s[2:3]
	s_cbranch_vccnz .LBB199_1188
; %bb.1187:
	global_load_ubyte v1, v[14:15], off
	s_movk_i32 s2, 0x7f00
	s_brev_b32 s3, 16
	s_brev_b32 s4, 1
	s_mov_b32 s5, 0x2f800000
	s_mov_b32 s6, 0xcf800000
	s_waitcnt vmcnt(0)
	v_lshlrev_b16_e32 v3, 8, v1
	v_lshlrev_b32_e32 v1, 25, v1
	v_lshrrev_b32_e32 v5, 4, v1
	v_and_or_b32 v7, v3, s2, 0.5
	v_or_b32_e32 v5, 0x70000000, v5
	v_add_f32_e32 v7, -0.5, v7
	v_mul_f32_e32 v5, 0x7800000, v5
	v_cmp_gt_u32_e32 vcc, s3, v1
	v_bfe_i32 v3, v3, 0, 16
	v_cndmask_b32_e32 v1, v5, v7, vcc
	v_and_or_b32 v1, v3, s4, v1
	v_trunc_f32_e32 v1, v1
	v_mul_f32_e64 v3, |v1|, s5
	v_floor_f32_e32 v3, v3
	v_fma_f32 v5, v3, s6, |v1|
	v_cvt_u32_f32_e32 v5, v5
	v_cvt_u32_f32_e32 v3, v3
	v_ashrrev_i32_e32 v1, 31, v1
	v_xor_b32_e32 v5, v5, v1
	v_xor_b32_e32 v3, v3, v1
	v_sub_co_u32_e32 v7, vcc, v5, v1
	v_subb_co_u32_e32 v8, vcc, v3, v1, vcc
.LBB199_1188:
	s_mov_b64 s[6:7], -1
	s_mov_b64 s[4:5], 0
	s_cbranch_execnz .LBB199_1197
.LBB199_1189:
	s_cmp_gt_i32 s14, 14
	s_cbranch_scc0 .LBB199_1192
; %bb.1190:
	s_cmp_eq_u32 s14, 15
	s_cbranch_scc0 .LBB199_1193
; %bb.1191:
	global_load_ushort v1, v[14:15], off
	s_mov_b32 s0, 0x2f800000
	s_mov_b32 s1, 0xcf800000
	s_mov_b64 s[6:7], -1
	s_waitcnt vmcnt(0)
	v_lshlrev_b32_e32 v1, 16, v1
	v_trunc_f32_e32 v1, v1
	v_mul_f32_e64 v3, |v1|, s0
	v_floor_f32_e32 v3, v3
	v_fma_f32 v5, v3, s1, |v1|
	v_cvt_u32_f32_e32 v5, v5
	v_cvt_u32_f32_e32 v3, v3
	v_ashrrev_i32_e32 v1, 31, v1
	s_mov_b64 s[0:1], 0
	v_xor_b32_e32 v5, v5, v1
	v_xor_b32_e32 v3, v3, v1
	v_sub_co_u32_e32 v7, vcc, v5, v1
	v_subb_co_u32_e32 v8, vcc, v3, v1, vcc
	s_branch .LBB199_1194
.LBB199_1192:
	s_mov_b64 s[2:3], -1
                                        ; implicit-def: $vgpr7_vgpr8
	s_branch .LBB199_1195
.LBB199_1193:
	s_mov_b64 s[0:1], -1
                                        ; implicit-def: $vgpr7_vgpr8
.LBB199_1194:
	s_mov_b64 s[2:3], 0
.LBB199_1195:
	s_and_b64 vcc, exec, s[2:3]
	s_cbranch_vccz .LBB199_1197
; %bb.1196:
	s_cmp_lg_u32 s14, 11
	s_mov_b64 s[4:5], -1
	s_cselect_b64 s[0:1], -1, 0
.LBB199_1197:
	s_and_b64 vcc, exec, s[0:1]
	s_mov_b64 s[2:3], s[28:29]
	s_cbranch_vccnz .LBB199_1258
; %bb.1198:
	s_andn2_b64 vcc, exec, s[4:5]
	s_cbranch_vccnz .LBB199_1200
.LBB199_1199:
	global_load_ubyte v1, v[14:15], off
	s_mov_b32 s0, 0
	s_waitcnt vmcnt(1)
	v_mov_b32_e32 v8, s0
	s_mov_b64 s[6:7], -1
	s_waitcnt vmcnt(0)
	v_cmp_ne_u16_e32 vcc, 0, v1
	v_cndmask_b32_e64 v7, 0, 1, vcc
.LBB199_1200:
	s_branch .LBB199_1135
.LBB199_1201:
	s_and_b32 s4, 0xffff, s13
	s_cmp_lt_i32 s4, 5
	s_cbranch_scc1 .LBB199_1206
; %bb.1202:
	s_cmp_lt_i32 s4, 8
	s_cbranch_scc1 .LBB199_1207
; %bb.1203:
	;; [unrolled: 3-line block ×3, first 2 shown]
	s_cmp_gt_i32 s4, 9
	s_cbranch_scc0 .LBB199_1209
; %bb.1205:
	global_load_dwordx2 v[7:8], v[14:15], off
	s_movk_i32 s0, 0xffe0
	s_waitcnt vmcnt(0)
	v_trunc_f64_e32 v[7:8], v[7:8]
	v_ldexp_f64 v[16:17], v[7:8], s0
	s_mov_b32 s0, 0
	s_mov_b32 s1, 0xc1f00000
	v_floor_f64_e32 v[16:17], v[16:17]
	v_fma_f64 v[18:19], v[16:17], s[0:1], v[7:8]
	v_cvt_i32_f64_e32 v8, v[16:17]
	s_mov_b64 s[0:1], 0
	v_cvt_u32_f64_e32 v7, v[18:19]
	s_branch .LBB199_1210
.LBB199_1206:
                                        ; implicit-def: $vgpr7_vgpr8
	s_branch .LBB199_1227
.LBB199_1207:
                                        ; implicit-def: $vgpr7_vgpr8
	s_branch .LBB199_1216
.LBB199_1208:
	s_mov_b64 s[0:1], -1
                                        ; implicit-def: $vgpr7_vgpr8
	s_branch .LBB199_1213
.LBB199_1209:
	s_mov_b64 s[0:1], -1
                                        ; implicit-def: $vgpr7_vgpr8
.LBB199_1210:
	s_andn2_b64 vcc, exec, s[0:1]
	s_cbranch_vccnz .LBB199_1212
; %bb.1211:
	global_load_dword v1, v[14:15], off
	s_mov_b32 s0, 0x2f800000
	s_mov_b32 s1, 0xcf800000
	s_waitcnt vmcnt(0)
	v_trunc_f32_e32 v1, v1
	v_mul_f32_e64 v3, |v1|, s0
	v_floor_f32_e32 v3, v3
	v_cvt_u32_f32_e32 v5, v3
	v_fma_f32 v3, v3, s1, |v1|
	v_cvt_u32_f32_e32 v3, v3
	v_ashrrev_i32_e32 v1, 31, v1
	v_xor_b32_e32 v5, v5, v1
	v_xor_b32_e32 v3, v3, v1
	v_sub_co_u32_e32 v7, vcc, v3, v1
	v_subb_co_u32_e32 v8, vcc, v5, v1, vcc
.LBB199_1212:
	s_mov_b64 s[0:1], 0
.LBB199_1213:
	s_andn2_b64 vcc, exec, s[0:1]
	s_cbranch_vccnz .LBB199_1215
; %bb.1214:
	global_load_dword v1, v[14:15], off
	s_waitcnt vmcnt(0)
	v_cvt_f32_f16_e32 v1, v1
	v_cvt_i32_f32_e32 v7, v1
	v_ashrrev_i32_e32 v8, 31, v7
.LBB199_1215:
	s_cbranch_execnz .LBB199_1226
.LBB199_1216:
	s_cmp_lt_i32 s4, 6
	s_cbranch_scc1 .LBB199_1219
; %bb.1217:
	s_cmp_gt_i32 s4, 6
	s_cbranch_scc0 .LBB199_1220
; %bb.1218:
	global_load_dwordx2 v[7:8], v[14:15], off
	s_movk_i32 s0, 0xffe0
	s_waitcnt vmcnt(0)
	v_trunc_f64_e32 v[7:8], v[7:8]
	v_ldexp_f64 v[16:17], v[7:8], s0
	s_mov_b32 s0, 0
	s_mov_b32 s1, 0xc1f00000
	v_floor_f64_e32 v[16:17], v[16:17]
	v_fma_f64 v[18:19], v[16:17], s[0:1], v[7:8]
	v_cvt_i32_f64_e32 v8, v[16:17]
	s_mov_b64 s[0:1], 0
	v_cvt_u32_f64_e32 v7, v[18:19]
	s_branch .LBB199_1221
.LBB199_1219:
	s_mov_b64 s[0:1], -1
                                        ; implicit-def: $vgpr7_vgpr8
	s_branch .LBB199_1224
.LBB199_1220:
	s_mov_b64 s[0:1], -1
                                        ; implicit-def: $vgpr7_vgpr8
.LBB199_1221:
	s_andn2_b64 vcc, exec, s[0:1]
	s_cbranch_vccnz .LBB199_1223
; %bb.1222:
	global_load_dword v1, v[14:15], off
	s_mov_b32 s0, 0x2f800000
	s_mov_b32 s1, 0xcf800000
	s_waitcnt vmcnt(0)
	v_trunc_f32_e32 v1, v1
	v_mul_f32_e64 v3, |v1|, s0
	v_floor_f32_e32 v3, v3
	v_cvt_u32_f32_e32 v5, v3
	v_fma_f32 v3, v3, s1, |v1|
	v_cvt_u32_f32_e32 v3, v3
	v_ashrrev_i32_e32 v1, 31, v1
	v_xor_b32_e32 v5, v5, v1
	v_xor_b32_e32 v3, v3, v1
	v_sub_co_u32_e32 v7, vcc, v3, v1
	v_subb_co_u32_e32 v8, vcc, v5, v1, vcc
.LBB199_1223:
	s_mov_b64 s[0:1], 0
.LBB199_1224:
	s_andn2_b64 vcc, exec, s[0:1]
	s_cbranch_vccnz .LBB199_1226
; %bb.1225:
	global_load_ushort v1, v[14:15], off
	s_waitcnt vmcnt(0)
	v_cvt_f32_f16_e32 v1, v1
	v_cvt_i32_f32_e32 v7, v1
	v_ashrrev_i32_e32 v8, 31, v7
.LBB199_1226:
	s_cbranch_execnz .LBB199_1245
.LBB199_1227:
	s_cmp_lt_i32 s4, 2
	s_cbranch_scc1 .LBB199_1231
; %bb.1228:
	s_cmp_lt_i32 s4, 3
	s_cbranch_scc1 .LBB199_1232
; %bb.1229:
	s_cmp_gt_i32 s4, 3
	s_cbranch_scc0 .LBB199_1233
; %bb.1230:
	global_load_dwordx2 v[7:8], v[14:15], off
	s_mov_b64 s[0:1], 0
	s_branch .LBB199_1234
.LBB199_1231:
                                        ; implicit-def: $vgpr7_vgpr8
	s_branch .LBB199_1240
.LBB199_1232:
	s_mov_b64 s[0:1], -1
                                        ; implicit-def: $vgpr7_vgpr8
	s_branch .LBB199_1237
.LBB199_1233:
	s_mov_b64 s[0:1], -1
                                        ; implicit-def: $vgpr7_vgpr8
.LBB199_1234:
	s_andn2_b64 vcc, exec, s[0:1]
	s_cbranch_vccnz .LBB199_1236
; %bb.1235:
	global_load_dword v7, v[14:15], off
	s_waitcnt vmcnt(0)
	v_ashrrev_i32_e32 v8, 31, v7
.LBB199_1236:
	s_mov_b64 s[0:1], 0
.LBB199_1237:
	s_andn2_b64 vcc, exec, s[0:1]
	s_cbranch_vccnz .LBB199_1239
; %bb.1238:
	global_load_ushort v1, v[14:15], off
	s_waitcnt vmcnt(0)
	v_bfe_i32 v7, v1, 0, 16
	v_ashrrev_i32_e32 v8, 31, v7
.LBB199_1239:
	s_cbranch_execnz .LBB199_1245
.LBB199_1240:
	s_cmp_gt_i32 s4, 0
	s_cbranch_scc0 .LBB199_1242
; %bb.1241:
	global_load_sbyte v1, v[14:15], off
	s_mov_b64 s[0:1], 0
	s_waitcnt vmcnt(0)
	v_bfe_i32 v7, v1, 0, 16
	v_ashrrev_i32_e32 v8, 31, v7
	s_branch .LBB199_1243
.LBB199_1242:
	s_mov_b64 s[0:1], -1
                                        ; implicit-def: $vgpr7_vgpr8
.LBB199_1243:
	s_andn2_b64 vcc, exec, s[0:1]
	s_cbranch_vccnz .LBB199_1245
; %bb.1244:
	global_load_ubyte v1, v[14:15], off
	s_mov_b32 s0, 0
	s_waitcnt vmcnt(1)
	v_mov_b32_e32 v8, s0
	s_waitcnt vmcnt(0)
	v_and_b32_e32 v7, 0xffff, v1
.LBB199_1245:
.LBB199_1246:
	s_lshr_b32 s0, s12, 8
	v_mov_b32_e32 v1, s11
	s_and_b32 s14, s0, 0xff
	v_add_co_u32_e32 v14, vcc, s10, v9
	s_cmp_lt_i32 s14, 11
	v_addc_co_u32_e32 v15, vcc, 0, v1, vcc
	s_cbranch_scc1 .LBB199_1253
; %bb.1247:
	s_and_b32 s15, 0xffff, s14
	s_cmp_gt_i32 s15, 25
	s_mov_b64 s[4:5], 0
	s_cbranch_scc0 .LBB199_1255
; %bb.1248:
	s_cmp_gt_i32 s15, 28
	s_cbranch_scc0 .LBB199_1256
; %bb.1249:
	s_cmp_gt_i32 s15, 43
	;; [unrolled: 3-line block ×3, first 2 shown]
	s_cbranch_scc0 .LBB199_1259
; %bb.1251:
	s_cmp_eq_u32 s15, 46
	s_mov_b64 s[12:13], 0
	s_cbranch_scc0 .LBB199_1262
; %bb.1252:
	global_load_dword v1, v[14:15], off
	s_mov_b32 s0, 0x2f800000
	s_mov_b32 s1, 0xcf800000
	s_mov_b64 s[6:7], -1
	s_waitcnt vmcnt(0)
	v_lshlrev_b32_e32 v1, 16, v1
	v_trunc_f32_e32 v1, v1
	v_mul_f32_e64 v3, |v1|, s0
	v_floor_f32_e32 v3, v3
	v_fma_f32 v5, v3, s1, |v1|
	v_cvt_u32_f32_e32 v5, v5
	v_cvt_u32_f32_e32 v3, v3
	v_ashrrev_i32_e32 v1, 31, v1
	s_mov_b64 s[0:1], 0
	v_xor_b32_e32 v5, v5, v1
	v_xor_b32_e32 v3, v3, v1
	v_sub_co_u32_e32 v9, vcc, v5, v1
	v_subb_co_u32_e32 v10, vcc, v3, v1, vcc
	s_branch .LBB199_1263
.LBB199_1253:
	s_mov_b64 s[6:7], 0
                                        ; implicit-def: $vgpr9_vgpr10
	s_cbranch_execnz .LBB199_1324
.LBB199_1254:
	s_andn2_b64 vcc, exec, s[6:7]
	s_cbranch_vccnz .LBB199_2055
	s_branch .LBB199_1371
.LBB199_1255:
	s_mov_b64 s[6:7], 0
	s_mov_b64 s[0:1], 0
                                        ; implicit-def: $vgpr9_vgpr10
	s_cbranch_execnz .LBB199_1292
	s_branch .LBB199_1320
.LBB199_1256:
	s_mov_b64 s[12:13], -1
	s_mov_b64 s[6:7], 0
	s_mov_b64 s[0:1], 0
                                        ; implicit-def: $vgpr9_vgpr10
	s_branch .LBB199_1273
.LBB199_1257:
	s_mov_b64 s[12:13], -1
	s_mov_b64 s[6:7], 0
	s_mov_b64 s[0:1], 0
                                        ; implicit-def: $vgpr9_vgpr10
	s_branch .LBB199_1268
.LBB199_1258:
	s_or_b64 s[2:3], s[28:29], exec
	s_trap 2
	s_cbranch_execz .LBB199_1199
	s_branch .LBB199_1200
.LBB199_1259:
	s_mov_b64 s[12:13], -1
	s_mov_b64 s[6:7], 0
	s_mov_b64 s[0:1], 0
                                        ; implicit-def: $vgpr9_vgpr10
	s_branch .LBB199_1263
.LBB199_1260:
	s_andn2_saveexec_b64 s[16:17], s[16:17]
	s_cbranch_execz .LBB199_995
.LBB199_1261:
	s_mov_b32 s20, 0x42800000
	v_add_f32_e64 v5, |v0|, s20
	v_and_b32_e32 v5, 0xff, v5
	v_cmp_ne_u32_e32 vcc, 0, v5
	s_andn2_b64 s[14:15], s[14:15], exec
	s_and_b64 s[20:21], vcc, exec
	s_or_b64 s[14:15], s[14:15], s[20:21]
	s_or_b64 exec, exec, s[16:17]
	v_mov_b32_e32 v6, 0
	s_and_saveexec_b64 s[16:17], s[14:15]
	s_cbranch_execnz .LBB199_996
	s_branch .LBB199_997
.LBB199_1262:
	s_mov_b64 s[0:1], -1
                                        ; implicit-def: $vgpr9_vgpr10
	s_mov_b64 s[6:7], 0
.LBB199_1263:
	s_and_b64 vcc, exec, s[12:13]
	s_cbranch_vccz .LBB199_1267
; %bb.1264:
	s_cmp_eq_u32 s15, 44
	s_cbranch_scc0 .LBB199_1266
; %bb.1265:
	global_load_ubyte v1, v[14:15], off
	s_mov_b32 s0, 0x2f800000
	s_mov_b32 s1, 0xcf800000
	s_mov_b64 s[6:7], -1
	s_waitcnt vmcnt(0)
	v_lshlrev_b32_e32 v3, 23, v1
	v_trunc_f32_e32 v3, v3
	v_mul_f32_e64 v5, |v3|, s0
	v_floor_f32_e32 v5, v5
	v_fma_f32 v9, v5, s1, |v3|
	v_cvt_u32_f32_e32 v9, v9
	v_cvt_u32_f32_e32 v5, v5
	v_ashrrev_i32_e32 v3, 31, v3
	s_mov_b64 s[0:1], 0
	v_xor_b32_e32 v9, v9, v3
	v_xor_b32_e32 v5, v5, v3
	v_sub_co_u32_e32 v9, vcc, v9, v3
	v_subb_co_u32_e32 v3, vcc, v5, v3, vcc
	v_cmp_ne_u32_e32 vcc, 0, v1
	v_cndmask_b32_e32 v10, 0, v3, vcc
	v_cndmask_b32_e32 v9, 0, v9, vcc
	s_branch .LBB199_1267
.LBB199_1266:
	s_mov_b64 s[0:1], -1
                                        ; implicit-def: $vgpr9_vgpr10
.LBB199_1267:
	s_mov_b64 s[12:13], 0
.LBB199_1268:
	s_and_b64 vcc, exec, s[12:13]
	s_cbranch_vccz .LBB199_1272
; %bb.1269:
	s_cmp_eq_u32 s15, 29
	s_cbranch_scc0 .LBB199_1271
; %bb.1270:
	global_load_dwordx2 v[9:10], v[14:15], off
	s_mov_b64 s[0:1], 0
	s_mov_b64 s[6:7], -1
	s_branch .LBB199_1272
.LBB199_1271:
	s_mov_b64 s[0:1], -1
                                        ; implicit-def: $vgpr9_vgpr10
.LBB199_1272:
	s_mov_b64 s[12:13], 0
.LBB199_1273:
	s_and_b64 vcc, exec, s[12:13]
	s_cbranch_vccz .LBB199_1291
; %bb.1274:
	s_cmp_lt_i32 s15, 27
	s_cbranch_scc1 .LBB199_1277
; %bb.1275:
	s_cmp_gt_i32 s15, 27
	s_cbranch_scc0 .LBB199_1278
; %bb.1276:
	global_load_dword v9, v[14:15], off
	s_waitcnt vmcnt(1)
	v_mov_b32_e32 v10, 0
	s_mov_b64 s[6:7], 0
	s_branch .LBB199_1279
.LBB199_1277:
	s_mov_b64 s[6:7], -1
                                        ; implicit-def: $vgpr9_vgpr10
	s_branch .LBB199_1282
.LBB199_1278:
	s_mov_b64 s[6:7], -1
                                        ; implicit-def: $vgpr9_vgpr10
.LBB199_1279:
	s_andn2_b64 vcc, exec, s[6:7]
	s_cbranch_vccnz .LBB199_1281
; %bb.1280:
	global_load_ushort v1, v[14:15], off
	s_mov_b32 s6, 0
	s_waitcnt vmcnt(1)
	v_mov_b32_e32 v10, s6
	s_waitcnt vmcnt(0)
	v_and_b32_e32 v9, 0xffff, v1
.LBB199_1281:
	s_mov_b64 s[6:7], 0
.LBB199_1282:
	s_andn2_b64 vcc, exec, s[6:7]
	s_cbranch_vccnz .LBB199_1290
; %bb.1283:
	global_load_ubyte v1, v[14:15], off
	s_movk_i32 s6, 0x7f
	s_mov_b64 s[12:13], 0
	s_waitcnt vmcnt(0)
	v_cmp_lt_i16_e32 vcc, s6, v1
	s_and_saveexec_b64 s[6:7], vcc
	s_xor_b64 s[6:7], exec, s[6:7]
; %bb.1284:
	s_movk_i32 s12, 0x80
	v_cmp_ne_u16_e32 vcc, s12, v1
	s_and_b64 s[12:13], vcc, exec
; %bb.1285:
	s_andn2_saveexec_b64 s[6:7], s[6:7]
; %bb.1286:
	v_cmp_ne_u16_e32 vcc, 0, v1
	s_andn2_b64 s[12:13], s[12:13], exec
	s_and_b64 s[16:17], vcc, exec
	s_or_b64 s[12:13], s[12:13], s[16:17]
; %bb.1287:
	s_or_b64 exec, exec, s[6:7]
	v_mov_b32_e32 v9, 0
	v_mov_b32_e32 v10, 0
	s_and_saveexec_b64 s[6:7], s[12:13]
	s_cbranch_execz .LBB199_1289
; %bb.1288:
	v_lshlrev_b32_e32 v3, 24, v1
	v_and_b32_e32 v1, 0xffff, v1
	v_and_b32_e32 v5, 7, v1
	v_ffbh_u32_e32 v10, v5
	v_min_u32_e32 v10, 32, v10
	v_subrev_u32_e32 v12, 28, v10
	v_bfe_u32 v9, v1, 3, 4
	v_lshlrev_b32_e32 v1, v12, v1
	v_sub_u32_e32 v10, 29, v10
	v_and_b32_e32 v1, 7, v1
	v_cmp_eq_u32_e32 vcc, 0, v9
	v_cndmask_b32_e32 v9, v9, v10, vcc
	v_cndmask_b32_e32 v1, v5, v1, vcc
	v_mov_b32_e32 v5, 0x3b800000
	v_lshlrev_b32_e32 v1, 20, v1
	v_and_b32_e32 v3, 0x80000000, v3
	v_lshl_add_u32 v5, v9, 23, v5
	v_or3_b32 v1, v3, v5, v1
	v_trunc_f32_e32 v1, v1
	s_mov_b32 s12, 0x2f800000
	v_mul_f32_e64 v3, |v1|, s12
	v_floor_f32_e32 v3, v3
	s_mov_b32 s12, 0xcf800000
	v_fma_f32 v5, v3, s12, |v1|
	v_cvt_u32_f32_e32 v5, v5
	v_cvt_u32_f32_e32 v3, v3
	v_ashrrev_i32_e32 v1, 31, v1
	v_xor_b32_e32 v5, v5, v1
	v_xor_b32_e32 v3, v3, v1
	v_sub_co_u32_e32 v9, vcc, v5, v1
	v_subb_co_u32_e32 v10, vcc, v3, v1, vcc
.LBB199_1289:
	s_or_b64 exec, exec, s[6:7]
.LBB199_1290:
	s_mov_b64 s[6:7], -1
.LBB199_1291:
	s_branch .LBB199_1320
.LBB199_1292:
	s_cmp_gt_i32 s15, 22
	s_cbranch_scc0 .LBB199_1302
; %bb.1293:
	s_cmp_lt_i32 s15, 24
	s_cbranch_scc1 .LBB199_1303
; %bb.1294:
	s_cmp_gt_i32 s15, 24
	s_cbranch_scc0 .LBB199_1304
; %bb.1295:
	global_load_ubyte v1, v[14:15], off
	s_movk_i32 s4, 0x7f
	s_mov_b64 s[6:7], 0
	s_waitcnt vmcnt(0)
	v_cmp_lt_i16_e32 vcc, s4, v1
	s_and_saveexec_b64 s[4:5], vcc
	s_xor_b64 s[4:5], exec, s[4:5]
; %bb.1296:
	s_movk_i32 s6, 0x80
	v_cmp_ne_u16_e32 vcc, s6, v1
	s_and_b64 s[6:7], vcc, exec
; %bb.1297:
	s_andn2_saveexec_b64 s[4:5], s[4:5]
; %bb.1298:
	v_cmp_ne_u16_e32 vcc, 0, v1
	s_andn2_b64 s[6:7], s[6:7], exec
	s_and_b64 s[12:13], vcc, exec
	s_or_b64 s[6:7], s[6:7], s[12:13]
; %bb.1299:
	s_or_b64 exec, exec, s[4:5]
	v_mov_b32_e32 v9, 0
	v_mov_b32_e32 v10, 0
	s_and_saveexec_b64 s[4:5], s[6:7]
	s_cbranch_execz .LBB199_1301
; %bb.1300:
	v_lshlrev_b32_e32 v3, 24, v1
	v_and_b32_e32 v1, 0xffff, v1
	v_and_b32_e32 v5, 3, v1
	v_ffbh_u32_e32 v10, v5
	v_min_u32_e32 v10, 32, v10
	v_subrev_u32_e32 v12, 29, v10
	v_bfe_u32 v9, v1, 2, 5
	v_lshlrev_b32_e32 v1, v12, v1
	v_sub_u32_e32 v10, 30, v10
	v_and_b32_e32 v1, 3, v1
	v_cmp_eq_u32_e32 vcc, 0, v9
	v_cndmask_b32_e32 v9, v9, v10, vcc
	v_cndmask_b32_e32 v1, v5, v1, vcc
	v_mov_b32_e32 v5, 0x37800000
	v_lshlrev_b32_e32 v1, 21, v1
	v_and_b32_e32 v3, 0x80000000, v3
	v_lshl_add_u32 v5, v9, 23, v5
	v_or3_b32 v1, v3, v5, v1
	v_trunc_f32_e32 v1, v1
	s_mov_b32 s6, 0x2f800000
	v_mul_f32_e64 v3, |v1|, s6
	v_floor_f32_e32 v3, v3
	s_mov_b32 s6, 0xcf800000
	v_fma_f32 v5, v3, s6, |v1|
	v_cvt_u32_f32_e32 v5, v5
	v_cvt_u32_f32_e32 v3, v3
	v_ashrrev_i32_e32 v1, 31, v1
	v_xor_b32_e32 v5, v5, v1
	v_xor_b32_e32 v3, v3, v1
	v_sub_co_u32_e32 v9, vcc, v5, v1
	v_subb_co_u32_e32 v10, vcc, v3, v1, vcc
.LBB199_1301:
	s_or_b64 exec, exec, s[4:5]
	s_mov_b64 s[4:5], 0
	s_branch .LBB199_1305
.LBB199_1302:
	s_mov_b64 s[4:5], -1
                                        ; implicit-def: $vgpr9_vgpr10
	s_branch .LBB199_1311
.LBB199_1303:
	s_mov_b64 s[4:5], -1
                                        ; implicit-def: $vgpr9_vgpr10
	s_branch .LBB199_1308
.LBB199_1304:
	s_mov_b64 s[4:5], -1
                                        ; implicit-def: $vgpr9_vgpr10
.LBB199_1305:
	s_and_b64 vcc, exec, s[4:5]
	s_cbranch_vccz .LBB199_1307
; %bb.1306:
	global_load_ubyte v1, v[14:15], off
	s_mov_b32 s4, 0x7f800000
	s_brev_b32 s5, 1
	s_mov_b32 s6, 0x2f800000
	s_mov_b32 s7, 0xcf800000
	s_waitcnt vmcnt(0)
	v_lshlrev_b32_e32 v1, 24, v1
	v_and_b32_e32 v3, 0x7f000000, v1
	v_ffbh_u32_e32 v5, v3
	v_min_u32_e32 v5, 32, v5
	v_sub_u32_e64 v5, v5, 4 clamp
	v_lshlrev_b32_e32 v10, v5, v3
	v_lshlrev_b32_e32 v5, 23, v5
	v_lshrrev_b32_e32 v10, 4, v10
	v_add_u32_e32 v9, 0x1000000, v3
	v_sub_u32_e32 v5, v10, v5
	v_ashrrev_i32_e32 v9, 8, v9
	v_add_u32_e32 v5, 0x3c000000, v5
	v_and_or_b32 v5, v9, s4, v5
	v_cmp_ne_u32_e32 vcc, 0, v3
	v_cndmask_b32_e32 v3, 0, v5, vcc
	v_and_or_b32 v1, v1, s5, v3
	v_trunc_f32_e32 v1, v1
	v_mul_f32_e64 v3, |v1|, s6
	v_floor_f32_e32 v3, v3
	v_fma_f32 v5, v3, s7, |v1|
	v_cvt_u32_f32_e32 v5, v5
	v_cvt_u32_f32_e32 v3, v3
	v_ashrrev_i32_e32 v1, 31, v1
	v_xor_b32_e32 v5, v5, v1
	v_xor_b32_e32 v3, v3, v1
	v_sub_co_u32_e32 v9, vcc, v5, v1
	v_subb_co_u32_e32 v10, vcc, v3, v1, vcc
.LBB199_1307:
	s_mov_b64 s[4:5], 0
.LBB199_1308:
	s_andn2_b64 vcc, exec, s[4:5]
	s_cbranch_vccnz .LBB199_1310
; %bb.1309:
	global_load_ubyte v1, v[14:15], off
	s_movk_i32 s4, 0x7f00
	s_brev_b32 s5, 16
	s_brev_b32 s6, 1
	s_mov_b32 s7, 0x2f800000
	s_mov_b32 s12, 0xcf800000
	s_waitcnt vmcnt(0)
	v_lshlrev_b16_e32 v3, 8, v1
	v_lshlrev_b32_e32 v1, 25, v1
	v_lshrrev_b32_e32 v5, 4, v1
	v_and_or_b32 v9, v3, s4, 0.5
	v_or_b32_e32 v5, 0x70000000, v5
	v_add_f32_e32 v9, -0.5, v9
	v_mul_f32_e32 v5, 0x7800000, v5
	v_cmp_gt_u32_e32 vcc, s5, v1
	v_bfe_i32 v3, v3, 0, 16
	v_cndmask_b32_e32 v1, v5, v9, vcc
	v_and_or_b32 v1, v3, s6, v1
	v_trunc_f32_e32 v1, v1
	v_mul_f32_e64 v3, |v1|, s7
	v_floor_f32_e32 v3, v3
	v_fma_f32 v5, v3, s12, |v1|
	v_cvt_u32_f32_e32 v5, v5
	v_cvt_u32_f32_e32 v3, v3
	v_ashrrev_i32_e32 v1, 31, v1
	v_xor_b32_e32 v5, v5, v1
	v_xor_b32_e32 v3, v3, v1
	v_sub_co_u32_e32 v9, vcc, v5, v1
	v_subb_co_u32_e32 v10, vcc, v3, v1, vcc
.LBB199_1310:
	s_mov_b64 s[4:5], 0
	s_mov_b64 s[6:7], -1
.LBB199_1311:
	s_andn2_b64 vcc, exec, s[4:5]
	s_mov_b64 s[4:5], 0
	s_cbranch_vccnz .LBB199_1320
; %bb.1312:
	s_cmp_gt_i32 s15, 14
	s_cbranch_scc0 .LBB199_1315
; %bb.1313:
	s_cmp_eq_u32 s15, 15
	s_cbranch_scc0 .LBB199_1316
; %bb.1314:
	global_load_ushort v1, v[14:15], off
	s_mov_b32 s0, 0x2f800000
	s_mov_b32 s1, 0xcf800000
	s_mov_b64 s[6:7], -1
	s_waitcnt vmcnt(0)
	v_lshlrev_b32_e32 v1, 16, v1
	v_trunc_f32_e32 v1, v1
	v_mul_f32_e64 v3, |v1|, s0
	v_floor_f32_e32 v3, v3
	v_fma_f32 v5, v3, s1, |v1|
	v_cvt_u32_f32_e32 v5, v5
	v_cvt_u32_f32_e32 v3, v3
	v_ashrrev_i32_e32 v1, 31, v1
	s_mov_b64 s[0:1], 0
	v_xor_b32_e32 v5, v5, v1
	v_xor_b32_e32 v3, v3, v1
	v_sub_co_u32_e32 v9, vcc, v5, v1
	v_subb_co_u32_e32 v10, vcc, v3, v1, vcc
	s_branch .LBB199_1317
.LBB199_1315:
	s_mov_b64 s[12:13], -1
                                        ; implicit-def: $vgpr9_vgpr10
	s_branch .LBB199_1318
.LBB199_1316:
	s_mov_b64 s[0:1], -1
                                        ; implicit-def: $vgpr9_vgpr10
.LBB199_1317:
	s_mov_b64 s[12:13], 0
.LBB199_1318:
	s_and_b64 vcc, exec, s[12:13]
	s_cbranch_vccz .LBB199_1320
; %bb.1319:
	s_cmp_lg_u32 s15, 11
	s_mov_b64 s[4:5], -1
	s_cselect_b64 s[0:1], -1, 0
.LBB199_1320:
	s_and_b64 vcc, exec, s[0:1]
	s_cbranch_vccnz .LBB199_1383
; %bb.1321:
	s_andn2_b64 vcc, exec, s[4:5]
	s_cbranch_vccnz .LBB199_1323
.LBB199_1322:
	global_load_ubyte v1, v[14:15], off
	s_mov_b32 s0, 0
	s_waitcnt vmcnt(1)
	v_mov_b32_e32 v10, s0
	s_mov_b64 s[6:7], -1
	s_waitcnt vmcnt(0)
	v_cmp_ne_u16_e32 vcc, 0, v1
	v_cndmask_b32_e64 v9, 0, 1, vcc
.LBB199_1323:
	s_branch .LBB199_1254
.LBB199_1324:
	s_and_b32 s4, 0xffff, s14
	s_cmp_lt_i32 s4, 5
	s_cbranch_scc1 .LBB199_1329
; %bb.1325:
	s_cmp_lt_i32 s4, 8
	s_cbranch_scc1 .LBB199_1330
; %bb.1326:
	;; [unrolled: 3-line block ×3, first 2 shown]
	s_cmp_gt_i32 s4, 9
	s_cbranch_scc0 .LBB199_1332
; %bb.1328:
	global_load_dwordx2 v[9:10], v[14:15], off
	s_movk_i32 s0, 0xffe0
	s_waitcnt vmcnt(0)
	v_trunc_f64_e32 v[9:10], v[9:10]
	v_ldexp_f64 v[16:17], v[9:10], s0
	s_mov_b32 s0, 0
	s_mov_b32 s1, 0xc1f00000
	v_floor_f64_e32 v[16:17], v[16:17]
	v_fma_f64 v[18:19], v[16:17], s[0:1], v[9:10]
	v_cvt_i32_f64_e32 v10, v[16:17]
	s_mov_b64 s[0:1], 0
	v_cvt_u32_f64_e32 v9, v[18:19]
	s_branch .LBB199_1333
.LBB199_1329:
                                        ; implicit-def: $vgpr9_vgpr10
	s_branch .LBB199_1351
.LBB199_1330:
	s_mov_b64 s[0:1], -1
                                        ; implicit-def: $vgpr9_vgpr10
	s_branch .LBB199_1339
.LBB199_1331:
	s_mov_b64 s[0:1], -1
                                        ; implicit-def: $vgpr9_vgpr10
	s_branch .LBB199_1336
.LBB199_1332:
	s_mov_b64 s[0:1], -1
                                        ; implicit-def: $vgpr9_vgpr10
.LBB199_1333:
	s_andn2_b64 vcc, exec, s[0:1]
	s_cbranch_vccnz .LBB199_1335
; %bb.1334:
	global_load_dword v1, v[14:15], off
	s_mov_b32 s0, 0x2f800000
	s_mov_b32 s1, 0xcf800000
	s_waitcnt vmcnt(0)
	v_trunc_f32_e32 v1, v1
	v_mul_f32_e64 v3, |v1|, s0
	v_floor_f32_e32 v3, v3
	v_cvt_u32_f32_e32 v5, v3
	v_fma_f32 v3, v3, s1, |v1|
	v_cvt_u32_f32_e32 v3, v3
	v_ashrrev_i32_e32 v1, 31, v1
	v_xor_b32_e32 v5, v5, v1
	v_xor_b32_e32 v3, v3, v1
	v_sub_co_u32_e32 v9, vcc, v3, v1
	v_subb_co_u32_e32 v10, vcc, v5, v1, vcc
.LBB199_1335:
	s_mov_b64 s[0:1], 0
.LBB199_1336:
	s_andn2_b64 vcc, exec, s[0:1]
	s_cbranch_vccnz .LBB199_1338
; %bb.1337:
	global_load_dword v1, v[14:15], off
	s_waitcnt vmcnt(0)
	v_cvt_f32_f16_e32 v1, v1
	v_cvt_i32_f32_e32 v9, v1
	v_ashrrev_i32_e32 v10, 31, v9
.LBB199_1338:
	s_mov_b64 s[0:1], 0
.LBB199_1339:
	s_andn2_b64 vcc, exec, s[0:1]
	s_cbranch_vccnz .LBB199_1350
; %bb.1340:
	s_cmp_lt_i32 s4, 6
	s_cbranch_scc1 .LBB199_1343
; %bb.1341:
	s_cmp_gt_i32 s4, 6
	s_cbranch_scc0 .LBB199_1344
; %bb.1342:
	global_load_dwordx2 v[9:10], v[14:15], off
	s_movk_i32 s0, 0xffe0
	s_waitcnt vmcnt(0)
	v_trunc_f64_e32 v[9:10], v[9:10]
	v_ldexp_f64 v[16:17], v[9:10], s0
	s_mov_b32 s0, 0
	s_mov_b32 s1, 0xc1f00000
	v_floor_f64_e32 v[16:17], v[16:17]
	v_fma_f64 v[18:19], v[16:17], s[0:1], v[9:10]
	v_cvt_i32_f64_e32 v10, v[16:17]
	s_mov_b64 s[0:1], 0
	v_cvt_u32_f64_e32 v9, v[18:19]
	s_branch .LBB199_1345
.LBB199_1343:
	s_mov_b64 s[0:1], -1
                                        ; implicit-def: $vgpr9_vgpr10
	s_branch .LBB199_1348
.LBB199_1344:
	s_mov_b64 s[0:1], -1
                                        ; implicit-def: $vgpr9_vgpr10
.LBB199_1345:
	s_andn2_b64 vcc, exec, s[0:1]
	s_cbranch_vccnz .LBB199_1347
; %bb.1346:
	global_load_dword v1, v[14:15], off
	s_mov_b32 s0, 0x2f800000
	s_mov_b32 s1, 0xcf800000
	s_waitcnt vmcnt(0)
	v_trunc_f32_e32 v1, v1
	v_mul_f32_e64 v3, |v1|, s0
	v_floor_f32_e32 v3, v3
	v_cvt_u32_f32_e32 v5, v3
	v_fma_f32 v3, v3, s1, |v1|
	v_cvt_u32_f32_e32 v3, v3
	v_ashrrev_i32_e32 v1, 31, v1
	v_xor_b32_e32 v5, v5, v1
	v_xor_b32_e32 v3, v3, v1
	v_sub_co_u32_e32 v9, vcc, v3, v1
	v_subb_co_u32_e32 v10, vcc, v5, v1, vcc
.LBB199_1347:
	s_mov_b64 s[0:1], 0
.LBB199_1348:
	s_andn2_b64 vcc, exec, s[0:1]
	s_cbranch_vccnz .LBB199_1350
; %bb.1349:
	global_load_ushort v1, v[14:15], off
	s_waitcnt vmcnt(0)
	v_cvt_f32_f16_e32 v1, v1
	v_cvt_i32_f32_e32 v9, v1
	v_ashrrev_i32_e32 v10, 31, v9
.LBB199_1350:
	s_cbranch_execnz .LBB199_1370
.LBB199_1351:
	s_cmp_lt_i32 s4, 2
	s_cbranch_scc1 .LBB199_1355
; %bb.1352:
	s_cmp_lt_i32 s4, 3
	s_cbranch_scc1 .LBB199_1356
; %bb.1353:
	s_cmp_gt_i32 s4, 3
	s_cbranch_scc0 .LBB199_1357
; %bb.1354:
	global_load_dwordx2 v[9:10], v[14:15], off
	s_mov_b64 s[0:1], 0
	s_branch .LBB199_1358
.LBB199_1355:
	s_mov_b64 s[0:1], -1
                                        ; implicit-def: $vgpr9_vgpr10
	s_branch .LBB199_1364
.LBB199_1356:
	s_mov_b64 s[0:1], -1
                                        ; implicit-def: $vgpr9_vgpr10
	s_branch .LBB199_1361
.LBB199_1357:
	s_mov_b64 s[0:1], -1
                                        ; implicit-def: $vgpr9_vgpr10
.LBB199_1358:
	s_andn2_b64 vcc, exec, s[0:1]
	s_cbranch_vccnz .LBB199_1360
; %bb.1359:
	global_load_dword v9, v[14:15], off
	s_waitcnt vmcnt(0)
	v_ashrrev_i32_e32 v10, 31, v9
.LBB199_1360:
	s_mov_b64 s[0:1], 0
.LBB199_1361:
	s_andn2_b64 vcc, exec, s[0:1]
	s_cbranch_vccnz .LBB199_1363
; %bb.1362:
	global_load_ushort v1, v[14:15], off
	s_waitcnt vmcnt(0)
	v_bfe_i32 v9, v1, 0, 16
	v_ashrrev_i32_e32 v10, 31, v9
.LBB199_1363:
	s_mov_b64 s[0:1], 0
.LBB199_1364:
	s_andn2_b64 vcc, exec, s[0:1]
	s_cbranch_vccnz .LBB199_1370
; %bb.1365:
	s_cmp_gt_i32 s4, 0
	s_cbranch_scc0 .LBB199_1367
; %bb.1366:
	global_load_sbyte v1, v[14:15], off
	s_mov_b64 s[0:1], 0
	s_waitcnt vmcnt(0)
	v_bfe_i32 v9, v1, 0, 16
	v_ashrrev_i32_e32 v10, 31, v9
	s_branch .LBB199_1368
.LBB199_1367:
	s_mov_b64 s[0:1], -1
                                        ; implicit-def: $vgpr9_vgpr10
.LBB199_1368:
	s_andn2_b64 vcc, exec, s[0:1]
	s_cbranch_vccnz .LBB199_1370
; %bb.1369:
	global_load_ubyte v1, v[14:15], off
	s_mov_b32 s0, 0
	s_waitcnt vmcnt(1)
	v_mov_b32_e32 v10, s0
	s_waitcnt vmcnt(0)
	v_and_b32_e32 v9, 0xffff, v1
.LBB199_1370:
.LBB199_1371:
	v_mov_b32_e32 v1, s11
	v_add_co_u32_e32 v14, vcc, s10, v11
	s_cmp_lt_i32 s14, 11
	v_addc_co_u32_e32 v15, vcc, 0, v1, vcc
	s_cbranch_scc1 .LBB199_1378
; %bb.1372:
	s_and_b32 s15, 0xffff, s14
	s_cmp_gt_i32 s15, 25
	s_mov_b64 s[4:5], 0
	s_cbranch_scc0 .LBB199_1380
; %bb.1373:
	s_cmp_gt_i32 s15, 28
	s_cbranch_scc0 .LBB199_1381
; %bb.1374:
	s_cmp_gt_i32 s15, 43
	;; [unrolled: 3-line block ×3, first 2 shown]
	s_cbranch_scc0 .LBB199_1384
; %bb.1376:
	s_cmp_eq_u32 s15, 46
	s_mov_b64 s[12:13], 0
	s_cbranch_scc0 .LBB199_1385
; %bb.1377:
	global_load_dword v1, v[14:15], off
	s_mov_b32 s0, 0x2f800000
	s_mov_b32 s1, 0xcf800000
	s_mov_b64 s[6:7], -1
	s_waitcnt vmcnt(0)
	v_lshlrev_b32_e32 v1, 16, v1
	v_trunc_f32_e32 v1, v1
	v_mul_f32_e64 v3, |v1|, s0
	v_floor_f32_e32 v3, v3
	v_fma_f32 v5, v3, s1, |v1|
	v_cvt_u32_f32_e32 v5, v5
	v_cvt_u32_f32_e32 v3, v3
	v_ashrrev_i32_e32 v1, 31, v1
	s_mov_b64 s[0:1], 0
	v_xor_b32_e32 v5, v5, v1
	v_xor_b32_e32 v3, v3, v1
	v_sub_co_u32_e32 v11, vcc, v5, v1
	v_subb_co_u32_e32 v12, vcc, v3, v1, vcc
	s_branch .LBB199_1386
.LBB199_1378:
	s_mov_b64 s[6:7], 0
                                        ; implicit-def: $vgpr11_vgpr12
	s_cbranch_execnz .LBB199_1448
.LBB199_1379:
	s_andn2_b64 vcc, exec, s[6:7]
	s_cbranch_vccnz .LBB199_2055
	s_branch .LBB199_1496
.LBB199_1380:
	s_mov_b64 s[12:13], -1
	s_mov_b64 s[6:7], 0
	s_mov_b64 s[0:1], 0
                                        ; implicit-def: $vgpr11_vgpr12
	s_branch .LBB199_1415
.LBB199_1381:
	s_mov_b64 s[12:13], -1
	s_mov_b64 s[6:7], 0
	s_mov_b64 s[0:1], 0
                                        ; implicit-def: $vgpr11_vgpr12
	s_branch .LBB199_1396
.LBB199_1382:
	s_mov_b64 s[12:13], -1
	s_mov_b64 s[6:7], 0
	s_mov_b64 s[0:1], 0
                                        ; implicit-def: $vgpr11_vgpr12
	s_branch .LBB199_1391
.LBB199_1383:
	s_trap 2
	s_or_b64 s[2:3], s[2:3], exec
	s_cbranch_execz .LBB199_1322
	s_branch .LBB199_1323
.LBB199_1384:
	s_mov_b64 s[12:13], -1
	s_mov_b64 s[6:7], 0
	s_mov_b64 s[0:1], 0
                                        ; implicit-def: $vgpr11_vgpr12
	s_branch .LBB199_1386
.LBB199_1385:
	s_mov_b64 s[0:1], -1
                                        ; implicit-def: $vgpr11_vgpr12
	s_mov_b64 s[6:7], 0
.LBB199_1386:
	s_and_b64 vcc, exec, s[12:13]
	s_cbranch_vccz .LBB199_1390
; %bb.1387:
	s_cmp_eq_u32 s15, 44
	s_cbranch_scc0 .LBB199_1389
; %bb.1388:
	global_load_ubyte v1, v[14:15], off
	s_mov_b32 s0, 0x2f800000
	s_mov_b32 s1, 0xcf800000
	s_mov_b64 s[6:7], -1
	s_waitcnt vmcnt(0)
	v_lshlrev_b32_e32 v3, 23, v1
	v_trunc_f32_e32 v3, v3
	v_mul_f32_e64 v5, |v3|, s0
	v_floor_f32_e32 v5, v5
	v_fma_f32 v11, v5, s1, |v3|
	v_cvt_u32_f32_e32 v11, v11
	v_cvt_u32_f32_e32 v5, v5
	v_ashrrev_i32_e32 v3, 31, v3
	s_mov_b64 s[0:1], 0
	v_xor_b32_e32 v11, v11, v3
	v_xor_b32_e32 v5, v5, v3
	v_sub_co_u32_e32 v11, vcc, v11, v3
	v_subb_co_u32_e32 v3, vcc, v5, v3, vcc
	v_cmp_ne_u32_e32 vcc, 0, v1
	v_cndmask_b32_e32 v12, 0, v3, vcc
	v_cndmask_b32_e32 v11, 0, v11, vcc
	s_branch .LBB199_1390
.LBB199_1389:
	s_mov_b64 s[0:1], -1
                                        ; implicit-def: $vgpr11_vgpr12
.LBB199_1390:
	s_mov_b64 s[12:13], 0
.LBB199_1391:
	s_and_b64 vcc, exec, s[12:13]
	s_cbranch_vccz .LBB199_1395
; %bb.1392:
	s_cmp_eq_u32 s15, 29
	s_cbranch_scc0 .LBB199_1394
; %bb.1393:
	global_load_dwordx2 v[11:12], v[14:15], off
	s_mov_b64 s[0:1], 0
	s_mov_b64 s[6:7], -1
	s_branch .LBB199_1395
.LBB199_1394:
	s_mov_b64 s[0:1], -1
                                        ; implicit-def: $vgpr11_vgpr12
.LBB199_1395:
	s_mov_b64 s[12:13], 0
.LBB199_1396:
	s_and_b64 vcc, exec, s[12:13]
	s_cbranch_vccz .LBB199_1414
; %bb.1397:
	s_cmp_lt_i32 s15, 27
	s_cbranch_scc1 .LBB199_1400
; %bb.1398:
	s_cmp_gt_i32 s15, 27
	s_cbranch_scc0 .LBB199_1401
; %bb.1399:
	global_load_dword v11, v[14:15], off
	s_waitcnt vmcnt(1)
	v_mov_b32_e32 v12, 0
	s_mov_b64 s[6:7], 0
	s_branch .LBB199_1402
.LBB199_1400:
	s_mov_b64 s[6:7], -1
                                        ; implicit-def: $vgpr11_vgpr12
	s_branch .LBB199_1405
.LBB199_1401:
	s_mov_b64 s[6:7], -1
                                        ; implicit-def: $vgpr11_vgpr12
.LBB199_1402:
	s_andn2_b64 vcc, exec, s[6:7]
	s_cbranch_vccnz .LBB199_1404
; %bb.1403:
	global_load_ushort v1, v[14:15], off
	s_mov_b32 s6, 0
	s_waitcnt vmcnt(1)
	v_mov_b32_e32 v12, s6
	s_waitcnt vmcnt(0)
	v_and_b32_e32 v11, 0xffff, v1
.LBB199_1404:
	s_mov_b64 s[6:7], 0
.LBB199_1405:
	s_andn2_b64 vcc, exec, s[6:7]
	s_cbranch_vccnz .LBB199_1413
; %bb.1406:
	global_load_ubyte v1, v[14:15], off
	s_movk_i32 s6, 0x7f
	s_mov_b64 s[12:13], 0
	s_waitcnt vmcnt(0)
	v_cmp_lt_i16_e32 vcc, s6, v1
	s_and_saveexec_b64 s[6:7], vcc
	s_xor_b64 s[6:7], exec, s[6:7]
; %bb.1407:
	s_movk_i32 s12, 0x80
	v_cmp_ne_u16_e32 vcc, s12, v1
	s_and_b64 s[12:13], vcc, exec
; %bb.1408:
	s_andn2_saveexec_b64 s[6:7], s[6:7]
; %bb.1409:
	v_cmp_ne_u16_e32 vcc, 0, v1
	s_andn2_b64 s[12:13], s[12:13], exec
	s_and_b64 s[16:17], vcc, exec
	s_or_b64 s[12:13], s[12:13], s[16:17]
; %bb.1410:
	s_or_b64 exec, exec, s[6:7]
	v_mov_b32_e32 v11, 0
	v_mov_b32_e32 v12, 0
	s_and_saveexec_b64 s[6:7], s[12:13]
	s_cbranch_execz .LBB199_1412
; %bb.1411:
	v_lshlrev_b32_e32 v3, 24, v1
	v_and_b32_e32 v1, 0xffff, v1
	v_and_b32_e32 v5, 7, v1
	v_ffbh_u32_e32 v12, v5
	v_min_u32_e32 v12, 32, v12
	v_subrev_u32_e32 v16, 28, v12
	v_bfe_u32 v11, v1, 3, 4
	v_lshlrev_b32_e32 v1, v16, v1
	v_sub_u32_e32 v12, 29, v12
	v_and_b32_e32 v1, 7, v1
	v_cmp_eq_u32_e32 vcc, 0, v11
	v_cndmask_b32_e32 v11, v11, v12, vcc
	v_cndmask_b32_e32 v1, v5, v1, vcc
	v_mov_b32_e32 v5, 0x3b800000
	v_lshlrev_b32_e32 v1, 20, v1
	v_and_b32_e32 v3, 0x80000000, v3
	v_lshl_add_u32 v5, v11, 23, v5
	v_or3_b32 v1, v3, v5, v1
	v_trunc_f32_e32 v1, v1
	s_mov_b32 s12, 0x2f800000
	v_mul_f32_e64 v3, |v1|, s12
	v_floor_f32_e32 v3, v3
	s_mov_b32 s12, 0xcf800000
	v_fma_f32 v5, v3, s12, |v1|
	v_cvt_u32_f32_e32 v5, v5
	v_cvt_u32_f32_e32 v3, v3
	v_ashrrev_i32_e32 v1, 31, v1
	v_xor_b32_e32 v5, v5, v1
	v_xor_b32_e32 v3, v3, v1
	v_sub_co_u32_e32 v11, vcc, v5, v1
	v_subb_co_u32_e32 v12, vcc, v3, v1, vcc
.LBB199_1412:
	s_or_b64 exec, exec, s[6:7]
.LBB199_1413:
	s_mov_b64 s[6:7], -1
.LBB199_1414:
	s_mov_b64 s[12:13], 0
.LBB199_1415:
	s_and_b64 vcc, exec, s[12:13]
	s_cbranch_vccz .LBB199_1444
; %bb.1416:
	s_cmp_gt_i32 s15, 22
	s_cbranch_scc0 .LBB199_1426
; %bb.1417:
	s_cmp_lt_i32 s15, 24
	s_cbranch_scc1 .LBB199_1427
; %bb.1418:
	s_cmp_gt_i32 s15, 24
	s_cbranch_scc0 .LBB199_1428
; %bb.1419:
	global_load_ubyte v1, v[14:15], off
	s_movk_i32 s4, 0x7f
	s_mov_b64 s[6:7], 0
	s_waitcnt vmcnt(0)
	v_cmp_lt_i16_e32 vcc, s4, v1
	s_and_saveexec_b64 s[4:5], vcc
	s_xor_b64 s[4:5], exec, s[4:5]
; %bb.1420:
	s_movk_i32 s6, 0x80
	v_cmp_ne_u16_e32 vcc, s6, v1
	s_and_b64 s[6:7], vcc, exec
; %bb.1421:
	s_andn2_saveexec_b64 s[4:5], s[4:5]
; %bb.1422:
	v_cmp_ne_u16_e32 vcc, 0, v1
	s_andn2_b64 s[6:7], s[6:7], exec
	s_and_b64 s[12:13], vcc, exec
	s_or_b64 s[6:7], s[6:7], s[12:13]
; %bb.1423:
	s_or_b64 exec, exec, s[4:5]
	v_mov_b32_e32 v11, 0
	v_mov_b32_e32 v12, 0
	s_and_saveexec_b64 s[4:5], s[6:7]
	s_cbranch_execz .LBB199_1425
; %bb.1424:
	v_lshlrev_b32_e32 v3, 24, v1
	v_and_b32_e32 v1, 0xffff, v1
	v_and_b32_e32 v5, 3, v1
	v_ffbh_u32_e32 v12, v5
	v_min_u32_e32 v12, 32, v12
	v_subrev_u32_e32 v16, 29, v12
	v_bfe_u32 v11, v1, 2, 5
	v_lshlrev_b32_e32 v1, v16, v1
	v_sub_u32_e32 v12, 30, v12
	v_and_b32_e32 v1, 3, v1
	v_cmp_eq_u32_e32 vcc, 0, v11
	v_cndmask_b32_e32 v11, v11, v12, vcc
	v_cndmask_b32_e32 v1, v5, v1, vcc
	v_mov_b32_e32 v5, 0x37800000
	v_lshlrev_b32_e32 v1, 21, v1
	v_and_b32_e32 v3, 0x80000000, v3
	v_lshl_add_u32 v5, v11, 23, v5
	v_or3_b32 v1, v3, v5, v1
	v_trunc_f32_e32 v1, v1
	s_mov_b32 s6, 0x2f800000
	v_mul_f32_e64 v3, |v1|, s6
	v_floor_f32_e32 v3, v3
	s_mov_b32 s6, 0xcf800000
	v_fma_f32 v5, v3, s6, |v1|
	v_cvt_u32_f32_e32 v5, v5
	v_cvt_u32_f32_e32 v3, v3
	v_ashrrev_i32_e32 v1, 31, v1
	v_xor_b32_e32 v5, v5, v1
	v_xor_b32_e32 v3, v3, v1
	v_sub_co_u32_e32 v11, vcc, v5, v1
	v_subb_co_u32_e32 v12, vcc, v3, v1, vcc
.LBB199_1425:
	s_or_b64 exec, exec, s[4:5]
	s_mov_b64 s[4:5], 0
	s_branch .LBB199_1429
.LBB199_1426:
	s_mov_b64 s[4:5], -1
                                        ; implicit-def: $vgpr11_vgpr12
	s_branch .LBB199_1435
.LBB199_1427:
	s_mov_b64 s[4:5], -1
                                        ; implicit-def: $vgpr11_vgpr12
	s_branch .LBB199_1432
.LBB199_1428:
	s_mov_b64 s[4:5], -1
                                        ; implicit-def: $vgpr11_vgpr12
.LBB199_1429:
	s_and_b64 vcc, exec, s[4:5]
	s_cbranch_vccz .LBB199_1431
; %bb.1430:
	global_load_ubyte v1, v[14:15], off
	s_mov_b32 s4, 0x7f800000
	s_brev_b32 s5, 1
	s_mov_b32 s6, 0x2f800000
	s_mov_b32 s7, 0xcf800000
	s_waitcnt vmcnt(0)
	v_lshlrev_b32_e32 v1, 24, v1
	v_and_b32_e32 v3, 0x7f000000, v1
	v_ffbh_u32_e32 v5, v3
	v_min_u32_e32 v5, 32, v5
	v_sub_u32_e64 v5, v5, 4 clamp
	v_lshlrev_b32_e32 v12, v5, v3
	v_lshlrev_b32_e32 v5, 23, v5
	v_lshrrev_b32_e32 v12, 4, v12
	v_add_u32_e32 v11, 0x1000000, v3
	v_sub_u32_e32 v5, v12, v5
	v_ashrrev_i32_e32 v11, 8, v11
	v_add_u32_e32 v5, 0x3c000000, v5
	v_and_or_b32 v5, v11, s4, v5
	v_cmp_ne_u32_e32 vcc, 0, v3
	v_cndmask_b32_e32 v3, 0, v5, vcc
	v_and_or_b32 v1, v1, s5, v3
	v_trunc_f32_e32 v1, v1
	v_mul_f32_e64 v3, |v1|, s6
	v_floor_f32_e32 v3, v3
	v_fma_f32 v5, v3, s7, |v1|
	v_cvt_u32_f32_e32 v5, v5
	v_cvt_u32_f32_e32 v3, v3
	v_ashrrev_i32_e32 v1, 31, v1
	v_xor_b32_e32 v5, v5, v1
	v_xor_b32_e32 v3, v3, v1
	v_sub_co_u32_e32 v11, vcc, v5, v1
	v_subb_co_u32_e32 v12, vcc, v3, v1, vcc
.LBB199_1431:
	s_mov_b64 s[4:5], 0
.LBB199_1432:
	s_andn2_b64 vcc, exec, s[4:5]
	s_cbranch_vccnz .LBB199_1434
; %bb.1433:
	global_load_ubyte v1, v[14:15], off
	s_movk_i32 s4, 0x7f00
	s_brev_b32 s5, 16
	s_brev_b32 s6, 1
	s_mov_b32 s7, 0x2f800000
	s_mov_b32 s12, 0xcf800000
	s_waitcnt vmcnt(0)
	v_lshlrev_b16_e32 v3, 8, v1
	v_lshlrev_b32_e32 v1, 25, v1
	v_lshrrev_b32_e32 v5, 4, v1
	v_and_or_b32 v11, v3, s4, 0.5
	v_or_b32_e32 v5, 0x70000000, v5
	v_add_f32_e32 v11, -0.5, v11
	v_mul_f32_e32 v5, 0x7800000, v5
	v_cmp_gt_u32_e32 vcc, s5, v1
	v_bfe_i32 v3, v3, 0, 16
	v_cndmask_b32_e32 v1, v5, v11, vcc
	v_and_or_b32 v1, v3, s6, v1
	v_trunc_f32_e32 v1, v1
	v_mul_f32_e64 v3, |v1|, s7
	v_floor_f32_e32 v3, v3
	v_fma_f32 v5, v3, s12, |v1|
	v_cvt_u32_f32_e32 v5, v5
	v_cvt_u32_f32_e32 v3, v3
	v_ashrrev_i32_e32 v1, 31, v1
	v_xor_b32_e32 v5, v5, v1
	v_xor_b32_e32 v3, v3, v1
	v_sub_co_u32_e32 v11, vcc, v5, v1
	v_subb_co_u32_e32 v12, vcc, v3, v1, vcc
.LBB199_1434:
	s_mov_b64 s[4:5], 0
	s_mov_b64 s[6:7], -1
.LBB199_1435:
	s_andn2_b64 vcc, exec, s[4:5]
	s_mov_b64 s[4:5], 0
	s_cbranch_vccnz .LBB199_1444
; %bb.1436:
	s_cmp_gt_i32 s15, 14
	s_cbranch_scc0 .LBB199_1439
; %bb.1437:
	s_cmp_eq_u32 s15, 15
	s_cbranch_scc0 .LBB199_1440
; %bb.1438:
	global_load_ushort v1, v[14:15], off
	s_mov_b32 s0, 0x2f800000
	s_mov_b32 s1, 0xcf800000
	s_mov_b64 s[6:7], -1
	s_waitcnt vmcnt(0)
	v_lshlrev_b32_e32 v1, 16, v1
	v_trunc_f32_e32 v1, v1
	v_mul_f32_e64 v3, |v1|, s0
	v_floor_f32_e32 v3, v3
	v_fma_f32 v5, v3, s1, |v1|
	v_cvt_u32_f32_e32 v5, v5
	v_cvt_u32_f32_e32 v3, v3
	v_ashrrev_i32_e32 v1, 31, v1
	s_mov_b64 s[0:1], 0
	v_xor_b32_e32 v5, v5, v1
	v_xor_b32_e32 v3, v3, v1
	v_sub_co_u32_e32 v11, vcc, v5, v1
	v_subb_co_u32_e32 v12, vcc, v3, v1, vcc
	s_branch .LBB199_1441
.LBB199_1439:
	s_mov_b64 s[12:13], -1
                                        ; implicit-def: $vgpr11_vgpr12
	s_branch .LBB199_1442
.LBB199_1440:
	s_mov_b64 s[0:1], -1
                                        ; implicit-def: $vgpr11_vgpr12
.LBB199_1441:
	s_mov_b64 s[12:13], 0
.LBB199_1442:
	s_and_b64 vcc, exec, s[12:13]
	s_cbranch_vccz .LBB199_1444
; %bb.1443:
	s_cmp_lg_u32 s15, 11
	s_mov_b64 s[4:5], -1
	s_cselect_b64 s[0:1], -1, 0
.LBB199_1444:
	s_and_b64 vcc, exec, s[0:1]
	s_cbranch_vccnz .LBB199_1507
; %bb.1445:
	s_andn2_b64 vcc, exec, s[4:5]
	s_cbranch_vccnz .LBB199_1447
.LBB199_1446:
	global_load_ubyte v1, v[14:15], off
	s_mov_b32 s0, 0
	s_waitcnt vmcnt(1)
	v_mov_b32_e32 v12, s0
	s_mov_b64 s[6:7], -1
	s_waitcnt vmcnt(0)
	v_cmp_ne_u16_e32 vcc, 0, v1
	v_cndmask_b32_e64 v11, 0, 1, vcc
.LBB199_1447:
	s_branch .LBB199_1379
.LBB199_1448:
	s_and_b32 s4, 0xffff, s14
	s_cmp_lt_i32 s4, 5
	s_cbranch_scc1 .LBB199_1453
; %bb.1449:
	s_cmp_lt_i32 s4, 8
	s_cbranch_scc1 .LBB199_1454
; %bb.1450:
	;; [unrolled: 3-line block ×3, first 2 shown]
	s_cmp_gt_i32 s4, 9
	s_cbranch_scc0 .LBB199_1456
; %bb.1452:
	global_load_dwordx2 v[11:12], v[14:15], off
	s_movk_i32 s0, 0xffe0
	s_waitcnt vmcnt(0)
	v_trunc_f64_e32 v[11:12], v[11:12]
	v_ldexp_f64 v[16:17], v[11:12], s0
	s_mov_b32 s0, 0
	s_mov_b32 s1, 0xc1f00000
	v_floor_f64_e32 v[16:17], v[16:17]
	v_fma_f64 v[18:19], v[16:17], s[0:1], v[11:12]
	v_cvt_i32_f64_e32 v12, v[16:17]
	s_mov_b64 s[0:1], 0
	v_cvt_u32_f64_e32 v11, v[18:19]
	s_branch .LBB199_1457
.LBB199_1453:
	s_mov_b64 s[0:1], -1
                                        ; implicit-def: $vgpr11_vgpr12
	s_branch .LBB199_1475
.LBB199_1454:
	s_mov_b64 s[0:1], -1
                                        ; implicit-def: $vgpr11_vgpr12
	s_branch .LBB199_1463
.LBB199_1455:
	s_mov_b64 s[0:1], -1
                                        ; implicit-def: $vgpr11_vgpr12
	s_branch .LBB199_1460
.LBB199_1456:
	s_mov_b64 s[0:1], -1
                                        ; implicit-def: $vgpr11_vgpr12
.LBB199_1457:
	s_andn2_b64 vcc, exec, s[0:1]
	s_cbranch_vccnz .LBB199_1459
; %bb.1458:
	global_load_dword v1, v[14:15], off
	s_mov_b32 s0, 0x2f800000
	s_mov_b32 s1, 0xcf800000
	s_waitcnt vmcnt(0)
	v_trunc_f32_e32 v1, v1
	v_mul_f32_e64 v3, |v1|, s0
	v_floor_f32_e32 v3, v3
	v_cvt_u32_f32_e32 v5, v3
	v_fma_f32 v3, v3, s1, |v1|
	v_cvt_u32_f32_e32 v3, v3
	v_ashrrev_i32_e32 v1, 31, v1
	v_xor_b32_e32 v5, v5, v1
	v_xor_b32_e32 v3, v3, v1
	v_sub_co_u32_e32 v11, vcc, v3, v1
	v_subb_co_u32_e32 v12, vcc, v5, v1, vcc
.LBB199_1459:
	s_mov_b64 s[0:1], 0
.LBB199_1460:
	s_andn2_b64 vcc, exec, s[0:1]
	s_cbranch_vccnz .LBB199_1462
; %bb.1461:
	global_load_dword v1, v[14:15], off
	s_waitcnt vmcnt(0)
	v_cvt_f32_f16_e32 v1, v1
	v_cvt_i32_f32_e32 v11, v1
	v_ashrrev_i32_e32 v12, 31, v11
.LBB199_1462:
	s_mov_b64 s[0:1], 0
.LBB199_1463:
	s_andn2_b64 vcc, exec, s[0:1]
	s_cbranch_vccnz .LBB199_1474
; %bb.1464:
	s_cmp_lt_i32 s4, 6
	s_cbranch_scc1 .LBB199_1467
; %bb.1465:
	s_cmp_gt_i32 s4, 6
	s_cbranch_scc0 .LBB199_1468
; %bb.1466:
	global_load_dwordx2 v[11:12], v[14:15], off
	s_movk_i32 s0, 0xffe0
	s_waitcnt vmcnt(0)
	v_trunc_f64_e32 v[11:12], v[11:12]
	v_ldexp_f64 v[16:17], v[11:12], s0
	s_mov_b32 s0, 0
	s_mov_b32 s1, 0xc1f00000
	v_floor_f64_e32 v[16:17], v[16:17]
	v_fma_f64 v[18:19], v[16:17], s[0:1], v[11:12]
	v_cvt_i32_f64_e32 v12, v[16:17]
	s_mov_b64 s[0:1], 0
	v_cvt_u32_f64_e32 v11, v[18:19]
	s_branch .LBB199_1469
.LBB199_1467:
	s_mov_b64 s[0:1], -1
                                        ; implicit-def: $vgpr11_vgpr12
	s_branch .LBB199_1472
.LBB199_1468:
	s_mov_b64 s[0:1], -1
                                        ; implicit-def: $vgpr11_vgpr12
.LBB199_1469:
	s_andn2_b64 vcc, exec, s[0:1]
	s_cbranch_vccnz .LBB199_1471
; %bb.1470:
	global_load_dword v1, v[14:15], off
	s_mov_b32 s0, 0x2f800000
	s_mov_b32 s1, 0xcf800000
	s_waitcnt vmcnt(0)
	v_trunc_f32_e32 v1, v1
	v_mul_f32_e64 v3, |v1|, s0
	v_floor_f32_e32 v3, v3
	v_cvt_u32_f32_e32 v5, v3
	v_fma_f32 v3, v3, s1, |v1|
	v_cvt_u32_f32_e32 v3, v3
	v_ashrrev_i32_e32 v1, 31, v1
	v_xor_b32_e32 v5, v5, v1
	v_xor_b32_e32 v3, v3, v1
	v_sub_co_u32_e32 v11, vcc, v3, v1
	v_subb_co_u32_e32 v12, vcc, v5, v1, vcc
.LBB199_1471:
	s_mov_b64 s[0:1], 0
.LBB199_1472:
	s_andn2_b64 vcc, exec, s[0:1]
	s_cbranch_vccnz .LBB199_1474
; %bb.1473:
	global_load_ushort v1, v[14:15], off
	s_waitcnt vmcnt(0)
	v_cvt_f32_f16_e32 v1, v1
	v_cvt_i32_f32_e32 v11, v1
	v_ashrrev_i32_e32 v12, 31, v11
.LBB199_1474:
	s_mov_b64 s[0:1], 0
.LBB199_1475:
	s_andn2_b64 vcc, exec, s[0:1]
	s_cbranch_vccnz .LBB199_1495
; %bb.1476:
	s_cmp_lt_i32 s4, 2
	s_cbranch_scc1 .LBB199_1480
; %bb.1477:
	s_cmp_lt_i32 s4, 3
	s_cbranch_scc1 .LBB199_1481
; %bb.1478:
	s_cmp_gt_i32 s4, 3
	s_cbranch_scc0 .LBB199_1482
; %bb.1479:
	global_load_dwordx2 v[11:12], v[14:15], off
	s_mov_b64 s[0:1], 0
	s_branch .LBB199_1483
.LBB199_1480:
	s_mov_b64 s[0:1], -1
                                        ; implicit-def: $vgpr11_vgpr12
	s_branch .LBB199_1489
.LBB199_1481:
	s_mov_b64 s[0:1], -1
                                        ; implicit-def: $vgpr11_vgpr12
	s_branch .LBB199_1486
.LBB199_1482:
	s_mov_b64 s[0:1], -1
                                        ; implicit-def: $vgpr11_vgpr12
.LBB199_1483:
	s_andn2_b64 vcc, exec, s[0:1]
	s_cbranch_vccnz .LBB199_1485
; %bb.1484:
	global_load_dword v11, v[14:15], off
	s_waitcnt vmcnt(0)
	v_ashrrev_i32_e32 v12, 31, v11
.LBB199_1485:
	s_mov_b64 s[0:1], 0
.LBB199_1486:
	s_andn2_b64 vcc, exec, s[0:1]
	s_cbranch_vccnz .LBB199_1488
; %bb.1487:
	global_load_ushort v1, v[14:15], off
	s_waitcnt vmcnt(0)
	v_bfe_i32 v11, v1, 0, 16
	v_ashrrev_i32_e32 v12, 31, v11
.LBB199_1488:
	s_mov_b64 s[0:1], 0
.LBB199_1489:
	s_andn2_b64 vcc, exec, s[0:1]
	s_cbranch_vccnz .LBB199_1495
; %bb.1490:
	s_cmp_gt_i32 s4, 0
	s_cbranch_scc0 .LBB199_1492
; %bb.1491:
	global_load_sbyte v1, v[14:15], off
	s_mov_b64 s[0:1], 0
	s_waitcnt vmcnt(0)
	v_bfe_i32 v11, v1, 0, 16
	v_ashrrev_i32_e32 v12, 31, v11
	s_branch .LBB199_1493
.LBB199_1492:
	s_mov_b64 s[0:1], -1
                                        ; implicit-def: $vgpr11_vgpr12
.LBB199_1493:
	s_andn2_b64 vcc, exec, s[0:1]
	s_cbranch_vccnz .LBB199_1495
; %bb.1494:
	global_load_ubyte v1, v[14:15], off
	s_mov_b32 s0, 0
	s_waitcnt vmcnt(1)
	v_mov_b32_e32 v12, s0
	s_waitcnt vmcnt(0)
	v_and_b32_e32 v11, 0xffff, v1
.LBB199_1495:
.LBB199_1496:
	v_mov_b32_e32 v1, s11
	v_add_co_u32_e32 v15, vcc, s10, v13
	s_cmp_lt_i32 s14, 11
	v_addc_co_u32_e32 v16, vcc, 0, v1, vcc
	s_cbranch_scc1 .LBB199_1503
; %bb.1497:
	s_and_b32 s12, 0xffff, s14
	s_cmp_gt_i32 s12, 25
	s_mov_b64 s[4:5], 0
	s_cbranch_scc0 .LBB199_1504
; %bb.1498:
	s_cmp_gt_i32 s12, 28
	s_cbranch_scc0 .LBB199_1505
; %bb.1499:
	s_cmp_gt_i32 s12, 43
	;; [unrolled: 3-line block ×3, first 2 shown]
	s_cbranch_scc0 .LBB199_1508
; %bb.1501:
	s_cmp_eq_u32 s12, 46
	s_mov_b64 s[10:11], 0
	s_cbranch_scc0 .LBB199_1509
; %bb.1502:
	global_load_dword v1, v[15:16], off
	s_mov_b32 s0, 0x2f800000
	s_mov_b32 s1, 0xcf800000
	s_mov_b64 s[6:7], -1
	s_waitcnt vmcnt(0)
	v_lshlrev_b32_e32 v1, 16, v1
	v_trunc_f32_e32 v1, v1
	v_mul_f32_e64 v3, |v1|, s0
	v_floor_f32_e32 v3, v3
	v_fma_f32 v5, v3, s1, |v1|
	v_cvt_u32_f32_e32 v5, v5
	v_cvt_u32_f32_e32 v3, v3
	v_ashrrev_i32_e32 v1, 31, v1
	s_mov_b64 s[0:1], 0
	v_xor_b32_e32 v5, v5, v1
	v_xor_b32_e32 v3, v3, v1
	v_sub_co_u32_e32 v13, vcc, v5, v1
	v_subb_co_u32_e32 v14, vcc, v3, v1, vcc
	s_branch .LBB199_1510
.LBB199_1503:
	s_mov_b64 s[0:1], -1
	s_mov_b64 s[6:7], 0
                                        ; implicit-def: $vgpr13_vgpr14
	s_branch .LBB199_1572
.LBB199_1504:
	s_mov_b64 s[10:11], -1
	s_mov_b64 s[6:7], 0
	s_mov_b64 s[0:1], 0
                                        ; implicit-def: $vgpr13_vgpr14
	s_branch .LBB199_1539
.LBB199_1505:
	s_mov_b64 s[10:11], -1
	s_mov_b64 s[6:7], 0
	s_mov_b64 s[0:1], 0
                                        ; implicit-def: $vgpr13_vgpr14
	s_branch .LBB199_1520
.LBB199_1506:
	s_mov_b64 s[10:11], -1
	s_mov_b64 s[6:7], 0
	s_mov_b64 s[0:1], 0
                                        ; implicit-def: $vgpr13_vgpr14
	s_branch .LBB199_1515
.LBB199_1507:
	s_trap 2
	s_or_b64 s[2:3], s[2:3], exec
	s_cbranch_execz .LBB199_1446
	s_branch .LBB199_1447
.LBB199_1508:
	s_mov_b64 s[10:11], -1
	s_mov_b64 s[6:7], 0
	s_mov_b64 s[0:1], 0
                                        ; implicit-def: $vgpr13_vgpr14
	s_branch .LBB199_1510
.LBB199_1509:
	s_mov_b64 s[0:1], -1
                                        ; implicit-def: $vgpr13_vgpr14
	s_mov_b64 s[6:7], 0
.LBB199_1510:
	s_and_b64 vcc, exec, s[10:11]
	s_cbranch_vccz .LBB199_1514
; %bb.1511:
	s_cmp_eq_u32 s12, 44
	s_cbranch_scc0 .LBB199_1513
; %bb.1512:
	global_load_ubyte v1, v[15:16], off
	s_mov_b32 s0, 0x2f800000
	s_mov_b32 s1, 0xcf800000
	s_mov_b64 s[6:7], -1
	s_waitcnt vmcnt(0)
	v_lshlrev_b32_e32 v3, 23, v1
	v_trunc_f32_e32 v3, v3
	v_mul_f32_e64 v5, |v3|, s0
	v_floor_f32_e32 v5, v5
	v_fma_f32 v13, v5, s1, |v3|
	v_cvt_u32_f32_e32 v13, v13
	v_cvt_u32_f32_e32 v5, v5
	v_ashrrev_i32_e32 v3, 31, v3
	s_mov_b64 s[0:1], 0
	v_xor_b32_e32 v13, v13, v3
	v_xor_b32_e32 v5, v5, v3
	v_sub_co_u32_e32 v13, vcc, v13, v3
	v_subb_co_u32_e32 v3, vcc, v5, v3, vcc
	v_cmp_ne_u32_e32 vcc, 0, v1
	v_cndmask_b32_e32 v14, 0, v3, vcc
	v_cndmask_b32_e32 v13, 0, v13, vcc
	s_branch .LBB199_1514
.LBB199_1513:
	s_mov_b64 s[0:1], -1
                                        ; implicit-def: $vgpr13_vgpr14
.LBB199_1514:
	s_mov_b64 s[10:11], 0
.LBB199_1515:
	s_and_b64 vcc, exec, s[10:11]
	s_cbranch_vccz .LBB199_1519
; %bb.1516:
	s_cmp_eq_u32 s12, 29
	s_cbranch_scc0 .LBB199_1518
; %bb.1517:
	global_load_dwordx2 v[13:14], v[15:16], off
	s_mov_b64 s[0:1], 0
	s_mov_b64 s[6:7], -1
	s_branch .LBB199_1519
.LBB199_1518:
	s_mov_b64 s[0:1], -1
                                        ; implicit-def: $vgpr13_vgpr14
.LBB199_1519:
	s_mov_b64 s[10:11], 0
.LBB199_1520:
	s_and_b64 vcc, exec, s[10:11]
	s_cbranch_vccz .LBB199_1538
; %bb.1521:
	s_cmp_lt_i32 s12, 27
	s_cbranch_scc1 .LBB199_1524
; %bb.1522:
	s_cmp_gt_i32 s12, 27
	s_cbranch_scc0 .LBB199_1525
; %bb.1523:
	global_load_dword v13, v[15:16], off
	s_waitcnt vmcnt(1)
	v_mov_b32_e32 v14, 0
	s_mov_b64 s[6:7], 0
	s_branch .LBB199_1526
.LBB199_1524:
	s_mov_b64 s[6:7], -1
                                        ; implicit-def: $vgpr13_vgpr14
	s_branch .LBB199_1529
.LBB199_1525:
	s_mov_b64 s[6:7], -1
                                        ; implicit-def: $vgpr13_vgpr14
.LBB199_1526:
	s_andn2_b64 vcc, exec, s[6:7]
	s_cbranch_vccnz .LBB199_1528
; %bb.1527:
	global_load_ushort v1, v[15:16], off
	s_mov_b32 s6, 0
	s_waitcnt vmcnt(1)
	v_mov_b32_e32 v14, s6
	s_waitcnt vmcnt(0)
	v_and_b32_e32 v13, 0xffff, v1
.LBB199_1528:
	s_mov_b64 s[6:7], 0
.LBB199_1529:
	s_andn2_b64 vcc, exec, s[6:7]
	s_cbranch_vccnz .LBB199_1537
; %bb.1530:
	global_load_ubyte v1, v[15:16], off
	s_movk_i32 s6, 0x7f
	s_mov_b64 s[10:11], 0
	s_waitcnt vmcnt(0)
	v_cmp_lt_i16_e32 vcc, s6, v1
	s_and_saveexec_b64 s[6:7], vcc
	s_xor_b64 s[6:7], exec, s[6:7]
; %bb.1531:
	s_movk_i32 s10, 0x80
	v_cmp_ne_u16_e32 vcc, s10, v1
	s_and_b64 s[10:11], vcc, exec
; %bb.1532:
	s_andn2_saveexec_b64 s[6:7], s[6:7]
; %bb.1533:
	v_cmp_ne_u16_e32 vcc, 0, v1
	s_andn2_b64 s[10:11], s[10:11], exec
	s_and_b64 s[16:17], vcc, exec
	s_or_b64 s[10:11], s[10:11], s[16:17]
; %bb.1534:
	s_or_b64 exec, exec, s[6:7]
	v_mov_b32_e32 v13, 0
	v_mov_b32_e32 v14, 0
	s_and_saveexec_b64 s[6:7], s[10:11]
	s_cbranch_execz .LBB199_1536
; %bb.1535:
	v_lshlrev_b32_e32 v3, 24, v1
	v_and_b32_e32 v1, 0xffff, v1
	v_and_b32_e32 v5, 7, v1
	v_ffbh_u32_e32 v14, v5
	v_min_u32_e32 v14, 32, v14
	v_subrev_u32_e32 v17, 28, v14
	v_bfe_u32 v13, v1, 3, 4
	v_lshlrev_b32_e32 v1, v17, v1
	v_sub_u32_e32 v14, 29, v14
	v_and_b32_e32 v1, 7, v1
	v_cmp_eq_u32_e32 vcc, 0, v13
	v_cndmask_b32_e32 v13, v13, v14, vcc
	v_cndmask_b32_e32 v1, v5, v1, vcc
	v_mov_b32_e32 v5, 0x3b800000
	v_lshlrev_b32_e32 v1, 20, v1
	v_and_b32_e32 v3, 0x80000000, v3
	v_lshl_add_u32 v5, v13, 23, v5
	v_or3_b32 v1, v3, v5, v1
	v_trunc_f32_e32 v1, v1
	s_mov_b32 s10, 0x2f800000
	v_mul_f32_e64 v3, |v1|, s10
	v_floor_f32_e32 v3, v3
	s_mov_b32 s10, 0xcf800000
	v_fma_f32 v5, v3, s10, |v1|
	v_cvt_u32_f32_e32 v5, v5
	v_cvt_u32_f32_e32 v3, v3
	v_ashrrev_i32_e32 v1, 31, v1
	v_xor_b32_e32 v5, v5, v1
	v_xor_b32_e32 v3, v3, v1
	v_sub_co_u32_e32 v13, vcc, v5, v1
	v_subb_co_u32_e32 v14, vcc, v3, v1, vcc
.LBB199_1536:
	s_or_b64 exec, exec, s[6:7]
.LBB199_1537:
	s_mov_b64 s[6:7], -1
.LBB199_1538:
	s_mov_b64 s[10:11], 0
.LBB199_1539:
	s_and_b64 vcc, exec, s[10:11]
	s_cbranch_vccz .LBB199_1568
; %bb.1540:
	s_cmp_gt_i32 s12, 22
	s_cbranch_scc0 .LBB199_1550
; %bb.1541:
	s_cmp_lt_i32 s12, 24
	s_cbranch_scc1 .LBB199_1551
; %bb.1542:
	s_cmp_gt_i32 s12, 24
	s_cbranch_scc0 .LBB199_1552
; %bb.1543:
	global_load_ubyte v1, v[15:16], off
	s_movk_i32 s4, 0x7f
	s_mov_b64 s[6:7], 0
	s_waitcnt vmcnt(0)
	v_cmp_lt_i16_e32 vcc, s4, v1
	s_and_saveexec_b64 s[4:5], vcc
	s_xor_b64 s[4:5], exec, s[4:5]
; %bb.1544:
	s_movk_i32 s6, 0x80
	v_cmp_ne_u16_e32 vcc, s6, v1
	s_and_b64 s[6:7], vcc, exec
; %bb.1545:
	s_andn2_saveexec_b64 s[4:5], s[4:5]
; %bb.1546:
	v_cmp_ne_u16_e32 vcc, 0, v1
	s_andn2_b64 s[6:7], s[6:7], exec
	s_and_b64 s[10:11], vcc, exec
	s_or_b64 s[6:7], s[6:7], s[10:11]
; %bb.1547:
	s_or_b64 exec, exec, s[4:5]
	v_mov_b32_e32 v13, 0
	v_mov_b32_e32 v14, 0
	s_and_saveexec_b64 s[4:5], s[6:7]
	s_cbranch_execz .LBB199_1549
; %bb.1548:
	v_lshlrev_b32_e32 v3, 24, v1
	v_and_b32_e32 v1, 0xffff, v1
	v_and_b32_e32 v5, 3, v1
	v_ffbh_u32_e32 v14, v5
	v_min_u32_e32 v14, 32, v14
	v_subrev_u32_e32 v17, 29, v14
	v_bfe_u32 v13, v1, 2, 5
	v_lshlrev_b32_e32 v1, v17, v1
	v_sub_u32_e32 v14, 30, v14
	v_and_b32_e32 v1, 3, v1
	v_cmp_eq_u32_e32 vcc, 0, v13
	v_cndmask_b32_e32 v13, v13, v14, vcc
	v_cndmask_b32_e32 v1, v5, v1, vcc
	v_mov_b32_e32 v5, 0x37800000
	v_lshlrev_b32_e32 v1, 21, v1
	v_and_b32_e32 v3, 0x80000000, v3
	v_lshl_add_u32 v5, v13, 23, v5
	v_or3_b32 v1, v3, v5, v1
	v_trunc_f32_e32 v1, v1
	s_mov_b32 s6, 0x2f800000
	v_mul_f32_e64 v3, |v1|, s6
	v_floor_f32_e32 v3, v3
	s_mov_b32 s6, 0xcf800000
	v_fma_f32 v5, v3, s6, |v1|
	v_cvt_u32_f32_e32 v5, v5
	v_cvt_u32_f32_e32 v3, v3
	v_ashrrev_i32_e32 v1, 31, v1
	v_xor_b32_e32 v5, v5, v1
	v_xor_b32_e32 v3, v3, v1
	v_sub_co_u32_e32 v13, vcc, v5, v1
	v_subb_co_u32_e32 v14, vcc, v3, v1, vcc
.LBB199_1549:
	s_or_b64 exec, exec, s[4:5]
	s_mov_b64 s[4:5], 0
	s_branch .LBB199_1553
.LBB199_1550:
	s_mov_b64 s[4:5], -1
                                        ; implicit-def: $vgpr13_vgpr14
	s_branch .LBB199_1559
.LBB199_1551:
	s_mov_b64 s[4:5], -1
                                        ; implicit-def: $vgpr13_vgpr14
	s_branch .LBB199_1556
.LBB199_1552:
	s_mov_b64 s[4:5], -1
                                        ; implicit-def: $vgpr13_vgpr14
.LBB199_1553:
	s_and_b64 vcc, exec, s[4:5]
	s_cbranch_vccz .LBB199_1555
; %bb.1554:
	global_load_ubyte v1, v[15:16], off
	s_mov_b32 s4, 0x7f800000
	s_brev_b32 s5, 1
	s_mov_b32 s6, 0x2f800000
	s_mov_b32 s7, 0xcf800000
	s_waitcnt vmcnt(0)
	v_lshlrev_b32_e32 v1, 24, v1
	v_and_b32_e32 v3, 0x7f000000, v1
	v_ffbh_u32_e32 v5, v3
	v_min_u32_e32 v5, 32, v5
	v_sub_u32_e64 v5, v5, 4 clamp
	v_lshlrev_b32_e32 v14, v5, v3
	v_lshlrev_b32_e32 v5, 23, v5
	v_lshrrev_b32_e32 v14, 4, v14
	v_add_u32_e32 v13, 0x1000000, v3
	v_sub_u32_e32 v5, v14, v5
	v_ashrrev_i32_e32 v13, 8, v13
	v_add_u32_e32 v5, 0x3c000000, v5
	v_and_or_b32 v5, v13, s4, v5
	v_cmp_ne_u32_e32 vcc, 0, v3
	v_cndmask_b32_e32 v3, 0, v5, vcc
	v_and_or_b32 v1, v1, s5, v3
	v_trunc_f32_e32 v1, v1
	v_mul_f32_e64 v3, |v1|, s6
	v_floor_f32_e32 v3, v3
	v_fma_f32 v5, v3, s7, |v1|
	v_cvt_u32_f32_e32 v5, v5
	v_cvt_u32_f32_e32 v3, v3
	v_ashrrev_i32_e32 v1, 31, v1
	v_xor_b32_e32 v5, v5, v1
	v_xor_b32_e32 v3, v3, v1
	v_sub_co_u32_e32 v13, vcc, v5, v1
	v_subb_co_u32_e32 v14, vcc, v3, v1, vcc
.LBB199_1555:
	s_mov_b64 s[4:5], 0
.LBB199_1556:
	s_andn2_b64 vcc, exec, s[4:5]
	s_cbranch_vccnz .LBB199_1558
; %bb.1557:
	global_load_ubyte v1, v[15:16], off
	s_movk_i32 s4, 0x7f00
	s_brev_b32 s5, 16
	s_brev_b32 s6, 1
	s_mov_b32 s7, 0x2f800000
	s_mov_b32 s10, 0xcf800000
	s_waitcnt vmcnt(0)
	v_lshlrev_b16_e32 v3, 8, v1
	v_lshlrev_b32_e32 v1, 25, v1
	v_lshrrev_b32_e32 v5, 4, v1
	v_and_or_b32 v13, v3, s4, 0.5
	v_or_b32_e32 v5, 0x70000000, v5
	v_add_f32_e32 v13, -0.5, v13
	v_mul_f32_e32 v5, 0x7800000, v5
	v_cmp_gt_u32_e32 vcc, s5, v1
	v_bfe_i32 v3, v3, 0, 16
	v_cndmask_b32_e32 v1, v5, v13, vcc
	v_and_or_b32 v1, v3, s6, v1
	v_trunc_f32_e32 v1, v1
	v_mul_f32_e64 v3, |v1|, s7
	v_floor_f32_e32 v3, v3
	v_fma_f32 v5, v3, s10, |v1|
	v_cvt_u32_f32_e32 v5, v5
	v_cvt_u32_f32_e32 v3, v3
	v_ashrrev_i32_e32 v1, 31, v1
	v_xor_b32_e32 v5, v5, v1
	v_xor_b32_e32 v3, v3, v1
	v_sub_co_u32_e32 v13, vcc, v5, v1
	v_subb_co_u32_e32 v14, vcc, v3, v1, vcc
.LBB199_1558:
	s_mov_b64 s[4:5], 0
	s_mov_b64 s[6:7], -1
.LBB199_1559:
	s_andn2_b64 vcc, exec, s[4:5]
	s_mov_b64 s[4:5], 0
	s_cbranch_vccnz .LBB199_1568
; %bb.1560:
	s_cmp_gt_i32 s12, 14
	s_cbranch_scc0 .LBB199_1563
; %bb.1561:
	s_cmp_eq_u32 s12, 15
	s_cbranch_scc0 .LBB199_1564
; %bb.1562:
	global_load_ushort v1, v[15:16], off
	s_mov_b32 s0, 0x2f800000
	s_mov_b32 s1, 0xcf800000
	s_mov_b64 s[6:7], -1
	s_waitcnt vmcnt(0)
	v_lshlrev_b32_e32 v1, 16, v1
	v_trunc_f32_e32 v1, v1
	v_mul_f32_e64 v3, |v1|, s0
	v_floor_f32_e32 v3, v3
	v_fma_f32 v5, v3, s1, |v1|
	v_cvt_u32_f32_e32 v5, v5
	v_cvt_u32_f32_e32 v3, v3
	v_ashrrev_i32_e32 v1, 31, v1
	s_mov_b64 s[0:1], 0
	v_xor_b32_e32 v5, v5, v1
	v_xor_b32_e32 v3, v3, v1
	v_sub_co_u32_e32 v13, vcc, v5, v1
	v_subb_co_u32_e32 v14, vcc, v3, v1, vcc
	s_branch .LBB199_1565
.LBB199_1563:
	s_mov_b64 s[10:11], -1
                                        ; implicit-def: $vgpr13_vgpr14
	s_branch .LBB199_1566
.LBB199_1564:
	s_mov_b64 s[0:1], -1
                                        ; implicit-def: $vgpr13_vgpr14
.LBB199_1565:
	s_mov_b64 s[10:11], 0
.LBB199_1566:
	s_and_b64 vcc, exec, s[10:11]
	s_cbranch_vccz .LBB199_1568
; %bb.1567:
	s_cmp_lg_u32 s12, 11
	s_mov_b64 s[4:5], -1
	s_cselect_b64 s[0:1], -1, 0
.LBB199_1568:
	s_and_b64 vcc, exec, s[0:1]
	s_cbranch_vccnz .LBB199_2101
; %bb.1569:
	s_andn2_b64 vcc, exec, s[4:5]
	s_cbranch_vccnz .LBB199_1571
.LBB199_1570:
	global_load_ubyte v1, v[15:16], off
	s_mov_b32 s0, 0
	s_waitcnt vmcnt(1)
	v_mov_b32_e32 v14, s0
	s_mov_b64 s[6:7], -1
	s_waitcnt vmcnt(0)
	v_cmp_ne_u16_e32 vcc, 0, v1
	v_cndmask_b32_e64 v13, 0, 1, vcc
.LBB199_1571:
	s_mov_b64 s[0:1], 0
.LBB199_1572:
	s_and_b64 vcc, exec, s[0:1]
	s_cbranch_vccz .LBB199_1621
; %bb.1573:
	s_and_b32 s4, 0xffff, s14
	s_cmp_lt_i32 s4, 5
	s_cbranch_scc1 .LBB199_1578
; %bb.1574:
	s_cmp_lt_i32 s4, 8
	s_cbranch_scc1 .LBB199_1579
; %bb.1575:
	;; [unrolled: 3-line block ×3, first 2 shown]
	s_cmp_gt_i32 s4, 9
	s_cbranch_scc0 .LBB199_1581
; %bb.1577:
	global_load_dwordx2 v[13:14], v[15:16], off
	s_movk_i32 s0, 0xffe0
	s_waitcnt vmcnt(0)
	v_trunc_f64_e32 v[13:14], v[13:14]
	v_ldexp_f64 v[17:18], v[13:14], s0
	s_mov_b32 s0, 0
	s_mov_b32 s1, 0xc1f00000
	v_floor_f64_e32 v[17:18], v[17:18]
	v_fma_f64 v[19:20], v[17:18], s[0:1], v[13:14]
	v_cvt_i32_f64_e32 v14, v[17:18]
	s_mov_b64 s[0:1], 0
	v_cvt_u32_f64_e32 v13, v[19:20]
	s_branch .LBB199_1582
.LBB199_1578:
	s_mov_b64 s[0:1], -1
                                        ; implicit-def: $vgpr13_vgpr14
	s_branch .LBB199_1600
.LBB199_1579:
	s_mov_b64 s[0:1], -1
                                        ; implicit-def: $vgpr13_vgpr14
	s_branch .LBB199_1588
.LBB199_1580:
	s_mov_b64 s[0:1], -1
                                        ; implicit-def: $vgpr13_vgpr14
	s_branch .LBB199_1585
.LBB199_1581:
	s_mov_b64 s[0:1], -1
                                        ; implicit-def: $vgpr13_vgpr14
.LBB199_1582:
	s_andn2_b64 vcc, exec, s[0:1]
	s_cbranch_vccnz .LBB199_1584
; %bb.1583:
	global_load_dword v1, v[15:16], off
	s_mov_b32 s0, 0x2f800000
	s_mov_b32 s1, 0xcf800000
	s_waitcnt vmcnt(0)
	v_trunc_f32_e32 v1, v1
	v_mul_f32_e64 v3, |v1|, s0
	v_floor_f32_e32 v3, v3
	v_cvt_u32_f32_e32 v5, v3
	v_fma_f32 v3, v3, s1, |v1|
	v_cvt_u32_f32_e32 v3, v3
	v_ashrrev_i32_e32 v1, 31, v1
	v_xor_b32_e32 v5, v5, v1
	v_xor_b32_e32 v3, v3, v1
	v_sub_co_u32_e32 v13, vcc, v3, v1
	v_subb_co_u32_e32 v14, vcc, v5, v1, vcc
.LBB199_1584:
	s_mov_b64 s[0:1], 0
.LBB199_1585:
	s_andn2_b64 vcc, exec, s[0:1]
	s_cbranch_vccnz .LBB199_1587
; %bb.1586:
	global_load_dword v1, v[15:16], off
	s_waitcnt vmcnt(0)
	v_cvt_f32_f16_e32 v1, v1
	v_cvt_i32_f32_e32 v13, v1
	v_ashrrev_i32_e32 v14, 31, v13
.LBB199_1587:
	s_mov_b64 s[0:1], 0
.LBB199_1588:
	s_andn2_b64 vcc, exec, s[0:1]
	s_cbranch_vccnz .LBB199_1599
; %bb.1589:
	s_cmp_lt_i32 s4, 6
	s_cbranch_scc1 .LBB199_1592
; %bb.1590:
	s_cmp_gt_i32 s4, 6
	s_cbranch_scc0 .LBB199_1593
; %bb.1591:
	global_load_dwordx2 v[13:14], v[15:16], off
	s_movk_i32 s0, 0xffe0
	s_waitcnt vmcnt(0)
	v_trunc_f64_e32 v[13:14], v[13:14]
	v_ldexp_f64 v[17:18], v[13:14], s0
	s_mov_b32 s0, 0
	s_mov_b32 s1, 0xc1f00000
	v_floor_f64_e32 v[17:18], v[17:18]
	v_fma_f64 v[19:20], v[17:18], s[0:1], v[13:14]
	v_cvt_i32_f64_e32 v14, v[17:18]
	s_mov_b64 s[0:1], 0
	v_cvt_u32_f64_e32 v13, v[19:20]
	s_branch .LBB199_1594
.LBB199_1592:
	s_mov_b64 s[0:1], -1
                                        ; implicit-def: $vgpr13_vgpr14
	s_branch .LBB199_1597
.LBB199_1593:
	s_mov_b64 s[0:1], -1
                                        ; implicit-def: $vgpr13_vgpr14
.LBB199_1594:
	s_andn2_b64 vcc, exec, s[0:1]
	s_cbranch_vccnz .LBB199_1596
; %bb.1595:
	global_load_dword v1, v[15:16], off
	s_mov_b32 s0, 0x2f800000
	s_mov_b32 s1, 0xcf800000
	s_waitcnt vmcnt(0)
	v_trunc_f32_e32 v1, v1
	v_mul_f32_e64 v3, |v1|, s0
	v_floor_f32_e32 v3, v3
	v_cvt_u32_f32_e32 v5, v3
	v_fma_f32 v3, v3, s1, |v1|
	v_cvt_u32_f32_e32 v3, v3
	v_ashrrev_i32_e32 v1, 31, v1
	v_xor_b32_e32 v5, v5, v1
	v_xor_b32_e32 v3, v3, v1
	v_sub_co_u32_e32 v13, vcc, v3, v1
	v_subb_co_u32_e32 v14, vcc, v5, v1, vcc
.LBB199_1596:
	s_mov_b64 s[0:1], 0
.LBB199_1597:
	s_andn2_b64 vcc, exec, s[0:1]
	s_cbranch_vccnz .LBB199_1599
; %bb.1598:
	global_load_ushort v1, v[15:16], off
	s_waitcnt vmcnt(0)
	v_cvt_f32_f16_e32 v1, v1
	v_cvt_i32_f32_e32 v13, v1
	v_ashrrev_i32_e32 v14, 31, v13
.LBB199_1599:
	s_mov_b64 s[0:1], 0
.LBB199_1600:
	s_andn2_b64 vcc, exec, s[0:1]
	s_cbranch_vccnz .LBB199_1620
; %bb.1601:
	s_cmp_lt_i32 s4, 2
	s_cbranch_scc1 .LBB199_1605
; %bb.1602:
	s_cmp_lt_i32 s4, 3
	s_cbranch_scc1 .LBB199_1606
; %bb.1603:
	s_cmp_gt_i32 s4, 3
	s_cbranch_scc0 .LBB199_1607
; %bb.1604:
	global_load_dwordx2 v[13:14], v[15:16], off
	s_mov_b64 s[0:1], 0
	s_branch .LBB199_1608
.LBB199_1605:
	s_mov_b64 s[0:1], -1
                                        ; implicit-def: $vgpr13_vgpr14
	s_branch .LBB199_1614
.LBB199_1606:
	s_mov_b64 s[0:1], -1
                                        ; implicit-def: $vgpr13_vgpr14
	s_branch .LBB199_1611
.LBB199_1607:
	s_mov_b64 s[0:1], -1
                                        ; implicit-def: $vgpr13_vgpr14
.LBB199_1608:
	s_andn2_b64 vcc, exec, s[0:1]
	s_cbranch_vccnz .LBB199_1610
; %bb.1609:
	global_load_dword v13, v[15:16], off
	s_waitcnt vmcnt(0)
	v_ashrrev_i32_e32 v14, 31, v13
.LBB199_1610:
	s_mov_b64 s[0:1], 0
.LBB199_1611:
	s_andn2_b64 vcc, exec, s[0:1]
	s_cbranch_vccnz .LBB199_1613
; %bb.1612:
	global_load_ushort v1, v[15:16], off
	s_waitcnt vmcnt(0)
	v_bfe_i32 v13, v1, 0, 16
	v_ashrrev_i32_e32 v14, 31, v13
.LBB199_1613:
	s_mov_b64 s[0:1], 0
.LBB199_1614:
	s_andn2_b64 vcc, exec, s[0:1]
	s_cbranch_vccnz .LBB199_1620
; %bb.1615:
	s_cmp_gt_i32 s4, 0
	s_cbranch_scc0 .LBB199_1617
; %bb.1616:
	global_load_sbyte v1, v[15:16], off
	s_mov_b64 s[0:1], 0
	s_waitcnt vmcnt(0)
	v_bfe_i32 v13, v1, 0, 16
	v_ashrrev_i32_e32 v14, 31, v13
	s_branch .LBB199_1618
.LBB199_1617:
	s_mov_b64 s[0:1], -1
                                        ; implicit-def: $vgpr13_vgpr14
.LBB199_1618:
	s_andn2_b64 vcc, exec, s[0:1]
	s_cbranch_vccnz .LBB199_1620
; %bb.1619:
	global_load_ubyte v1, v[15:16], off
	s_mov_b32 s0, 0
	s_waitcnt vmcnt(1)
	v_mov_b32_e32 v14, s0
	s_waitcnt vmcnt(0)
	v_and_b32_e32 v13, 0xffff, v1
.LBB199_1620:
	s_mov_b64 s[6:7], -1
.LBB199_1621:
	s_andn2_b64 vcc, exec, s[6:7]
	s_cbranch_vccnz .LBB199_2055
; %bb.1622:
	s_load_dword s0, s[34:35], 0x168
	s_load_dwordx2 s[4:5], s[34:35], 0x160
	s_waitcnt vmcnt(0)
	v_cmp_gt_u64_e32 vcc, 63, v[7:8]
	v_cndmask_b32_e32 v1, 63, v7, vcc
	s_waitcnt lgkmcnt(0)
	s_and_b32 s16, s0, 0xff
	v_ashrrev_i64 v[7:8], v1, s[4:5]
	v_mov_b32_e32 v1, s9
	v_add_co_u32_e32 v5, vcc, s8, v6
	s_cmp_lt_i32 s16, 11
	v_addc_co_u32_e32 v6, vcc, 0, v1, vcc
	s_cbranch_scc1 .LBB199_1700
; %bb.1623:
	s_and_b32 s17, 0xffff, s16
	s_mov_b64 s[12:13], -1
	s_mov_b64 s[6:7], 0
	s_cmp_gt_i32 s17, 25
	s_mov_b64 s[10:11], 0
	s_mov_b64 s[0:1], 0
	s_cbranch_scc0 .LBB199_1656
; %bb.1624:
	s_cmp_gt_i32 s17, 28
	s_cbranch_scc0 .LBB199_1639
; %bb.1625:
	s_cmp_gt_i32 s17, 43
	;; [unrolled: 3-line block ×3, first 2 shown]
	s_cbranch_scc0 .LBB199_1629
; %bb.1627:
	s_mov_b64 s[0:1], -1
	s_mov_b64 s[12:13], 0
	s_cmp_eq_u32 s17, 46
	s_cbranch_scc0 .LBB199_1629
; %bb.1628:
	v_xor_b32_e32 v3, v7, v8
	v_ffbh_i32_e32 v1, v8
	v_ashrrev_i32_e32 v3, 31, v3
	v_add_u32_e32 v1, -1, v1
	v_add_u32_e32 v3, 32, v3
	v_min_u32_e32 v1, v1, v3
	v_lshlrev_b64 v[15:16], v1, v[7:8]
	v_sub_u32_e32 v1, 32, v1
	v_min_u32_e32 v3, 1, v15
	v_or_b32_e32 v3, v16, v3
	v_cvt_f32_i32_e32 v3, v3
	s_movk_i32 s0, 0x7fff
	s_mov_b64 s[10:11], -1
	v_ldexp_f32 v1, v3, v1
	v_bfe_u32 v3, v1, 16, 1
	v_add3_u32 v1, v1, v3, s0
	v_lshrrev_b32_e32 v1, 16, v1
	global_store_dword v[5:6], v1, off
	s_mov_b64 s[0:1], 0
.LBB199_1629:
	s_and_b64 vcc, exec, s[12:13]
	s_cbranch_vccz .LBB199_1634
; %bb.1630:
	s_cmp_eq_u32 s17, 44
	s_mov_b64 s[0:1], -1
	s_cbranch_scc0 .LBB199_1634
; %bb.1631:
	v_xor_b32_e32 v3, v7, v8
	v_ffbh_i32_e32 v1, v8
	v_ashrrev_i32_e32 v3, 31, v3
	v_add_u32_e32 v1, -1, v1
	v_add_u32_e32 v3, 32, v3
	v_min_u32_e32 v1, v1, v3
	v_lshlrev_b64 v[15:16], v1, v[7:8]
	v_sub_u32_e32 v1, 32, v1
	v_min_u32_e32 v3, 1, v15
	v_or_b32_e32 v3, v16, v3
	v_cvt_f32_i32_e32 v3, v3
	s_movk_i32 s0, 0xff
	v_mov_b32_e32 v15, 0xff
	v_ldexp_f32 v1, v3, v1
	v_bfe_u32 v3, v1, 23, 8
	v_cmp_ne_u32_e32 vcc, s0, v3
	s_and_saveexec_b64 s[10:11], vcc
; %bb.1632:
	s_mov_b32 s0, 0x3fffff
	v_lshrrev_b32_e32 v15, 23, v1
	v_and_b32_e32 v16, 0x400000, v1
	v_and_or_b32 v1, v1, s0, v3
	v_cmp_ne_u32_e32 vcc, 0, v16
	v_cmp_ne_u32_e64 s[0:1], 0, v1
	s_and_b64 s[0:1], vcc, s[0:1]
	v_cndmask_b32_e64 v1, 0, 1, s[0:1]
	v_add_u32_e32 v15, v15, v1
; %bb.1633:
	s_or_b64 exec, exec, s[10:11]
	s_mov_b64 s[0:1], 0
	s_mov_b64 s[10:11], -1
	global_store_byte v[5:6], v15, off
.LBB199_1634:
	s_mov_b64 s[12:13], 0
.LBB199_1635:
	s_and_b64 vcc, exec, s[12:13]
	s_cbranch_vccz .LBB199_1638
; %bb.1636:
	s_cmp_eq_u32 s17, 29
	s_mov_b64 s[0:1], -1
	s_cbranch_scc0 .LBB199_1638
; %bb.1637:
	global_store_dwordx2 v[5:6], v[7:8], off
	s_mov_b64 s[0:1], 0
	s_mov_b64 s[10:11], -1
.LBB199_1638:
	s_mov_b64 s[12:13], 0
.LBB199_1639:
	s_and_b64 vcc, exec, s[12:13]
	s_cbranch_vccz .LBB199_1655
; %bb.1640:
	s_cmp_lt_i32 s17, 27
	s_mov_b64 s[10:11], -1
	s_cbranch_scc1 .LBB199_1646
; %bb.1641:
	s_cmp_gt_i32 s17, 27
	s_cbranch_scc0 .LBB199_1643
; %bb.1642:
	s_mov_b64 s[10:11], 0
	global_store_dword v[5:6], v7, off
.LBB199_1643:
	s_andn2_b64 vcc, exec, s[10:11]
	s_cbranch_vccnz .LBB199_1645
; %bb.1644:
	global_store_short v[5:6], v7, off
.LBB199_1645:
	s_mov_b64 s[10:11], 0
.LBB199_1646:
	s_andn2_b64 vcc, exec, s[10:11]
	s_cbranch_vccnz .LBB199_1654
; %bb.1647:
	v_xor_b32_e32 v3, v7, v8
	v_ffbh_i32_e32 v1, v8
	v_ashrrev_i32_e32 v3, 31, v3
	v_add_u32_e32 v1, -1, v1
	v_add_u32_e32 v3, 32, v3
	v_min_u32_e32 v1, v1, v3
	v_lshlrev_b64 v[15:16], v1, v[7:8]
	v_sub_u32_e32 v1, 32, v1
	v_min_u32_e32 v3, 1, v15
	v_or_b32_e32 v3, v16, v3
	v_cvt_f32_i32_e32 v3, v3
	s_mov_b32 s10, 0x43800000
	v_mov_b32_e32 v15, 0x80
	v_ldexp_f32 v1, v3, v1
	v_and_b32_e32 v3, 0x7fffffff, v1
	v_cmp_gt_u32_e32 vcc, s10, v3
	s_and_saveexec_b64 s[10:11], vcc
	s_cbranch_execz .LBB199_1653
; %bb.1648:
	s_mov_b32 s12, 0x3bffffff
	v_cmp_lt_u32_e32 vcc, s12, v3
	s_mov_b64 s[12:13], 0
                                        ; implicit-def: $vgpr3
	s_and_saveexec_b64 s[14:15], vcc
	s_xor_b64 s[14:15], exec, s[14:15]
	s_cbranch_execz .LBB199_2102
; %bb.1649:
	v_bfe_u32 v3, v1, 20, 1
	s_mov_b32 s18, 0x487ffff
	v_add3_u32 v3, v1, v3, s18
	s_mov_b64 s[12:13], exec
	v_lshrrev_b32_e32 v3, 20, v3
	s_andn2_saveexec_b64 s[14:15], s[14:15]
	s_cbranch_execnz .LBB199_2103
.LBB199_1650:
	s_or_b64 exec, exec, s[14:15]
	v_mov_b32_e32 v15, 0
	s_and_saveexec_b64 s[14:15], s[12:13]
.LBB199_1651:
	v_lshrrev_b32_e32 v1, 24, v1
	s_movk_i32 s12, 0x80
	v_and_or_b32 v15, v1, s12, v3
.LBB199_1652:
	s_or_b64 exec, exec, s[14:15]
.LBB199_1653:
	s_or_b64 exec, exec, s[10:11]
	global_store_byte v[5:6], v15, off
.LBB199_1654:
	s_mov_b64 s[10:11], -1
.LBB199_1655:
	s_mov_b64 s[12:13], 0
.LBB199_1656:
	s_and_b64 vcc, exec, s[12:13]
	s_cbranch_vccz .LBB199_1696
; %bb.1657:
	s_cmp_gt_i32 s17, 22
	s_mov_b64 s[6:7], -1
	s_cbranch_scc0 .LBB199_1689
; %bb.1658:
	s_cmp_lt_i32 s17, 24
	s_cbranch_scc1 .LBB199_1678
; %bb.1659:
	s_cmp_gt_i32 s17, 24
	s_cbranch_scc0 .LBB199_1667
; %bb.1660:
	v_xor_b32_e32 v3, v7, v8
	v_ffbh_i32_e32 v1, v8
	v_ashrrev_i32_e32 v3, 31, v3
	v_add_u32_e32 v1, -1, v1
	v_add_u32_e32 v3, 32, v3
	v_min_u32_e32 v1, v1, v3
	v_lshlrev_b64 v[15:16], v1, v[7:8]
	v_sub_u32_e32 v1, 32, v1
	v_min_u32_e32 v3, 1, v15
	v_or_b32_e32 v3, v16, v3
	v_cvt_f32_i32_e32 v3, v3
	s_mov_b32 s6, 0x47800000
	v_mov_b32_e32 v15, 0x80
	v_ldexp_f32 v1, v3, v1
	v_and_b32_e32 v3, 0x7fffffff, v1
	v_cmp_gt_u32_e32 vcc, s6, v3
	s_and_saveexec_b64 s[6:7], vcc
	s_cbranch_execz .LBB199_1666
; %bb.1661:
	s_mov_b32 s10, 0x37ffffff
	v_cmp_lt_u32_e32 vcc, s10, v3
	s_mov_b64 s[10:11], 0
                                        ; implicit-def: $vgpr3
	s_and_saveexec_b64 s[12:13], vcc
	s_xor_b64 s[12:13], exec, s[12:13]
	s_cbranch_execz .LBB199_2105
; %bb.1662:
	v_bfe_u32 v3, v1, 21, 1
	s_mov_b32 s14, 0x88fffff
	v_add3_u32 v3, v1, v3, s14
	s_mov_b64 s[10:11], exec
	v_lshrrev_b32_e32 v3, 21, v3
	s_andn2_saveexec_b64 s[12:13], s[12:13]
	s_cbranch_execnz .LBB199_2106
.LBB199_1663:
	s_or_b64 exec, exec, s[12:13]
	v_mov_b32_e32 v15, 0
	s_and_saveexec_b64 s[12:13], s[10:11]
.LBB199_1664:
	v_lshrrev_b32_e32 v1, 24, v1
	s_movk_i32 s10, 0x80
	v_and_or_b32 v15, v1, s10, v3
.LBB199_1665:
	s_or_b64 exec, exec, s[12:13]
.LBB199_1666:
	s_or_b64 exec, exec, s[6:7]
	s_mov_b64 s[6:7], 0
	global_store_byte v[5:6], v15, off
.LBB199_1667:
	s_and_b64 vcc, exec, s[6:7]
	s_cbranch_vccz .LBB199_1677
; %bb.1668:
	v_xor_b32_e32 v3, v7, v8
	v_ffbh_i32_e32 v1, v8
	v_ashrrev_i32_e32 v3, 31, v3
	v_add_u32_e32 v1, -1, v1
	v_add_u32_e32 v3, 32, v3
	v_min_u32_e32 v1, v1, v3
	v_lshlrev_b64 v[15:16], v1, v[7:8]
	v_sub_u32_e32 v1, 32, v1
	v_min_u32_e32 v3, 1, v15
	v_or_b32_e32 v3, v16, v3
	v_cvt_f32_i32_e32 v3, v3
	s_mov_b32 s6, 0x43f00000
	v_ldexp_f32 v1, v3, v1
	v_and_b32_e32 v15, 0x7fffffff, v1
	v_cmp_gt_u32_e32 vcc, s6, v15
                                        ; implicit-def: $vgpr3
	s_and_saveexec_b64 s[6:7], vcc
	s_xor_b64 s[6:7], exec, s[6:7]
	s_cbranch_execz .LBB199_1674
; %bb.1669:
	s_mov_b32 s10, 0x3c7fffff
	v_cmp_lt_u32_e32 vcc, s10, v15
                                        ; implicit-def: $vgpr3
	s_and_saveexec_b64 s[10:11], vcc
	s_xor_b64 s[10:11], exec, s[10:11]
; %bb.1670:
	v_bfe_u32 v3, v1, 20, 1
	s_mov_b32 s12, 0x407ffff
	v_add3_u32 v3, v1, v3, s12
	v_lshrrev_b32_e32 v15, 20, v3
	v_and_b32_e32 v3, 0xff00000, v3
	s_mov_b32 s12, 0x7f00000
	v_mov_b32_e32 v16, 0x7e
	v_cmp_ne_u32_e32 vcc, s12, v3
	v_cndmask_b32_e32 v3, v16, v15, vcc
; %bb.1671:
	s_andn2_saveexec_b64 s[10:11], s[10:11]
; %bb.1672:
	s_mov_b32 s12, 0x46800000
	v_add_f32_e64 v3, |v1|, s12
; %bb.1673:
	s_or_b64 exec, exec, s[10:11]
                                        ; implicit-def: $vgpr15
.LBB199_1674:
	s_andn2_saveexec_b64 s[6:7], s[6:7]
; %bb.1675:
	s_mov_b32 s10, 0x7f800000
	v_mov_b32_e32 v3, 0x7e
	v_mov_b32_e32 v16, 0x7f
	v_cmp_lt_u32_e32 vcc, s10, v15
	v_cndmask_b32_e32 v3, v3, v16, vcc
; %bb.1676:
	s_or_b64 exec, exec, s[6:7]
	v_lshrrev_b32_e32 v1, 24, v1
	s_movk_i32 s6, 0x80
	v_and_or_b32 v1, v1, s6, v3
	global_store_byte v[5:6], v1, off
.LBB199_1677:
	s_mov_b64 s[6:7], 0
.LBB199_1678:
	s_andn2_b64 vcc, exec, s[6:7]
	s_cbranch_vccnz .LBB199_1688
; %bb.1679:
	v_xor_b32_e32 v3, v7, v8
	v_ffbh_i32_e32 v1, v8
	v_ashrrev_i32_e32 v3, 31, v3
	v_add_u32_e32 v1, -1, v1
	v_add_u32_e32 v3, 32, v3
	v_min_u32_e32 v1, v1, v3
	v_lshlrev_b64 v[15:16], v1, v[7:8]
	v_sub_u32_e32 v1, 32, v1
	v_min_u32_e32 v3, 1, v15
	v_or_b32_e32 v3, v16, v3
	v_cvt_f32_i32_e32 v3, v3
	s_mov_b32 s6, 0x47800000
	v_ldexp_f32 v1, v3, v1
	v_and_b32_e32 v15, 0x7fffffff, v1
	v_cmp_gt_u32_e32 vcc, s6, v15
                                        ; implicit-def: $vgpr3
	s_and_saveexec_b64 s[6:7], vcc
	s_xor_b64 s[6:7], exec, s[6:7]
	s_cbranch_execz .LBB199_1685
; %bb.1680:
	s_mov_b32 s10, 0x387fffff
	v_cmp_lt_u32_e32 vcc, s10, v15
                                        ; implicit-def: $vgpr3
	s_and_saveexec_b64 s[10:11], vcc
	s_xor_b64 s[10:11], exec, s[10:11]
; %bb.1681:
	v_bfe_u32 v3, v1, 21, 1
	s_mov_b32 s12, 0x80fffff
	v_add3_u32 v3, v1, v3, s12
	v_lshrrev_b32_e32 v3, 21, v3
; %bb.1682:
	s_andn2_saveexec_b64 s[10:11], s[10:11]
; %bb.1683:
	s_mov_b32 s12, 0x43000000
	v_add_f32_e64 v3, |v1|, s12
; %bb.1684:
	s_or_b64 exec, exec, s[10:11]
                                        ; implicit-def: $vgpr15
.LBB199_1685:
	s_andn2_saveexec_b64 s[6:7], s[6:7]
; %bb.1686:
	s_mov_b32 s10, 0x7f800000
	v_mov_b32_e32 v3, 0x7c
	v_mov_b32_e32 v16, 0x7f
	v_cmp_lt_u32_e32 vcc, s10, v15
	v_cndmask_b32_e32 v3, v3, v16, vcc
; %bb.1687:
	s_or_b64 exec, exec, s[6:7]
	v_lshrrev_b32_e32 v1, 24, v1
	s_movk_i32 s6, 0x80
	v_and_or_b32 v1, v1, s6, v3
	global_store_byte v[5:6], v1, off
.LBB199_1688:
	s_mov_b64 s[6:7], 0
	s_mov_b64 s[10:11], -1
.LBB199_1689:
	s_andn2_b64 vcc, exec, s[6:7]
	s_mov_b64 s[6:7], 0
	s_cbranch_vccnz .LBB199_1696
; %bb.1690:
	s_cmp_gt_i32 s17, 14
	s_mov_b64 s[12:13], -1
	s_cbranch_scc0 .LBB199_1694
; %bb.1691:
	s_cmp_eq_u32 s17, 15
	s_mov_b64 s[0:1], -1
	s_cbranch_scc0 .LBB199_1693
; %bb.1692:
	v_xor_b32_e32 v3, v7, v8
	v_ffbh_i32_e32 v1, v8
	v_ashrrev_i32_e32 v3, 31, v3
	v_add_u32_e32 v1, -1, v1
	v_add_u32_e32 v3, 32, v3
	v_min_u32_e32 v1, v1, v3
	v_lshlrev_b64 v[15:16], v1, v[7:8]
	v_sub_u32_e32 v1, 32, v1
	v_min_u32_e32 v3, 1, v15
	v_or_b32_e32 v3, v16, v3
	v_cvt_f32_i32_e32 v3, v3
	s_movk_i32 s0, 0x7fff
	s_mov_b64 s[10:11], -1
	v_ldexp_f32 v1, v3, v1
	v_bfe_u32 v3, v1, 16, 1
	v_add3_u32 v1, v1, v3, s0
	global_store_short_d16_hi v[5:6], v1, off
	s_mov_b64 s[0:1], 0
.LBB199_1693:
	s_mov_b64 s[12:13], 0
.LBB199_1694:
	s_and_b64 vcc, exec, s[12:13]
	s_cbranch_vccz .LBB199_1696
; %bb.1695:
	s_cmp_lg_u32 s17, 11
	s_mov_b64 s[6:7], -1
	s_cselect_b64 s[0:1], -1, 0
.LBB199_1696:
	s_and_b64 vcc, exec, s[0:1]
	s_cbranch_vccnz .LBB199_2104
; %bb.1697:
	s_andn2_b64 vcc, exec, s[6:7]
	s_cbranch_vccnz .LBB199_1699
.LBB199_1698:
	v_cmp_ne_u64_e32 vcc, 0, v[7:8]
	s_mov_b64 s[10:11], -1
	v_cndmask_b32_e64 v1, 0, 1, vcc
	global_store_byte v[5:6], v1, off
.LBB199_1699:
	s_mov_b64 s[0:1], 0
	s_branch .LBB199_1701
.LBB199_1700:
	s_mov_b64 s[0:1], -1
	s_mov_b64 s[10:11], 0
.LBB199_1701:
	s_and_b64 vcc, exec, s[0:1]
	s_cbranch_vccz .LBB199_1740
; %bb.1702:
	s_and_b32 s6, 0xffff, s16
	s_cmp_lt_i32 s6, 5
	s_mov_b64 s[0:1], -1
	s_cbranch_scc1 .LBB199_1723
; %bb.1703:
	s_cmp_lt_i32 s6, 8
	s_cbranch_scc1 .LBB199_1713
; %bb.1704:
	s_cmp_lt_i32 s6, 9
	s_cbranch_scc1 .LBB199_1710
; %bb.1705:
	s_cmp_gt_i32 s6, 9
	s_cbranch_scc0 .LBB199_1707
; %bb.1706:
	v_cvt_f64_i32_e32 v[15:16], v8
	v_cvt_f64_u32_e32 v[17:18], v7
	s_mov_b64 s[0:1], 0
	v_ldexp_f64 v[15:16], v[15:16], 32
	v_add_f64 v[15:16], v[15:16], v[17:18]
	v_mov_b32_e32 v17, 0
	v_mov_b32_e32 v18, v17
	global_store_dwordx4 v[5:6], v[15:18], off
.LBB199_1707:
	s_andn2_b64 vcc, exec, s[0:1]
	s_cbranch_vccnz .LBB199_1709
; %bb.1708:
	v_xor_b32_e32 v3, v7, v8
	v_ffbh_i32_e32 v1, v8
	v_ashrrev_i32_e32 v3, 31, v3
	v_add_u32_e32 v1, -1, v1
	v_add_u32_e32 v3, 32, v3
	v_min_u32_e32 v1, v1, v3
	v_lshlrev_b64 v[15:16], v1, v[7:8]
	v_sub_u32_e32 v1, 32, v1
	v_min_u32_e32 v3, 1, v15
	v_or_b32_e32 v3, v16, v3
	v_cvt_f32_i32_e32 v3, v3
	v_mov_b32_e32 v16, 0
	v_ldexp_f32 v15, v3, v1
	global_store_dwordx2 v[5:6], v[15:16], off
.LBB199_1709:
	s_mov_b64 s[0:1], 0
.LBB199_1710:
	s_andn2_b64 vcc, exec, s[0:1]
	s_cbranch_vccnz .LBB199_1712
; %bb.1711:
	v_xor_b32_e32 v3, v7, v8
	v_ffbh_i32_e32 v1, v8
	v_ashrrev_i32_e32 v3, 31, v3
	v_add_u32_e32 v1, -1, v1
	v_add_u32_e32 v3, 32, v3
	v_min_u32_e32 v1, v1, v3
	v_lshlrev_b64 v[15:16], v1, v[7:8]
	v_sub_u32_e32 v1, 32, v1
	v_min_u32_e32 v3, 1, v15
	v_or_b32_e32 v3, v16, v3
	v_cvt_f32_i32_e32 v3, v3
	v_ldexp_f32 v1, v3, v1
	v_cvt_f16_f32_e32 v1, v1
	global_store_dword v[5:6], v1, off
.LBB199_1712:
	s_mov_b64 s[0:1], 0
.LBB199_1713:
	s_andn2_b64 vcc, exec, s[0:1]
	s_cbranch_vccnz .LBB199_1722
; %bb.1714:
	s_cmp_lt_i32 s6, 6
	s_mov_b64 s[0:1], -1
	s_cbranch_scc1 .LBB199_1720
; %bb.1715:
	s_cmp_gt_i32 s6, 6
	s_cbranch_scc0 .LBB199_1717
; %bb.1716:
	v_cvt_f64_i32_e32 v[15:16], v8
	v_cvt_f64_u32_e32 v[17:18], v7
	s_mov_b64 s[0:1], 0
	v_ldexp_f64 v[15:16], v[15:16], 32
	v_add_f64 v[15:16], v[15:16], v[17:18]
	global_store_dwordx2 v[5:6], v[15:16], off
.LBB199_1717:
	s_andn2_b64 vcc, exec, s[0:1]
	s_cbranch_vccnz .LBB199_1719
; %bb.1718:
	v_xor_b32_e32 v3, v7, v8
	v_ffbh_i32_e32 v1, v8
	v_ashrrev_i32_e32 v3, 31, v3
	v_add_u32_e32 v1, -1, v1
	v_add_u32_e32 v3, 32, v3
	v_min_u32_e32 v1, v1, v3
	v_lshlrev_b64 v[15:16], v1, v[7:8]
	v_sub_u32_e32 v1, 32, v1
	v_min_u32_e32 v3, 1, v15
	v_or_b32_e32 v3, v16, v3
	v_cvt_f32_i32_e32 v3, v3
	v_ldexp_f32 v1, v3, v1
	global_store_dword v[5:6], v1, off
.LBB199_1719:
	s_mov_b64 s[0:1], 0
.LBB199_1720:
	s_andn2_b64 vcc, exec, s[0:1]
	s_cbranch_vccnz .LBB199_1722
; %bb.1721:
	v_xor_b32_e32 v3, v7, v8
	v_ffbh_i32_e32 v1, v8
	v_ashrrev_i32_e32 v3, 31, v3
	v_add_u32_e32 v1, -1, v1
	v_add_u32_e32 v3, 32, v3
	v_min_u32_e32 v1, v1, v3
	v_lshlrev_b64 v[15:16], v1, v[7:8]
	v_sub_u32_e32 v1, 32, v1
	v_min_u32_e32 v3, 1, v15
	v_or_b32_e32 v3, v16, v3
	v_cvt_f32_i32_e32 v3, v3
	v_ldexp_f32 v1, v3, v1
	v_cvt_f16_f32_e32 v1, v1
	global_store_short v[5:6], v1, off
.LBB199_1722:
	s_mov_b64 s[0:1], 0
.LBB199_1723:
	s_andn2_b64 vcc, exec, s[0:1]
	s_cbranch_vccnz .LBB199_1739
; %bb.1724:
	s_cmp_lt_i32 s6, 2
	s_mov_b64 s[0:1], -1
	s_cbranch_scc1 .LBB199_1734
; %bb.1725:
	s_cmp_lt_i32 s6, 3
	s_cbranch_scc1 .LBB199_1731
; %bb.1726:
	s_cmp_gt_i32 s6, 3
	s_cbranch_scc0 .LBB199_1728
; %bb.1727:
	global_store_dwordx2 v[5:6], v[7:8], off
	s_mov_b64 s[0:1], 0
.LBB199_1728:
	s_andn2_b64 vcc, exec, s[0:1]
	s_cbranch_vccnz .LBB199_1730
; %bb.1729:
	global_store_dword v[5:6], v7, off
.LBB199_1730:
	s_mov_b64 s[0:1], 0
.LBB199_1731:
	s_andn2_b64 vcc, exec, s[0:1]
	s_cbranch_vccnz .LBB199_1733
; %bb.1732:
	global_store_short v[5:6], v7, off
.LBB199_1733:
	s_mov_b64 s[0:1], 0
.LBB199_1734:
	s_andn2_b64 vcc, exec, s[0:1]
	s_cbranch_vccnz .LBB199_1739
; %bb.1735:
	s_cmp_gt_i32 s6, 0
	s_mov_b64 s[0:1], -1
	s_cbranch_scc0 .LBB199_1737
; %bb.1736:
	global_store_byte v[5:6], v7, off
	s_mov_b64 s[0:1], 0
.LBB199_1737:
	s_andn2_b64 vcc, exec, s[0:1]
	s_cbranch_vccnz .LBB199_1739
; %bb.1738:
	global_store_byte v[5:6], v7, off
.LBB199_1739:
	s_mov_b64 s[10:11], -1
.LBB199_1740:
	s_andn2_b64 vcc, exec, s[10:11]
	s_cbranch_vccnz .LBB199_2055
; %bb.1741:
	v_cmp_gt_u64_e32 vcc, 63, v[9:10]
	s_and_b32 s17, 0xffff, s16
	v_cndmask_b32_e32 v1, 63, v9, vcc
	v_ashrrev_i64 v[5:6], v1, s[4:5]
	v_mov_b32_e32 v1, s9
	v_add_co_u32_e32 v3, vcc, s8, v4
	s_cmp_lt_i32 s17, 11
	v_addc_co_u32_e32 v4, vcc, 0, v1, vcc
	s_cbranch_scc1 .LBB199_1819
; %bb.1742:
	s_mov_b64 s[12:13], -1
	s_mov_b64 s[6:7], 0
	s_cmp_gt_i32 s17, 25
	s_mov_b64 s[10:11], 0
	s_mov_b64 s[0:1], 0
	s_cbranch_scc0 .LBB199_1775
; %bb.1743:
	s_cmp_gt_i32 s17, 28
	s_cbranch_scc0 .LBB199_1758
; %bb.1744:
	s_cmp_gt_i32 s17, 43
	s_cbranch_scc0 .LBB199_1754
; %bb.1745:
	s_cmp_gt_i32 s17, 45
	s_cbranch_scc0 .LBB199_1748
; %bb.1746:
	s_mov_b64 s[0:1], -1
	s_mov_b64 s[12:13], 0
	s_cmp_eq_u32 s17, 46
	s_cbranch_scc0 .LBB199_1748
; %bb.1747:
	v_xor_b32_e32 v7, v5, v6
	v_ffbh_i32_e32 v1, v6
	v_ashrrev_i32_e32 v7, 31, v7
	v_add_u32_e32 v1, -1, v1
	v_add_u32_e32 v7, 32, v7
	v_min_u32_e32 v1, v1, v7
	v_lshlrev_b64 v[7:8], v1, v[5:6]
	v_sub_u32_e32 v1, 32, v1
	v_min_u32_e32 v7, 1, v7
	v_or_b32_e32 v7, v8, v7
	v_cvt_f32_i32_e32 v7, v7
	s_movk_i32 s0, 0x7fff
	s_mov_b64 s[10:11], -1
	v_ldexp_f32 v1, v7, v1
	v_bfe_u32 v7, v1, 16, 1
	v_add3_u32 v1, v1, v7, s0
	v_lshrrev_b32_e32 v1, 16, v1
	global_store_dword v[3:4], v1, off
	s_mov_b64 s[0:1], 0
.LBB199_1748:
	s_and_b64 vcc, exec, s[12:13]
	s_cbranch_vccz .LBB199_1753
; %bb.1749:
	s_cmp_eq_u32 s17, 44
	s_mov_b64 s[0:1], -1
	s_cbranch_scc0 .LBB199_1753
; %bb.1750:
	v_xor_b32_e32 v7, v5, v6
	v_ffbh_i32_e32 v1, v6
	v_ashrrev_i32_e32 v7, 31, v7
	v_add_u32_e32 v1, -1, v1
	v_add_u32_e32 v7, 32, v7
	v_min_u32_e32 v1, v1, v7
	v_lshlrev_b64 v[7:8], v1, v[5:6]
	v_sub_u32_e32 v1, 32, v1
	v_min_u32_e32 v7, 1, v7
	v_or_b32_e32 v7, v8, v7
	v_cvt_f32_i32_e32 v7, v7
	s_movk_i32 s0, 0xff
	v_mov_b32_e32 v8, 0xff
	v_ldexp_f32 v1, v7, v1
	v_bfe_u32 v7, v1, 23, 8
	v_cmp_ne_u32_e32 vcc, s0, v7
	s_and_saveexec_b64 s[10:11], vcc
; %bb.1751:
	s_mov_b32 s0, 0x3fffff
	v_lshrrev_b32_e32 v8, 23, v1
	v_and_b32_e32 v9, 0x400000, v1
	v_and_or_b32 v1, v1, s0, v7
	v_cmp_ne_u32_e32 vcc, 0, v9
	v_cmp_ne_u32_e64 s[0:1], 0, v1
	s_and_b64 s[0:1], vcc, s[0:1]
	v_cndmask_b32_e64 v1, 0, 1, s[0:1]
	v_add_u32_e32 v8, v8, v1
; %bb.1752:
	s_or_b64 exec, exec, s[10:11]
	s_mov_b64 s[0:1], 0
	s_mov_b64 s[10:11], -1
	global_store_byte v[3:4], v8, off
.LBB199_1753:
	s_mov_b64 s[12:13], 0
.LBB199_1754:
	s_and_b64 vcc, exec, s[12:13]
	s_cbranch_vccz .LBB199_1757
; %bb.1755:
	s_cmp_eq_u32 s17, 29
	s_mov_b64 s[0:1], -1
	s_cbranch_scc0 .LBB199_1757
; %bb.1756:
	global_store_dwordx2 v[3:4], v[5:6], off
	s_mov_b64 s[0:1], 0
	s_mov_b64 s[10:11], -1
.LBB199_1757:
	s_mov_b64 s[12:13], 0
.LBB199_1758:
	s_and_b64 vcc, exec, s[12:13]
	s_cbranch_vccz .LBB199_1774
; %bb.1759:
	s_cmp_lt_i32 s17, 27
	s_mov_b64 s[10:11], -1
	s_cbranch_scc1 .LBB199_1765
; %bb.1760:
	s_cmp_gt_i32 s17, 27
	s_cbranch_scc0 .LBB199_1762
; %bb.1761:
	s_mov_b64 s[10:11], 0
	global_store_dword v[3:4], v5, off
.LBB199_1762:
	s_andn2_b64 vcc, exec, s[10:11]
	s_cbranch_vccnz .LBB199_1764
; %bb.1763:
	global_store_short v[3:4], v5, off
.LBB199_1764:
	s_mov_b64 s[10:11], 0
.LBB199_1765:
	s_andn2_b64 vcc, exec, s[10:11]
	s_cbranch_vccnz .LBB199_1773
; %bb.1766:
	v_xor_b32_e32 v7, v5, v6
	v_ffbh_i32_e32 v1, v6
	v_ashrrev_i32_e32 v7, 31, v7
	v_add_u32_e32 v1, -1, v1
	v_add_u32_e32 v7, 32, v7
	v_min_u32_e32 v1, v1, v7
	v_lshlrev_b64 v[7:8], v1, v[5:6]
	v_sub_u32_e32 v1, 32, v1
	v_min_u32_e32 v7, 1, v7
	v_or_b32_e32 v7, v8, v7
	v_cvt_f32_i32_e32 v7, v7
	s_mov_b32 s10, 0x43800000
	v_mov_b32_e32 v8, 0x80
	v_ldexp_f32 v1, v7, v1
	v_and_b32_e32 v7, 0x7fffffff, v1
	v_cmp_gt_u32_e32 vcc, s10, v7
	s_and_saveexec_b64 s[10:11], vcc
	s_cbranch_execz .LBB199_1772
; %bb.1767:
	s_mov_b32 s12, 0x3bffffff
	v_cmp_lt_u32_e32 vcc, s12, v7
	s_mov_b64 s[12:13], 0
                                        ; implicit-def: $vgpr7
	s_and_saveexec_b64 s[14:15], vcc
	s_xor_b64 s[14:15], exec, s[14:15]
	s_cbranch_execz .LBB199_2107
; %bb.1768:
	v_bfe_u32 v7, v1, 20, 1
	s_mov_b32 s18, 0x487ffff
	v_add3_u32 v7, v1, v7, s18
	s_mov_b64 s[12:13], exec
	v_lshrrev_b32_e32 v7, 20, v7
	s_andn2_saveexec_b64 s[14:15], s[14:15]
	s_cbranch_execnz .LBB199_2108
.LBB199_1769:
	s_or_b64 exec, exec, s[14:15]
	v_mov_b32_e32 v8, 0
	s_and_saveexec_b64 s[14:15], s[12:13]
.LBB199_1770:
	v_lshrrev_b32_e32 v1, 24, v1
	s_movk_i32 s12, 0x80
	v_and_or_b32 v8, v1, s12, v7
.LBB199_1771:
	s_or_b64 exec, exec, s[14:15]
.LBB199_1772:
	s_or_b64 exec, exec, s[10:11]
	global_store_byte v[3:4], v8, off
.LBB199_1773:
	s_mov_b64 s[10:11], -1
.LBB199_1774:
	s_mov_b64 s[12:13], 0
.LBB199_1775:
	s_and_b64 vcc, exec, s[12:13]
	s_cbranch_vccz .LBB199_1815
; %bb.1776:
	s_cmp_gt_i32 s17, 22
	s_mov_b64 s[6:7], -1
	s_cbranch_scc0 .LBB199_1808
; %bb.1777:
	s_cmp_lt_i32 s17, 24
	s_cbranch_scc1 .LBB199_1797
; %bb.1778:
	s_cmp_gt_i32 s17, 24
	s_cbranch_scc0 .LBB199_1786
; %bb.1779:
	v_xor_b32_e32 v7, v5, v6
	v_ffbh_i32_e32 v1, v6
	v_ashrrev_i32_e32 v7, 31, v7
	v_add_u32_e32 v1, -1, v1
	v_add_u32_e32 v7, 32, v7
	v_min_u32_e32 v1, v1, v7
	v_lshlrev_b64 v[7:8], v1, v[5:6]
	v_sub_u32_e32 v1, 32, v1
	v_min_u32_e32 v7, 1, v7
	v_or_b32_e32 v7, v8, v7
	v_cvt_f32_i32_e32 v7, v7
	s_mov_b32 s6, 0x47800000
	v_mov_b32_e32 v8, 0x80
	v_ldexp_f32 v1, v7, v1
	v_and_b32_e32 v7, 0x7fffffff, v1
	v_cmp_gt_u32_e32 vcc, s6, v7
	s_and_saveexec_b64 s[6:7], vcc
	s_cbranch_execz .LBB199_1785
; %bb.1780:
	s_mov_b32 s10, 0x37ffffff
	v_cmp_lt_u32_e32 vcc, s10, v7
	s_mov_b64 s[10:11], 0
                                        ; implicit-def: $vgpr7
	s_and_saveexec_b64 s[12:13], vcc
	s_xor_b64 s[12:13], exec, s[12:13]
	s_cbranch_execz .LBB199_2110
; %bb.1781:
	v_bfe_u32 v7, v1, 21, 1
	s_mov_b32 s14, 0x88fffff
	v_add3_u32 v7, v1, v7, s14
	s_mov_b64 s[10:11], exec
	v_lshrrev_b32_e32 v7, 21, v7
	s_andn2_saveexec_b64 s[12:13], s[12:13]
	s_cbranch_execnz .LBB199_2111
.LBB199_1782:
	s_or_b64 exec, exec, s[12:13]
	v_mov_b32_e32 v8, 0
	s_and_saveexec_b64 s[12:13], s[10:11]
.LBB199_1783:
	v_lshrrev_b32_e32 v1, 24, v1
	s_movk_i32 s10, 0x80
	v_and_or_b32 v8, v1, s10, v7
.LBB199_1784:
	s_or_b64 exec, exec, s[12:13]
.LBB199_1785:
	s_or_b64 exec, exec, s[6:7]
	s_mov_b64 s[6:7], 0
	global_store_byte v[3:4], v8, off
.LBB199_1786:
	s_and_b64 vcc, exec, s[6:7]
	s_cbranch_vccz .LBB199_1796
; %bb.1787:
	v_xor_b32_e32 v7, v5, v6
	v_ffbh_i32_e32 v1, v6
	v_ashrrev_i32_e32 v7, 31, v7
	v_add_u32_e32 v1, -1, v1
	v_add_u32_e32 v7, 32, v7
	v_min_u32_e32 v1, v1, v7
	v_lshlrev_b64 v[7:8], v1, v[5:6]
	v_sub_u32_e32 v1, 32, v1
	v_min_u32_e32 v7, 1, v7
	v_or_b32_e32 v7, v8, v7
	v_cvt_f32_i32_e32 v7, v7
	s_mov_b32 s6, 0x43f00000
	v_ldexp_f32 v1, v7, v1
	v_and_b32_e32 v8, 0x7fffffff, v1
	v_cmp_gt_u32_e32 vcc, s6, v8
                                        ; implicit-def: $vgpr7
	s_and_saveexec_b64 s[6:7], vcc
	s_xor_b64 s[6:7], exec, s[6:7]
	s_cbranch_execz .LBB199_1793
; %bb.1788:
	s_mov_b32 s10, 0x3c7fffff
	v_cmp_lt_u32_e32 vcc, s10, v8
                                        ; implicit-def: $vgpr7
	s_and_saveexec_b64 s[10:11], vcc
	s_xor_b64 s[10:11], exec, s[10:11]
; %bb.1789:
	v_bfe_u32 v7, v1, 20, 1
	s_mov_b32 s12, 0x407ffff
	v_add3_u32 v7, v1, v7, s12
	v_lshrrev_b32_e32 v8, 20, v7
	v_and_b32_e32 v7, 0xff00000, v7
	s_mov_b32 s12, 0x7f00000
	v_mov_b32_e32 v9, 0x7e
	v_cmp_ne_u32_e32 vcc, s12, v7
	v_cndmask_b32_e32 v7, v9, v8, vcc
; %bb.1790:
	s_andn2_saveexec_b64 s[10:11], s[10:11]
; %bb.1791:
	s_mov_b32 s12, 0x46800000
	v_add_f32_e64 v7, |v1|, s12
; %bb.1792:
	s_or_b64 exec, exec, s[10:11]
                                        ; implicit-def: $vgpr8
.LBB199_1793:
	s_andn2_saveexec_b64 s[6:7], s[6:7]
; %bb.1794:
	s_mov_b32 s10, 0x7f800000
	v_mov_b32_e32 v7, 0x7e
	v_mov_b32_e32 v9, 0x7f
	v_cmp_lt_u32_e32 vcc, s10, v8
	v_cndmask_b32_e32 v7, v7, v9, vcc
; %bb.1795:
	s_or_b64 exec, exec, s[6:7]
	v_lshrrev_b32_e32 v1, 24, v1
	s_movk_i32 s6, 0x80
	v_and_or_b32 v1, v1, s6, v7
	global_store_byte v[3:4], v1, off
.LBB199_1796:
	s_mov_b64 s[6:7], 0
.LBB199_1797:
	s_andn2_b64 vcc, exec, s[6:7]
	s_cbranch_vccnz .LBB199_1807
; %bb.1798:
	v_xor_b32_e32 v7, v5, v6
	v_ffbh_i32_e32 v1, v6
	v_ashrrev_i32_e32 v7, 31, v7
	v_add_u32_e32 v1, -1, v1
	v_add_u32_e32 v7, 32, v7
	v_min_u32_e32 v1, v1, v7
	v_lshlrev_b64 v[7:8], v1, v[5:6]
	v_sub_u32_e32 v1, 32, v1
	v_min_u32_e32 v7, 1, v7
	v_or_b32_e32 v7, v8, v7
	v_cvt_f32_i32_e32 v7, v7
	s_mov_b32 s6, 0x47800000
	v_ldexp_f32 v1, v7, v1
	v_and_b32_e32 v8, 0x7fffffff, v1
	v_cmp_gt_u32_e32 vcc, s6, v8
                                        ; implicit-def: $vgpr7
	s_and_saveexec_b64 s[6:7], vcc
	s_xor_b64 s[6:7], exec, s[6:7]
	s_cbranch_execz .LBB199_1804
; %bb.1799:
	s_mov_b32 s10, 0x387fffff
	v_cmp_lt_u32_e32 vcc, s10, v8
                                        ; implicit-def: $vgpr7
	s_and_saveexec_b64 s[10:11], vcc
	s_xor_b64 s[10:11], exec, s[10:11]
; %bb.1800:
	v_bfe_u32 v7, v1, 21, 1
	s_mov_b32 s12, 0x80fffff
	v_add3_u32 v7, v1, v7, s12
	v_lshrrev_b32_e32 v7, 21, v7
; %bb.1801:
	s_andn2_saveexec_b64 s[10:11], s[10:11]
; %bb.1802:
	s_mov_b32 s12, 0x43000000
	v_add_f32_e64 v7, |v1|, s12
; %bb.1803:
	s_or_b64 exec, exec, s[10:11]
                                        ; implicit-def: $vgpr8
.LBB199_1804:
	s_andn2_saveexec_b64 s[6:7], s[6:7]
; %bb.1805:
	s_mov_b32 s10, 0x7f800000
	v_mov_b32_e32 v7, 0x7c
	v_mov_b32_e32 v9, 0x7f
	v_cmp_lt_u32_e32 vcc, s10, v8
	v_cndmask_b32_e32 v7, v7, v9, vcc
; %bb.1806:
	s_or_b64 exec, exec, s[6:7]
	v_lshrrev_b32_e32 v1, 24, v1
	s_movk_i32 s6, 0x80
	v_and_or_b32 v1, v1, s6, v7
	global_store_byte v[3:4], v1, off
.LBB199_1807:
	s_mov_b64 s[6:7], 0
	s_mov_b64 s[10:11], -1
.LBB199_1808:
	s_andn2_b64 vcc, exec, s[6:7]
	s_mov_b64 s[6:7], 0
	s_cbranch_vccnz .LBB199_1815
; %bb.1809:
	s_cmp_gt_i32 s17, 14
	s_mov_b64 s[12:13], -1
	s_cbranch_scc0 .LBB199_1813
; %bb.1810:
	s_cmp_eq_u32 s17, 15
	s_mov_b64 s[0:1], -1
	s_cbranch_scc0 .LBB199_1812
; %bb.1811:
	v_xor_b32_e32 v7, v5, v6
	v_ffbh_i32_e32 v1, v6
	v_ashrrev_i32_e32 v7, 31, v7
	v_add_u32_e32 v1, -1, v1
	v_add_u32_e32 v7, 32, v7
	v_min_u32_e32 v1, v1, v7
	v_lshlrev_b64 v[7:8], v1, v[5:6]
	v_sub_u32_e32 v1, 32, v1
	v_min_u32_e32 v7, 1, v7
	v_or_b32_e32 v7, v8, v7
	v_cvt_f32_i32_e32 v7, v7
	s_movk_i32 s0, 0x7fff
	s_mov_b64 s[10:11], -1
	v_ldexp_f32 v1, v7, v1
	v_bfe_u32 v7, v1, 16, 1
	v_add3_u32 v1, v1, v7, s0
	global_store_short_d16_hi v[3:4], v1, off
	s_mov_b64 s[0:1], 0
.LBB199_1812:
	s_mov_b64 s[12:13], 0
.LBB199_1813:
	s_and_b64 vcc, exec, s[12:13]
	s_cbranch_vccz .LBB199_1815
; %bb.1814:
	s_cmp_lg_u32 s17, 11
	s_mov_b64 s[6:7], -1
	s_cselect_b64 s[0:1], -1, 0
.LBB199_1815:
	s_and_b64 vcc, exec, s[0:1]
	s_cbranch_vccnz .LBB199_2109
; %bb.1816:
	s_andn2_b64 vcc, exec, s[6:7]
	s_cbranch_vccnz .LBB199_1818
.LBB199_1817:
	v_cmp_ne_u64_e32 vcc, 0, v[5:6]
	s_mov_b64 s[10:11], -1
	v_cndmask_b32_e64 v1, 0, 1, vcc
	global_store_byte v[3:4], v1, off
.LBB199_1818:
	s_mov_b64 s[0:1], 0
	s_branch .LBB199_1820
.LBB199_1819:
	s_mov_b64 s[0:1], -1
	s_mov_b64 s[10:11], 0
.LBB199_1820:
	s_and_b64 vcc, exec, s[0:1]
	s_cbranch_vccz .LBB199_1859
; %bb.1821:
	s_cmp_lt_i32 s17, 5
	s_mov_b64 s[0:1], -1
	s_cbranch_scc1 .LBB199_1842
; %bb.1822:
	s_cmp_lt_i32 s17, 8
	s_cbranch_scc1 .LBB199_1832
; %bb.1823:
	s_cmp_lt_i32 s17, 9
	s_cbranch_scc1 .LBB199_1829
; %bb.1824:
	s_cmp_gt_i32 s17, 9
	s_cbranch_scc0 .LBB199_1826
; %bb.1825:
	v_cvt_f64_i32_e32 v[7:8], v6
	v_cvt_f64_u32_e32 v[9:10], v5
	s_mov_b64 s[0:1], 0
	v_ldexp_f64 v[7:8], v[7:8], 32
	v_add_f64 v[7:8], v[7:8], v[9:10]
	v_mov_b32_e32 v9, 0
	v_mov_b32_e32 v10, v9
	global_store_dwordx4 v[3:4], v[7:10], off
.LBB199_1826:
	s_andn2_b64 vcc, exec, s[0:1]
	s_cbranch_vccnz .LBB199_1828
; %bb.1827:
	v_xor_b32_e32 v7, v5, v6
	v_ffbh_i32_e32 v1, v6
	v_ashrrev_i32_e32 v7, 31, v7
	v_add_u32_e32 v1, -1, v1
	v_add_u32_e32 v7, 32, v7
	v_min_u32_e32 v1, v1, v7
	v_lshlrev_b64 v[7:8], v1, v[5:6]
	v_sub_u32_e32 v1, 32, v1
	v_min_u32_e32 v7, 1, v7
	v_or_b32_e32 v7, v8, v7
	v_cvt_f32_i32_e32 v7, v7
	v_mov_b32_e32 v8, 0
	v_ldexp_f32 v7, v7, v1
	global_store_dwordx2 v[3:4], v[7:8], off
.LBB199_1828:
	s_mov_b64 s[0:1], 0
.LBB199_1829:
	s_andn2_b64 vcc, exec, s[0:1]
	s_cbranch_vccnz .LBB199_1831
; %bb.1830:
	v_xor_b32_e32 v7, v5, v6
	v_ffbh_i32_e32 v1, v6
	v_ashrrev_i32_e32 v7, 31, v7
	v_add_u32_e32 v1, -1, v1
	v_add_u32_e32 v7, 32, v7
	v_min_u32_e32 v1, v1, v7
	v_lshlrev_b64 v[7:8], v1, v[5:6]
	v_sub_u32_e32 v1, 32, v1
	v_min_u32_e32 v7, 1, v7
	v_or_b32_e32 v7, v8, v7
	v_cvt_f32_i32_e32 v7, v7
	v_ldexp_f32 v1, v7, v1
	v_cvt_f16_f32_e32 v1, v1
	global_store_dword v[3:4], v1, off
.LBB199_1831:
	s_mov_b64 s[0:1], 0
.LBB199_1832:
	s_andn2_b64 vcc, exec, s[0:1]
	s_cbranch_vccnz .LBB199_1841
; %bb.1833:
	s_cmp_lt_i32 s17, 6
	s_mov_b64 s[0:1], -1
	s_cbranch_scc1 .LBB199_1839
; %bb.1834:
	s_cmp_gt_i32 s17, 6
	s_cbranch_scc0 .LBB199_1836
; %bb.1835:
	v_cvt_f64_i32_e32 v[7:8], v6
	v_cvt_f64_u32_e32 v[9:10], v5
	s_mov_b64 s[0:1], 0
	v_ldexp_f64 v[7:8], v[7:8], 32
	v_add_f64 v[7:8], v[7:8], v[9:10]
	global_store_dwordx2 v[3:4], v[7:8], off
.LBB199_1836:
	s_andn2_b64 vcc, exec, s[0:1]
	s_cbranch_vccnz .LBB199_1838
; %bb.1837:
	v_xor_b32_e32 v7, v5, v6
	v_ffbh_i32_e32 v1, v6
	v_ashrrev_i32_e32 v7, 31, v7
	v_add_u32_e32 v1, -1, v1
	v_add_u32_e32 v7, 32, v7
	v_min_u32_e32 v1, v1, v7
	v_lshlrev_b64 v[7:8], v1, v[5:6]
	v_sub_u32_e32 v1, 32, v1
	v_min_u32_e32 v7, 1, v7
	v_or_b32_e32 v7, v8, v7
	v_cvt_f32_i32_e32 v7, v7
	v_ldexp_f32 v1, v7, v1
	global_store_dword v[3:4], v1, off
.LBB199_1838:
	s_mov_b64 s[0:1], 0
.LBB199_1839:
	s_andn2_b64 vcc, exec, s[0:1]
	s_cbranch_vccnz .LBB199_1841
; %bb.1840:
	v_xor_b32_e32 v7, v5, v6
	v_ffbh_i32_e32 v1, v6
	v_ashrrev_i32_e32 v7, 31, v7
	v_add_u32_e32 v1, -1, v1
	v_add_u32_e32 v7, 32, v7
	v_min_u32_e32 v1, v1, v7
	v_lshlrev_b64 v[7:8], v1, v[5:6]
	v_sub_u32_e32 v1, 32, v1
	v_min_u32_e32 v7, 1, v7
	v_or_b32_e32 v7, v8, v7
	v_cvt_f32_i32_e32 v7, v7
	v_ldexp_f32 v1, v7, v1
	v_cvt_f16_f32_e32 v1, v1
	global_store_short v[3:4], v1, off
.LBB199_1841:
	s_mov_b64 s[0:1], 0
.LBB199_1842:
	s_andn2_b64 vcc, exec, s[0:1]
	s_cbranch_vccnz .LBB199_1858
; %bb.1843:
	s_cmp_lt_i32 s17, 2
	s_mov_b64 s[0:1], -1
	s_cbranch_scc1 .LBB199_1853
; %bb.1844:
	s_cmp_lt_i32 s17, 3
	s_cbranch_scc1 .LBB199_1850
; %bb.1845:
	s_cmp_gt_i32 s17, 3
	s_cbranch_scc0 .LBB199_1847
; %bb.1846:
	global_store_dwordx2 v[3:4], v[5:6], off
	s_mov_b64 s[0:1], 0
.LBB199_1847:
	s_andn2_b64 vcc, exec, s[0:1]
	s_cbranch_vccnz .LBB199_1849
; %bb.1848:
	global_store_dword v[3:4], v5, off
.LBB199_1849:
	s_mov_b64 s[0:1], 0
.LBB199_1850:
	s_andn2_b64 vcc, exec, s[0:1]
	s_cbranch_vccnz .LBB199_1852
; %bb.1851:
	global_store_short v[3:4], v5, off
.LBB199_1852:
	s_mov_b64 s[0:1], 0
.LBB199_1853:
	s_andn2_b64 vcc, exec, s[0:1]
	s_cbranch_vccnz .LBB199_1858
; %bb.1854:
	s_cmp_gt_i32 s17, 0
	s_mov_b64 s[0:1], -1
	s_cbranch_scc0 .LBB199_1856
; %bb.1855:
	global_store_byte v[3:4], v5, off
	s_mov_b64 s[0:1], 0
.LBB199_1856:
	s_andn2_b64 vcc, exec, s[0:1]
	s_cbranch_vccnz .LBB199_1858
; %bb.1857:
	global_store_byte v[3:4], v5, off
.LBB199_1858:
	s_mov_b64 s[10:11], -1
.LBB199_1859:
	s_andn2_b64 vcc, exec, s[10:11]
	s_cbranch_vccnz .LBB199_2055
; %bb.1860:
	v_cmp_gt_u64_e32 vcc, 63, v[11:12]
	v_mov_b32_e32 v5, s9
	v_cndmask_b32_e32 v1, 63, v11, vcc
	v_ashrrev_i64 v[3:4], v1, s[4:5]
	v_add_co_u32_e32 v1, vcc, s8, v2
	s_cmp_lt_i32 s17, 11
	v_addc_co_u32_e32 v2, vcc, 0, v5, vcc
	s_cbranch_scc1 .LBB199_1938
; %bb.1861:
	s_mov_b64 s[12:13], -1
	s_mov_b64 s[6:7], 0
	s_cmp_gt_i32 s17, 25
	s_mov_b64 s[10:11], 0
	s_mov_b64 s[0:1], 0
	s_cbranch_scc0 .LBB199_1894
; %bb.1862:
	s_cmp_gt_i32 s17, 28
	s_cbranch_scc0 .LBB199_1877
; %bb.1863:
	s_cmp_gt_i32 s17, 43
	;; [unrolled: 3-line block ×3, first 2 shown]
	s_cbranch_scc0 .LBB199_1867
; %bb.1865:
	s_mov_b64 s[0:1], -1
	s_mov_b64 s[12:13], 0
	s_cmp_eq_u32 s17, 46
	s_cbranch_scc0 .LBB199_1867
; %bb.1866:
	v_xor_b32_e32 v6, v3, v4
	v_ffbh_i32_e32 v5, v4
	v_ashrrev_i32_e32 v6, 31, v6
	v_add_u32_e32 v5, -1, v5
	v_add_u32_e32 v6, 32, v6
	v_min_u32_e32 v7, v5, v6
	v_lshlrev_b64 v[5:6], v7, v[3:4]
	s_movk_i32 s0, 0x7fff
	v_min_u32_e32 v5, 1, v5
	v_or_b32_e32 v5, v6, v5
	v_cvt_f32_i32_e32 v5, v5
	v_sub_u32_e32 v6, 32, v7
	s_mov_b64 s[10:11], -1
	v_ldexp_f32 v5, v5, v6
	v_bfe_u32 v6, v5, 16, 1
	v_add3_u32 v5, v5, v6, s0
	v_lshrrev_b32_e32 v5, 16, v5
	global_store_dword v[1:2], v5, off
	s_mov_b64 s[0:1], 0
.LBB199_1867:
	s_and_b64 vcc, exec, s[12:13]
	s_cbranch_vccz .LBB199_1872
; %bb.1868:
	s_cmp_eq_u32 s17, 44
	s_mov_b64 s[0:1], -1
	s_cbranch_scc0 .LBB199_1872
; %bb.1869:
	v_xor_b32_e32 v6, v3, v4
	v_ffbh_i32_e32 v5, v4
	v_ashrrev_i32_e32 v6, 31, v6
	v_add_u32_e32 v5, -1, v5
	v_add_u32_e32 v6, 32, v6
	v_min_u32_e32 v7, v5, v6
	v_lshlrev_b64 v[5:6], v7, v[3:4]
	s_movk_i32 s0, 0xff
	v_min_u32_e32 v5, 1, v5
	v_or_b32_e32 v5, v6, v5
	v_cvt_f32_i32_e32 v5, v5
	v_sub_u32_e32 v6, 32, v7
	v_mov_b32_e32 v7, 0xff
	v_ldexp_f32 v5, v5, v6
	v_bfe_u32 v6, v5, 23, 8
	v_cmp_ne_u32_e32 vcc, s0, v6
	s_and_saveexec_b64 s[10:11], vcc
; %bb.1870:
	s_mov_b32 s0, 0x3fffff
	v_lshrrev_b32_e32 v7, 23, v5
	v_and_b32_e32 v8, 0x400000, v5
	v_and_or_b32 v5, v5, s0, v6
	v_cmp_ne_u32_e32 vcc, 0, v8
	v_cmp_ne_u32_e64 s[0:1], 0, v5
	s_and_b64 s[0:1], vcc, s[0:1]
	v_cndmask_b32_e64 v5, 0, 1, s[0:1]
	v_add_u32_e32 v7, v7, v5
; %bb.1871:
	s_or_b64 exec, exec, s[10:11]
	s_mov_b64 s[0:1], 0
	s_mov_b64 s[10:11], -1
	global_store_byte v[1:2], v7, off
.LBB199_1872:
	s_mov_b64 s[12:13], 0
.LBB199_1873:
	s_and_b64 vcc, exec, s[12:13]
	s_cbranch_vccz .LBB199_1876
; %bb.1874:
	s_cmp_eq_u32 s17, 29
	s_mov_b64 s[0:1], -1
	s_cbranch_scc0 .LBB199_1876
; %bb.1875:
	global_store_dwordx2 v[1:2], v[3:4], off
	s_mov_b64 s[0:1], 0
	s_mov_b64 s[10:11], -1
.LBB199_1876:
	s_mov_b64 s[12:13], 0
.LBB199_1877:
	s_and_b64 vcc, exec, s[12:13]
	s_cbranch_vccz .LBB199_1893
; %bb.1878:
	s_cmp_lt_i32 s17, 27
	s_mov_b64 s[10:11], -1
	s_cbranch_scc1 .LBB199_1884
; %bb.1879:
	s_cmp_gt_i32 s17, 27
	s_cbranch_scc0 .LBB199_1881
; %bb.1880:
	s_mov_b64 s[10:11], 0
	global_store_dword v[1:2], v3, off
.LBB199_1881:
	s_andn2_b64 vcc, exec, s[10:11]
	s_cbranch_vccnz .LBB199_1883
; %bb.1882:
	global_store_short v[1:2], v3, off
.LBB199_1883:
	s_mov_b64 s[10:11], 0
.LBB199_1884:
	s_andn2_b64 vcc, exec, s[10:11]
	s_cbranch_vccnz .LBB199_1892
; %bb.1885:
	v_xor_b32_e32 v6, v3, v4
	v_ffbh_i32_e32 v5, v4
	v_ashrrev_i32_e32 v6, 31, v6
	v_add_u32_e32 v5, -1, v5
	v_add_u32_e32 v6, 32, v6
	v_min_u32_e32 v7, v5, v6
	v_lshlrev_b64 v[5:6], v7, v[3:4]
	s_mov_b32 s10, 0x43800000
	v_min_u32_e32 v5, 1, v5
	v_or_b32_e32 v5, v6, v5
	v_cvt_f32_i32_e32 v5, v5
	v_sub_u32_e32 v6, 32, v7
	v_mov_b32_e32 v7, 0x80
	v_ldexp_f32 v5, v5, v6
	v_and_b32_e32 v6, 0x7fffffff, v5
	v_cmp_gt_u32_e32 vcc, s10, v6
	s_and_saveexec_b64 s[10:11], vcc
	s_cbranch_execz .LBB199_1891
; %bb.1886:
	s_mov_b32 s12, 0x3bffffff
	v_cmp_lt_u32_e32 vcc, s12, v6
	s_mov_b64 s[12:13], 0
                                        ; implicit-def: $vgpr6
	s_and_saveexec_b64 s[14:15], vcc
	s_xor_b64 s[14:15], exec, s[14:15]
	s_cbranch_execz .LBB199_2112
; %bb.1887:
	v_bfe_u32 v6, v5, 20, 1
	s_mov_b32 s18, 0x487ffff
	v_add3_u32 v6, v5, v6, s18
	s_mov_b64 s[12:13], exec
	v_lshrrev_b32_e32 v6, 20, v6
	s_andn2_saveexec_b64 s[14:15], s[14:15]
	s_cbranch_execnz .LBB199_2113
.LBB199_1888:
	s_or_b64 exec, exec, s[14:15]
	v_mov_b32_e32 v7, 0
	s_and_saveexec_b64 s[14:15], s[12:13]
.LBB199_1889:
	v_lshrrev_b32_e32 v5, 24, v5
	s_movk_i32 s12, 0x80
	v_and_or_b32 v7, v5, s12, v6
.LBB199_1890:
	s_or_b64 exec, exec, s[14:15]
.LBB199_1891:
	s_or_b64 exec, exec, s[10:11]
	global_store_byte v[1:2], v7, off
.LBB199_1892:
	s_mov_b64 s[10:11], -1
.LBB199_1893:
	s_mov_b64 s[12:13], 0
.LBB199_1894:
	s_and_b64 vcc, exec, s[12:13]
	s_cbranch_vccz .LBB199_1934
; %bb.1895:
	s_cmp_gt_i32 s17, 22
	s_mov_b64 s[6:7], -1
	s_cbranch_scc0 .LBB199_1927
; %bb.1896:
	s_cmp_lt_i32 s17, 24
	s_cbranch_scc1 .LBB199_1916
; %bb.1897:
	s_cmp_gt_i32 s17, 24
	s_cbranch_scc0 .LBB199_1905
; %bb.1898:
	v_xor_b32_e32 v6, v3, v4
	v_ffbh_i32_e32 v5, v4
	v_ashrrev_i32_e32 v6, 31, v6
	v_add_u32_e32 v5, -1, v5
	v_add_u32_e32 v6, 32, v6
	v_min_u32_e32 v7, v5, v6
	v_lshlrev_b64 v[5:6], v7, v[3:4]
	s_mov_b32 s6, 0x47800000
	v_min_u32_e32 v5, 1, v5
	v_or_b32_e32 v5, v6, v5
	v_cvt_f32_i32_e32 v5, v5
	v_sub_u32_e32 v6, 32, v7
	v_mov_b32_e32 v7, 0x80
	v_ldexp_f32 v5, v5, v6
	v_and_b32_e32 v6, 0x7fffffff, v5
	v_cmp_gt_u32_e32 vcc, s6, v6
	s_and_saveexec_b64 s[6:7], vcc
	s_cbranch_execz .LBB199_1904
; %bb.1899:
	s_mov_b32 s10, 0x37ffffff
	v_cmp_lt_u32_e32 vcc, s10, v6
	s_mov_b64 s[10:11], 0
                                        ; implicit-def: $vgpr6
	s_and_saveexec_b64 s[12:13], vcc
	s_xor_b64 s[12:13], exec, s[12:13]
	s_cbranch_execz .LBB199_2115
; %bb.1900:
	v_bfe_u32 v6, v5, 21, 1
	s_mov_b32 s14, 0x88fffff
	v_add3_u32 v6, v5, v6, s14
	s_mov_b64 s[10:11], exec
	v_lshrrev_b32_e32 v6, 21, v6
	s_andn2_saveexec_b64 s[12:13], s[12:13]
	s_cbranch_execnz .LBB199_2116
.LBB199_1901:
	s_or_b64 exec, exec, s[12:13]
	v_mov_b32_e32 v7, 0
	s_and_saveexec_b64 s[12:13], s[10:11]
.LBB199_1902:
	v_lshrrev_b32_e32 v5, 24, v5
	s_movk_i32 s10, 0x80
	v_and_or_b32 v7, v5, s10, v6
.LBB199_1903:
	s_or_b64 exec, exec, s[12:13]
.LBB199_1904:
	s_or_b64 exec, exec, s[6:7]
	s_mov_b64 s[6:7], 0
	global_store_byte v[1:2], v7, off
.LBB199_1905:
	s_and_b64 vcc, exec, s[6:7]
	s_cbranch_vccz .LBB199_1915
; %bb.1906:
	v_xor_b32_e32 v6, v3, v4
	v_ffbh_i32_e32 v5, v4
	v_ashrrev_i32_e32 v6, 31, v6
	v_add_u32_e32 v5, -1, v5
	v_add_u32_e32 v6, 32, v6
	v_min_u32_e32 v7, v5, v6
	v_lshlrev_b64 v[5:6], v7, v[3:4]
	s_mov_b32 s6, 0x43f00000
	v_min_u32_e32 v5, 1, v5
	v_or_b32_e32 v5, v6, v5
	v_cvt_f32_i32_e32 v5, v5
	v_sub_u32_e32 v6, 32, v7
	v_ldexp_f32 v5, v5, v6
	v_and_b32_e32 v7, 0x7fffffff, v5
	v_cmp_gt_u32_e32 vcc, s6, v7
                                        ; implicit-def: $vgpr6
	s_and_saveexec_b64 s[6:7], vcc
	s_xor_b64 s[6:7], exec, s[6:7]
	s_cbranch_execz .LBB199_1912
; %bb.1907:
	s_mov_b32 s10, 0x3c7fffff
	v_cmp_lt_u32_e32 vcc, s10, v7
                                        ; implicit-def: $vgpr6
	s_and_saveexec_b64 s[10:11], vcc
	s_xor_b64 s[10:11], exec, s[10:11]
; %bb.1908:
	v_bfe_u32 v6, v5, 20, 1
	s_mov_b32 s12, 0x407ffff
	v_add3_u32 v6, v5, v6, s12
	v_lshrrev_b32_e32 v7, 20, v6
	v_and_b32_e32 v6, 0xff00000, v6
	s_mov_b32 s12, 0x7f00000
	v_mov_b32_e32 v8, 0x7e
	v_cmp_ne_u32_e32 vcc, s12, v6
	v_cndmask_b32_e32 v6, v8, v7, vcc
; %bb.1909:
	s_andn2_saveexec_b64 s[10:11], s[10:11]
; %bb.1910:
	s_mov_b32 s12, 0x46800000
	v_add_f32_e64 v6, |v5|, s12
; %bb.1911:
	s_or_b64 exec, exec, s[10:11]
                                        ; implicit-def: $vgpr7
.LBB199_1912:
	s_andn2_saveexec_b64 s[6:7], s[6:7]
; %bb.1913:
	s_mov_b32 s10, 0x7f800000
	v_mov_b32_e32 v6, 0x7e
	v_mov_b32_e32 v8, 0x7f
	v_cmp_lt_u32_e32 vcc, s10, v7
	v_cndmask_b32_e32 v6, v6, v8, vcc
; %bb.1914:
	s_or_b64 exec, exec, s[6:7]
	v_lshrrev_b32_e32 v5, 24, v5
	s_movk_i32 s6, 0x80
	v_and_or_b32 v5, v5, s6, v6
	global_store_byte v[1:2], v5, off
.LBB199_1915:
	s_mov_b64 s[6:7], 0
.LBB199_1916:
	s_andn2_b64 vcc, exec, s[6:7]
	s_cbranch_vccnz .LBB199_1926
; %bb.1917:
	v_xor_b32_e32 v6, v3, v4
	v_ffbh_i32_e32 v5, v4
	v_ashrrev_i32_e32 v6, 31, v6
	v_add_u32_e32 v5, -1, v5
	v_add_u32_e32 v6, 32, v6
	v_min_u32_e32 v7, v5, v6
	v_lshlrev_b64 v[5:6], v7, v[3:4]
	s_mov_b32 s6, 0x47800000
	v_min_u32_e32 v5, 1, v5
	v_or_b32_e32 v5, v6, v5
	v_cvt_f32_i32_e32 v5, v5
	v_sub_u32_e32 v6, 32, v7
	v_ldexp_f32 v5, v5, v6
	v_and_b32_e32 v7, 0x7fffffff, v5
	v_cmp_gt_u32_e32 vcc, s6, v7
                                        ; implicit-def: $vgpr6
	s_and_saveexec_b64 s[6:7], vcc
	s_xor_b64 s[6:7], exec, s[6:7]
	s_cbranch_execz .LBB199_1923
; %bb.1918:
	s_mov_b32 s10, 0x387fffff
	v_cmp_lt_u32_e32 vcc, s10, v7
                                        ; implicit-def: $vgpr6
	s_and_saveexec_b64 s[10:11], vcc
	s_xor_b64 s[10:11], exec, s[10:11]
; %bb.1919:
	v_bfe_u32 v6, v5, 21, 1
	s_mov_b32 s12, 0x80fffff
	v_add3_u32 v6, v5, v6, s12
	v_lshrrev_b32_e32 v6, 21, v6
; %bb.1920:
	s_andn2_saveexec_b64 s[10:11], s[10:11]
; %bb.1921:
	s_mov_b32 s12, 0x43000000
	v_add_f32_e64 v6, |v5|, s12
; %bb.1922:
	s_or_b64 exec, exec, s[10:11]
                                        ; implicit-def: $vgpr7
.LBB199_1923:
	s_andn2_saveexec_b64 s[6:7], s[6:7]
; %bb.1924:
	s_mov_b32 s10, 0x7f800000
	v_mov_b32_e32 v6, 0x7c
	v_mov_b32_e32 v8, 0x7f
	v_cmp_lt_u32_e32 vcc, s10, v7
	v_cndmask_b32_e32 v6, v6, v8, vcc
; %bb.1925:
	s_or_b64 exec, exec, s[6:7]
	v_lshrrev_b32_e32 v5, 24, v5
	s_movk_i32 s6, 0x80
	v_and_or_b32 v5, v5, s6, v6
	global_store_byte v[1:2], v5, off
.LBB199_1926:
	s_mov_b64 s[6:7], 0
	s_mov_b64 s[10:11], -1
.LBB199_1927:
	s_andn2_b64 vcc, exec, s[6:7]
	s_mov_b64 s[6:7], 0
	s_cbranch_vccnz .LBB199_1934
; %bb.1928:
	s_cmp_gt_i32 s17, 14
	s_mov_b64 s[12:13], -1
	s_cbranch_scc0 .LBB199_1932
; %bb.1929:
	s_cmp_eq_u32 s17, 15
	s_mov_b64 s[0:1], -1
	s_cbranch_scc0 .LBB199_1931
; %bb.1930:
	v_xor_b32_e32 v6, v3, v4
	v_ffbh_i32_e32 v5, v4
	v_ashrrev_i32_e32 v6, 31, v6
	v_add_u32_e32 v5, -1, v5
	v_add_u32_e32 v6, 32, v6
	v_min_u32_e32 v7, v5, v6
	v_lshlrev_b64 v[5:6], v7, v[3:4]
	s_movk_i32 s0, 0x7fff
	v_min_u32_e32 v5, 1, v5
	v_or_b32_e32 v5, v6, v5
	v_cvt_f32_i32_e32 v5, v5
	v_sub_u32_e32 v6, 32, v7
	s_mov_b64 s[10:11], -1
	v_ldexp_f32 v5, v5, v6
	v_bfe_u32 v6, v5, 16, 1
	v_add3_u32 v5, v5, v6, s0
	global_store_short_d16_hi v[1:2], v5, off
	s_mov_b64 s[0:1], 0
.LBB199_1931:
	s_mov_b64 s[12:13], 0
.LBB199_1932:
	s_and_b64 vcc, exec, s[12:13]
	s_cbranch_vccz .LBB199_1934
; %bb.1933:
	s_cmp_lg_u32 s17, 11
	s_mov_b64 s[6:7], -1
	s_cselect_b64 s[0:1], -1, 0
.LBB199_1934:
	s_and_b64 vcc, exec, s[0:1]
	s_cbranch_vccnz .LBB199_2114
; %bb.1935:
	s_andn2_b64 vcc, exec, s[6:7]
	s_cbranch_vccnz .LBB199_1937
.LBB199_1936:
	v_cmp_ne_u64_e32 vcc, 0, v[3:4]
	s_mov_b64 s[10:11], -1
	v_cndmask_b32_e64 v5, 0, 1, vcc
	global_store_byte v[1:2], v5, off
.LBB199_1937:
	s_mov_b64 s[0:1], 0
	s_branch .LBB199_1939
.LBB199_1938:
	s_mov_b64 s[0:1], -1
	s_mov_b64 s[10:11], 0
.LBB199_1939:
	s_and_b64 vcc, exec, s[0:1]
	s_cbranch_vccz .LBB199_1978
; %bb.1940:
	s_cmp_lt_i32 s17, 5
	s_mov_b64 s[0:1], -1
	s_cbranch_scc1 .LBB199_1961
; %bb.1941:
	s_cmp_lt_i32 s17, 8
	s_cbranch_scc1 .LBB199_1951
; %bb.1942:
	s_cmp_lt_i32 s17, 9
	s_cbranch_scc1 .LBB199_1948
; %bb.1943:
	s_cmp_gt_i32 s17, 9
	s_cbranch_scc0 .LBB199_1945
; %bb.1944:
	v_cvt_f64_i32_e32 v[5:6], v4
	v_cvt_f64_u32_e32 v[7:8], v3
	s_mov_b64 s[0:1], 0
	v_ldexp_f64 v[5:6], v[5:6], 32
	v_add_f64 v[5:6], v[5:6], v[7:8]
	v_mov_b32_e32 v7, 0
	v_mov_b32_e32 v8, v7
	global_store_dwordx4 v[1:2], v[5:8], off
.LBB199_1945:
	s_andn2_b64 vcc, exec, s[0:1]
	s_cbranch_vccnz .LBB199_1947
; %bb.1946:
	v_xor_b32_e32 v6, v3, v4
	v_ffbh_i32_e32 v5, v4
	v_ashrrev_i32_e32 v6, 31, v6
	v_add_u32_e32 v5, -1, v5
	v_add_u32_e32 v6, 32, v6
	v_min_u32_e32 v7, v5, v6
	v_lshlrev_b64 v[5:6], v7, v[3:4]
	v_min_u32_e32 v5, 1, v5
	v_or_b32_e32 v5, v6, v5
	v_cvt_f32_i32_e32 v5, v5
	v_sub_u32_e32 v6, 32, v7
	v_ldexp_f32 v5, v5, v6
	v_mov_b32_e32 v6, 0
	global_store_dwordx2 v[1:2], v[5:6], off
.LBB199_1947:
	s_mov_b64 s[0:1], 0
.LBB199_1948:
	s_andn2_b64 vcc, exec, s[0:1]
	s_cbranch_vccnz .LBB199_1950
; %bb.1949:
	v_xor_b32_e32 v6, v3, v4
	v_ffbh_i32_e32 v5, v4
	v_ashrrev_i32_e32 v6, 31, v6
	v_add_u32_e32 v5, -1, v5
	v_add_u32_e32 v6, 32, v6
	v_min_u32_e32 v7, v5, v6
	v_lshlrev_b64 v[5:6], v7, v[3:4]
	v_min_u32_e32 v5, 1, v5
	v_or_b32_e32 v5, v6, v5
	v_cvt_f32_i32_e32 v5, v5
	v_sub_u32_e32 v6, 32, v7
	v_ldexp_f32 v5, v5, v6
	v_cvt_f16_f32_e32 v5, v5
	global_store_dword v[1:2], v5, off
.LBB199_1950:
	s_mov_b64 s[0:1], 0
.LBB199_1951:
	s_andn2_b64 vcc, exec, s[0:1]
	s_cbranch_vccnz .LBB199_1960
; %bb.1952:
	s_cmp_lt_i32 s17, 6
	s_mov_b64 s[0:1], -1
	s_cbranch_scc1 .LBB199_1958
; %bb.1953:
	s_cmp_gt_i32 s17, 6
	s_cbranch_scc0 .LBB199_1955
; %bb.1954:
	v_cvt_f64_i32_e32 v[5:6], v4
	v_cvt_f64_u32_e32 v[7:8], v3
	s_mov_b64 s[0:1], 0
	v_ldexp_f64 v[5:6], v[5:6], 32
	v_add_f64 v[5:6], v[5:6], v[7:8]
	global_store_dwordx2 v[1:2], v[5:6], off
.LBB199_1955:
	s_andn2_b64 vcc, exec, s[0:1]
	s_cbranch_vccnz .LBB199_1957
; %bb.1956:
	v_xor_b32_e32 v6, v3, v4
	v_ffbh_i32_e32 v5, v4
	v_ashrrev_i32_e32 v6, 31, v6
	v_add_u32_e32 v5, -1, v5
	v_add_u32_e32 v6, 32, v6
	v_min_u32_e32 v7, v5, v6
	v_lshlrev_b64 v[5:6], v7, v[3:4]
	v_min_u32_e32 v5, 1, v5
	v_or_b32_e32 v5, v6, v5
	v_cvt_f32_i32_e32 v5, v5
	v_sub_u32_e32 v6, 32, v7
	v_ldexp_f32 v5, v5, v6
	global_store_dword v[1:2], v5, off
.LBB199_1957:
	s_mov_b64 s[0:1], 0
.LBB199_1958:
	s_andn2_b64 vcc, exec, s[0:1]
	s_cbranch_vccnz .LBB199_1960
; %bb.1959:
	v_xor_b32_e32 v6, v3, v4
	v_ffbh_i32_e32 v5, v4
	v_ashrrev_i32_e32 v6, 31, v6
	v_add_u32_e32 v5, -1, v5
	v_add_u32_e32 v6, 32, v6
	v_min_u32_e32 v7, v5, v6
	v_lshlrev_b64 v[5:6], v7, v[3:4]
	v_min_u32_e32 v5, 1, v5
	v_or_b32_e32 v5, v6, v5
	v_cvt_f32_i32_e32 v5, v5
	v_sub_u32_e32 v6, 32, v7
	v_ldexp_f32 v5, v5, v6
	v_cvt_f16_f32_e32 v5, v5
	global_store_short v[1:2], v5, off
.LBB199_1960:
	s_mov_b64 s[0:1], 0
.LBB199_1961:
	s_andn2_b64 vcc, exec, s[0:1]
	s_cbranch_vccnz .LBB199_1977
; %bb.1962:
	s_cmp_lt_i32 s17, 2
	s_mov_b64 s[0:1], -1
	s_cbranch_scc1 .LBB199_1972
; %bb.1963:
	s_cmp_lt_i32 s17, 3
	s_cbranch_scc1 .LBB199_1969
; %bb.1964:
	s_cmp_gt_i32 s17, 3
	s_cbranch_scc0 .LBB199_1966
; %bb.1965:
	global_store_dwordx2 v[1:2], v[3:4], off
	s_mov_b64 s[0:1], 0
.LBB199_1966:
	s_andn2_b64 vcc, exec, s[0:1]
	s_cbranch_vccnz .LBB199_1968
; %bb.1967:
	global_store_dword v[1:2], v3, off
.LBB199_1968:
	s_mov_b64 s[0:1], 0
.LBB199_1969:
	s_andn2_b64 vcc, exec, s[0:1]
	s_cbranch_vccnz .LBB199_1971
; %bb.1970:
	global_store_short v[1:2], v3, off
.LBB199_1971:
	s_mov_b64 s[0:1], 0
.LBB199_1972:
	s_andn2_b64 vcc, exec, s[0:1]
	s_cbranch_vccnz .LBB199_1977
; %bb.1973:
	s_cmp_gt_i32 s17, 0
	s_mov_b64 s[0:1], -1
	s_cbranch_scc0 .LBB199_1975
; %bb.1974:
	global_store_byte v[1:2], v3, off
	s_mov_b64 s[0:1], 0
.LBB199_1975:
	s_andn2_b64 vcc, exec, s[0:1]
	s_cbranch_vccnz .LBB199_1977
; %bb.1976:
	global_store_byte v[1:2], v3, off
.LBB199_1977:
	s_mov_b64 s[10:11], -1
.LBB199_1978:
	s_andn2_b64 vcc, exec, s[10:11]
	s_cbranch_vccnz .LBB199_2055
; %bb.1979:
	v_cmp_gt_u64_e32 vcc, 63, v[13:14]
	s_cmp_lt_i32 s17, 11
	v_cndmask_b32_e32 v1, 63, v13, vcc
	v_ashrrev_i64 v[2:3], v1, s[4:5]
	v_mov_b32_e32 v1, s9
	v_add_co_u32_e32 v0, vcc, s8, v0
	v_addc_co_u32_e32 v1, vcc, 0, v1, vcc
	s_cbranch_scc1 .LBB199_2100
; %bb.1980:
	s_mov_b64 s[6:7], -1
	s_mov_b64 s[4:5], 0
	s_cmp_gt_i32 s17, 25
	s_mov_b64 s[0:1], 0
	s_cbranch_scc0 .LBB199_2013
; %bb.1981:
	s_cmp_gt_i32 s17, 28
	s_cbranch_scc0 .LBB199_1997
; %bb.1982:
	s_cmp_gt_i32 s17, 43
	;; [unrolled: 3-line block ×3, first 2 shown]
	s_cbranch_scc0 .LBB199_1987
; %bb.1984:
	s_cmp_eq_u32 s17, 46
	s_mov_b64 s[0:1], -1
	s_cbranch_scc0 .LBB199_1986
; %bb.1985:
	v_xor_b32_e32 v5, v2, v3
	v_ffbh_i32_e32 v4, v3
	v_ashrrev_i32_e32 v5, 31, v5
	v_add_u32_e32 v4, -1, v4
	v_add_u32_e32 v5, 32, v5
	v_min_u32_e32 v6, v4, v5
	v_lshlrev_b64 v[4:5], v6, v[2:3]
	s_movk_i32 s0, 0x7fff
	v_min_u32_e32 v4, 1, v4
	v_or_b32_e32 v4, v5, v4
	v_cvt_f32_i32_e32 v4, v4
	v_sub_u32_e32 v5, 32, v6
	v_ldexp_f32 v4, v4, v5
	v_bfe_u32 v5, v4, 16, 1
	v_add3_u32 v4, v4, v5, s0
	v_lshrrev_b32_e32 v4, 16, v4
	global_store_dword v[0:1], v4, off
	s_mov_b64 s[0:1], 0
.LBB199_1986:
	s_mov_b64 s[6:7], 0
.LBB199_1987:
	s_and_b64 vcc, exec, s[6:7]
	s_cbranch_vccz .LBB199_1992
; %bb.1988:
	s_cmp_eq_u32 s17, 44
	s_mov_b64 s[0:1], -1
	s_cbranch_scc0 .LBB199_1992
; %bb.1989:
	v_xor_b32_e32 v5, v2, v3
	v_ffbh_i32_e32 v4, v3
	v_ashrrev_i32_e32 v5, 31, v5
	v_add_u32_e32 v4, -1, v4
	v_add_u32_e32 v5, 32, v5
	v_min_u32_e32 v6, v4, v5
	v_lshlrev_b64 v[4:5], v6, v[2:3]
	s_movk_i32 s0, 0xff
	v_min_u32_e32 v4, 1, v4
	v_or_b32_e32 v4, v5, v4
	v_cvt_f32_i32_e32 v4, v4
	v_sub_u32_e32 v5, 32, v6
	v_mov_b32_e32 v6, 0xff
	v_ldexp_f32 v4, v4, v5
	v_bfe_u32 v5, v4, 23, 8
	v_cmp_ne_u32_e32 vcc, s0, v5
	s_and_saveexec_b64 s[6:7], vcc
; %bb.1990:
	s_mov_b32 s0, 0x3fffff
	v_lshrrev_b32_e32 v6, 23, v4
	v_and_b32_e32 v7, 0x400000, v4
	v_and_or_b32 v4, v4, s0, v5
	v_cmp_ne_u32_e32 vcc, 0, v7
	v_cmp_ne_u32_e64 s[0:1], 0, v4
	s_and_b64 s[0:1], vcc, s[0:1]
	v_cndmask_b32_e64 v4, 0, 1, s[0:1]
	v_add_u32_e32 v6, v6, v4
; %bb.1991:
	s_or_b64 exec, exec, s[6:7]
	s_mov_b64 s[0:1], 0
	global_store_byte v[0:1], v6, off
.LBB199_1992:
	s_mov_b64 s[6:7], 0
.LBB199_1993:
	s_and_b64 vcc, exec, s[6:7]
	s_cbranch_vccz .LBB199_1996
; %bb.1994:
	s_cmp_eq_u32 s17, 29
	s_mov_b64 s[0:1], -1
	s_cbranch_scc0 .LBB199_1996
; %bb.1995:
	global_store_dwordx2 v[0:1], v[2:3], off
	s_mov_b64 s[0:1], 0
.LBB199_1996:
	s_mov_b64 s[6:7], 0
.LBB199_1997:
	s_and_b64 vcc, exec, s[6:7]
	s_cbranch_vccz .LBB199_2012
; %bb.1998:
	s_cmp_lt_i32 s17, 27
	s_mov_b64 s[6:7], -1
	s_cbranch_scc1 .LBB199_2004
; %bb.1999:
	s_cmp_gt_i32 s17, 27
	s_cbranch_scc0 .LBB199_2001
; %bb.2000:
	global_store_dword v[0:1], v2, off
	s_mov_b64 s[6:7], 0
.LBB199_2001:
	s_andn2_b64 vcc, exec, s[6:7]
	s_cbranch_vccnz .LBB199_2003
; %bb.2002:
	global_store_short v[0:1], v2, off
.LBB199_2003:
	s_mov_b64 s[6:7], 0
.LBB199_2004:
	s_andn2_b64 vcc, exec, s[6:7]
	s_cbranch_vccnz .LBB199_2012
; %bb.2005:
	v_xor_b32_e32 v5, v2, v3
	v_ffbh_i32_e32 v4, v3
	v_ashrrev_i32_e32 v5, 31, v5
	v_add_u32_e32 v4, -1, v4
	v_add_u32_e32 v5, 32, v5
	v_min_u32_e32 v6, v4, v5
	v_lshlrev_b64 v[4:5], v6, v[2:3]
	s_mov_b32 s6, 0x43800000
	v_min_u32_e32 v4, 1, v4
	v_or_b32_e32 v4, v5, v4
	v_cvt_f32_i32_e32 v4, v4
	v_sub_u32_e32 v5, 32, v6
	v_mov_b32_e32 v6, 0x80
	v_ldexp_f32 v4, v4, v5
	v_and_b32_e32 v5, 0x7fffffff, v4
	v_cmp_gt_u32_e32 vcc, s6, v5
	s_and_saveexec_b64 s[6:7], vcc
	s_cbranch_execz .LBB199_2011
; %bb.2006:
	s_mov_b32 s8, 0x3bffffff
	v_cmp_lt_u32_e32 vcc, s8, v5
	s_mov_b64 s[8:9], 0
                                        ; implicit-def: $vgpr5
	s_and_saveexec_b64 s[10:11], vcc
	s_xor_b64 s[10:11], exec, s[10:11]
	s_cbranch_execz .LBB199_2117
; %bb.2007:
	v_bfe_u32 v5, v4, 20, 1
	s_mov_b32 s12, 0x487ffff
	v_add3_u32 v5, v4, v5, s12
	s_mov_b64 s[8:9], exec
	v_lshrrev_b32_e32 v5, 20, v5
	s_andn2_saveexec_b64 s[10:11], s[10:11]
	s_cbranch_execnz .LBB199_2118
.LBB199_2008:
	s_or_b64 exec, exec, s[10:11]
	v_mov_b32_e32 v6, 0
	s_and_saveexec_b64 s[10:11], s[8:9]
.LBB199_2009:
	v_lshrrev_b32_e32 v4, 24, v4
	s_movk_i32 s8, 0x80
	v_and_or_b32 v6, v4, s8, v5
.LBB199_2010:
	s_or_b64 exec, exec, s[10:11]
.LBB199_2011:
	s_or_b64 exec, exec, s[6:7]
	global_store_byte v[0:1], v6, off
.LBB199_2012:
	s_mov_b64 s[6:7], 0
.LBB199_2013:
	s_and_b64 vcc, exec, s[6:7]
	s_cbranch_vccz .LBB199_2053
; %bb.2014:
	s_cmp_gt_i32 s17, 22
	s_mov_b64 s[4:5], -1
	s_cbranch_scc0 .LBB199_2046
; %bb.2015:
	s_cmp_lt_i32 s17, 24
	s_cbranch_scc1 .LBB199_2035
; %bb.2016:
	s_cmp_gt_i32 s17, 24
	s_cbranch_scc0 .LBB199_2024
; %bb.2017:
	v_xor_b32_e32 v5, v2, v3
	v_ffbh_i32_e32 v4, v3
	v_ashrrev_i32_e32 v5, 31, v5
	v_add_u32_e32 v4, -1, v4
	v_add_u32_e32 v5, 32, v5
	v_min_u32_e32 v6, v4, v5
	v_lshlrev_b64 v[4:5], v6, v[2:3]
	s_mov_b32 s4, 0x47800000
	v_min_u32_e32 v4, 1, v4
	v_or_b32_e32 v4, v5, v4
	v_cvt_f32_i32_e32 v4, v4
	v_sub_u32_e32 v5, 32, v6
	v_mov_b32_e32 v6, 0x80
	v_ldexp_f32 v4, v4, v5
	v_and_b32_e32 v5, 0x7fffffff, v4
	v_cmp_gt_u32_e32 vcc, s4, v5
	s_and_saveexec_b64 s[4:5], vcc
	s_cbranch_execz .LBB199_2023
; %bb.2018:
	s_mov_b32 s6, 0x37ffffff
	v_cmp_lt_u32_e32 vcc, s6, v5
	s_mov_b64 s[6:7], 0
                                        ; implicit-def: $vgpr5
	s_and_saveexec_b64 s[8:9], vcc
	s_xor_b64 s[8:9], exec, s[8:9]
	s_cbranch_execz .LBB199_2120
; %bb.2019:
	v_bfe_u32 v5, v4, 21, 1
	s_mov_b32 s10, 0x88fffff
	v_add3_u32 v5, v4, v5, s10
	s_mov_b64 s[6:7], exec
	v_lshrrev_b32_e32 v5, 21, v5
	s_andn2_saveexec_b64 s[8:9], s[8:9]
	s_cbranch_execnz .LBB199_2121
.LBB199_2020:
	s_or_b64 exec, exec, s[8:9]
	v_mov_b32_e32 v6, 0
	s_and_saveexec_b64 s[8:9], s[6:7]
.LBB199_2021:
	v_lshrrev_b32_e32 v4, 24, v4
	s_movk_i32 s6, 0x80
	v_and_or_b32 v6, v4, s6, v5
.LBB199_2022:
	s_or_b64 exec, exec, s[8:9]
.LBB199_2023:
	s_or_b64 exec, exec, s[4:5]
	s_mov_b64 s[4:5], 0
	global_store_byte v[0:1], v6, off
.LBB199_2024:
	s_and_b64 vcc, exec, s[4:5]
	s_cbranch_vccz .LBB199_2034
; %bb.2025:
	v_xor_b32_e32 v5, v2, v3
	v_ffbh_i32_e32 v4, v3
	v_ashrrev_i32_e32 v5, 31, v5
	v_add_u32_e32 v4, -1, v4
	v_add_u32_e32 v5, 32, v5
	v_min_u32_e32 v6, v4, v5
	v_lshlrev_b64 v[4:5], v6, v[2:3]
	s_mov_b32 s4, 0x43f00000
	v_min_u32_e32 v4, 1, v4
	v_or_b32_e32 v4, v5, v4
	v_cvt_f32_i32_e32 v4, v4
	v_sub_u32_e32 v5, 32, v6
	v_ldexp_f32 v4, v4, v5
	v_and_b32_e32 v6, 0x7fffffff, v4
	v_cmp_gt_u32_e32 vcc, s4, v6
                                        ; implicit-def: $vgpr5
	s_and_saveexec_b64 s[4:5], vcc
	s_xor_b64 s[4:5], exec, s[4:5]
	s_cbranch_execz .LBB199_2031
; %bb.2026:
	s_mov_b32 s6, 0x3c7fffff
	v_cmp_lt_u32_e32 vcc, s6, v6
                                        ; implicit-def: $vgpr5
	s_and_saveexec_b64 s[6:7], vcc
	s_xor_b64 s[6:7], exec, s[6:7]
; %bb.2027:
	v_bfe_u32 v5, v4, 20, 1
	s_mov_b32 s8, 0x407ffff
	v_add3_u32 v5, v4, v5, s8
	v_lshrrev_b32_e32 v6, 20, v5
	v_and_b32_e32 v5, 0xff00000, v5
	s_mov_b32 s8, 0x7f00000
	v_mov_b32_e32 v7, 0x7e
	v_cmp_ne_u32_e32 vcc, s8, v5
	v_cndmask_b32_e32 v5, v7, v6, vcc
; %bb.2028:
	s_andn2_saveexec_b64 s[6:7], s[6:7]
; %bb.2029:
	s_mov_b32 s8, 0x46800000
	v_add_f32_e64 v5, |v4|, s8
; %bb.2030:
	s_or_b64 exec, exec, s[6:7]
                                        ; implicit-def: $vgpr6
.LBB199_2031:
	s_andn2_saveexec_b64 s[4:5], s[4:5]
; %bb.2032:
	s_mov_b32 s6, 0x7f800000
	v_mov_b32_e32 v5, 0x7e
	v_mov_b32_e32 v7, 0x7f
	v_cmp_lt_u32_e32 vcc, s6, v6
	v_cndmask_b32_e32 v5, v5, v7, vcc
; %bb.2033:
	s_or_b64 exec, exec, s[4:5]
	v_lshrrev_b32_e32 v4, 24, v4
	s_movk_i32 s4, 0x80
	v_and_or_b32 v4, v4, s4, v5
	global_store_byte v[0:1], v4, off
.LBB199_2034:
	s_mov_b64 s[4:5], 0
.LBB199_2035:
	s_andn2_b64 vcc, exec, s[4:5]
	s_cbranch_vccnz .LBB199_2045
; %bb.2036:
	v_xor_b32_e32 v5, v2, v3
	v_ffbh_i32_e32 v4, v3
	v_ashrrev_i32_e32 v5, 31, v5
	v_add_u32_e32 v4, -1, v4
	v_add_u32_e32 v5, 32, v5
	v_min_u32_e32 v6, v4, v5
	v_lshlrev_b64 v[4:5], v6, v[2:3]
	s_mov_b32 s4, 0x47800000
	v_min_u32_e32 v4, 1, v4
	v_or_b32_e32 v4, v5, v4
	v_cvt_f32_i32_e32 v4, v4
	v_sub_u32_e32 v5, 32, v6
	v_ldexp_f32 v4, v4, v5
	v_and_b32_e32 v6, 0x7fffffff, v4
	v_cmp_gt_u32_e32 vcc, s4, v6
                                        ; implicit-def: $vgpr5
	s_and_saveexec_b64 s[4:5], vcc
	s_xor_b64 s[4:5], exec, s[4:5]
	s_cbranch_execz .LBB199_2042
; %bb.2037:
	s_mov_b32 s6, 0x387fffff
	v_cmp_lt_u32_e32 vcc, s6, v6
                                        ; implicit-def: $vgpr5
	s_and_saveexec_b64 s[6:7], vcc
	s_xor_b64 s[6:7], exec, s[6:7]
; %bb.2038:
	v_bfe_u32 v5, v4, 21, 1
	s_mov_b32 s8, 0x80fffff
	v_add3_u32 v5, v4, v5, s8
	v_lshrrev_b32_e32 v5, 21, v5
; %bb.2039:
	s_andn2_saveexec_b64 s[6:7], s[6:7]
; %bb.2040:
	s_mov_b32 s8, 0x43000000
	v_add_f32_e64 v5, |v4|, s8
; %bb.2041:
	s_or_b64 exec, exec, s[6:7]
                                        ; implicit-def: $vgpr6
.LBB199_2042:
	s_andn2_saveexec_b64 s[4:5], s[4:5]
; %bb.2043:
	s_mov_b32 s6, 0x7f800000
	v_mov_b32_e32 v5, 0x7c
	v_mov_b32_e32 v7, 0x7f
	v_cmp_lt_u32_e32 vcc, s6, v6
	v_cndmask_b32_e32 v5, v5, v7, vcc
; %bb.2044:
	s_or_b64 exec, exec, s[4:5]
	v_lshrrev_b32_e32 v4, 24, v4
	s_movk_i32 s4, 0x80
	v_and_or_b32 v4, v4, s4, v5
	global_store_byte v[0:1], v4, off
.LBB199_2045:
	s_mov_b64 s[4:5], 0
.LBB199_2046:
	s_andn2_b64 vcc, exec, s[4:5]
	s_mov_b64 s[4:5], 0
	s_cbranch_vccnz .LBB199_2053
; %bb.2047:
	s_cmp_gt_i32 s17, 14
	s_mov_b64 s[6:7], -1
	s_cbranch_scc0 .LBB199_2051
; %bb.2048:
	s_cmp_eq_u32 s17, 15
	s_mov_b64 s[0:1], -1
	s_cbranch_scc0 .LBB199_2050
; %bb.2049:
	v_xor_b32_e32 v5, v2, v3
	v_ffbh_i32_e32 v4, v3
	v_ashrrev_i32_e32 v5, 31, v5
	v_add_u32_e32 v4, -1, v4
	v_add_u32_e32 v5, 32, v5
	v_min_u32_e32 v6, v4, v5
	v_lshlrev_b64 v[4:5], v6, v[2:3]
	s_movk_i32 s0, 0x7fff
	v_min_u32_e32 v4, 1, v4
	v_or_b32_e32 v4, v5, v4
	v_cvt_f32_i32_e32 v4, v4
	v_sub_u32_e32 v5, 32, v6
	v_ldexp_f32 v4, v4, v5
	v_bfe_u32 v5, v4, 16, 1
	v_add3_u32 v4, v4, v5, s0
	global_store_short_d16_hi v[0:1], v4, off
	s_mov_b64 s[0:1], 0
.LBB199_2050:
	s_mov_b64 s[6:7], 0
.LBB199_2051:
	s_and_b64 vcc, exec, s[6:7]
	s_cbranch_vccz .LBB199_2053
; %bb.2052:
	s_cmp_lg_u32 s17, 11
	s_mov_b64 s[4:5], -1
	s_cselect_b64 s[0:1], -1, 0
.LBB199_2053:
	s_and_b64 vcc, exec, s[0:1]
	s_cbranch_vccnz .LBB199_2119
.LBB199_2054:
	s_mov_b64 s[0:1], 0
	s_branch .LBB199_2056
.LBB199_2055:
	s_mov_b64 s[0:1], 0
	s_mov_b64 s[4:5], 0
                                        ; implicit-def: $vgpr0_vgpr1
                                        ; implicit-def: $sgpr16
                                        ; implicit-def: $vgpr2_vgpr3
.LBB199_2056:
	s_and_b64 s[6:7], s[4:5], exec
	s_andn2_b64 s[4:5], s[28:29], exec
	s_and_b64 s[2:3], s[2:3], exec
	s_and_b64 s[0:1], s[0:1], exec
	s_or_b64 s[28:29], s[4:5], s[2:3]
.LBB199_2057:
	s_or_b64 exec, exec, s[30:31]
	s_and_saveexec_b64 s[2:3], s[28:29]
	s_cbranch_execz .LBB199_2060
; %bb.2058:
	; divergent unreachable
	s_or_b64 exec, exec, s[2:3]
	s_and_saveexec_b64 s[2:3], s[6:7]
	s_xor_b64 s[2:3], exec, s[2:3]
	s_cbranch_execnz .LBB199_2061
.LBB199_2059:
	s_or_b64 exec, exec, s[2:3]
	s_and_saveexec_b64 s[2:3], s[0:1]
	s_cbranch_execnz .LBB199_2062
	s_branch .LBB199_2099
.LBB199_2060:
	s_or_b64 exec, exec, s[2:3]
	s_and_saveexec_b64 s[2:3], s[6:7]
	s_xor_b64 s[2:3], exec, s[2:3]
	s_cbranch_execz .LBB199_2059
.LBB199_2061:
	s_waitcnt vmcnt(0)
	v_cmp_ne_u64_e32 vcc, 0, v[2:3]
	v_cndmask_b32_e64 v4, 0, 1, vcc
	global_store_byte v[0:1], v4, off
	s_or_b64 exec, exec, s[2:3]
	s_and_saveexec_b64 s[2:3], s[0:1]
	s_cbranch_execz .LBB199_2099
.LBB199_2062:
	s_sext_i32_i16 s2, s16
	s_cmp_lt_i32 s2, 5
	s_mov_b64 s[0:1], -1
	s_cbranch_scc1 .LBB199_2083
; %bb.2063:
	s_cmp_lt_i32 s2, 8
	s_cbranch_scc1 .LBB199_2073
; %bb.2064:
	s_cmp_lt_i32 s2, 9
	s_cbranch_scc1 .LBB199_2070
; %bb.2065:
	s_cmp_gt_i32 s2, 9
	s_cbranch_scc0 .LBB199_2067
; %bb.2066:
	s_waitcnt vmcnt(0)
	v_cvt_f64_i32_e32 v[4:5], v3
	v_cvt_f64_u32_e32 v[6:7], v2
	s_mov_b64 s[0:1], 0
	v_ldexp_f64 v[4:5], v[4:5], 32
	v_add_f64 v[4:5], v[4:5], v[6:7]
	v_mov_b32_e32 v6, 0
	v_mov_b32_e32 v7, v6
	global_store_dwordx4 v[0:1], v[4:7], off
.LBB199_2067:
	s_andn2_b64 vcc, exec, s[0:1]
	s_cbranch_vccnz .LBB199_2069
; %bb.2068:
	s_waitcnt vmcnt(0)
	v_xor_b32_e32 v5, v2, v3
	v_ffbh_i32_e32 v4, v3
	v_ashrrev_i32_e32 v5, 31, v5
	v_add_u32_e32 v4, -1, v4
	v_add_u32_e32 v5, 32, v5
	v_min_u32_e32 v6, v4, v5
	v_lshlrev_b64 v[4:5], v6, v[2:3]
	v_min_u32_e32 v4, 1, v4
	v_or_b32_e32 v4, v5, v4
	v_cvt_f32_i32_e32 v4, v4
	v_sub_u32_e32 v5, 32, v6
	v_ldexp_f32 v4, v4, v5
	v_mov_b32_e32 v5, 0
	global_store_dwordx2 v[0:1], v[4:5], off
.LBB199_2069:
	s_mov_b64 s[0:1], 0
.LBB199_2070:
	s_andn2_b64 vcc, exec, s[0:1]
	s_cbranch_vccnz .LBB199_2072
; %bb.2071:
	s_waitcnt vmcnt(0)
	v_xor_b32_e32 v5, v2, v3
	v_ffbh_i32_e32 v4, v3
	v_ashrrev_i32_e32 v5, 31, v5
	v_add_u32_e32 v4, -1, v4
	v_add_u32_e32 v5, 32, v5
	v_min_u32_e32 v6, v4, v5
	v_lshlrev_b64 v[4:5], v6, v[2:3]
	v_min_u32_e32 v4, 1, v4
	v_or_b32_e32 v4, v5, v4
	v_cvt_f32_i32_e32 v4, v4
	v_sub_u32_e32 v5, 32, v6
	v_ldexp_f32 v4, v4, v5
	v_cvt_f16_f32_e32 v4, v4
	global_store_dword v[0:1], v4, off
.LBB199_2072:
	s_mov_b64 s[0:1], 0
.LBB199_2073:
	s_andn2_b64 vcc, exec, s[0:1]
	s_cbranch_vccnz .LBB199_2082
; %bb.2074:
	s_sext_i32_i16 s2, s16
	s_cmp_lt_i32 s2, 6
	s_mov_b64 s[0:1], -1
	s_cbranch_scc1 .LBB199_2080
; %bb.2075:
	s_cmp_gt_i32 s2, 6
	s_cbranch_scc0 .LBB199_2077
; %bb.2076:
	s_waitcnt vmcnt(0)
	v_cvt_f64_i32_e32 v[4:5], v3
	v_cvt_f64_u32_e32 v[6:7], v2
	s_mov_b64 s[0:1], 0
	v_ldexp_f64 v[4:5], v[4:5], 32
	v_add_f64 v[4:5], v[4:5], v[6:7]
	global_store_dwordx2 v[0:1], v[4:5], off
.LBB199_2077:
	s_andn2_b64 vcc, exec, s[0:1]
	s_cbranch_vccnz .LBB199_2079
; %bb.2078:
	s_waitcnt vmcnt(0)
	v_xor_b32_e32 v5, v2, v3
	v_ffbh_i32_e32 v4, v3
	v_ashrrev_i32_e32 v5, 31, v5
	v_add_u32_e32 v4, -1, v4
	v_add_u32_e32 v5, 32, v5
	v_min_u32_e32 v6, v4, v5
	v_lshlrev_b64 v[4:5], v6, v[2:3]
	v_min_u32_e32 v4, 1, v4
	v_or_b32_e32 v4, v5, v4
	v_cvt_f32_i32_e32 v4, v4
	v_sub_u32_e32 v5, 32, v6
	v_ldexp_f32 v4, v4, v5
	global_store_dword v[0:1], v4, off
.LBB199_2079:
	s_mov_b64 s[0:1], 0
.LBB199_2080:
	s_andn2_b64 vcc, exec, s[0:1]
	s_cbranch_vccnz .LBB199_2082
; %bb.2081:
	s_waitcnt vmcnt(0)
	v_xor_b32_e32 v5, v2, v3
	v_ffbh_i32_e32 v4, v3
	v_ashrrev_i32_e32 v5, 31, v5
	v_add_u32_e32 v4, -1, v4
	v_add_u32_e32 v5, 32, v5
	v_min_u32_e32 v6, v4, v5
	v_lshlrev_b64 v[4:5], v6, v[2:3]
	v_min_u32_e32 v4, 1, v4
	v_or_b32_e32 v4, v5, v4
	v_cvt_f32_i32_e32 v4, v4
	v_sub_u32_e32 v5, 32, v6
	v_ldexp_f32 v4, v4, v5
	v_cvt_f16_f32_e32 v4, v4
	global_store_short v[0:1], v4, off
.LBB199_2082:
	s_mov_b64 s[0:1], 0
.LBB199_2083:
	s_andn2_b64 vcc, exec, s[0:1]
	s_cbranch_vccnz .LBB199_2099
; %bb.2084:
	s_sext_i32_i16 s2, s16
	s_cmp_lt_i32 s2, 2
	s_mov_b64 s[0:1], -1
	s_cbranch_scc1 .LBB199_2094
; %bb.2085:
	s_cmp_lt_i32 s2, 3
	s_cbranch_scc1 .LBB199_2091
; %bb.2086:
	s_cmp_gt_i32 s2, 3
	s_cbranch_scc0 .LBB199_2088
; %bb.2087:
	s_waitcnt vmcnt(0)
	global_store_dwordx2 v[0:1], v[2:3], off
	s_mov_b64 s[0:1], 0
.LBB199_2088:
	s_andn2_b64 vcc, exec, s[0:1]
	s_cbranch_vccnz .LBB199_2090
; %bb.2089:
	global_store_dword v[0:1], v2, off
.LBB199_2090:
	s_mov_b64 s[0:1], 0
.LBB199_2091:
	s_andn2_b64 vcc, exec, s[0:1]
	s_cbranch_vccnz .LBB199_2093
; %bb.2092:
	global_store_short v[0:1], v2, off
.LBB199_2093:
	s_mov_b64 s[0:1], 0
.LBB199_2094:
	s_andn2_b64 vcc, exec, s[0:1]
	s_cbranch_vccnz .LBB199_2099
; %bb.2095:
	s_sext_i32_i16 s0, s16
	s_cmp_gt_i32 s0, 0
	s_mov_b64 s[0:1], -1
	s_cbranch_scc0 .LBB199_2097
; %bb.2096:
	global_store_byte v[0:1], v2, off
	s_mov_b64 s[0:1], 0
.LBB199_2097:
	s_andn2_b64 vcc, exec, s[0:1]
	s_cbranch_vccnz .LBB199_2099
; %bb.2098:
	global_store_byte v[0:1], v2, off
	s_endpgm
.LBB199_2099:
	s_endpgm
.LBB199_2100:
	s_mov_b64 s[4:5], 0
	s_mov_b64 s[0:1], -1
	s_branch .LBB199_2056
.LBB199_2101:
	s_trap 2
	s_or_b64 s[2:3], s[2:3], exec
	s_cbranch_execz .LBB199_1570
	s_branch .LBB199_1571
.LBB199_2102:
	s_andn2_saveexec_b64 s[14:15], s[14:15]
	s_cbranch_execz .LBB199_1650
.LBB199_2103:
	s_mov_b32 s18, 0x46000000
	v_add_f32_e64 v3, |v1|, s18
	v_and_b32_e32 v3, 0xff, v3
	v_cmp_ne_u32_e32 vcc, 0, v3
	s_andn2_b64 s[12:13], s[12:13], exec
	s_and_b64 s[18:19], vcc, exec
	s_or_b64 s[12:13], s[12:13], s[18:19]
	s_or_b64 exec, exec, s[14:15]
	v_mov_b32_e32 v15, 0
	s_and_saveexec_b64 s[14:15], s[12:13]
	s_cbranch_execnz .LBB199_1651
	s_branch .LBB199_1652
.LBB199_2104:
	s_trap 2
	s_or_b64 s[2:3], s[2:3], exec
	s_cbranch_execz .LBB199_1698
	s_branch .LBB199_1699
.LBB199_2105:
	s_andn2_saveexec_b64 s[12:13], s[12:13]
	s_cbranch_execz .LBB199_1663
.LBB199_2106:
	s_mov_b32 s14, 0x42800000
	v_add_f32_e64 v3, |v1|, s14
	v_and_b32_e32 v3, 0xff, v3
	v_cmp_ne_u32_e32 vcc, 0, v3
	s_andn2_b64 s[10:11], s[10:11], exec
	s_and_b64 s[14:15], vcc, exec
	s_or_b64 s[10:11], s[10:11], s[14:15]
	s_or_b64 exec, exec, s[12:13]
	v_mov_b32_e32 v15, 0
	s_and_saveexec_b64 s[12:13], s[10:11]
	s_cbranch_execnz .LBB199_1664
	s_branch .LBB199_1665
.LBB199_2107:
	s_andn2_saveexec_b64 s[14:15], s[14:15]
	s_cbranch_execz .LBB199_1769
.LBB199_2108:
	s_mov_b32 s18, 0x46000000
	v_add_f32_e64 v7, |v1|, s18
	v_and_b32_e32 v7, 0xff, v7
	v_cmp_ne_u32_e32 vcc, 0, v7
	s_andn2_b64 s[12:13], s[12:13], exec
	s_and_b64 s[18:19], vcc, exec
	s_or_b64 s[12:13], s[12:13], s[18:19]
	s_or_b64 exec, exec, s[14:15]
	v_mov_b32_e32 v8, 0
	s_and_saveexec_b64 s[14:15], s[12:13]
	s_cbranch_execnz .LBB199_1770
	s_branch .LBB199_1771
.LBB199_2109:
	s_trap 2
	s_or_b64 s[2:3], s[2:3], exec
	s_cbranch_execz .LBB199_1817
	s_branch .LBB199_1818
.LBB199_2110:
	s_andn2_saveexec_b64 s[12:13], s[12:13]
	s_cbranch_execz .LBB199_1782
.LBB199_2111:
	s_mov_b32 s14, 0x42800000
	v_add_f32_e64 v7, |v1|, s14
	v_and_b32_e32 v7, 0xff, v7
	v_cmp_ne_u32_e32 vcc, 0, v7
	s_andn2_b64 s[10:11], s[10:11], exec
	s_and_b64 s[14:15], vcc, exec
	s_or_b64 s[10:11], s[10:11], s[14:15]
	s_or_b64 exec, exec, s[12:13]
	v_mov_b32_e32 v8, 0
	s_and_saveexec_b64 s[12:13], s[10:11]
	s_cbranch_execnz .LBB199_1783
	s_branch .LBB199_1784
.LBB199_2112:
	s_andn2_saveexec_b64 s[14:15], s[14:15]
	s_cbranch_execz .LBB199_1888
.LBB199_2113:
	s_mov_b32 s18, 0x46000000
	v_add_f32_e64 v6, |v5|, s18
	v_and_b32_e32 v6, 0xff, v6
	v_cmp_ne_u32_e32 vcc, 0, v6
	s_andn2_b64 s[12:13], s[12:13], exec
	s_and_b64 s[18:19], vcc, exec
	s_or_b64 s[12:13], s[12:13], s[18:19]
	s_or_b64 exec, exec, s[14:15]
	v_mov_b32_e32 v7, 0
	s_and_saveexec_b64 s[14:15], s[12:13]
	s_cbranch_execnz .LBB199_1889
	s_branch .LBB199_1890
.LBB199_2114:
	s_trap 2
	s_or_b64 s[2:3], s[2:3], exec
	s_cbranch_execz .LBB199_1936
	s_branch .LBB199_1937
.LBB199_2115:
	s_andn2_saveexec_b64 s[12:13], s[12:13]
	s_cbranch_execz .LBB199_1901
.LBB199_2116:
	s_mov_b32 s14, 0x42800000
	v_add_f32_e64 v6, |v5|, s14
	v_and_b32_e32 v6, 0xff, v6
	v_cmp_ne_u32_e32 vcc, 0, v6
	s_andn2_b64 s[10:11], s[10:11], exec
	s_and_b64 s[14:15], vcc, exec
	s_or_b64 s[10:11], s[10:11], s[14:15]
	s_or_b64 exec, exec, s[12:13]
	v_mov_b32_e32 v7, 0
	s_and_saveexec_b64 s[12:13], s[10:11]
	s_cbranch_execnz .LBB199_1902
	s_branch .LBB199_1903
.LBB199_2117:
	s_andn2_saveexec_b64 s[10:11], s[10:11]
	s_cbranch_execz .LBB199_2008
.LBB199_2118:
	s_mov_b32 s12, 0x46000000
	v_add_f32_e64 v5, |v4|, s12
	v_and_b32_e32 v5, 0xff, v5
	v_cmp_ne_u32_e32 vcc, 0, v5
	s_andn2_b64 s[8:9], s[8:9], exec
	s_and_b64 s[12:13], vcc, exec
	s_or_b64 s[8:9], s[8:9], s[12:13]
	s_or_b64 exec, exec, s[10:11]
	v_mov_b32_e32 v6, 0
	s_and_saveexec_b64 s[10:11], s[8:9]
	s_cbranch_execnz .LBB199_2009
	s_branch .LBB199_2010
.LBB199_2119:
	s_mov_b64 s[4:5], 0
	s_or_b64 s[2:3], s[2:3], exec
	s_trap 2
	s_branch .LBB199_2054
.LBB199_2120:
	s_andn2_saveexec_b64 s[8:9], s[8:9]
	s_cbranch_execz .LBB199_2020
.LBB199_2121:
	s_mov_b32 s10, 0x42800000
	v_add_f32_e64 v5, |v4|, s10
	v_and_b32_e32 v5, 0xff, v5
	v_cmp_ne_u32_e32 vcc, 0, v5
	s_andn2_b64 s[6:7], s[6:7], exec
	s_and_b64 s[10:11], vcc, exec
	s_or_b64 s[6:7], s[6:7], s[10:11]
	s_or_b64 exec, exec, s[8:9]
	v_mov_b32_e32 v6, 0
	s_and_saveexec_b64 s[8:9], s[6:7]
	s_cbranch_execnz .LBB199_2021
	s_branch .LBB199_2022
	.section	.rodata,"a",@progbits
	.p2align	6, 0x0
	.amdhsa_kernel _ZN2at6native32elementwise_kernel_manual_unrollILi128ELi4EZNS0_15gpu_kernel_implINS0_13AUnaryFunctorIlllZZZNS0_18rshift_kernel_cudaERNS_18TensorIteratorBaseEENKUlvE_clEvENKUlvE2_clEvEUlllE_EEEEvS5_RKT_EUlibE0_EEviT1_
		.amdhsa_group_segment_fixed_size 0
		.amdhsa_private_segment_fixed_size 0
		.amdhsa_kernarg_size 376
		.amdhsa_user_sgpr_count 6
		.amdhsa_user_sgpr_private_segment_buffer 1
		.amdhsa_user_sgpr_dispatch_ptr 0
		.amdhsa_user_sgpr_queue_ptr 0
		.amdhsa_user_sgpr_kernarg_segment_ptr 1
		.amdhsa_user_sgpr_dispatch_id 0
		.amdhsa_user_sgpr_flat_scratch_init 0
		.amdhsa_user_sgpr_private_segment_size 0
		.amdhsa_uses_dynamic_stack 0
		.amdhsa_system_sgpr_private_segment_wavefront_offset 0
		.amdhsa_system_sgpr_workgroup_id_x 1
		.amdhsa_system_sgpr_workgroup_id_y 0
		.amdhsa_system_sgpr_workgroup_id_z 0
		.amdhsa_system_sgpr_workgroup_info 0
		.amdhsa_system_vgpr_workitem_id 0
		.amdhsa_next_free_vgpr 21
		.amdhsa_next_free_sgpr 80
		.amdhsa_reserve_vcc 1
		.amdhsa_reserve_flat_scratch 0
		.amdhsa_float_round_mode_32 0
		.amdhsa_float_round_mode_16_64 0
		.amdhsa_float_denorm_mode_32 3
		.amdhsa_float_denorm_mode_16_64 3
		.amdhsa_dx10_clamp 1
		.amdhsa_ieee_mode 1
		.amdhsa_fp16_overflow 0
		.amdhsa_exception_fp_ieee_invalid_op 0
		.amdhsa_exception_fp_denorm_src 0
		.amdhsa_exception_fp_ieee_div_zero 0
		.amdhsa_exception_fp_ieee_overflow 0
		.amdhsa_exception_fp_ieee_underflow 0
		.amdhsa_exception_fp_ieee_inexact 0
		.amdhsa_exception_int_div_zero 0
	.end_amdhsa_kernel
	.section	.text._ZN2at6native32elementwise_kernel_manual_unrollILi128ELi4EZNS0_15gpu_kernel_implINS0_13AUnaryFunctorIlllZZZNS0_18rshift_kernel_cudaERNS_18TensorIteratorBaseEENKUlvE_clEvENKUlvE2_clEvEUlllE_EEEEvS5_RKT_EUlibE0_EEviT1_,"axG",@progbits,_ZN2at6native32elementwise_kernel_manual_unrollILi128ELi4EZNS0_15gpu_kernel_implINS0_13AUnaryFunctorIlllZZZNS0_18rshift_kernel_cudaERNS_18TensorIteratorBaseEENKUlvE_clEvENKUlvE2_clEvEUlllE_EEEEvS5_RKT_EUlibE0_EEviT1_,comdat
.Lfunc_end199:
	.size	_ZN2at6native32elementwise_kernel_manual_unrollILi128ELi4EZNS0_15gpu_kernel_implINS0_13AUnaryFunctorIlllZZZNS0_18rshift_kernel_cudaERNS_18TensorIteratorBaseEENKUlvE_clEvENKUlvE2_clEvEUlllE_EEEEvS5_RKT_EUlibE0_EEviT1_, .Lfunc_end199-_ZN2at6native32elementwise_kernel_manual_unrollILi128ELi4EZNS0_15gpu_kernel_implINS0_13AUnaryFunctorIlllZZZNS0_18rshift_kernel_cudaERNS_18TensorIteratorBaseEENKUlvE_clEvENKUlvE2_clEvEUlllE_EEEEvS5_RKT_EUlibE0_EEviT1_
                                        ; -- End function
	.set _ZN2at6native32elementwise_kernel_manual_unrollILi128ELi4EZNS0_15gpu_kernel_implINS0_13AUnaryFunctorIlllZZZNS0_18rshift_kernel_cudaERNS_18TensorIteratorBaseEENKUlvE_clEvENKUlvE2_clEvEUlllE_EEEEvS5_RKT_EUlibE0_EEviT1_.num_vgpr, 21
	.set _ZN2at6native32elementwise_kernel_manual_unrollILi128ELi4EZNS0_15gpu_kernel_implINS0_13AUnaryFunctorIlllZZZNS0_18rshift_kernel_cudaERNS_18TensorIteratorBaseEENKUlvE_clEvENKUlvE2_clEvEUlllE_EEEEvS5_RKT_EUlibE0_EEviT1_.num_agpr, 0
	.set _ZN2at6native32elementwise_kernel_manual_unrollILi128ELi4EZNS0_15gpu_kernel_implINS0_13AUnaryFunctorIlllZZZNS0_18rshift_kernel_cudaERNS_18TensorIteratorBaseEENKUlvE_clEvENKUlvE2_clEvEUlllE_EEEEvS5_RKT_EUlibE0_EEviT1_.numbered_sgpr, 80
	.set _ZN2at6native32elementwise_kernel_manual_unrollILi128ELi4EZNS0_15gpu_kernel_implINS0_13AUnaryFunctorIlllZZZNS0_18rshift_kernel_cudaERNS_18TensorIteratorBaseEENKUlvE_clEvENKUlvE2_clEvEUlllE_EEEEvS5_RKT_EUlibE0_EEviT1_.num_named_barrier, 0
	.set _ZN2at6native32elementwise_kernel_manual_unrollILi128ELi4EZNS0_15gpu_kernel_implINS0_13AUnaryFunctorIlllZZZNS0_18rshift_kernel_cudaERNS_18TensorIteratorBaseEENKUlvE_clEvENKUlvE2_clEvEUlllE_EEEEvS5_RKT_EUlibE0_EEviT1_.private_seg_size, 0
	.set _ZN2at6native32elementwise_kernel_manual_unrollILi128ELi4EZNS0_15gpu_kernel_implINS0_13AUnaryFunctorIlllZZZNS0_18rshift_kernel_cudaERNS_18TensorIteratorBaseEENKUlvE_clEvENKUlvE2_clEvEUlllE_EEEEvS5_RKT_EUlibE0_EEviT1_.uses_vcc, 1
	.set _ZN2at6native32elementwise_kernel_manual_unrollILi128ELi4EZNS0_15gpu_kernel_implINS0_13AUnaryFunctorIlllZZZNS0_18rshift_kernel_cudaERNS_18TensorIteratorBaseEENKUlvE_clEvENKUlvE2_clEvEUlllE_EEEEvS5_RKT_EUlibE0_EEviT1_.uses_flat_scratch, 0
	.set _ZN2at6native32elementwise_kernel_manual_unrollILi128ELi4EZNS0_15gpu_kernel_implINS0_13AUnaryFunctorIlllZZZNS0_18rshift_kernel_cudaERNS_18TensorIteratorBaseEENKUlvE_clEvENKUlvE2_clEvEUlllE_EEEEvS5_RKT_EUlibE0_EEviT1_.has_dyn_sized_stack, 0
	.set _ZN2at6native32elementwise_kernel_manual_unrollILi128ELi4EZNS0_15gpu_kernel_implINS0_13AUnaryFunctorIlllZZZNS0_18rshift_kernel_cudaERNS_18TensorIteratorBaseEENKUlvE_clEvENKUlvE2_clEvEUlllE_EEEEvS5_RKT_EUlibE0_EEviT1_.has_recursion, 0
	.set _ZN2at6native32elementwise_kernel_manual_unrollILi128ELi4EZNS0_15gpu_kernel_implINS0_13AUnaryFunctorIlllZZZNS0_18rshift_kernel_cudaERNS_18TensorIteratorBaseEENKUlvE_clEvENKUlvE2_clEvEUlllE_EEEEvS5_RKT_EUlibE0_EEviT1_.has_indirect_call, 0
	.section	.AMDGPU.csdata,"",@progbits
; Kernel info:
; codeLenInByte = 45272
; TotalNumSgprs: 84
; NumVgprs: 21
; ScratchSize: 0
; MemoryBound: 1
; FloatMode: 240
; IeeeMode: 1
; LDSByteSize: 0 bytes/workgroup (compile time only)
; SGPRBlocks: 10
; VGPRBlocks: 5
; NumSGPRsForWavesPerEU: 84
; NumVGPRsForWavesPerEU: 21
; Occupancy: 9
; WaveLimiterHint : 1
; COMPUTE_PGM_RSRC2:SCRATCH_EN: 0
; COMPUTE_PGM_RSRC2:USER_SGPR: 6
; COMPUTE_PGM_RSRC2:TRAP_HANDLER: 0
; COMPUTE_PGM_RSRC2:TGID_X_EN: 1
; COMPUTE_PGM_RSRC2:TGID_Y_EN: 0
; COMPUTE_PGM_RSRC2:TGID_Z_EN: 0
; COMPUTE_PGM_RSRC2:TIDIG_COMP_CNT: 0
	.section	.text._ZN2at6native29vectorized_elementwise_kernelILi16ENS0_13BUnaryFunctorIlllZZZNS0_18rshift_kernel_cudaERNS_18TensorIteratorBaseEENKUlvE_clEvENKUlvE2_clEvEUlllE_EESt5arrayIPcLm2EEEEviT0_T1_,"axG",@progbits,_ZN2at6native29vectorized_elementwise_kernelILi16ENS0_13BUnaryFunctorIlllZZZNS0_18rshift_kernel_cudaERNS_18TensorIteratorBaseEENKUlvE_clEvENKUlvE2_clEvEUlllE_EESt5arrayIPcLm2EEEEviT0_T1_,comdat
	.globl	_ZN2at6native29vectorized_elementwise_kernelILi16ENS0_13BUnaryFunctorIlllZZZNS0_18rshift_kernel_cudaERNS_18TensorIteratorBaseEENKUlvE_clEvENKUlvE2_clEvEUlllE_EESt5arrayIPcLm2EEEEviT0_T1_ ; -- Begin function _ZN2at6native29vectorized_elementwise_kernelILi16ENS0_13BUnaryFunctorIlllZZZNS0_18rshift_kernel_cudaERNS_18TensorIteratorBaseEENKUlvE_clEvENKUlvE2_clEvEUlllE_EESt5arrayIPcLm2EEEEviT0_T1_
	.p2align	8
	.type	_ZN2at6native29vectorized_elementwise_kernelILi16ENS0_13BUnaryFunctorIlllZZZNS0_18rshift_kernel_cudaERNS_18TensorIteratorBaseEENKUlvE_clEvENKUlvE2_clEvEUlllE_EESt5arrayIPcLm2EEEEviT0_T1_,@function
_ZN2at6native29vectorized_elementwise_kernelILi16ENS0_13BUnaryFunctorIlllZZZNS0_18rshift_kernel_cudaERNS_18TensorIteratorBaseEENKUlvE_clEvENKUlvE2_clEvEUlllE_EESt5arrayIPcLm2EEEEviT0_T1_: ; @_ZN2at6native29vectorized_elementwise_kernelILi16ENS0_13BUnaryFunctorIlllZZZNS0_18rshift_kernel_cudaERNS_18TensorIteratorBaseEENKUlvE_clEvENKUlvE2_clEvEUlllE_EESt5arrayIPcLm2EEEEviT0_T1_
; %bb.0:
	s_load_dword s0, s[4:5], 0x0
	s_load_dwordx4 s[8:11], s[4:5], 0x10
	s_load_dwordx2 s[12:13], s[4:5], 0x20
	s_lshl_b32 s2, s6, 10
	s_waitcnt lgkmcnt(0)
	s_sub_i32 s14, s0, s2
	v_cmp_lt_u64_e64 s[4:5], s[8:9], 63
	s_cmpk_gt_i32 s14, 0x3ff
	s_mov_b64 s[0:1], -1
	s_cbranch_scc0 .LBB200_2
; %bb.1:
	s_ashr_i32 s3, s2, 31
	s_lshl_b64 s[0:1], s[2:3], 3
	s_add_u32 s6, s12, s0
	s_addc_u32 s7, s13, s1
	v_lshlrev_b32_e32 v9, 5, v0
	global_load_dwordx4 v[1:4], v9, s[6:7]
	global_load_dwordx4 v[5:8], v9, s[6:7] offset:16
	s_and_b64 s[6:7], s[4:5], exec
	s_cselect_b32 s3, s8, 63
	s_add_u32 s0, s10, s0
	s_addc_u32 s1, s11, s1
	s_waitcnt vmcnt(1)
	v_ashrrev_i64 v[1:2], s3, v[1:2]
	v_ashrrev_i64 v[3:4], s3, v[3:4]
	s_waitcnt vmcnt(0)
	v_ashrrev_i64 v[5:6], s3, v[5:6]
	v_ashrrev_i64 v[7:8], s3, v[7:8]
	global_store_dwordx4 v9, v[1:4], s[0:1]
	global_store_dwordx4 v9, v[5:8], s[0:1] offset:16
	s_mov_b64 s[0:1], 0
.LBB200_2:
	s_andn2_b64 vcc, exec, s[0:1]
	s_cbranch_vccnz .LBB200_16
; %bb.3:
	v_mov_b32_e32 v3, 0
	v_mov_b32_e32 v5, 0
	v_cmp_gt_i32_e32 vcc, s14, v0
	v_mov_b32_e32 v4, 0
	v_or_b32_e32 v1, s2, v0
	v_mov_b32_e32 v6, 0
	v_mov_b32_e32 v2, v0
	s_and_saveexec_b64 s[6:7], vcc
	s_cbranch_execz .LBB200_5
; %bb.4:
	v_mov_b32_e32 v2, 0
	v_lshlrev_b64 v[5:6], 3, v[1:2]
	v_mov_b32_e32 v2, s13
	v_add_co_u32_e64 v5, s[0:1], s12, v5
	v_addc_co_u32_e64 v6, s[0:1], v2, v6, s[0:1]
	global_load_dwordx2 v[5:6], v[5:6], off
	v_or_b32_e32 v2, 0x100, v0
.LBB200_5:
	s_or_b64 exec, exec, s[6:7]
	v_cmp_gt_i32_e64 s[0:1], s14, v2
	s_and_saveexec_b64 s[6:7], s[0:1]
	s_cbranch_execz .LBB200_7
; %bb.6:
	v_add_u32_e32 v3, s2, v2
	v_mov_b32_e32 v4, 0
	v_lshlrev_b64 v[3:4], 3, v[3:4]
	v_mov_b32_e32 v7, s13
	v_add_co_u32_e64 v3, s[0:1], s12, v3
	v_addc_co_u32_e64 v4, s[0:1], v7, v4, s[0:1]
	global_load_dwordx2 v[3:4], v[3:4], off
	v_add_u32_e32 v2, 0x100, v2
.LBB200_7:
	s_or_b64 exec, exec, s[6:7]
	v_mov_b32_e32 v7, 0
	v_mov_b32_e32 v11, 0
	;; [unrolled: 1-line block ×4, first 2 shown]
	v_cmp_gt_i32_e64 s[0:1], s14, v2
	s_and_saveexec_b64 s[6:7], s[0:1]
	s_cbranch_execz .LBB200_9
; %bb.8:
	v_add_u32_e32 v9, s2, v2
	v_mov_b32_e32 v10, 0
	v_lshlrev_b64 v[9:10], 3, v[9:10]
	v_mov_b32_e32 v11, s13
	v_add_co_u32_e64 v9, s[0:1], s12, v9
	v_addc_co_u32_e64 v10, s[0:1], v11, v10, s[0:1]
	global_load_dwordx2 v[11:12], v[9:10], off
	v_add_u32_e32 v2, 0x100, v2
.LBB200_9:
	s_or_b64 exec, exec, s[6:7]
	v_cmp_gt_i32_e64 s[0:1], s14, v2
	s_and_saveexec_b64 s[6:7], s[0:1]
	s_cbranch_execz .LBB200_11
; %bb.10:
	v_add_u32_e32 v7, s2, v2
	v_mov_b32_e32 v8, 0
	v_lshlrev_b64 v[7:8], 3, v[7:8]
	v_mov_b32_e32 v2, s13
	v_add_co_u32_e64 v7, s[0:1], s12, v7
	v_addc_co_u32_e64 v8, s[0:1], v2, v8, s[0:1]
	global_load_dwordx2 v[7:8], v[7:8], off
.LBB200_11:
	s_or_b64 exec, exec, s[6:7]
	s_and_b64 s[0:1], s[4:5], exec
	s_cselect_b32 s3, s8, 63
	v_or_b32_e32 v15, 0x100, v0
	s_waitcnt vmcnt(0)
	v_ashrrev_i64 v[2:3], s3, v[3:4]
	v_cmp_gt_i32_e64 s[0:1], s14, v15
	v_ashrrev_i64 v[5:6], s3, v[5:6]
	v_cndmask_b32_e64 v10, 0, v3, s[0:1]
	v_cndmask_b32_e64 v9, 0, v2, s[0:1]
	v_or_b32_e32 v4, 0x200, v0
	v_ashrrev_i64 v[2:3], s3, v[11:12]
	v_cmp_gt_i32_e64 s[0:1], s14, v4
	v_cndmask_b32_e32 v14, 0, v6, vcc
	v_cndmask_b32_e32 v13, 0, v5, vcc
	v_cndmask_b32_e64 v6, 0, v3, s[0:1]
	v_cndmask_b32_e64 v5, 0, v2, s[0:1]
	v_or_b32_e32 v4, 0x300, v0
	v_ashrrev_i64 v[2:3], s3, v[7:8]
	v_cmp_gt_i32_e64 s[0:1], s14, v4
	v_cndmask_b32_e64 v4, 0, v3, s[0:1]
	v_cndmask_b32_e64 v3, 0, v2, s[0:1]
	s_and_saveexec_b64 s[0:1], vcc
	s_cbranch_execnz .LBB200_17
; %bb.12:
	s_or_b64 exec, exec, s[0:1]
	v_cmp_gt_i32_e32 vcc, s14, v0
	s_and_saveexec_b64 s[0:1], vcc
	s_cbranch_execnz .LBB200_18
.LBB200_13:
	s_or_b64 exec, exec, s[0:1]
	v_cmp_gt_i32_e32 vcc, s14, v0
	s_and_saveexec_b64 s[0:1], vcc
	s_cbranch_execnz .LBB200_19
.LBB200_14:
	s_or_b64 exec, exec, s[0:1]
	v_cmp_gt_i32_e32 vcc, s14, v0
	s_and_saveexec_b64 s[0:1], vcc
	s_cbranch_execz .LBB200_16
.LBB200_15:
	v_add_u32_e32 v0, s2, v0
	v_mov_b32_e32 v1, 0
	v_lshlrev_b64 v[0:1], 3, v[0:1]
	v_mov_b32_e32 v2, s11
	v_add_co_u32_e32 v0, vcc, s10, v0
	v_addc_co_u32_e32 v1, vcc, v2, v1, vcc
	global_store_dwordx2 v[0:1], v[3:4], off
.LBB200_16:
	s_endpgm
.LBB200_17:
	v_mov_b32_e32 v2, 0
	v_lshlrev_b64 v[0:1], 3, v[1:2]
	v_mov_b32_e32 v2, s11
	v_add_co_u32_e32 v0, vcc, s10, v0
	v_addc_co_u32_e32 v1, vcc, v2, v1, vcc
	global_store_dwordx2 v[0:1], v[13:14], off
	v_mov_b32_e32 v0, v15
	s_or_b64 exec, exec, s[0:1]
	v_cmp_gt_i32_e32 vcc, s14, v0
	s_and_saveexec_b64 s[0:1], vcc
	s_cbranch_execz .LBB200_13
.LBB200_18:
	v_add_u32_e32 v1, s2, v0
	v_mov_b32_e32 v2, 0
	v_lshlrev_b64 v[1:2], 3, v[1:2]
	v_mov_b32_e32 v7, s11
	v_add_co_u32_e32 v1, vcc, s10, v1
	v_addc_co_u32_e32 v2, vcc, v7, v2, vcc
	v_add_u32_e32 v0, 0x100, v0
	global_store_dwordx2 v[1:2], v[9:10], off
	s_or_b64 exec, exec, s[0:1]
	v_cmp_gt_i32_e32 vcc, s14, v0
	s_and_saveexec_b64 s[0:1], vcc
	s_cbranch_execz .LBB200_14
.LBB200_19:
	v_add_u32_e32 v1, s2, v0
	v_mov_b32_e32 v2, 0
	v_lshlrev_b64 v[1:2], 3, v[1:2]
	v_mov_b32_e32 v7, s11
	v_add_co_u32_e32 v1, vcc, s10, v1
	v_addc_co_u32_e32 v2, vcc, v7, v2, vcc
	v_add_u32_e32 v0, 0x100, v0
	global_store_dwordx2 v[1:2], v[5:6], off
	s_or_b64 exec, exec, s[0:1]
	v_cmp_gt_i32_e32 vcc, s14, v0
	s_and_saveexec_b64 s[0:1], vcc
	s_cbranch_execnz .LBB200_15
	s_branch .LBB200_16
	.section	.rodata,"a",@progbits
	.p2align	6, 0x0
	.amdhsa_kernel _ZN2at6native29vectorized_elementwise_kernelILi16ENS0_13BUnaryFunctorIlllZZZNS0_18rshift_kernel_cudaERNS_18TensorIteratorBaseEENKUlvE_clEvENKUlvE2_clEvEUlllE_EESt5arrayIPcLm2EEEEviT0_T1_
		.amdhsa_group_segment_fixed_size 0
		.amdhsa_private_segment_fixed_size 0
		.amdhsa_kernarg_size 40
		.amdhsa_user_sgpr_count 6
		.amdhsa_user_sgpr_private_segment_buffer 1
		.amdhsa_user_sgpr_dispatch_ptr 0
		.amdhsa_user_sgpr_queue_ptr 0
		.amdhsa_user_sgpr_kernarg_segment_ptr 1
		.amdhsa_user_sgpr_dispatch_id 0
		.amdhsa_user_sgpr_flat_scratch_init 0
		.amdhsa_user_sgpr_private_segment_size 0
		.amdhsa_uses_dynamic_stack 0
		.amdhsa_system_sgpr_private_segment_wavefront_offset 0
		.amdhsa_system_sgpr_workgroup_id_x 1
		.amdhsa_system_sgpr_workgroup_id_y 0
		.amdhsa_system_sgpr_workgroup_id_z 0
		.amdhsa_system_sgpr_workgroup_info 0
		.amdhsa_system_vgpr_workitem_id 0
		.amdhsa_next_free_vgpr 16
		.amdhsa_next_free_sgpr 15
		.amdhsa_reserve_vcc 1
		.amdhsa_reserve_flat_scratch 0
		.amdhsa_float_round_mode_32 0
		.amdhsa_float_round_mode_16_64 0
		.amdhsa_float_denorm_mode_32 3
		.amdhsa_float_denorm_mode_16_64 3
		.amdhsa_dx10_clamp 1
		.amdhsa_ieee_mode 1
		.amdhsa_fp16_overflow 0
		.amdhsa_exception_fp_ieee_invalid_op 0
		.amdhsa_exception_fp_denorm_src 0
		.amdhsa_exception_fp_ieee_div_zero 0
		.amdhsa_exception_fp_ieee_overflow 0
		.amdhsa_exception_fp_ieee_underflow 0
		.amdhsa_exception_fp_ieee_inexact 0
		.amdhsa_exception_int_div_zero 0
	.end_amdhsa_kernel
	.section	.text._ZN2at6native29vectorized_elementwise_kernelILi16ENS0_13BUnaryFunctorIlllZZZNS0_18rshift_kernel_cudaERNS_18TensorIteratorBaseEENKUlvE_clEvENKUlvE2_clEvEUlllE_EESt5arrayIPcLm2EEEEviT0_T1_,"axG",@progbits,_ZN2at6native29vectorized_elementwise_kernelILi16ENS0_13BUnaryFunctorIlllZZZNS0_18rshift_kernel_cudaERNS_18TensorIteratorBaseEENKUlvE_clEvENKUlvE2_clEvEUlllE_EESt5arrayIPcLm2EEEEviT0_T1_,comdat
.Lfunc_end200:
	.size	_ZN2at6native29vectorized_elementwise_kernelILi16ENS0_13BUnaryFunctorIlllZZZNS0_18rshift_kernel_cudaERNS_18TensorIteratorBaseEENKUlvE_clEvENKUlvE2_clEvEUlllE_EESt5arrayIPcLm2EEEEviT0_T1_, .Lfunc_end200-_ZN2at6native29vectorized_elementwise_kernelILi16ENS0_13BUnaryFunctorIlllZZZNS0_18rshift_kernel_cudaERNS_18TensorIteratorBaseEENKUlvE_clEvENKUlvE2_clEvEUlllE_EESt5arrayIPcLm2EEEEviT0_T1_
                                        ; -- End function
	.set _ZN2at6native29vectorized_elementwise_kernelILi16ENS0_13BUnaryFunctorIlllZZZNS0_18rshift_kernel_cudaERNS_18TensorIteratorBaseEENKUlvE_clEvENKUlvE2_clEvEUlllE_EESt5arrayIPcLm2EEEEviT0_T1_.num_vgpr, 16
	.set _ZN2at6native29vectorized_elementwise_kernelILi16ENS0_13BUnaryFunctorIlllZZZNS0_18rshift_kernel_cudaERNS_18TensorIteratorBaseEENKUlvE_clEvENKUlvE2_clEvEUlllE_EESt5arrayIPcLm2EEEEviT0_T1_.num_agpr, 0
	.set _ZN2at6native29vectorized_elementwise_kernelILi16ENS0_13BUnaryFunctorIlllZZZNS0_18rshift_kernel_cudaERNS_18TensorIteratorBaseEENKUlvE_clEvENKUlvE2_clEvEUlllE_EESt5arrayIPcLm2EEEEviT0_T1_.numbered_sgpr, 15
	.set _ZN2at6native29vectorized_elementwise_kernelILi16ENS0_13BUnaryFunctorIlllZZZNS0_18rshift_kernel_cudaERNS_18TensorIteratorBaseEENKUlvE_clEvENKUlvE2_clEvEUlllE_EESt5arrayIPcLm2EEEEviT0_T1_.num_named_barrier, 0
	.set _ZN2at6native29vectorized_elementwise_kernelILi16ENS0_13BUnaryFunctorIlllZZZNS0_18rshift_kernel_cudaERNS_18TensorIteratorBaseEENKUlvE_clEvENKUlvE2_clEvEUlllE_EESt5arrayIPcLm2EEEEviT0_T1_.private_seg_size, 0
	.set _ZN2at6native29vectorized_elementwise_kernelILi16ENS0_13BUnaryFunctorIlllZZZNS0_18rshift_kernel_cudaERNS_18TensorIteratorBaseEENKUlvE_clEvENKUlvE2_clEvEUlllE_EESt5arrayIPcLm2EEEEviT0_T1_.uses_vcc, 1
	.set _ZN2at6native29vectorized_elementwise_kernelILi16ENS0_13BUnaryFunctorIlllZZZNS0_18rshift_kernel_cudaERNS_18TensorIteratorBaseEENKUlvE_clEvENKUlvE2_clEvEUlllE_EESt5arrayIPcLm2EEEEviT0_T1_.uses_flat_scratch, 0
	.set _ZN2at6native29vectorized_elementwise_kernelILi16ENS0_13BUnaryFunctorIlllZZZNS0_18rshift_kernel_cudaERNS_18TensorIteratorBaseEENKUlvE_clEvENKUlvE2_clEvEUlllE_EESt5arrayIPcLm2EEEEviT0_T1_.has_dyn_sized_stack, 0
	.set _ZN2at6native29vectorized_elementwise_kernelILi16ENS0_13BUnaryFunctorIlllZZZNS0_18rshift_kernel_cudaERNS_18TensorIteratorBaseEENKUlvE_clEvENKUlvE2_clEvEUlllE_EESt5arrayIPcLm2EEEEviT0_T1_.has_recursion, 0
	.set _ZN2at6native29vectorized_elementwise_kernelILi16ENS0_13BUnaryFunctorIlllZZZNS0_18rshift_kernel_cudaERNS_18TensorIteratorBaseEENKUlvE_clEvENKUlvE2_clEvEUlllE_EESt5arrayIPcLm2EEEEviT0_T1_.has_indirect_call, 0
	.section	.AMDGPU.csdata,"",@progbits
; Kernel info:
; codeLenInByte = 908
; TotalNumSgprs: 19
; NumVgprs: 16
; ScratchSize: 0
; MemoryBound: 0
; FloatMode: 240
; IeeeMode: 1
; LDSByteSize: 0 bytes/workgroup (compile time only)
; SGPRBlocks: 2
; VGPRBlocks: 3
; NumSGPRsForWavesPerEU: 19
; NumVGPRsForWavesPerEU: 16
; Occupancy: 10
; WaveLimiterHint : 0
; COMPUTE_PGM_RSRC2:SCRATCH_EN: 0
; COMPUTE_PGM_RSRC2:USER_SGPR: 6
; COMPUTE_PGM_RSRC2:TRAP_HANDLER: 0
; COMPUTE_PGM_RSRC2:TGID_X_EN: 1
; COMPUTE_PGM_RSRC2:TGID_Y_EN: 0
; COMPUTE_PGM_RSRC2:TGID_Z_EN: 0
; COMPUTE_PGM_RSRC2:TIDIG_COMP_CNT: 0
	.section	.text._ZN2at6native29vectorized_elementwise_kernelILi8ENS0_13BUnaryFunctorIlllZZZNS0_18rshift_kernel_cudaERNS_18TensorIteratorBaseEENKUlvE_clEvENKUlvE2_clEvEUlllE_EESt5arrayIPcLm2EEEEviT0_T1_,"axG",@progbits,_ZN2at6native29vectorized_elementwise_kernelILi8ENS0_13BUnaryFunctorIlllZZZNS0_18rshift_kernel_cudaERNS_18TensorIteratorBaseEENKUlvE_clEvENKUlvE2_clEvEUlllE_EESt5arrayIPcLm2EEEEviT0_T1_,comdat
	.globl	_ZN2at6native29vectorized_elementwise_kernelILi8ENS0_13BUnaryFunctorIlllZZZNS0_18rshift_kernel_cudaERNS_18TensorIteratorBaseEENKUlvE_clEvENKUlvE2_clEvEUlllE_EESt5arrayIPcLm2EEEEviT0_T1_ ; -- Begin function _ZN2at6native29vectorized_elementwise_kernelILi8ENS0_13BUnaryFunctorIlllZZZNS0_18rshift_kernel_cudaERNS_18TensorIteratorBaseEENKUlvE_clEvENKUlvE2_clEvEUlllE_EESt5arrayIPcLm2EEEEviT0_T1_
	.p2align	8
	.type	_ZN2at6native29vectorized_elementwise_kernelILi8ENS0_13BUnaryFunctorIlllZZZNS0_18rshift_kernel_cudaERNS_18TensorIteratorBaseEENKUlvE_clEvENKUlvE2_clEvEUlllE_EESt5arrayIPcLm2EEEEviT0_T1_,@function
_ZN2at6native29vectorized_elementwise_kernelILi8ENS0_13BUnaryFunctorIlllZZZNS0_18rshift_kernel_cudaERNS_18TensorIteratorBaseEENKUlvE_clEvENKUlvE2_clEvEUlllE_EESt5arrayIPcLm2EEEEviT0_T1_: ; @_ZN2at6native29vectorized_elementwise_kernelILi8ENS0_13BUnaryFunctorIlllZZZNS0_18rshift_kernel_cudaERNS_18TensorIteratorBaseEENKUlvE_clEvENKUlvE2_clEvEUlllE_EESt5arrayIPcLm2EEEEviT0_T1_
; %bb.0:
	s_load_dword s0, s[4:5], 0x0
	s_load_dwordx4 s[8:11], s[4:5], 0x10
	s_load_dwordx2 s[12:13], s[4:5], 0x20
	s_lshl_b32 s2, s6, 10
	s_waitcnt lgkmcnt(0)
	s_sub_i32 s14, s0, s2
	v_cmp_lt_u64_e64 s[4:5], s[8:9], 63
	s_cmpk_gt_i32 s14, 0x3ff
	s_mov_b64 s[0:1], -1
	s_cbranch_scc0 .LBB201_2
; %bb.1:
	s_ashr_i32 s3, s2, 31
	s_lshl_b64 s[0:1], s[2:3], 3
	s_add_u32 s6, s12, s0
	s_addc_u32 s7, s13, s1
	v_lshlrev_b32_e32 v9, 5, v0
	global_load_dwordx4 v[1:4], v9, s[6:7]
	global_load_dwordx4 v[5:8], v9, s[6:7] offset:16
	s_and_b64 s[6:7], s[4:5], exec
	s_cselect_b32 s3, s8, 63
	s_add_u32 s0, s10, s0
	s_addc_u32 s1, s11, s1
	s_waitcnt vmcnt(1)
	v_ashrrev_i64 v[1:2], s3, v[1:2]
	v_ashrrev_i64 v[3:4], s3, v[3:4]
	s_waitcnt vmcnt(0)
	v_ashrrev_i64 v[5:6], s3, v[5:6]
	v_ashrrev_i64 v[7:8], s3, v[7:8]
	global_store_dwordx4 v9, v[1:4], s[0:1]
	global_store_dwordx4 v9, v[5:8], s[0:1] offset:16
	s_mov_b64 s[0:1], 0
.LBB201_2:
	s_andn2_b64 vcc, exec, s[0:1]
	s_cbranch_vccnz .LBB201_16
; %bb.3:
	v_mov_b32_e32 v3, 0
	v_mov_b32_e32 v5, 0
	v_cmp_gt_i32_e32 vcc, s14, v0
	v_mov_b32_e32 v4, 0
	v_or_b32_e32 v1, s2, v0
	v_mov_b32_e32 v6, 0
	v_mov_b32_e32 v2, v0
	s_and_saveexec_b64 s[6:7], vcc
	s_cbranch_execz .LBB201_5
; %bb.4:
	v_mov_b32_e32 v2, 0
	v_lshlrev_b64 v[5:6], 3, v[1:2]
	v_mov_b32_e32 v2, s13
	v_add_co_u32_e64 v5, s[0:1], s12, v5
	v_addc_co_u32_e64 v6, s[0:1], v2, v6, s[0:1]
	global_load_dwordx2 v[5:6], v[5:6], off
	v_or_b32_e32 v2, 0x100, v0
.LBB201_5:
	s_or_b64 exec, exec, s[6:7]
	v_cmp_gt_i32_e64 s[0:1], s14, v2
	s_and_saveexec_b64 s[6:7], s[0:1]
	s_cbranch_execz .LBB201_7
; %bb.6:
	v_add_u32_e32 v3, s2, v2
	v_mov_b32_e32 v4, 0
	v_lshlrev_b64 v[3:4], 3, v[3:4]
	v_mov_b32_e32 v7, s13
	v_add_co_u32_e64 v3, s[0:1], s12, v3
	v_addc_co_u32_e64 v4, s[0:1], v7, v4, s[0:1]
	global_load_dwordx2 v[3:4], v[3:4], off
	v_add_u32_e32 v2, 0x100, v2
.LBB201_7:
	s_or_b64 exec, exec, s[6:7]
	v_mov_b32_e32 v7, 0
	v_mov_b32_e32 v11, 0
	;; [unrolled: 1-line block ×4, first 2 shown]
	v_cmp_gt_i32_e64 s[0:1], s14, v2
	s_and_saveexec_b64 s[6:7], s[0:1]
	s_cbranch_execz .LBB201_9
; %bb.8:
	v_add_u32_e32 v9, s2, v2
	v_mov_b32_e32 v10, 0
	v_lshlrev_b64 v[9:10], 3, v[9:10]
	v_mov_b32_e32 v11, s13
	v_add_co_u32_e64 v9, s[0:1], s12, v9
	v_addc_co_u32_e64 v10, s[0:1], v11, v10, s[0:1]
	global_load_dwordx2 v[11:12], v[9:10], off
	v_add_u32_e32 v2, 0x100, v2
.LBB201_9:
	s_or_b64 exec, exec, s[6:7]
	v_cmp_gt_i32_e64 s[0:1], s14, v2
	s_and_saveexec_b64 s[6:7], s[0:1]
	s_cbranch_execz .LBB201_11
; %bb.10:
	v_add_u32_e32 v7, s2, v2
	v_mov_b32_e32 v8, 0
	v_lshlrev_b64 v[7:8], 3, v[7:8]
	v_mov_b32_e32 v2, s13
	v_add_co_u32_e64 v7, s[0:1], s12, v7
	v_addc_co_u32_e64 v8, s[0:1], v2, v8, s[0:1]
	global_load_dwordx2 v[7:8], v[7:8], off
.LBB201_11:
	s_or_b64 exec, exec, s[6:7]
	s_and_b64 s[0:1], s[4:5], exec
	s_cselect_b32 s3, s8, 63
	v_or_b32_e32 v15, 0x100, v0
	s_waitcnt vmcnt(0)
	v_ashrrev_i64 v[2:3], s3, v[3:4]
	v_cmp_gt_i32_e64 s[0:1], s14, v15
	v_ashrrev_i64 v[5:6], s3, v[5:6]
	v_cndmask_b32_e64 v10, 0, v3, s[0:1]
	v_cndmask_b32_e64 v9, 0, v2, s[0:1]
	v_or_b32_e32 v4, 0x200, v0
	v_ashrrev_i64 v[2:3], s3, v[11:12]
	v_cmp_gt_i32_e64 s[0:1], s14, v4
	v_cndmask_b32_e32 v14, 0, v6, vcc
	v_cndmask_b32_e32 v13, 0, v5, vcc
	v_cndmask_b32_e64 v6, 0, v3, s[0:1]
	v_cndmask_b32_e64 v5, 0, v2, s[0:1]
	v_or_b32_e32 v4, 0x300, v0
	v_ashrrev_i64 v[2:3], s3, v[7:8]
	v_cmp_gt_i32_e64 s[0:1], s14, v4
	v_cndmask_b32_e64 v4, 0, v3, s[0:1]
	v_cndmask_b32_e64 v3, 0, v2, s[0:1]
	s_and_saveexec_b64 s[0:1], vcc
	s_cbranch_execnz .LBB201_17
; %bb.12:
	s_or_b64 exec, exec, s[0:1]
	v_cmp_gt_i32_e32 vcc, s14, v0
	s_and_saveexec_b64 s[0:1], vcc
	s_cbranch_execnz .LBB201_18
.LBB201_13:
	s_or_b64 exec, exec, s[0:1]
	v_cmp_gt_i32_e32 vcc, s14, v0
	s_and_saveexec_b64 s[0:1], vcc
	s_cbranch_execnz .LBB201_19
.LBB201_14:
	s_or_b64 exec, exec, s[0:1]
	v_cmp_gt_i32_e32 vcc, s14, v0
	s_and_saveexec_b64 s[0:1], vcc
	s_cbranch_execz .LBB201_16
.LBB201_15:
	v_add_u32_e32 v0, s2, v0
	v_mov_b32_e32 v1, 0
	v_lshlrev_b64 v[0:1], 3, v[0:1]
	v_mov_b32_e32 v2, s11
	v_add_co_u32_e32 v0, vcc, s10, v0
	v_addc_co_u32_e32 v1, vcc, v2, v1, vcc
	global_store_dwordx2 v[0:1], v[3:4], off
.LBB201_16:
	s_endpgm
.LBB201_17:
	v_mov_b32_e32 v2, 0
	v_lshlrev_b64 v[0:1], 3, v[1:2]
	v_mov_b32_e32 v2, s11
	v_add_co_u32_e32 v0, vcc, s10, v0
	v_addc_co_u32_e32 v1, vcc, v2, v1, vcc
	global_store_dwordx2 v[0:1], v[13:14], off
	v_mov_b32_e32 v0, v15
	s_or_b64 exec, exec, s[0:1]
	v_cmp_gt_i32_e32 vcc, s14, v0
	s_and_saveexec_b64 s[0:1], vcc
	s_cbranch_execz .LBB201_13
.LBB201_18:
	v_add_u32_e32 v1, s2, v0
	v_mov_b32_e32 v2, 0
	v_lshlrev_b64 v[1:2], 3, v[1:2]
	v_mov_b32_e32 v7, s11
	v_add_co_u32_e32 v1, vcc, s10, v1
	v_addc_co_u32_e32 v2, vcc, v7, v2, vcc
	v_add_u32_e32 v0, 0x100, v0
	global_store_dwordx2 v[1:2], v[9:10], off
	s_or_b64 exec, exec, s[0:1]
	v_cmp_gt_i32_e32 vcc, s14, v0
	s_and_saveexec_b64 s[0:1], vcc
	s_cbranch_execz .LBB201_14
.LBB201_19:
	v_add_u32_e32 v1, s2, v0
	v_mov_b32_e32 v2, 0
	v_lshlrev_b64 v[1:2], 3, v[1:2]
	v_mov_b32_e32 v7, s11
	v_add_co_u32_e32 v1, vcc, s10, v1
	v_addc_co_u32_e32 v2, vcc, v7, v2, vcc
	v_add_u32_e32 v0, 0x100, v0
	global_store_dwordx2 v[1:2], v[5:6], off
	s_or_b64 exec, exec, s[0:1]
	v_cmp_gt_i32_e32 vcc, s14, v0
	s_and_saveexec_b64 s[0:1], vcc
	s_cbranch_execnz .LBB201_15
	s_branch .LBB201_16
	.section	.rodata,"a",@progbits
	.p2align	6, 0x0
	.amdhsa_kernel _ZN2at6native29vectorized_elementwise_kernelILi8ENS0_13BUnaryFunctorIlllZZZNS0_18rshift_kernel_cudaERNS_18TensorIteratorBaseEENKUlvE_clEvENKUlvE2_clEvEUlllE_EESt5arrayIPcLm2EEEEviT0_T1_
		.amdhsa_group_segment_fixed_size 0
		.amdhsa_private_segment_fixed_size 0
		.amdhsa_kernarg_size 40
		.amdhsa_user_sgpr_count 6
		.amdhsa_user_sgpr_private_segment_buffer 1
		.amdhsa_user_sgpr_dispatch_ptr 0
		.amdhsa_user_sgpr_queue_ptr 0
		.amdhsa_user_sgpr_kernarg_segment_ptr 1
		.amdhsa_user_sgpr_dispatch_id 0
		.amdhsa_user_sgpr_flat_scratch_init 0
		.amdhsa_user_sgpr_private_segment_size 0
		.amdhsa_uses_dynamic_stack 0
		.amdhsa_system_sgpr_private_segment_wavefront_offset 0
		.amdhsa_system_sgpr_workgroup_id_x 1
		.amdhsa_system_sgpr_workgroup_id_y 0
		.amdhsa_system_sgpr_workgroup_id_z 0
		.amdhsa_system_sgpr_workgroup_info 0
		.amdhsa_system_vgpr_workitem_id 0
		.amdhsa_next_free_vgpr 16
		.amdhsa_next_free_sgpr 15
		.amdhsa_reserve_vcc 1
		.amdhsa_reserve_flat_scratch 0
		.amdhsa_float_round_mode_32 0
		.amdhsa_float_round_mode_16_64 0
		.amdhsa_float_denorm_mode_32 3
		.amdhsa_float_denorm_mode_16_64 3
		.amdhsa_dx10_clamp 1
		.amdhsa_ieee_mode 1
		.amdhsa_fp16_overflow 0
		.amdhsa_exception_fp_ieee_invalid_op 0
		.amdhsa_exception_fp_denorm_src 0
		.amdhsa_exception_fp_ieee_div_zero 0
		.amdhsa_exception_fp_ieee_overflow 0
		.amdhsa_exception_fp_ieee_underflow 0
		.amdhsa_exception_fp_ieee_inexact 0
		.amdhsa_exception_int_div_zero 0
	.end_amdhsa_kernel
	.section	.text._ZN2at6native29vectorized_elementwise_kernelILi8ENS0_13BUnaryFunctorIlllZZZNS0_18rshift_kernel_cudaERNS_18TensorIteratorBaseEENKUlvE_clEvENKUlvE2_clEvEUlllE_EESt5arrayIPcLm2EEEEviT0_T1_,"axG",@progbits,_ZN2at6native29vectorized_elementwise_kernelILi8ENS0_13BUnaryFunctorIlllZZZNS0_18rshift_kernel_cudaERNS_18TensorIteratorBaseEENKUlvE_clEvENKUlvE2_clEvEUlllE_EESt5arrayIPcLm2EEEEviT0_T1_,comdat
.Lfunc_end201:
	.size	_ZN2at6native29vectorized_elementwise_kernelILi8ENS0_13BUnaryFunctorIlllZZZNS0_18rshift_kernel_cudaERNS_18TensorIteratorBaseEENKUlvE_clEvENKUlvE2_clEvEUlllE_EESt5arrayIPcLm2EEEEviT0_T1_, .Lfunc_end201-_ZN2at6native29vectorized_elementwise_kernelILi8ENS0_13BUnaryFunctorIlllZZZNS0_18rshift_kernel_cudaERNS_18TensorIteratorBaseEENKUlvE_clEvENKUlvE2_clEvEUlllE_EESt5arrayIPcLm2EEEEviT0_T1_
                                        ; -- End function
	.set _ZN2at6native29vectorized_elementwise_kernelILi8ENS0_13BUnaryFunctorIlllZZZNS0_18rshift_kernel_cudaERNS_18TensorIteratorBaseEENKUlvE_clEvENKUlvE2_clEvEUlllE_EESt5arrayIPcLm2EEEEviT0_T1_.num_vgpr, 16
	.set _ZN2at6native29vectorized_elementwise_kernelILi8ENS0_13BUnaryFunctorIlllZZZNS0_18rshift_kernel_cudaERNS_18TensorIteratorBaseEENKUlvE_clEvENKUlvE2_clEvEUlllE_EESt5arrayIPcLm2EEEEviT0_T1_.num_agpr, 0
	.set _ZN2at6native29vectorized_elementwise_kernelILi8ENS0_13BUnaryFunctorIlllZZZNS0_18rshift_kernel_cudaERNS_18TensorIteratorBaseEENKUlvE_clEvENKUlvE2_clEvEUlllE_EESt5arrayIPcLm2EEEEviT0_T1_.numbered_sgpr, 15
	.set _ZN2at6native29vectorized_elementwise_kernelILi8ENS0_13BUnaryFunctorIlllZZZNS0_18rshift_kernel_cudaERNS_18TensorIteratorBaseEENKUlvE_clEvENKUlvE2_clEvEUlllE_EESt5arrayIPcLm2EEEEviT0_T1_.num_named_barrier, 0
	.set _ZN2at6native29vectorized_elementwise_kernelILi8ENS0_13BUnaryFunctorIlllZZZNS0_18rshift_kernel_cudaERNS_18TensorIteratorBaseEENKUlvE_clEvENKUlvE2_clEvEUlllE_EESt5arrayIPcLm2EEEEviT0_T1_.private_seg_size, 0
	.set _ZN2at6native29vectorized_elementwise_kernelILi8ENS0_13BUnaryFunctorIlllZZZNS0_18rshift_kernel_cudaERNS_18TensorIteratorBaseEENKUlvE_clEvENKUlvE2_clEvEUlllE_EESt5arrayIPcLm2EEEEviT0_T1_.uses_vcc, 1
	.set _ZN2at6native29vectorized_elementwise_kernelILi8ENS0_13BUnaryFunctorIlllZZZNS0_18rshift_kernel_cudaERNS_18TensorIteratorBaseEENKUlvE_clEvENKUlvE2_clEvEUlllE_EESt5arrayIPcLm2EEEEviT0_T1_.uses_flat_scratch, 0
	.set _ZN2at6native29vectorized_elementwise_kernelILi8ENS0_13BUnaryFunctorIlllZZZNS0_18rshift_kernel_cudaERNS_18TensorIteratorBaseEENKUlvE_clEvENKUlvE2_clEvEUlllE_EESt5arrayIPcLm2EEEEviT0_T1_.has_dyn_sized_stack, 0
	.set _ZN2at6native29vectorized_elementwise_kernelILi8ENS0_13BUnaryFunctorIlllZZZNS0_18rshift_kernel_cudaERNS_18TensorIteratorBaseEENKUlvE_clEvENKUlvE2_clEvEUlllE_EESt5arrayIPcLm2EEEEviT0_T1_.has_recursion, 0
	.set _ZN2at6native29vectorized_elementwise_kernelILi8ENS0_13BUnaryFunctorIlllZZZNS0_18rshift_kernel_cudaERNS_18TensorIteratorBaseEENKUlvE_clEvENKUlvE2_clEvEUlllE_EESt5arrayIPcLm2EEEEviT0_T1_.has_indirect_call, 0
	.section	.AMDGPU.csdata,"",@progbits
; Kernel info:
; codeLenInByte = 908
; TotalNumSgprs: 19
; NumVgprs: 16
; ScratchSize: 0
; MemoryBound: 0
; FloatMode: 240
; IeeeMode: 1
; LDSByteSize: 0 bytes/workgroup (compile time only)
; SGPRBlocks: 2
; VGPRBlocks: 3
; NumSGPRsForWavesPerEU: 19
; NumVGPRsForWavesPerEU: 16
; Occupancy: 10
; WaveLimiterHint : 0
; COMPUTE_PGM_RSRC2:SCRATCH_EN: 0
; COMPUTE_PGM_RSRC2:USER_SGPR: 6
; COMPUTE_PGM_RSRC2:TRAP_HANDLER: 0
; COMPUTE_PGM_RSRC2:TGID_X_EN: 1
; COMPUTE_PGM_RSRC2:TGID_Y_EN: 0
; COMPUTE_PGM_RSRC2:TGID_Z_EN: 0
; COMPUTE_PGM_RSRC2:TIDIG_COMP_CNT: 0
	.section	.text._ZN2at6native29vectorized_elementwise_kernelILi4ENS0_13BUnaryFunctorIlllZZZNS0_18rshift_kernel_cudaERNS_18TensorIteratorBaseEENKUlvE_clEvENKUlvE2_clEvEUlllE_EESt5arrayIPcLm2EEEEviT0_T1_,"axG",@progbits,_ZN2at6native29vectorized_elementwise_kernelILi4ENS0_13BUnaryFunctorIlllZZZNS0_18rshift_kernel_cudaERNS_18TensorIteratorBaseEENKUlvE_clEvENKUlvE2_clEvEUlllE_EESt5arrayIPcLm2EEEEviT0_T1_,comdat
	.globl	_ZN2at6native29vectorized_elementwise_kernelILi4ENS0_13BUnaryFunctorIlllZZZNS0_18rshift_kernel_cudaERNS_18TensorIteratorBaseEENKUlvE_clEvENKUlvE2_clEvEUlllE_EESt5arrayIPcLm2EEEEviT0_T1_ ; -- Begin function _ZN2at6native29vectorized_elementwise_kernelILi4ENS0_13BUnaryFunctorIlllZZZNS0_18rshift_kernel_cudaERNS_18TensorIteratorBaseEENKUlvE_clEvENKUlvE2_clEvEUlllE_EESt5arrayIPcLm2EEEEviT0_T1_
	.p2align	8
	.type	_ZN2at6native29vectorized_elementwise_kernelILi4ENS0_13BUnaryFunctorIlllZZZNS0_18rshift_kernel_cudaERNS_18TensorIteratorBaseEENKUlvE_clEvENKUlvE2_clEvEUlllE_EESt5arrayIPcLm2EEEEviT0_T1_,@function
_ZN2at6native29vectorized_elementwise_kernelILi4ENS0_13BUnaryFunctorIlllZZZNS0_18rshift_kernel_cudaERNS_18TensorIteratorBaseEENKUlvE_clEvENKUlvE2_clEvEUlllE_EESt5arrayIPcLm2EEEEviT0_T1_: ; @_ZN2at6native29vectorized_elementwise_kernelILi4ENS0_13BUnaryFunctorIlllZZZNS0_18rshift_kernel_cudaERNS_18TensorIteratorBaseEENKUlvE_clEvENKUlvE2_clEvEUlllE_EESt5arrayIPcLm2EEEEviT0_T1_
; %bb.0:
	s_load_dword s0, s[4:5], 0x0
	s_load_dwordx4 s[8:11], s[4:5], 0x10
	s_load_dwordx2 s[12:13], s[4:5], 0x20
	s_lshl_b32 s2, s6, 10
	s_waitcnt lgkmcnt(0)
	s_sub_i32 s14, s0, s2
	v_cmp_lt_u64_e64 s[4:5], s[8:9], 63
	s_cmpk_gt_i32 s14, 0x3ff
	s_mov_b64 s[0:1], -1
	s_cbranch_scc0 .LBB202_2
; %bb.1:
	s_ashr_i32 s3, s2, 31
	s_lshl_b64 s[0:1], s[2:3], 3
	s_add_u32 s6, s12, s0
	s_addc_u32 s7, s13, s1
	v_lshlrev_b32_e32 v9, 5, v0
	global_load_dwordx4 v[1:4], v9, s[6:7]
	global_load_dwordx4 v[5:8], v9, s[6:7] offset:16
	s_and_b64 s[6:7], s[4:5], exec
	s_cselect_b32 s3, s8, 63
	s_add_u32 s0, s10, s0
	s_addc_u32 s1, s11, s1
	s_waitcnt vmcnt(1)
	v_ashrrev_i64 v[1:2], s3, v[1:2]
	v_ashrrev_i64 v[3:4], s3, v[3:4]
	s_waitcnt vmcnt(0)
	v_ashrrev_i64 v[5:6], s3, v[5:6]
	v_ashrrev_i64 v[7:8], s3, v[7:8]
	global_store_dwordx4 v9, v[1:4], s[0:1]
	global_store_dwordx4 v9, v[5:8], s[0:1] offset:16
	s_mov_b64 s[0:1], 0
.LBB202_2:
	s_andn2_b64 vcc, exec, s[0:1]
	s_cbranch_vccnz .LBB202_16
; %bb.3:
	v_mov_b32_e32 v3, 0
	v_mov_b32_e32 v5, 0
	v_cmp_gt_i32_e32 vcc, s14, v0
	v_mov_b32_e32 v4, 0
	v_or_b32_e32 v1, s2, v0
	v_mov_b32_e32 v6, 0
	v_mov_b32_e32 v2, v0
	s_and_saveexec_b64 s[6:7], vcc
	s_cbranch_execz .LBB202_5
; %bb.4:
	v_mov_b32_e32 v2, 0
	v_lshlrev_b64 v[5:6], 3, v[1:2]
	v_mov_b32_e32 v2, s13
	v_add_co_u32_e64 v5, s[0:1], s12, v5
	v_addc_co_u32_e64 v6, s[0:1], v2, v6, s[0:1]
	global_load_dwordx2 v[5:6], v[5:6], off
	v_or_b32_e32 v2, 0x100, v0
.LBB202_5:
	s_or_b64 exec, exec, s[6:7]
	v_cmp_gt_i32_e64 s[0:1], s14, v2
	s_and_saveexec_b64 s[6:7], s[0:1]
	s_cbranch_execz .LBB202_7
; %bb.6:
	v_add_u32_e32 v3, s2, v2
	v_mov_b32_e32 v4, 0
	v_lshlrev_b64 v[3:4], 3, v[3:4]
	v_mov_b32_e32 v7, s13
	v_add_co_u32_e64 v3, s[0:1], s12, v3
	v_addc_co_u32_e64 v4, s[0:1], v7, v4, s[0:1]
	global_load_dwordx2 v[3:4], v[3:4], off
	v_add_u32_e32 v2, 0x100, v2
.LBB202_7:
	s_or_b64 exec, exec, s[6:7]
	v_mov_b32_e32 v7, 0
	v_mov_b32_e32 v11, 0
	;; [unrolled: 1-line block ×4, first 2 shown]
	v_cmp_gt_i32_e64 s[0:1], s14, v2
	s_and_saveexec_b64 s[6:7], s[0:1]
	s_cbranch_execz .LBB202_9
; %bb.8:
	v_add_u32_e32 v9, s2, v2
	v_mov_b32_e32 v10, 0
	v_lshlrev_b64 v[9:10], 3, v[9:10]
	v_mov_b32_e32 v11, s13
	v_add_co_u32_e64 v9, s[0:1], s12, v9
	v_addc_co_u32_e64 v10, s[0:1], v11, v10, s[0:1]
	global_load_dwordx2 v[11:12], v[9:10], off
	v_add_u32_e32 v2, 0x100, v2
.LBB202_9:
	s_or_b64 exec, exec, s[6:7]
	v_cmp_gt_i32_e64 s[0:1], s14, v2
	s_and_saveexec_b64 s[6:7], s[0:1]
	s_cbranch_execz .LBB202_11
; %bb.10:
	v_add_u32_e32 v7, s2, v2
	v_mov_b32_e32 v8, 0
	v_lshlrev_b64 v[7:8], 3, v[7:8]
	v_mov_b32_e32 v2, s13
	v_add_co_u32_e64 v7, s[0:1], s12, v7
	v_addc_co_u32_e64 v8, s[0:1], v2, v8, s[0:1]
	global_load_dwordx2 v[7:8], v[7:8], off
.LBB202_11:
	s_or_b64 exec, exec, s[6:7]
	s_and_b64 s[0:1], s[4:5], exec
	s_cselect_b32 s3, s8, 63
	v_or_b32_e32 v15, 0x100, v0
	s_waitcnt vmcnt(0)
	v_ashrrev_i64 v[2:3], s3, v[3:4]
	v_cmp_gt_i32_e64 s[0:1], s14, v15
	v_ashrrev_i64 v[5:6], s3, v[5:6]
	v_cndmask_b32_e64 v10, 0, v3, s[0:1]
	v_cndmask_b32_e64 v9, 0, v2, s[0:1]
	v_or_b32_e32 v4, 0x200, v0
	v_ashrrev_i64 v[2:3], s3, v[11:12]
	v_cmp_gt_i32_e64 s[0:1], s14, v4
	v_cndmask_b32_e32 v14, 0, v6, vcc
	v_cndmask_b32_e32 v13, 0, v5, vcc
	v_cndmask_b32_e64 v6, 0, v3, s[0:1]
	v_cndmask_b32_e64 v5, 0, v2, s[0:1]
	v_or_b32_e32 v4, 0x300, v0
	v_ashrrev_i64 v[2:3], s3, v[7:8]
	v_cmp_gt_i32_e64 s[0:1], s14, v4
	v_cndmask_b32_e64 v4, 0, v3, s[0:1]
	v_cndmask_b32_e64 v3, 0, v2, s[0:1]
	s_and_saveexec_b64 s[0:1], vcc
	s_cbranch_execnz .LBB202_17
; %bb.12:
	s_or_b64 exec, exec, s[0:1]
	v_cmp_gt_i32_e32 vcc, s14, v0
	s_and_saveexec_b64 s[0:1], vcc
	s_cbranch_execnz .LBB202_18
.LBB202_13:
	s_or_b64 exec, exec, s[0:1]
	v_cmp_gt_i32_e32 vcc, s14, v0
	s_and_saveexec_b64 s[0:1], vcc
	s_cbranch_execnz .LBB202_19
.LBB202_14:
	s_or_b64 exec, exec, s[0:1]
	v_cmp_gt_i32_e32 vcc, s14, v0
	s_and_saveexec_b64 s[0:1], vcc
	s_cbranch_execz .LBB202_16
.LBB202_15:
	v_add_u32_e32 v0, s2, v0
	v_mov_b32_e32 v1, 0
	v_lshlrev_b64 v[0:1], 3, v[0:1]
	v_mov_b32_e32 v2, s11
	v_add_co_u32_e32 v0, vcc, s10, v0
	v_addc_co_u32_e32 v1, vcc, v2, v1, vcc
	global_store_dwordx2 v[0:1], v[3:4], off
.LBB202_16:
	s_endpgm
.LBB202_17:
	v_mov_b32_e32 v2, 0
	v_lshlrev_b64 v[0:1], 3, v[1:2]
	v_mov_b32_e32 v2, s11
	v_add_co_u32_e32 v0, vcc, s10, v0
	v_addc_co_u32_e32 v1, vcc, v2, v1, vcc
	global_store_dwordx2 v[0:1], v[13:14], off
	v_mov_b32_e32 v0, v15
	s_or_b64 exec, exec, s[0:1]
	v_cmp_gt_i32_e32 vcc, s14, v0
	s_and_saveexec_b64 s[0:1], vcc
	s_cbranch_execz .LBB202_13
.LBB202_18:
	v_add_u32_e32 v1, s2, v0
	v_mov_b32_e32 v2, 0
	v_lshlrev_b64 v[1:2], 3, v[1:2]
	v_mov_b32_e32 v7, s11
	v_add_co_u32_e32 v1, vcc, s10, v1
	v_addc_co_u32_e32 v2, vcc, v7, v2, vcc
	v_add_u32_e32 v0, 0x100, v0
	global_store_dwordx2 v[1:2], v[9:10], off
	s_or_b64 exec, exec, s[0:1]
	v_cmp_gt_i32_e32 vcc, s14, v0
	s_and_saveexec_b64 s[0:1], vcc
	s_cbranch_execz .LBB202_14
.LBB202_19:
	v_add_u32_e32 v1, s2, v0
	v_mov_b32_e32 v2, 0
	v_lshlrev_b64 v[1:2], 3, v[1:2]
	v_mov_b32_e32 v7, s11
	v_add_co_u32_e32 v1, vcc, s10, v1
	v_addc_co_u32_e32 v2, vcc, v7, v2, vcc
	v_add_u32_e32 v0, 0x100, v0
	global_store_dwordx2 v[1:2], v[5:6], off
	s_or_b64 exec, exec, s[0:1]
	v_cmp_gt_i32_e32 vcc, s14, v0
	s_and_saveexec_b64 s[0:1], vcc
	s_cbranch_execnz .LBB202_15
	s_branch .LBB202_16
	.section	.rodata,"a",@progbits
	.p2align	6, 0x0
	.amdhsa_kernel _ZN2at6native29vectorized_elementwise_kernelILi4ENS0_13BUnaryFunctorIlllZZZNS0_18rshift_kernel_cudaERNS_18TensorIteratorBaseEENKUlvE_clEvENKUlvE2_clEvEUlllE_EESt5arrayIPcLm2EEEEviT0_T1_
		.amdhsa_group_segment_fixed_size 0
		.amdhsa_private_segment_fixed_size 0
		.amdhsa_kernarg_size 40
		.amdhsa_user_sgpr_count 6
		.amdhsa_user_sgpr_private_segment_buffer 1
		.amdhsa_user_sgpr_dispatch_ptr 0
		.amdhsa_user_sgpr_queue_ptr 0
		.amdhsa_user_sgpr_kernarg_segment_ptr 1
		.amdhsa_user_sgpr_dispatch_id 0
		.amdhsa_user_sgpr_flat_scratch_init 0
		.amdhsa_user_sgpr_private_segment_size 0
		.amdhsa_uses_dynamic_stack 0
		.amdhsa_system_sgpr_private_segment_wavefront_offset 0
		.amdhsa_system_sgpr_workgroup_id_x 1
		.amdhsa_system_sgpr_workgroup_id_y 0
		.amdhsa_system_sgpr_workgroup_id_z 0
		.amdhsa_system_sgpr_workgroup_info 0
		.amdhsa_system_vgpr_workitem_id 0
		.amdhsa_next_free_vgpr 16
		.amdhsa_next_free_sgpr 15
		.amdhsa_reserve_vcc 1
		.amdhsa_reserve_flat_scratch 0
		.amdhsa_float_round_mode_32 0
		.amdhsa_float_round_mode_16_64 0
		.amdhsa_float_denorm_mode_32 3
		.amdhsa_float_denorm_mode_16_64 3
		.amdhsa_dx10_clamp 1
		.amdhsa_ieee_mode 1
		.amdhsa_fp16_overflow 0
		.amdhsa_exception_fp_ieee_invalid_op 0
		.amdhsa_exception_fp_denorm_src 0
		.amdhsa_exception_fp_ieee_div_zero 0
		.amdhsa_exception_fp_ieee_overflow 0
		.amdhsa_exception_fp_ieee_underflow 0
		.amdhsa_exception_fp_ieee_inexact 0
		.amdhsa_exception_int_div_zero 0
	.end_amdhsa_kernel
	.section	.text._ZN2at6native29vectorized_elementwise_kernelILi4ENS0_13BUnaryFunctorIlllZZZNS0_18rshift_kernel_cudaERNS_18TensorIteratorBaseEENKUlvE_clEvENKUlvE2_clEvEUlllE_EESt5arrayIPcLm2EEEEviT0_T1_,"axG",@progbits,_ZN2at6native29vectorized_elementwise_kernelILi4ENS0_13BUnaryFunctorIlllZZZNS0_18rshift_kernel_cudaERNS_18TensorIteratorBaseEENKUlvE_clEvENKUlvE2_clEvEUlllE_EESt5arrayIPcLm2EEEEviT0_T1_,comdat
.Lfunc_end202:
	.size	_ZN2at6native29vectorized_elementwise_kernelILi4ENS0_13BUnaryFunctorIlllZZZNS0_18rshift_kernel_cudaERNS_18TensorIteratorBaseEENKUlvE_clEvENKUlvE2_clEvEUlllE_EESt5arrayIPcLm2EEEEviT0_T1_, .Lfunc_end202-_ZN2at6native29vectorized_elementwise_kernelILi4ENS0_13BUnaryFunctorIlllZZZNS0_18rshift_kernel_cudaERNS_18TensorIteratorBaseEENKUlvE_clEvENKUlvE2_clEvEUlllE_EESt5arrayIPcLm2EEEEviT0_T1_
                                        ; -- End function
	.set _ZN2at6native29vectorized_elementwise_kernelILi4ENS0_13BUnaryFunctorIlllZZZNS0_18rshift_kernel_cudaERNS_18TensorIteratorBaseEENKUlvE_clEvENKUlvE2_clEvEUlllE_EESt5arrayIPcLm2EEEEviT0_T1_.num_vgpr, 16
	.set _ZN2at6native29vectorized_elementwise_kernelILi4ENS0_13BUnaryFunctorIlllZZZNS0_18rshift_kernel_cudaERNS_18TensorIteratorBaseEENKUlvE_clEvENKUlvE2_clEvEUlllE_EESt5arrayIPcLm2EEEEviT0_T1_.num_agpr, 0
	.set _ZN2at6native29vectorized_elementwise_kernelILi4ENS0_13BUnaryFunctorIlllZZZNS0_18rshift_kernel_cudaERNS_18TensorIteratorBaseEENKUlvE_clEvENKUlvE2_clEvEUlllE_EESt5arrayIPcLm2EEEEviT0_T1_.numbered_sgpr, 15
	.set _ZN2at6native29vectorized_elementwise_kernelILi4ENS0_13BUnaryFunctorIlllZZZNS0_18rshift_kernel_cudaERNS_18TensorIteratorBaseEENKUlvE_clEvENKUlvE2_clEvEUlllE_EESt5arrayIPcLm2EEEEviT0_T1_.num_named_barrier, 0
	.set _ZN2at6native29vectorized_elementwise_kernelILi4ENS0_13BUnaryFunctorIlllZZZNS0_18rshift_kernel_cudaERNS_18TensorIteratorBaseEENKUlvE_clEvENKUlvE2_clEvEUlllE_EESt5arrayIPcLm2EEEEviT0_T1_.private_seg_size, 0
	.set _ZN2at6native29vectorized_elementwise_kernelILi4ENS0_13BUnaryFunctorIlllZZZNS0_18rshift_kernel_cudaERNS_18TensorIteratorBaseEENKUlvE_clEvENKUlvE2_clEvEUlllE_EESt5arrayIPcLm2EEEEviT0_T1_.uses_vcc, 1
	.set _ZN2at6native29vectorized_elementwise_kernelILi4ENS0_13BUnaryFunctorIlllZZZNS0_18rshift_kernel_cudaERNS_18TensorIteratorBaseEENKUlvE_clEvENKUlvE2_clEvEUlllE_EESt5arrayIPcLm2EEEEviT0_T1_.uses_flat_scratch, 0
	.set _ZN2at6native29vectorized_elementwise_kernelILi4ENS0_13BUnaryFunctorIlllZZZNS0_18rshift_kernel_cudaERNS_18TensorIteratorBaseEENKUlvE_clEvENKUlvE2_clEvEUlllE_EESt5arrayIPcLm2EEEEviT0_T1_.has_dyn_sized_stack, 0
	.set _ZN2at6native29vectorized_elementwise_kernelILi4ENS0_13BUnaryFunctorIlllZZZNS0_18rshift_kernel_cudaERNS_18TensorIteratorBaseEENKUlvE_clEvENKUlvE2_clEvEUlllE_EESt5arrayIPcLm2EEEEviT0_T1_.has_recursion, 0
	.set _ZN2at6native29vectorized_elementwise_kernelILi4ENS0_13BUnaryFunctorIlllZZZNS0_18rshift_kernel_cudaERNS_18TensorIteratorBaseEENKUlvE_clEvENKUlvE2_clEvEUlllE_EESt5arrayIPcLm2EEEEviT0_T1_.has_indirect_call, 0
	.section	.AMDGPU.csdata,"",@progbits
; Kernel info:
; codeLenInByte = 908
; TotalNumSgprs: 19
; NumVgprs: 16
; ScratchSize: 0
; MemoryBound: 0
; FloatMode: 240
; IeeeMode: 1
; LDSByteSize: 0 bytes/workgroup (compile time only)
; SGPRBlocks: 2
; VGPRBlocks: 3
; NumSGPRsForWavesPerEU: 19
; NumVGPRsForWavesPerEU: 16
; Occupancy: 10
; WaveLimiterHint : 0
; COMPUTE_PGM_RSRC2:SCRATCH_EN: 0
; COMPUTE_PGM_RSRC2:USER_SGPR: 6
; COMPUTE_PGM_RSRC2:TRAP_HANDLER: 0
; COMPUTE_PGM_RSRC2:TGID_X_EN: 1
; COMPUTE_PGM_RSRC2:TGID_Y_EN: 0
; COMPUTE_PGM_RSRC2:TGID_Z_EN: 0
; COMPUTE_PGM_RSRC2:TIDIG_COMP_CNT: 0
	.section	.text._ZN2at6native29vectorized_elementwise_kernelILi2ENS0_13BUnaryFunctorIlllZZZNS0_18rshift_kernel_cudaERNS_18TensorIteratorBaseEENKUlvE_clEvENKUlvE2_clEvEUlllE_EESt5arrayIPcLm2EEEEviT0_T1_,"axG",@progbits,_ZN2at6native29vectorized_elementwise_kernelILi2ENS0_13BUnaryFunctorIlllZZZNS0_18rshift_kernel_cudaERNS_18TensorIteratorBaseEENKUlvE_clEvENKUlvE2_clEvEUlllE_EESt5arrayIPcLm2EEEEviT0_T1_,comdat
	.globl	_ZN2at6native29vectorized_elementwise_kernelILi2ENS0_13BUnaryFunctorIlllZZZNS0_18rshift_kernel_cudaERNS_18TensorIteratorBaseEENKUlvE_clEvENKUlvE2_clEvEUlllE_EESt5arrayIPcLm2EEEEviT0_T1_ ; -- Begin function _ZN2at6native29vectorized_elementwise_kernelILi2ENS0_13BUnaryFunctorIlllZZZNS0_18rshift_kernel_cudaERNS_18TensorIteratorBaseEENKUlvE_clEvENKUlvE2_clEvEUlllE_EESt5arrayIPcLm2EEEEviT0_T1_
	.p2align	8
	.type	_ZN2at6native29vectorized_elementwise_kernelILi2ENS0_13BUnaryFunctorIlllZZZNS0_18rshift_kernel_cudaERNS_18TensorIteratorBaseEENKUlvE_clEvENKUlvE2_clEvEUlllE_EESt5arrayIPcLm2EEEEviT0_T1_,@function
_ZN2at6native29vectorized_elementwise_kernelILi2ENS0_13BUnaryFunctorIlllZZZNS0_18rshift_kernel_cudaERNS_18TensorIteratorBaseEENKUlvE_clEvENKUlvE2_clEvEUlllE_EESt5arrayIPcLm2EEEEviT0_T1_: ; @_ZN2at6native29vectorized_elementwise_kernelILi2ENS0_13BUnaryFunctorIlllZZZNS0_18rshift_kernel_cudaERNS_18TensorIteratorBaseEENKUlvE_clEvENKUlvE2_clEvEUlllE_EESt5arrayIPcLm2EEEEviT0_T1_
; %bb.0:
	s_load_dword s0, s[4:5], 0x0
	s_load_dwordx4 s[8:11], s[4:5], 0x10
	s_load_dwordx2 s[12:13], s[4:5], 0x20
	s_lshl_b32 s2, s6, 10
	s_waitcnt lgkmcnt(0)
	s_sub_i32 s14, s0, s2
	v_cmp_lt_u64_e64 s[4:5], s[8:9], 63
	s_cmpk_gt_i32 s14, 0x3ff
	s_mov_b64 s[0:1], -1
	s_cbranch_scc0 .LBB203_2
; %bb.1:
	s_ashr_i32 s3, s2, 31
	s_lshl_b64 s[0:1], s[2:3], 3
	s_add_u32 s6, s12, s0
	s_addc_u32 s7, s13, s1
	v_lshlrev_b32_e32 v11, 4, v0
	v_mov_b32_e32 v1, s7
	v_add_co_u32_e32 v5, vcc, s6, v11
	v_addc_co_u32_e32 v6, vcc, 0, v1, vcc
	v_add_co_u32_e32 v5, vcc, 0x1000, v5
	global_load_dwordx4 v[1:4], v11, s[6:7]
	v_addc_co_u32_e32 v6, vcc, 0, v6, vcc
	global_load_dwordx4 v[5:8], v[5:6], off
	s_and_b64 s[6:7], s[4:5], exec
	s_cselect_b32 s3, s8, 63
	s_add_u32 s0, s10, s0
	s_addc_u32 s1, s11, s1
	v_mov_b32_e32 v9, s1
	v_add_co_u32_e32 v10, vcc, s0, v11
	v_addc_co_u32_e32 v12, vcc, 0, v9, vcc
	v_add_co_u32_e32 v9, vcc, 0x1000, v10
	v_addc_co_u32_e32 v10, vcc, 0, v12, vcc
	s_waitcnt vmcnt(1)
	v_ashrrev_i64 v[1:2], s3, v[1:2]
	v_ashrrev_i64 v[3:4], s3, v[3:4]
	s_waitcnt vmcnt(0)
	v_ashrrev_i64 v[5:6], s3, v[5:6]
	v_ashrrev_i64 v[7:8], s3, v[7:8]
	global_store_dwordx4 v11, v[1:4], s[0:1]
	global_store_dwordx4 v[9:10], v[5:8], off
	s_mov_b64 s[0:1], 0
.LBB203_2:
	s_andn2_b64 vcc, exec, s[0:1]
	s_cbranch_vccnz .LBB203_16
; %bb.3:
	v_mov_b32_e32 v3, 0
	v_mov_b32_e32 v5, 0
	v_cmp_gt_i32_e32 vcc, s14, v0
	v_mov_b32_e32 v4, 0
	v_or_b32_e32 v1, s2, v0
	v_mov_b32_e32 v6, 0
	v_mov_b32_e32 v2, v0
	s_and_saveexec_b64 s[6:7], vcc
	s_cbranch_execz .LBB203_5
; %bb.4:
	v_mov_b32_e32 v2, 0
	v_lshlrev_b64 v[5:6], 3, v[1:2]
	v_mov_b32_e32 v2, s13
	v_add_co_u32_e64 v5, s[0:1], s12, v5
	v_addc_co_u32_e64 v6, s[0:1], v2, v6, s[0:1]
	global_load_dwordx2 v[5:6], v[5:6], off
	v_or_b32_e32 v2, 0x100, v0
.LBB203_5:
	s_or_b64 exec, exec, s[6:7]
	v_cmp_gt_i32_e64 s[0:1], s14, v2
	s_and_saveexec_b64 s[6:7], s[0:1]
	s_cbranch_execz .LBB203_7
; %bb.6:
	v_add_u32_e32 v3, s2, v2
	v_mov_b32_e32 v4, 0
	v_lshlrev_b64 v[3:4], 3, v[3:4]
	v_mov_b32_e32 v7, s13
	v_add_co_u32_e64 v3, s[0:1], s12, v3
	v_addc_co_u32_e64 v4, s[0:1], v7, v4, s[0:1]
	global_load_dwordx2 v[3:4], v[3:4], off
	v_add_u32_e32 v2, 0x100, v2
.LBB203_7:
	s_or_b64 exec, exec, s[6:7]
	v_mov_b32_e32 v7, 0
	v_mov_b32_e32 v11, 0
	;; [unrolled: 1-line block ×4, first 2 shown]
	v_cmp_gt_i32_e64 s[0:1], s14, v2
	s_and_saveexec_b64 s[6:7], s[0:1]
	s_cbranch_execz .LBB203_9
; %bb.8:
	v_add_u32_e32 v9, s2, v2
	v_mov_b32_e32 v10, 0
	v_lshlrev_b64 v[9:10], 3, v[9:10]
	v_mov_b32_e32 v11, s13
	v_add_co_u32_e64 v9, s[0:1], s12, v9
	v_addc_co_u32_e64 v10, s[0:1], v11, v10, s[0:1]
	global_load_dwordx2 v[11:12], v[9:10], off
	v_add_u32_e32 v2, 0x100, v2
.LBB203_9:
	s_or_b64 exec, exec, s[6:7]
	v_cmp_gt_i32_e64 s[0:1], s14, v2
	s_and_saveexec_b64 s[6:7], s[0:1]
	s_cbranch_execz .LBB203_11
; %bb.10:
	v_add_u32_e32 v7, s2, v2
	v_mov_b32_e32 v8, 0
	v_lshlrev_b64 v[7:8], 3, v[7:8]
	v_mov_b32_e32 v2, s13
	v_add_co_u32_e64 v7, s[0:1], s12, v7
	v_addc_co_u32_e64 v8, s[0:1], v2, v8, s[0:1]
	global_load_dwordx2 v[7:8], v[7:8], off
.LBB203_11:
	s_or_b64 exec, exec, s[6:7]
	s_and_b64 s[0:1], s[4:5], exec
	s_cselect_b32 s3, s8, 63
	v_or_b32_e32 v15, 0x100, v0
	s_waitcnt vmcnt(0)
	v_ashrrev_i64 v[2:3], s3, v[3:4]
	v_cmp_gt_i32_e64 s[0:1], s14, v15
	v_ashrrev_i64 v[5:6], s3, v[5:6]
	v_cndmask_b32_e64 v10, 0, v3, s[0:1]
	v_cndmask_b32_e64 v9, 0, v2, s[0:1]
	v_or_b32_e32 v4, 0x200, v0
	v_ashrrev_i64 v[2:3], s3, v[11:12]
	v_cmp_gt_i32_e64 s[0:1], s14, v4
	v_cndmask_b32_e32 v14, 0, v6, vcc
	v_cndmask_b32_e32 v13, 0, v5, vcc
	v_cndmask_b32_e64 v6, 0, v3, s[0:1]
	v_cndmask_b32_e64 v5, 0, v2, s[0:1]
	v_or_b32_e32 v4, 0x300, v0
	v_ashrrev_i64 v[2:3], s3, v[7:8]
	v_cmp_gt_i32_e64 s[0:1], s14, v4
	v_cndmask_b32_e64 v4, 0, v3, s[0:1]
	v_cndmask_b32_e64 v3, 0, v2, s[0:1]
	s_and_saveexec_b64 s[0:1], vcc
	s_cbranch_execnz .LBB203_17
; %bb.12:
	s_or_b64 exec, exec, s[0:1]
	v_cmp_gt_i32_e32 vcc, s14, v0
	s_and_saveexec_b64 s[0:1], vcc
	s_cbranch_execnz .LBB203_18
.LBB203_13:
	s_or_b64 exec, exec, s[0:1]
	v_cmp_gt_i32_e32 vcc, s14, v0
	s_and_saveexec_b64 s[0:1], vcc
	s_cbranch_execnz .LBB203_19
.LBB203_14:
	s_or_b64 exec, exec, s[0:1]
	v_cmp_gt_i32_e32 vcc, s14, v0
	s_and_saveexec_b64 s[0:1], vcc
	s_cbranch_execz .LBB203_16
.LBB203_15:
	v_add_u32_e32 v0, s2, v0
	v_mov_b32_e32 v1, 0
	v_lshlrev_b64 v[0:1], 3, v[0:1]
	v_mov_b32_e32 v2, s11
	v_add_co_u32_e32 v0, vcc, s10, v0
	v_addc_co_u32_e32 v1, vcc, v2, v1, vcc
	global_store_dwordx2 v[0:1], v[3:4], off
.LBB203_16:
	s_endpgm
.LBB203_17:
	v_mov_b32_e32 v2, 0
	v_lshlrev_b64 v[0:1], 3, v[1:2]
	v_mov_b32_e32 v2, s11
	v_add_co_u32_e32 v0, vcc, s10, v0
	v_addc_co_u32_e32 v1, vcc, v2, v1, vcc
	global_store_dwordx2 v[0:1], v[13:14], off
	v_mov_b32_e32 v0, v15
	s_or_b64 exec, exec, s[0:1]
	v_cmp_gt_i32_e32 vcc, s14, v0
	s_and_saveexec_b64 s[0:1], vcc
	s_cbranch_execz .LBB203_13
.LBB203_18:
	v_add_u32_e32 v1, s2, v0
	v_mov_b32_e32 v2, 0
	v_lshlrev_b64 v[1:2], 3, v[1:2]
	v_mov_b32_e32 v7, s11
	v_add_co_u32_e32 v1, vcc, s10, v1
	v_addc_co_u32_e32 v2, vcc, v7, v2, vcc
	v_add_u32_e32 v0, 0x100, v0
	global_store_dwordx2 v[1:2], v[9:10], off
	s_or_b64 exec, exec, s[0:1]
	v_cmp_gt_i32_e32 vcc, s14, v0
	s_and_saveexec_b64 s[0:1], vcc
	s_cbranch_execz .LBB203_14
.LBB203_19:
	v_add_u32_e32 v1, s2, v0
	v_mov_b32_e32 v2, 0
	v_lshlrev_b64 v[1:2], 3, v[1:2]
	v_mov_b32_e32 v7, s11
	v_add_co_u32_e32 v1, vcc, s10, v1
	v_addc_co_u32_e32 v2, vcc, v7, v2, vcc
	v_add_u32_e32 v0, 0x100, v0
	global_store_dwordx2 v[1:2], v[5:6], off
	s_or_b64 exec, exec, s[0:1]
	v_cmp_gt_i32_e32 vcc, s14, v0
	s_and_saveexec_b64 s[0:1], vcc
	s_cbranch_execnz .LBB203_15
	s_branch .LBB203_16
	.section	.rodata,"a",@progbits
	.p2align	6, 0x0
	.amdhsa_kernel _ZN2at6native29vectorized_elementwise_kernelILi2ENS0_13BUnaryFunctorIlllZZZNS0_18rshift_kernel_cudaERNS_18TensorIteratorBaseEENKUlvE_clEvENKUlvE2_clEvEUlllE_EESt5arrayIPcLm2EEEEviT0_T1_
		.amdhsa_group_segment_fixed_size 0
		.amdhsa_private_segment_fixed_size 0
		.amdhsa_kernarg_size 40
		.amdhsa_user_sgpr_count 6
		.amdhsa_user_sgpr_private_segment_buffer 1
		.amdhsa_user_sgpr_dispatch_ptr 0
		.amdhsa_user_sgpr_queue_ptr 0
		.amdhsa_user_sgpr_kernarg_segment_ptr 1
		.amdhsa_user_sgpr_dispatch_id 0
		.amdhsa_user_sgpr_flat_scratch_init 0
		.amdhsa_user_sgpr_private_segment_size 0
		.amdhsa_uses_dynamic_stack 0
		.amdhsa_system_sgpr_private_segment_wavefront_offset 0
		.amdhsa_system_sgpr_workgroup_id_x 1
		.amdhsa_system_sgpr_workgroup_id_y 0
		.amdhsa_system_sgpr_workgroup_id_z 0
		.amdhsa_system_sgpr_workgroup_info 0
		.amdhsa_system_vgpr_workitem_id 0
		.amdhsa_next_free_vgpr 16
		.amdhsa_next_free_sgpr 15
		.amdhsa_reserve_vcc 1
		.amdhsa_reserve_flat_scratch 0
		.amdhsa_float_round_mode_32 0
		.amdhsa_float_round_mode_16_64 0
		.amdhsa_float_denorm_mode_32 3
		.amdhsa_float_denorm_mode_16_64 3
		.amdhsa_dx10_clamp 1
		.amdhsa_ieee_mode 1
		.amdhsa_fp16_overflow 0
		.amdhsa_exception_fp_ieee_invalid_op 0
		.amdhsa_exception_fp_denorm_src 0
		.amdhsa_exception_fp_ieee_div_zero 0
		.amdhsa_exception_fp_ieee_overflow 0
		.amdhsa_exception_fp_ieee_underflow 0
		.amdhsa_exception_fp_ieee_inexact 0
		.amdhsa_exception_int_div_zero 0
	.end_amdhsa_kernel
	.section	.text._ZN2at6native29vectorized_elementwise_kernelILi2ENS0_13BUnaryFunctorIlllZZZNS0_18rshift_kernel_cudaERNS_18TensorIteratorBaseEENKUlvE_clEvENKUlvE2_clEvEUlllE_EESt5arrayIPcLm2EEEEviT0_T1_,"axG",@progbits,_ZN2at6native29vectorized_elementwise_kernelILi2ENS0_13BUnaryFunctorIlllZZZNS0_18rshift_kernel_cudaERNS_18TensorIteratorBaseEENKUlvE_clEvENKUlvE2_clEvEUlllE_EESt5arrayIPcLm2EEEEviT0_T1_,comdat
.Lfunc_end203:
	.size	_ZN2at6native29vectorized_elementwise_kernelILi2ENS0_13BUnaryFunctorIlllZZZNS0_18rshift_kernel_cudaERNS_18TensorIteratorBaseEENKUlvE_clEvENKUlvE2_clEvEUlllE_EESt5arrayIPcLm2EEEEviT0_T1_, .Lfunc_end203-_ZN2at6native29vectorized_elementwise_kernelILi2ENS0_13BUnaryFunctorIlllZZZNS0_18rshift_kernel_cudaERNS_18TensorIteratorBaseEENKUlvE_clEvENKUlvE2_clEvEUlllE_EESt5arrayIPcLm2EEEEviT0_T1_
                                        ; -- End function
	.set _ZN2at6native29vectorized_elementwise_kernelILi2ENS0_13BUnaryFunctorIlllZZZNS0_18rshift_kernel_cudaERNS_18TensorIteratorBaseEENKUlvE_clEvENKUlvE2_clEvEUlllE_EESt5arrayIPcLm2EEEEviT0_T1_.num_vgpr, 16
	.set _ZN2at6native29vectorized_elementwise_kernelILi2ENS0_13BUnaryFunctorIlllZZZNS0_18rshift_kernel_cudaERNS_18TensorIteratorBaseEENKUlvE_clEvENKUlvE2_clEvEUlllE_EESt5arrayIPcLm2EEEEviT0_T1_.num_agpr, 0
	.set _ZN2at6native29vectorized_elementwise_kernelILi2ENS0_13BUnaryFunctorIlllZZZNS0_18rshift_kernel_cudaERNS_18TensorIteratorBaseEENKUlvE_clEvENKUlvE2_clEvEUlllE_EESt5arrayIPcLm2EEEEviT0_T1_.numbered_sgpr, 15
	.set _ZN2at6native29vectorized_elementwise_kernelILi2ENS0_13BUnaryFunctorIlllZZZNS0_18rshift_kernel_cudaERNS_18TensorIteratorBaseEENKUlvE_clEvENKUlvE2_clEvEUlllE_EESt5arrayIPcLm2EEEEviT0_T1_.num_named_barrier, 0
	.set _ZN2at6native29vectorized_elementwise_kernelILi2ENS0_13BUnaryFunctorIlllZZZNS0_18rshift_kernel_cudaERNS_18TensorIteratorBaseEENKUlvE_clEvENKUlvE2_clEvEUlllE_EESt5arrayIPcLm2EEEEviT0_T1_.private_seg_size, 0
	.set _ZN2at6native29vectorized_elementwise_kernelILi2ENS0_13BUnaryFunctorIlllZZZNS0_18rshift_kernel_cudaERNS_18TensorIteratorBaseEENKUlvE_clEvENKUlvE2_clEvEUlllE_EESt5arrayIPcLm2EEEEviT0_T1_.uses_vcc, 1
	.set _ZN2at6native29vectorized_elementwise_kernelILi2ENS0_13BUnaryFunctorIlllZZZNS0_18rshift_kernel_cudaERNS_18TensorIteratorBaseEENKUlvE_clEvENKUlvE2_clEvEUlllE_EESt5arrayIPcLm2EEEEviT0_T1_.uses_flat_scratch, 0
	.set _ZN2at6native29vectorized_elementwise_kernelILi2ENS0_13BUnaryFunctorIlllZZZNS0_18rshift_kernel_cudaERNS_18TensorIteratorBaseEENKUlvE_clEvENKUlvE2_clEvEUlllE_EESt5arrayIPcLm2EEEEviT0_T1_.has_dyn_sized_stack, 0
	.set _ZN2at6native29vectorized_elementwise_kernelILi2ENS0_13BUnaryFunctorIlllZZZNS0_18rshift_kernel_cudaERNS_18TensorIteratorBaseEENKUlvE_clEvENKUlvE2_clEvEUlllE_EESt5arrayIPcLm2EEEEviT0_T1_.has_recursion, 0
	.set _ZN2at6native29vectorized_elementwise_kernelILi2ENS0_13BUnaryFunctorIlllZZZNS0_18rshift_kernel_cudaERNS_18TensorIteratorBaseEENKUlvE_clEvENKUlvE2_clEvEUlllE_EESt5arrayIPcLm2EEEEviT0_T1_.has_indirect_call, 0
	.section	.AMDGPU.csdata,"",@progbits
; Kernel info:
; codeLenInByte = 956
; TotalNumSgprs: 19
; NumVgprs: 16
; ScratchSize: 0
; MemoryBound: 0
; FloatMode: 240
; IeeeMode: 1
; LDSByteSize: 0 bytes/workgroup (compile time only)
; SGPRBlocks: 2
; VGPRBlocks: 3
; NumSGPRsForWavesPerEU: 19
; NumVGPRsForWavesPerEU: 16
; Occupancy: 10
; WaveLimiterHint : 1
; COMPUTE_PGM_RSRC2:SCRATCH_EN: 0
; COMPUTE_PGM_RSRC2:USER_SGPR: 6
; COMPUTE_PGM_RSRC2:TRAP_HANDLER: 0
; COMPUTE_PGM_RSRC2:TGID_X_EN: 1
; COMPUTE_PGM_RSRC2:TGID_Y_EN: 0
; COMPUTE_PGM_RSRC2:TGID_Z_EN: 0
; COMPUTE_PGM_RSRC2:TIDIG_COMP_CNT: 0
	.section	.text._ZN2at6native27unrolled_elementwise_kernelINS0_13BUnaryFunctorIlllZZZNS0_18rshift_kernel_cudaERNS_18TensorIteratorBaseEENKUlvE_clEvENKUlvE2_clEvEUlllE_EESt5arrayIPcLm2EELi4E23TrivialOffsetCalculatorILi1EjESD_NS0_6memory15LoadWithoutCastENSE_16StoreWithoutCastEEEviT_T0_T2_T3_T4_T5_,"axG",@progbits,_ZN2at6native27unrolled_elementwise_kernelINS0_13BUnaryFunctorIlllZZZNS0_18rshift_kernel_cudaERNS_18TensorIteratorBaseEENKUlvE_clEvENKUlvE2_clEvEUlllE_EESt5arrayIPcLm2EELi4E23TrivialOffsetCalculatorILi1EjESD_NS0_6memory15LoadWithoutCastENSE_16StoreWithoutCastEEEviT_T0_T2_T3_T4_T5_,comdat
	.globl	_ZN2at6native27unrolled_elementwise_kernelINS0_13BUnaryFunctorIlllZZZNS0_18rshift_kernel_cudaERNS_18TensorIteratorBaseEENKUlvE_clEvENKUlvE2_clEvEUlllE_EESt5arrayIPcLm2EELi4E23TrivialOffsetCalculatorILi1EjESD_NS0_6memory15LoadWithoutCastENSE_16StoreWithoutCastEEEviT_T0_T2_T3_T4_T5_ ; -- Begin function _ZN2at6native27unrolled_elementwise_kernelINS0_13BUnaryFunctorIlllZZZNS0_18rshift_kernel_cudaERNS_18TensorIteratorBaseEENKUlvE_clEvENKUlvE2_clEvEUlllE_EESt5arrayIPcLm2EELi4E23TrivialOffsetCalculatorILi1EjESD_NS0_6memory15LoadWithoutCastENSE_16StoreWithoutCastEEEviT_T0_T2_T3_T4_T5_
	.p2align	8
	.type	_ZN2at6native27unrolled_elementwise_kernelINS0_13BUnaryFunctorIlllZZZNS0_18rshift_kernel_cudaERNS_18TensorIteratorBaseEENKUlvE_clEvENKUlvE2_clEvEUlllE_EESt5arrayIPcLm2EELi4E23TrivialOffsetCalculatorILi1EjESD_NS0_6memory15LoadWithoutCastENSE_16StoreWithoutCastEEEviT_T0_T2_T3_T4_T5_,@function
_ZN2at6native27unrolled_elementwise_kernelINS0_13BUnaryFunctorIlllZZZNS0_18rshift_kernel_cudaERNS_18TensorIteratorBaseEENKUlvE_clEvENKUlvE2_clEvEUlllE_EESt5arrayIPcLm2EELi4E23TrivialOffsetCalculatorILi1EjESD_NS0_6memory15LoadWithoutCastENSE_16StoreWithoutCastEEEviT_T0_T2_T3_T4_T5_: ; @_ZN2at6native27unrolled_elementwise_kernelINS0_13BUnaryFunctorIlllZZZNS0_18rshift_kernel_cudaERNS_18TensorIteratorBaseEENKUlvE_clEvENKUlvE2_clEvEUlllE_EESt5arrayIPcLm2EELi4E23TrivialOffsetCalculatorILi1EjESD_NS0_6memory15LoadWithoutCastENSE_16StoreWithoutCastEEEviT_T0_T2_T3_T4_T5_
; %bb.0:
	s_load_dword s0, s[4:5], 0x0
	s_load_dwordx2 s[2:3], s[4:5], 0x20
	s_lshl_b32 s12, s6, 10
	v_mov_b32_e32 v3, 0
	v_mov_b32_e32 v5, 0
	s_waitcnt lgkmcnt(0)
	s_sub_i32 s13, s0, s12
	v_cmp_gt_i32_e32 vcc, s13, v0
	v_mov_b32_e32 v4, 0
	v_or_b32_e32 v1, s12, v0
	v_mov_b32_e32 v6, 0
	v_mov_b32_e32 v2, v0
	s_and_saveexec_b64 s[6:7], vcc
	s_cbranch_execz .LBB204_2
; %bb.1:
	v_mov_b32_e32 v2, 0
	v_lshlrev_b64 v[5:6], 3, v[1:2]
	v_mov_b32_e32 v2, s3
	v_add_co_u32_e64 v5, s[0:1], s2, v5
	v_addc_co_u32_e64 v6, s[0:1], v2, v6, s[0:1]
	global_load_dwordx2 v[5:6], v[5:6], off
	v_or_b32_e32 v2, 0x100, v0
.LBB204_2:
	s_or_b64 exec, exec, s[6:7]
	s_load_dwordx4 s[8:11], s[4:5], 0x10
	v_cmp_gt_i32_e64 s[0:1], s13, v2
	s_and_saveexec_b64 s[4:5], s[0:1]
	s_cbranch_execz .LBB204_4
; %bb.3:
	v_add_u32_e32 v3, s12, v2
	v_mov_b32_e32 v4, 0
	v_lshlrev_b64 v[3:4], 3, v[3:4]
	v_mov_b32_e32 v7, s3
	v_add_co_u32_e64 v3, s[0:1], s2, v3
	v_addc_co_u32_e64 v4, s[0:1], v7, v4, s[0:1]
	global_load_dwordx2 v[3:4], v[3:4], off
	v_add_u32_e32 v2, 0x100, v2
.LBB204_4:
	s_or_b64 exec, exec, s[4:5]
	v_mov_b32_e32 v7, 0
	v_mov_b32_e32 v11, 0
	;; [unrolled: 1-line block ×4, first 2 shown]
	v_cmp_gt_i32_e64 s[0:1], s13, v2
	s_and_saveexec_b64 s[4:5], s[0:1]
	s_cbranch_execz .LBB204_6
; %bb.5:
	v_add_u32_e32 v9, s12, v2
	v_mov_b32_e32 v10, 0
	v_lshlrev_b64 v[9:10], 3, v[9:10]
	v_mov_b32_e32 v11, s3
	v_add_co_u32_e64 v9, s[0:1], s2, v9
	v_addc_co_u32_e64 v10, s[0:1], v11, v10, s[0:1]
	global_load_dwordx2 v[11:12], v[9:10], off
	v_add_u32_e32 v2, 0x100, v2
.LBB204_6:
	s_or_b64 exec, exec, s[4:5]
	v_cmp_gt_i32_e64 s[0:1], s13, v2
	s_and_saveexec_b64 s[4:5], s[0:1]
	s_cbranch_execz .LBB204_8
; %bb.7:
	v_add_u32_e32 v7, s12, v2
	v_mov_b32_e32 v8, 0
	v_lshlrev_b64 v[7:8], 3, v[7:8]
	v_mov_b32_e32 v2, s3
	v_add_co_u32_e64 v7, s[0:1], s2, v7
	v_addc_co_u32_e64 v8, s[0:1], v2, v8, s[0:1]
	global_load_dwordx2 v[7:8], v[7:8], off
.LBB204_8:
	s_or_b64 exec, exec, s[4:5]
	s_waitcnt lgkmcnt(0)
	v_cmp_lt_u64_e64 s[0:1], s[8:9], 63
	v_or_b32_e32 v15, 0x100, v0
	s_and_b64 s[0:1], s[0:1], exec
	s_cselect_b32 s2, s8, 63
	s_waitcnt vmcnt(0)
	v_ashrrev_i64 v[2:3], s2, v[3:4]
	v_cmp_gt_i32_e64 s[0:1], s13, v15
	v_ashrrev_i64 v[5:6], s2, v[5:6]
	v_cndmask_b32_e64 v10, 0, v3, s[0:1]
	v_cndmask_b32_e64 v9, 0, v2, s[0:1]
	v_or_b32_e32 v4, 0x200, v0
	v_ashrrev_i64 v[2:3], s2, v[11:12]
	v_cmp_gt_i32_e64 s[0:1], s13, v4
	v_cndmask_b32_e32 v14, 0, v6, vcc
	v_cndmask_b32_e32 v13, 0, v5, vcc
	v_cndmask_b32_e64 v6, 0, v3, s[0:1]
	v_cndmask_b32_e64 v5, 0, v2, s[0:1]
	v_or_b32_e32 v4, 0x300, v0
	v_ashrrev_i64 v[2:3], s2, v[7:8]
	v_cmp_gt_i32_e64 s[0:1], s13, v4
	v_cndmask_b32_e64 v4, 0, v3, s[0:1]
	v_cndmask_b32_e64 v3, 0, v2, s[0:1]
	s_and_saveexec_b64 s[0:1], vcc
	s_cbranch_execnz .LBB204_13
; %bb.9:
	s_or_b64 exec, exec, s[0:1]
	v_cmp_gt_i32_e32 vcc, s13, v0
	s_and_saveexec_b64 s[0:1], vcc
	s_cbranch_execnz .LBB204_14
.LBB204_10:
	s_or_b64 exec, exec, s[0:1]
	v_cmp_gt_i32_e32 vcc, s13, v0
	s_and_saveexec_b64 s[0:1], vcc
	s_cbranch_execnz .LBB204_15
.LBB204_11:
	s_or_b64 exec, exec, s[0:1]
	v_cmp_gt_i32_e32 vcc, s13, v0
	s_and_saveexec_b64 s[0:1], vcc
	s_cbranch_execnz .LBB204_16
.LBB204_12:
	s_endpgm
.LBB204_13:
	v_mov_b32_e32 v2, 0
	v_lshlrev_b64 v[0:1], 3, v[1:2]
	v_mov_b32_e32 v2, s11
	v_add_co_u32_e32 v0, vcc, s10, v0
	v_addc_co_u32_e32 v1, vcc, v2, v1, vcc
	global_store_dwordx2 v[0:1], v[13:14], off
	v_mov_b32_e32 v0, v15
	s_or_b64 exec, exec, s[0:1]
	v_cmp_gt_i32_e32 vcc, s13, v0
	s_and_saveexec_b64 s[0:1], vcc
	s_cbranch_execz .LBB204_10
.LBB204_14:
	v_add_u32_e32 v2, 0x100, v0
	v_add_u32_e32 v0, s12, v0
	v_mov_b32_e32 v1, 0
	v_lshlrev_b64 v[0:1], 3, v[0:1]
	v_mov_b32_e32 v7, s11
	v_add_co_u32_e32 v0, vcc, s10, v0
	v_addc_co_u32_e32 v1, vcc, v7, v1, vcc
	global_store_dwordx2 v[0:1], v[9:10], off
	v_mov_b32_e32 v0, v2
	s_or_b64 exec, exec, s[0:1]
	v_cmp_gt_i32_e32 vcc, s13, v0
	s_and_saveexec_b64 s[0:1], vcc
	s_cbranch_execz .LBB204_11
.LBB204_15:
	v_add_u32_e32 v2, 0x100, v0
	v_add_u32_e32 v0, s12, v0
	v_mov_b32_e32 v1, 0
	v_lshlrev_b64 v[0:1], 3, v[0:1]
	v_mov_b32_e32 v7, s11
	v_add_co_u32_e32 v0, vcc, s10, v0
	v_addc_co_u32_e32 v1, vcc, v7, v1, vcc
	global_store_dwordx2 v[0:1], v[5:6], off
	v_mov_b32_e32 v0, v2
	s_or_b64 exec, exec, s[0:1]
	v_cmp_gt_i32_e32 vcc, s13, v0
	s_and_saveexec_b64 s[0:1], vcc
	s_cbranch_execz .LBB204_12
.LBB204_16:
	v_add_u32_e32 v0, s12, v0
	v_mov_b32_e32 v1, 0
	v_lshlrev_b64 v[0:1], 3, v[0:1]
	v_mov_b32_e32 v2, s11
	v_add_co_u32_e32 v0, vcc, s10, v0
	v_addc_co_u32_e32 v1, vcc, v2, v1, vcc
	global_store_dwordx2 v[0:1], v[3:4], off
	s_endpgm
	.section	.rodata,"a",@progbits
	.p2align	6, 0x0
	.amdhsa_kernel _ZN2at6native27unrolled_elementwise_kernelINS0_13BUnaryFunctorIlllZZZNS0_18rshift_kernel_cudaERNS_18TensorIteratorBaseEENKUlvE_clEvENKUlvE2_clEvEUlllE_EESt5arrayIPcLm2EELi4E23TrivialOffsetCalculatorILi1EjESD_NS0_6memory15LoadWithoutCastENSE_16StoreWithoutCastEEEviT_T0_T2_T3_T4_T5_
		.amdhsa_group_segment_fixed_size 0
		.amdhsa_private_segment_fixed_size 0
		.amdhsa_kernarg_size 44
		.amdhsa_user_sgpr_count 6
		.amdhsa_user_sgpr_private_segment_buffer 1
		.amdhsa_user_sgpr_dispatch_ptr 0
		.amdhsa_user_sgpr_queue_ptr 0
		.amdhsa_user_sgpr_kernarg_segment_ptr 1
		.amdhsa_user_sgpr_dispatch_id 0
		.amdhsa_user_sgpr_flat_scratch_init 0
		.amdhsa_user_sgpr_private_segment_size 0
		.amdhsa_uses_dynamic_stack 0
		.amdhsa_system_sgpr_private_segment_wavefront_offset 0
		.amdhsa_system_sgpr_workgroup_id_x 1
		.amdhsa_system_sgpr_workgroup_id_y 0
		.amdhsa_system_sgpr_workgroup_id_z 0
		.amdhsa_system_sgpr_workgroup_info 0
		.amdhsa_system_vgpr_workitem_id 0
		.amdhsa_next_free_vgpr 16
		.amdhsa_next_free_sgpr 14
		.amdhsa_reserve_vcc 1
		.amdhsa_reserve_flat_scratch 0
		.amdhsa_float_round_mode_32 0
		.amdhsa_float_round_mode_16_64 0
		.amdhsa_float_denorm_mode_32 3
		.amdhsa_float_denorm_mode_16_64 3
		.amdhsa_dx10_clamp 1
		.amdhsa_ieee_mode 1
		.amdhsa_fp16_overflow 0
		.amdhsa_exception_fp_ieee_invalid_op 0
		.amdhsa_exception_fp_denorm_src 0
		.amdhsa_exception_fp_ieee_div_zero 0
		.amdhsa_exception_fp_ieee_overflow 0
		.amdhsa_exception_fp_ieee_underflow 0
		.amdhsa_exception_fp_ieee_inexact 0
		.amdhsa_exception_int_div_zero 0
	.end_amdhsa_kernel
	.section	.text._ZN2at6native27unrolled_elementwise_kernelINS0_13BUnaryFunctorIlllZZZNS0_18rshift_kernel_cudaERNS_18TensorIteratorBaseEENKUlvE_clEvENKUlvE2_clEvEUlllE_EESt5arrayIPcLm2EELi4E23TrivialOffsetCalculatorILi1EjESD_NS0_6memory15LoadWithoutCastENSE_16StoreWithoutCastEEEviT_T0_T2_T3_T4_T5_,"axG",@progbits,_ZN2at6native27unrolled_elementwise_kernelINS0_13BUnaryFunctorIlllZZZNS0_18rshift_kernel_cudaERNS_18TensorIteratorBaseEENKUlvE_clEvENKUlvE2_clEvEUlllE_EESt5arrayIPcLm2EELi4E23TrivialOffsetCalculatorILi1EjESD_NS0_6memory15LoadWithoutCastENSE_16StoreWithoutCastEEEviT_T0_T2_T3_T4_T5_,comdat
.Lfunc_end204:
	.size	_ZN2at6native27unrolled_elementwise_kernelINS0_13BUnaryFunctorIlllZZZNS0_18rshift_kernel_cudaERNS_18TensorIteratorBaseEENKUlvE_clEvENKUlvE2_clEvEUlllE_EESt5arrayIPcLm2EELi4E23TrivialOffsetCalculatorILi1EjESD_NS0_6memory15LoadWithoutCastENSE_16StoreWithoutCastEEEviT_T0_T2_T3_T4_T5_, .Lfunc_end204-_ZN2at6native27unrolled_elementwise_kernelINS0_13BUnaryFunctorIlllZZZNS0_18rshift_kernel_cudaERNS_18TensorIteratorBaseEENKUlvE_clEvENKUlvE2_clEvEUlllE_EESt5arrayIPcLm2EELi4E23TrivialOffsetCalculatorILi1EjESD_NS0_6memory15LoadWithoutCastENSE_16StoreWithoutCastEEEviT_T0_T2_T3_T4_T5_
                                        ; -- End function
	.set _ZN2at6native27unrolled_elementwise_kernelINS0_13BUnaryFunctorIlllZZZNS0_18rshift_kernel_cudaERNS_18TensorIteratorBaseEENKUlvE_clEvENKUlvE2_clEvEUlllE_EESt5arrayIPcLm2EELi4E23TrivialOffsetCalculatorILi1EjESD_NS0_6memory15LoadWithoutCastENSE_16StoreWithoutCastEEEviT_T0_T2_T3_T4_T5_.num_vgpr, 16
	.set _ZN2at6native27unrolled_elementwise_kernelINS0_13BUnaryFunctorIlllZZZNS0_18rshift_kernel_cudaERNS_18TensorIteratorBaseEENKUlvE_clEvENKUlvE2_clEvEUlllE_EESt5arrayIPcLm2EELi4E23TrivialOffsetCalculatorILi1EjESD_NS0_6memory15LoadWithoutCastENSE_16StoreWithoutCastEEEviT_T0_T2_T3_T4_T5_.num_agpr, 0
	.set _ZN2at6native27unrolled_elementwise_kernelINS0_13BUnaryFunctorIlllZZZNS0_18rshift_kernel_cudaERNS_18TensorIteratorBaseEENKUlvE_clEvENKUlvE2_clEvEUlllE_EESt5arrayIPcLm2EELi4E23TrivialOffsetCalculatorILi1EjESD_NS0_6memory15LoadWithoutCastENSE_16StoreWithoutCastEEEviT_T0_T2_T3_T4_T5_.numbered_sgpr, 14
	.set _ZN2at6native27unrolled_elementwise_kernelINS0_13BUnaryFunctorIlllZZZNS0_18rshift_kernel_cudaERNS_18TensorIteratorBaseEENKUlvE_clEvENKUlvE2_clEvEUlllE_EESt5arrayIPcLm2EELi4E23TrivialOffsetCalculatorILi1EjESD_NS0_6memory15LoadWithoutCastENSE_16StoreWithoutCastEEEviT_T0_T2_T3_T4_T5_.num_named_barrier, 0
	.set _ZN2at6native27unrolled_elementwise_kernelINS0_13BUnaryFunctorIlllZZZNS0_18rshift_kernel_cudaERNS_18TensorIteratorBaseEENKUlvE_clEvENKUlvE2_clEvEUlllE_EESt5arrayIPcLm2EELi4E23TrivialOffsetCalculatorILi1EjESD_NS0_6memory15LoadWithoutCastENSE_16StoreWithoutCastEEEviT_T0_T2_T3_T4_T5_.private_seg_size, 0
	.set _ZN2at6native27unrolled_elementwise_kernelINS0_13BUnaryFunctorIlllZZZNS0_18rshift_kernel_cudaERNS_18TensorIteratorBaseEENKUlvE_clEvENKUlvE2_clEvEUlllE_EESt5arrayIPcLm2EELi4E23TrivialOffsetCalculatorILi1EjESD_NS0_6memory15LoadWithoutCastENSE_16StoreWithoutCastEEEviT_T0_T2_T3_T4_T5_.uses_vcc, 1
	.set _ZN2at6native27unrolled_elementwise_kernelINS0_13BUnaryFunctorIlllZZZNS0_18rshift_kernel_cudaERNS_18TensorIteratorBaseEENKUlvE_clEvENKUlvE2_clEvEUlllE_EESt5arrayIPcLm2EELi4E23TrivialOffsetCalculatorILi1EjESD_NS0_6memory15LoadWithoutCastENSE_16StoreWithoutCastEEEviT_T0_T2_T3_T4_T5_.uses_flat_scratch, 0
	.set _ZN2at6native27unrolled_elementwise_kernelINS0_13BUnaryFunctorIlllZZZNS0_18rshift_kernel_cudaERNS_18TensorIteratorBaseEENKUlvE_clEvENKUlvE2_clEvEUlllE_EESt5arrayIPcLm2EELi4E23TrivialOffsetCalculatorILi1EjESD_NS0_6memory15LoadWithoutCastENSE_16StoreWithoutCastEEEviT_T0_T2_T3_T4_T5_.has_dyn_sized_stack, 0
	.set _ZN2at6native27unrolled_elementwise_kernelINS0_13BUnaryFunctorIlllZZZNS0_18rshift_kernel_cudaERNS_18TensorIteratorBaseEENKUlvE_clEvENKUlvE2_clEvEUlllE_EESt5arrayIPcLm2EELi4E23TrivialOffsetCalculatorILi1EjESD_NS0_6memory15LoadWithoutCastENSE_16StoreWithoutCastEEEviT_T0_T2_T3_T4_T5_.has_recursion, 0
	.set _ZN2at6native27unrolled_elementwise_kernelINS0_13BUnaryFunctorIlllZZZNS0_18rshift_kernel_cudaERNS_18TensorIteratorBaseEENKUlvE_clEvENKUlvE2_clEvEUlllE_EESt5arrayIPcLm2EELi4E23TrivialOffsetCalculatorILi1EjESD_NS0_6memory15LoadWithoutCastENSE_16StoreWithoutCastEEEviT_T0_T2_T3_T4_T5_.has_indirect_call, 0
	.section	.AMDGPU.csdata,"",@progbits
; Kernel info:
; codeLenInByte = 788
; TotalNumSgprs: 18
; NumVgprs: 16
; ScratchSize: 0
; MemoryBound: 0
; FloatMode: 240
; IeeeMode: 1
; LDSByteSize: 0 bytes/workgroup (compile time only)
; SGPRBlocks: 2
; VGPRBlocks: 3
; NumSGPRsForWavesPerEU: 18
; NumVGPRsForWavesPerEU: 16
; Occupancy: 10
; WaveLimiterHint : 0
; COMPUTE_PGM_RSRC2:SCRATCH_EN: 0
; COMPUTE_PGM_RSRC2:USER_SGPR: 6
; COMPUTE_PGM_RSRC2:TRAP_HANDLER: 0
; COMPUTE_PGM_RSRC2:TGID_X_EN: 1
; COMPUTE_PGM_RSRC2:TGID_Y_EN: 0
; COMPUTE_PGM_RSRC2:TGID_Z_EN: 0
; COMPUTE_PGM_RSRC2:TIDIG_COMP_CNT: 0
	.section	.text._ZN2at6native32elementwise_kernel_manual_unrollILi128ELi4EZNS0_22gpu_kernel_impl_nocastINS0_13BUnaryFunctorIlllZZZNS0_18rshift_kernel_cudaERNS_18TensorIteratorBaseEENKUlvE_clEvENKUlvE2_clEvEUlllE_EEEEvS5_RKT_EUlibE_EEviT1_,"axG",@progbits,_ZN2at6native32elementwise_kernel_manual_unrollILi128ELi4EZNS0_22gpu_kernel_impl_nocastINS0_13BUnaryFunctorIlllZZZNS0_18rshift_kernel_cudaERNS_18TensorIteratorBaseEENKUlvE_clEvENKUlvE2_clEvEUlllE_EEEEvS5_RKT_EUlibE_EEviT1_,comdat
	.globl	_ZN2at6native32elementwise_kernel_manual_unrollILi128ELi4EZNS0_22gpu_kernel_impl_nocastINS0_13BUnaryFunctorIlllZZZNS0_18rshift_kernel_cudaERNS_18TensorIteratorBaseEENKUlvE_clEvENKUlvE2_clEvEUlllE_EEEEvS5_RKT_EUlibE_EEviT1_ ; -- Begin function _ZN2at6native32elementwise_kernel_manual_unrollILi128ELi4EZNS0_22gpu_kernel_impl_nocastINS0_13BUnaryFunctorIlllZZZNS0_18rshift_kernel_cudaERNS_18TensorIteratorBaseEENKUlvE_clEvENKUlvE2_clEvEUlllE_EEEEvS5_RKT_EUlibE_EEviT1_
	.p2align	8
	.type	_ZN2at6native32elementwise_kernel_manual_unrollILi128ELi4EZNS0_22gpu_kernel_impl_nocastINS0_13BUnaryFunctorIlllZZZNS0_18rshift_kernel_cudaERNS_18TensorIteratorBaseEENKUlvE_clEvENKUlvE2_clEvEUlllE_EEEEvS5_RKT_EUlibE_EEviT1_,@function
_ZN2at6native32elementwise_kernel_manual_unrollILi128ELi4EZNS0_22gpu_kernel_impl_nocastINS0_13BUnaryFunctorIlllZZZNS0_18rshift_kernel_cudaERNS_18TensorIteratorBaseEENKUlvE_clEvENKUlvE2_clEvEUlllE_EEEEvS5_RKT_EUlibE_EEviT1_: ; @_ZN2at6native32elementwise_kernel_manual_unrollILi128ELi4EZNS0_22gpu_kernel_impl_nocastINS0_13BUnaryFunctorIlllZZZNS0_18rshift_kernel_cudaERNS_18TensorIteratorBaseEENKUlvE_clEvENKUlvE2_clEvEUlllE_EEEEvS5_RKT_EUlibE_EEviT1_
; %bb.0:
	s_load_dword s56, s[4:5], 0x0
	s_load_dword s33, s[4:5], 0x8
	s_add_u32 s34, s4, 8
	s_addc_u32 s35, s5, 0
	v_lshl_or_b32 v7, s6, 9, v0
	v_or_b32_e32 v13, 0x180, v7
	s_waitcnt lgkmcnt(0)
	s_add_i32 s54, s33, -1
	s_cmp_gt_u32 s54, 1
	v_cmp_le_i32_e32 vcc, s56, v13
	s_cselect_b64 s[36:37], -1, 0
	s_and_saveexec_b64 s[0:1], vcc
	s_xor_b64 s[38:39], exec, s[0:1]
	s_cbranch_execz .LBB205_7
; %bb.1:
	s_load_dwordx2 s[0:1], s[34:35], 0x160
	s_load_dwordx4 s[24:27], s[34:35], 0x4
	s_load_dwordx2 s[40:41], s[34:35], 0x14
	s_cmp_lg_u32 s33, 0
	s_cselect_b64 s[46:47], -1, 0
	s_add_u32 s44, s34, 0xc4
	s_load_dwordx4 s[20:23], s[34:35], 0xc4
	s_load_dwordx4 s[16:19], s[34:35], 0x148
	s_addc_u32 s45, s35, 0
	s_min_u32 s57, s54, 15
	s_waitcnt lgkmcnt(0)
	v_cmp_lt_u64_e64 s[2:3], s[0:1], 63
	s_cmp_gt_u32 s33, 1
	s_cselect_b64 s[42:43], -1, 0
	s_and_b64 s[2:3], s[2:3], exec
	s_cselect_b32 s55, s0, 63
	v_cmp_gt_i32_e32 vcc, s56, v7
	s_and_saveexec_b64 s[48:49], vcc
	s_cbranch_execz .LBB205_14
; %bb.2:
	s_andn2_b64 vcc, exec, s[36:37]
	s_cbranch_vccnz .LBB205_21
; %bb.3:
	s_andn2_b64 vcc, exec, s[46:47]
	s_cbranch_vccnz .LBB205_73
; %bb.4:
	s_add_i32 s59, s57, 1
	s_cmp_eq_u32 s54, 2
	s_cbranch_scc1 .LBB205_75
; %bb.5:
	s_and_b32 s58, s59, 28
	v_mov_b32_e32 v2, 0
	s_mov_b32 s60, 0
	s_mov_b64 s[50:51], s[34:35]
	s_mov_b64 s[52:53], s[44:45]
	v_mov_b32_e32 v0, 0
	v_mov_b32_e32 v1, v7
.LBB205_6:                              ; =>This Inner Loop Header: Depth=1
	s_load_dwordx8 s[8:15], s[50:51], 0x4
	s_load_dwordx4 s[28:31], s[50:51], 0x24
	s_load_dwordx8 s[0:7], s[52:53], 0x0
	s_add_u32 s50, s50, 48
	s_addc_u32 s51, s51, 0
	s_waitcnt lgkmcnt(0)
	v_mul_hi_u32 v3, s9, v1
	s_add_i32 s60, s60, 4
	s_add_u32 s52, s52, 32
	s_addc_u32 s53, s53, 0
	v_add_u32_e32 v3, v1, v3
	v_lshrrev_b32_e32 v3, s10, v3
	v_mul_lo_u32 v4, v3, s8
	v_mul_hi_u32 v5, s12, v3
	s_cmp_lg_u32 s58, s60
	v_sub_u32_e32 v1, v1, v4
	v_add_u32_e32 v4, v3, v5
	v_mul_lo_u32 v5, v1, s0
	v_mul_lo_u32 v6, v1, s1
	v_lshrrev_b32_e32 v1, s13, v4
	v_mul_lo_u32 v4, v1, s11
	v_mul_hi_u32 v8, s15, v1
	v_sub_u32_e32 v3, v3, v4
	v_add_u32_e32 v4, v1, v8
	v_lshrrev_b32_e32 v4, s28, v4
	v_mul_hi_u32 v9, s30, v4
	v_mul_lo_u32 v10, v4, s14
	v_mul_lo_u32 v8, v3, s2
	;; [unrolled: 1-line block ×3, first 2 shown]
	v_sub_u32_e32 v10, v1, v10
	v_add_u32_e32 v1, v4, v9
	v_lshrrev_b32_e32 v1, s31, v1
	v_mul_lo_u32 v9, v1, s29
	v_mul_lo_u32 v11, v10, s4
	;; [unrolled: 1-line block ×3, first 2 shown]
	v_add3_u32 v0, v5, v0, v8
	v_sub_u32_e32 v4, v4, v9
	v_mul_lo_u32 v9, v4, s6
	v_mul_lo_u32 v4, v4, s7
	v_add3_u32 v2, v6, v2, v3
	v_add3_u32 v0, v11, v0, v9
	;; [unrolled: 1-line block ×3, first 2 shown]
	s_cbranch_scc1 .LBB205_6
	s_branch .LBB205_76
.LBB205_7:
	s_andn2_saveexec_b64 s[0:1], s[38:39]
	s_cbranch_execz .LBB205_101
.LBB205_8:
	v_cndmask_b32_e64 v0, 0, 1, s[36:37]
	v_cmp_ne_u32_e64 s[0:1], 1, v0
	s_andn2_b64 vcc, exec, s[36:37]
	s_cbranch_vccnz .LBB205_20
; %bb.9:
	s_cmp_lg_u32 s33, 0
	s_mov_b32 s26, 0
	s_cbranch_scc0 .LBB205_23
; %bb.10:
	s_min_u32 s27, s54, 15
	s_add_i32 s27, s27, 1
	s_cmp_eq_u32 s54, 2
	s_cbranch_scc1 .LBB205_24
; %bb.11:
	s_and_b32 s26, s27, 28
	s_add_u32 s2, s34, 0xc4
	s_addc_u32 s3, s35, 0
	v_mov_b32_e32 v2, 0
	s_mov_b32 s28, 0
	s_mov_b64 s[24:25], s[34:35]
	v_mov_b32_e32 v0, 0
	v_mov_b32_e32 v1, v7
.LBB205_12:                             ; =>This Inner Loop Header: Depth=1
	s_load_dwordx8 s[12:19], s[24:25], 0x4
	s_load_dwordx4 s[20:23], s[24:25], 0x24
	s_load_dwordx8 s[4:11], s[2:3], 0x0
	s_add_u32 s24, s24, 48
	s_addc_u32 s25, s25, 0
	s_waitcnt lgkmcnt(0)
	v_mul_hi_u32 v3, s13, v1
	s_add_i32 s28, s28, 4
	s_add_u32 s2, s2, 32
	s_addc_u32 s3, s3, 0
	v_add_u32_e32 v3, v1, v3
	v_lshrrev_b32_e32 v3, s14, v3
	v_mul_lo_u32 v4, v3, s12
	v_mul_hi_u32 v5, s16, v3
	s_cmp_lg_u32 s26, s28
	v_sub_u32_e32 v1, v1, v4
	v_add_u32_e32 v4, v3, v5
	v_mul_lo_u32 v5, v1, s4
	v_mul_lo_u32 v6, v1, s5
	v_lshrrev_b32_e32 v1, s17, v4
	v_mul_lo_u32 v4, v1, s15
	v_mul_hi_u32 v8, s19, v1
	v_sub_u32_e32 v3, v3, v4
	v_add_u32_e32 v4, v1, v8
	v_lshrrev_b32_e32 v4, s20, v4
	v_mul_hi_u32 v9, s22, v4
	v_mul_lo_u32 v10, v4, s18
	v_mul_lo_u32 v8, v3, s6
	;; [unrolled: 1-line block ×3, first 2 shown]
	v_sub_u32_e32 v10, v1, v10
	v_add_u32_e32 v1, v4, v9
	v_lshrrev_b32_e32 v1, s23, v1
	v_mul_lo_u32 v9, v1, s21
	v_mul_lo_u32 v11, v10, s8
	;; [unrolled: 1-line block ×3, first 2 shown]
	v_add3_u32 v0, v5, v0, v8
	v_sub_u32_e32 v4, v4, v9
	v_mul_lo_u32 v9, v4, s10
	v_mul_lo_u32 v4, v4, s11
	v_add3_u32 v2, v6, v2, v3
	v_add3_u32 v0, v11, v0, v9
	;; [unrolled: 1-line block ×3, first 2 shown]
	s_cbranch_scc1 .LBB205_12
; %bb.13:
	s_and_b32 s6, s27, 3
	s_cmp_eq_u32 s6, 0
	s_cbranch_scc0 .LBB205_25
	s_branch .LBB205_27
.LBB205_14:
	s_or_b64 exec, exec, s[48:49]
	v_cmp_gt_i32_e32 vcc, s56, v7
	s_and_saveexec_b64 s[48:49], vcc
	s_cbranch_execz .LBB205_83
.LBB205_15:
	s_andn2_b64 vcc, exec, s[36:37]
	s_cbranch_vccnz .LBB205_22
; %bb.16:
	s_andn2_b64 vcc, exec, s[46:47]
	s_cbranch_vccnz .LBB205_74
; %bb.17:
	s_add_i32 s59, s57, 1
	s_cmp_eq_u32 s54, 2
	s_cbranch_scc1 .LBB205_91
; %bb.18:
	s_and_b32 s58, s59, 28
	v_mov_b32_e32 v2, 0
	s_mov_b32 s60, 0
	s_mov_b64 s[50:51], s[34:35]
	s_mov_b64 s[52:53], s[44:45]
	v_mov_b32_e32 v0, 0
	v_mov_b32_e32 v1, v7
.LBB205_19:                             ; =>This Inner Loop Header: Depth=1
	s_load_dwordx8 s[8:15], s[50:51], 0x4
	s_load_dwordx4 s[28:31], s[50:51], 0x24
	s_load_dwordx8 s[0:7], s[52:53], 0x0
	s_add_u32 s50, s50, 48
	s_addc_u32 s51, s51, 0
	s_waitcnt lgkmcnt(0)
	v_mul_hi_u32 v3, s9, v1
	s_add_i32 s60, s60, 4
	s_add_u32 s52, s52, 32
	s_addc_u32 s53, s53, 0
	v_add_u32_e32 v3, v1, v3
	v_lshrrev_b32_e32 v3, s10, v3
	v_mul_lo_u32 v4, v3, s8
	v_mul_hi_u32 v5, s12, v3
	s_cmp_eq_u32 s58, s60
	v_sub_u32_e32 v1, v1, v4
	v_add_u32_e32 v4, v3, v5
	v_mul_lo_u32 v5, v1, s0
	v_mul_lo_u32 v6, v1, s1
	v_lshrrev_b32_e32 v1, s13, v4
	v_mul_lo_u32 v4, v1, s11
	v_mul_hi_u32 v8, s15, v1
	v_sub_u32_e32 v3, v3, v4
	v_add_u32_e32 v4, v1, v8
	v_lshrrev_b32_e32 v4, s28, v4
	v_mul_hi_u32 v9, s30, v4
	v_mul_lo_u32 v10, v4, s14
	v_mul_lo_u32 v8, v3, s2
	v_mul_lo_u32 v3, v3, s3
	v_sub_u32_e32 v10, v1, v10
	v_add_u32_e32 v1, v4, v9
	v_lshrrev_b32_e32 v1, s31, v1
	v_mul_lo_u32 v9, v1, s29
	v_mul_lo_u32 v11, v10, s4
	v_mul_lo_u32 v10, v10, s5
	v_add3_u32 v0, v5, v0, v8
	v_sub_u32_e32 v4, v4, v9
	v_mul_lo_u32 v9, v4, s6
	v_mul_lo_u32 v4, v4, s7
	v_add3_u32 v2, v6, v2, v3
	v_add3_u32 v0, v11, v0, v9
	;; [unrolled: 1-line block ×3, first 2 shown]
	s_cbranch_scc0 .LBB205_19
	s_branch .LBB205_92
.LBB205_20:
                                        ; implicit-def: $vgpr0
                                        ; implicit-def: $vgpr2
	s_branch .LBB205_28
.LBB205_21:
                                        ; implicit-def: $vgpr0
                                        ; implicit-def: $vgpr2
	s_branch .LBB205_80
.LBB205_22:
                                        ; implicit-def: $vgpr0
                                        ; implicit-def: $vgpr2
	s_branch .LBB205_96
.LBB205_23:
	v_mov_b32_e32 v0, 0
	v_mov_b32_e32 v2, 0
	s_branch .LBB205_27
.LBB205_24:
	v_mov_b32_e32 v0, 0
	v_mov_b32_e32 v2, 0
	;; [unrolled: 1-line block ×3, first 2 shown]
	s_and_b32 s6, s27, 3
	s_cmp_eq_u32 s6, 0
	s_cbranch_scc1 .LBB205_27
.LBB205_25:
	s_lshl_b32 s2, s26, 3
	s_add_u32 s2, s34, s2
	s_addc_u32 s3, s35, 0
	s_add_u32 s2, s2, 0xc4
	s_addc_u32 s3, s3, 0
	s_mul_i32 s4, s26, 12
	s_add_u32 s4, s34, s4
	s_addc_u32 s5, s35, 0
.LBB205_26:                             ; =>This Inner Loop Header: Depth=1
	s_load_dwordx2 s[8:9], s[4:5], 0x4
	s_load_dword s7, s[4:5], 0xc
	s_load_dwordx2 s[10:11], s[2:3], 0x0
	s_add_u32 s4, s4, 12
	s_addc_u32 s5, s5, 0
	s_waitcnt lgkmcnt(0)
	v_mul_hi_u32 v4, s9, v1
	s_add_u32 s2, s2, 8
	s_addc_u32 s3, s3, 0
	s_add_i32 s6, s6, -1
	v_add_u32_e32 v4, v1, v4
	v_lshrrev_b32_e32 v4, s7, v4
	v_mul_lo_u32 v5, v4, s8
	s_cmp_lg_u32 s6, 0
	v_sub_u32_e32 v5, v1, v5
	v_mad_u64_u32 v[0:1], s[8:9], v5, s10, v[0:1]
	v_mad_u64_u32 v[2:3], s[8:9], v5, s11, v[2:3]
	v_mov_b32_e32 v1, v4
	s_cbranch_scc1 .LBB205_26
.LBB205_27:
	s_cbranch_execnz .LBB205_30
.LBB205_28:
	s_load_dwordx4 s[4:7], s[34:35], 0x4
	s_load_dwordx2 s[2:3], s[34:35], 0xc4
	s_cmp_lt_u32 s33, 2
	s_waitcnt lgkmcnt(0)
	v_mul_hi_u32 v0, s5, v7
	v_add_u32_e32 v0, v7, v0
	v_lshrrev_b32_e32 v1, s6, v0
	v_mul_lo_u32 v0, v1, s4
	v_sub_u32_e32 v2, v7, v0
	v_mul_lo_u32 v0, v2, s2
	v_mul_lo_u32 v2, v2, s3
	s_cbranch_scc1 .LBB205_30
; %bb.29:
	s_load_dwordx4 s[4:7], s[34:35], 0x10
	s_load_dwordx2 s[2:3], s[34:35], 0xcc
	s_waitcnt lgkmcnt(0)
	v_mul_hi_u32 v3, s5, v1
	v_add_u32_e32 v3, v1, v3
	v_lshrrev_b32_e32 v3, s6, v3
	v_mul_lo_u32 v3, v3, s4
	v_sub_u32_e32 v3, v1, v3
	v_mad_u64_u32 v[0:1], s[4:5], v3, s2, v[0:1]
	v_mad_u64_u32 v[2:3], s[2:3], v3, s3, v[2:3]
.LBB205_30:
	s_and_b64 vcc, exec, s[0:1]
	v_add_u32_e32 v1, 0x80, v7
	s_cbranch_vccnz .LBB205_36
; %bb.31:
	s_cmp_lg_u32 s33, 0
	s_mov_b32 s26, 0
	s_cbranch_scc0 .LBB205_37
; %bb.32:
	s_min_u32 s27, s54, 15
	s_add_i32 s27, s27, 1
	s_cmp_eq_u32 s54, 2
	s_cbranch_scc1 .LBB205_38
; %bb.33:
	s_and_b32 s26, s27, 28
	s_add_u32 s2, s34, 0xc4
	s_addc_u32 s3, s35, 0
	v_mov_b32_e32 v5, 0
	s_mov_b32 s28, 0
	s_mov_b64 s[24:25], s[34:35]
	v_mov_b32_e32 v3, 0
	v_mov_b32_e32 v4, v1
.LBB205_34:                             ; =>This Inner Loop Header: Depth=1
	s_load_dwordx8 s[12:19], s[24:25], 0x4
	s_load_dwordx4 s[20:23], s[24:25], 0x24
	s_load_dwordx8 s[4:11], s[2:3], 0x0
	s_add_u32 s24, s24, 48
	s_addc_u32 s25, s25, 0
	s_waitcnt lgkmcnt(0)
	v_mul_hi_u32 v6, s13, v4
	s_add_i32 s28, s28, 4
	s_add_u32 s2, s2, 32
	s_addc_u32 s3, s3, 0
	v_add_u32_e32 v6, v4, v6
	v_lshrrev_b32_e32 v6, s14, v6
	v_mul_lo_u32 v8, v6, s12
	v_mul_hi_u32 v9, s16, v6
	s_cmp_lg_u32 s26, s28
	v_sub_u32_e32 v4, v4, v8
	v_add_u32_e32 v8, v6, v9
	v_mul_lo_u32 v9, v4, s4
	v_mul_lo_u32 v10, v4, s5
	v_lshrrev_b32_e32 v4, s17, v8
	v_mul_lo_u32 v8, v4, s15
	v_mul_hi_u32 v11, s19, v4
	v_sub_u32_e32 v6, v6, v8
	v_add_u32_e32 v8, v4, v11
	v_lshrrev_b32_e32 v8, s20, v8
	v_mul_hi_u32 v12, s22, v8
	v_mul_lo_u32 v14, v8, s18
	v_mul_lo_u32 v11, v6, s6
	;; [unrolled: 1-line block ×3, first 2 shown]
	v_sub_u32_e32 v14, v4, v14
	v_add_u32_e32 v4, v8, v12
	v_lshrrev_b32_e32 v4, s23, v4
	v_mul_lo_u32 v12, v4, s21
	v_mul_lo_u32 v15, v14, s8
	;; [unrolled: 1-line block ×3, first 2 shown]
	v_add3_u32 v3, v9, v3, v11
	v_sub_u32_e32 v8, v8, v12
	v_mul_lo_u32 v12, v8, s10
	v_mul_lo_u32 v8, v8, s11
	v_add3_u32 v5, v10, v5, v6
	v_add3_u32 v3, v15, v3, v12
	;; [unrolled: 1-line block ×3, first 2 shown]
	s_cbranch_scc1 .LBB205_34
; %bb.35:
	s_and_b32 s6, s27, 3
	s_cmp_eq_u32 s6, 0
	s_cbranch_scc0 .LBB205_39
	s_branch .LBB205_41
.LBB205_36:
                                        ; implicit-def: $vgpr3
                                        ; implicit-def: $vgpr5
	s_branch .LBB205_42
.LBB205_37:
	v_mov_b32_e32 v3, 0
	v_mov_b32_e32 v5, 0
	s_branch .LBB205_41
.LBB205_38:
	v_mov_b32_e32 v3, 0
	v_mov_b32_e32 v5, 0
	;; [unrolled: 1-line block ×3, first 2 shown]
	s_and_b32 s6, s27, 3
	s_cmp_eq_u32 s6, 0
	s_cbranch_scc1 .LBB205_41
.LBB205_39:
	s_lshl_b32 s2, s26, 3
	s_add_u32 s2, s34, s2
	s_addc_u32 s3, s35, 0
	s_add_u32 s2, s2, 0xc4
	s_addc_u32 s3, s3, 0
	s_mul_i32 s4, s26, 12
	s_add_u32 s4, s34, s4
	s_addc_u32 s5, s35, 0
.LBB205_40:                             ; =>This Inner Loop Header: Depth=1
	s_load_dwordx2 s[8:9], s[4:5], 0x4
	s_load_dword s7, s[4:5], 0xc
	s_load_dwordx2 s[10:11], s[2:3], 0x0
	s_add_u32 s4, s4, 12
	s_addc_u32 s5, s5, 0
	s_waitcnt lgkmcnt(0)
	v_mul_hi_u32 v8, s9, v4
	s_add_u32 s2, s2, 8
	s_addc_u32 s3, s3, 0
	s_add_i32 s6, s6, -1
	v_add_u32_e32 v8, v4, v8
	v_lshrrev_b32_e32 v8, s7, v8
	v_mul_lo_u32 v9, v8, s8
	s_cmp_lg_u32 s6, 0
	v_sub_u32_e32 v9, v4, v9
	v_mad_u64_u32 v[3:4], s[8:9], v9, s10, v[3:4]
	v_mad_u64_u32 v[5:6], s[8:9], v9, s11, v[5:6]
	v_mov_b32_e32 v4, v8
	s_cbranch_scc1 .LBB205_40
.LBB205_41:
	s_cbranch_execnz .LBB205_44
.LBB205_42:
	s_load_dwordx4 s[4:7], s[34:35], 0x4
	s_load_dwordx2 s[2:3], s[34:35], 0xc4
	s_cmp_lt_u32 s33, 2
	s_waitcnt lgkmcnt(0)
	v_mul_hi_u32 v3, s5, v1
	v_add_u32_e32 v3, v1, v3
	v_lshrrev_b32_e32 v4, s6, v3
	v_mul_lo_u32 v3, v4, s4
	v_sub_u32_e32 v1, v1, v3
	v_mul_lo_u32 v3, v1, s2
	v_mul_lo_u32 v5, v1, s3
	s_cbranch_scc1 .LBB205_44
; %bb.43:
	s_load_dwordx4 s[4:7], s[34:35], 0x10
	s_load_dwordx2 s[2:3], s[34:35], 0xcc
	s_waitcnt lgkmcnt(0)
	v_mul_hi_u32 v1, s5, v4
	v_add_u32_e32 v1, v4, v1
	v_lshrrev_b32_e32 v1, s6, v1
	v_mul_lo_u32 v1, v1, s4
	v_sub_u32_e32 v1, v4, v1
	v_mad_u64_u32 v[3:4], s[4:5], v1, s2, v[3:4]
	v_mad_u64_u32 v[5:6], s[2:3], v1, s3, v[5:6]
.LBB205_44:
	s_and_b64 vcc, exec, s[0:1]
	v_add_u32_e32 v1, 0x100, v7
	s_cbranch_vccnz .LBB205_50
; %bb.45:
	s_cmp_lg_u32 s33, 0
	s_mov_b32 s26, 0
	s_cbranch_scc0 .LBB205_51
; %bb.46:
	s_min_u32 s27, s54, 15
	s_add_i32 s27, s27, 1
	s_cmp_eq_u32 s54, 2
	s_cbranch_scc1 .LBB205_52
; %bb.47:
	s_and_b32 s26, s27, 28
	s_add_u32 s2, s34, 0xc4
	s_addc_u32 s3, s35, 0
	v_mov_b32_e32 v8, 0
	s_mov_b32 s28, 0
	s_mov_b64 s[24:25], s[34:35]
	v_mov_b32_e32 v6, 0
	v_mov_b32_e32 v4, v1
.LBB205_48:                             ; =>This Inner Loop Header: Depth=1
	s_load_dwordx8 s[12:19], s[24:25], 0x4
	s_load_dwordx4 s[20:23], s[24:25], 0x24
	s_load_dwordx8 s[4:11], s[2:3], 0x0
	s_add_u32 s24, s24, 48
	s_addc_u32 s25, s25, 0
	s_waitcnt lgkmcnt(0)
	v_mul_hi_u32 v7, s13, v4
	s_add_i32 s28, s28, 4
	s_add_u32 s2, s2, 32
	s_addc_u32 s3, s3, 0
	v_add_u32_e32 v7, v4, v7
	v_lshrrev_b32_e32 v7, s14, v7
	v_mul_lo_u32 v9, v7, s12
	v_mul_hi_u32 v10, s16, v7
	s_cmp_lg_u32 s26, s28
	v_sub_u32_e32 v4, v4, v9
	v_add_u32_e32 v9, v7, v10
	v_mul_lo_u32 v10, v4, s4
	v_mul_lo_u32 v11, v4, s5
	v_lshrrev_b32_e32 v4, s17, v9
	v_mul_lo_u32 v9, v4, s15
	v_mul_hi_u32 v12, s19, v4
	v_sub_u32_e32 v7, v7, v9
	v_add_u32_e32 v9, v4, v12
	v_lshrrev_b32_e32 v9, s20, v9
	v_mul_hi_u32 v14, s22, v9
	v_mul_lo_u32 v15, v9, s18
	v_mul_lo_u32 v12, v7, s6
	v_mul_lo_u32 v7, v7, s7
	v_sub_u32_e32 v15, v4, v15
	v_add_u32_e32 v4, v9, v14
	v_lshrrev_b32_e32 v4, s23, v4
	v_mul_lo_u32 v14, v4, s21
	v_mul_lo_u32 v16, v15, s8
	;; [unrolled: 1-line block ×3, first 2 shown]
	v_add3_u32 v6, v10, v6, v12
	v_sub_u32_e32 v9, v9, v14
	v_mul_lo_u32 v14, v9, s10
	v_mul_lo_u32 v9, v9, s11
	v_add3_u32 v7, v11, v8, v7
	v_add3_u32 v6, v16, v6, v14
	;; [unrolled: 1-line block ×3, first 2 shown]
	s_cbranch_scc1 .LBB205_48
; %bb.49:
	s_and_b32 s6, s27, 3
	s_cmp_eq_u32 s6, 0
	s_cbranch_scc0 .LBB205_53
	s_branch .LBB205_55
.LBB205_50:
                                        ; implicit-def: $vgpr6
                                        ; implicit-def: $vgpr8
	s_branch .LBB205_56
.LBB205_51:
	v_mov_b32_e32 v6, 0
	v_mov_b32_e32 v8, 0
	s_branch .LBB205_55
.LBB205_52:
	v_mov_b32_e32 v6, 0
	v_mov_b32_e32 v8, 0
	;; [unrolled: 1-line block ×3, first 2 shown]
	s_and_b32 s6, s27, 3
	s_cmp_eq_u32 s6, 0
	s_cbranch_scc1 .LBB205_55
.LBB205_53:
	s_lshl_b32 s2, s26, 3
	s_add_u32 s2, s34, s2
	s_addc_u32 s3, s35, 0
	s_add_u32 s2, s2, 0xc4
	s_addc_u32 s3, s3, 0
	s_mul_i32 s4, s26, 12
	s_add_u32 s4, s34, s4
	s_addc_u32 s5, s35, 0
.LBB205_54:                             ; =>This Inner Loop Header: Depth=1
	s_load_dwordx2 s[8:9], s[4:5], 0x4
	s_load_dword s7, s[4:5], 0xc
	s_load_dwordx2 s[10:11], s[2:3], 0x0
	s_add_u32 s4, s4, 12
	s_addc_u32 s5, s5, 0
	s_waitcnt lgkmcnt(0)
	v_mul_hi_u32 v7, s9, v4
	s_add_u32 s2, s2, 8
	s_addc_u32 s3, s3, 0
	s_add_i32 s6, s6, -1
	v_add_u32_e32 v7, v4, v7
	v_lshrrev_b32_e32 v10, s7, v7
	v_mul_lo_u32 v7, v10, s8
	s_cmp_lg_u32 s6, 0
	v_sub_u32_e32 v4, v4, v7
	v_mad_u64_u32 v[6:7], s[8:9], v4, s10, v[6:7]
	v_mad_u64_u32 v[8:9], s[8:9], v4, s11, v[8:9]
	v_mov_b32_e32 v4, v10
	s_cbranch_scc1 .LBB205_54
.LBB205_55:
	s_cbranch_execnz .LBB205_58
.LBB205_56:
	s_load_dwordx4 s[4:7], s[34:35], 0x4
	s_load_dwordx2 s[2:3], s[34:35], 0xc4
	s_cmp_lt_u32 s33, 2
	s_waitcnt lgkmcnt(0)
	v_mul_hi_u32 v4, s5, v1
	v_add_u32_e32 v4, v1, v4
	v_lshrrev_b32_e32 v4, s6, v4
	v_mul_lo_u32 v6, v4, s4
	v_sub_u32_e32 v1, v1, v6
	v_mul_lo_u32 v6, v1, s2
	v_mul_lo_u32 v8, v1, s3
	s_cbranch_scc1 .LBB205_58
; %bb.57:
	s_load_dwordx4 s[4:7], s[34:35], 0x10
	s_load_dwordx2 s[2:3], s[34:35], 0xcc
	s_waitcnt lgkmcnt(0)
	v_mul_hi_u32 v1, s5, v4
	v_add_u32_e32 v1, v4, v1
	v_lshrrev_b32_e32 v1, s6, v1
	v_mul_lo_u32 v1, v1, s4
	v_sub_u32_e32 v1, v4, v1
	v_mad_u64_u32 v[6:7], s[4:5], v1, s2, v[6:7]
	v_mad_u64_u32 v[8:9], s[2:3], v1, s3, v[8:9]
.LBB205_58:
	s_and_b64 vcc, exec, s[0:1]
	s_cbranch_vccnz .LBB205_64
; %bb.59:
	s_cmp_lg_u32 s33, 0
	s_mov_b32 s24, 0
	s_cbranch_scc0 .LBB205_65
; %bb.60:
	s_min_u32 s25, s54, 15
	s_add_i32 s25, s25, 1
	s_cmp_eq_u32 s54, 2
	s_cbranch_scc1 .LBB205_66
; %bb.61:
	s_and_b32 s24, s25, 28
	s_add_u32 s20, s34, 0xc4
	s_addc_u32 s21, s35, 0
	v_mov_b32_e32 v11, 0
	s_mov_b32 s26, 0
	s_mov_b64 s[22:23], s[34:35]
	v_mov_b32_e32 v9, 0
	v_mov_b32_e32 v1, v13
.LBB205_62:                             ; =>This Inner Loop Header: Depth=1
	s_load_dwordx8 s[8:15], s[22:23], 0x4
	s_load_dwordx4 s[16:19], s[22:23], 0x24
	s_load_dwordx8 s[0:7], s[20:21], 0x0
	s_add_u32 s22, s22, 48
	s_addc_u32 s23, s23, 0
	s_waitcnt lgkmcnt(0)
	v_mul_hi_u32 v4, s9, v1
	s_add_i32 s26, s26, 4
	s_add_u32 s20, s20, 32
	s_addc_u32 s21, s21, 0
	v_add_u32_e32 v4, v1, v4
	v_lshrrev_b32_e32 v4, s10, v4
	v_mul_lo_u32 v7, v4, s8
	v_mul_hi_u32 v10, s12, v4
	s_cmp_lg_u32 s24, s26
	v_sub_u32_e32 v1, v1, v7
	v_add_u32_e32 v7, v4, v10
	v_mul_lo_u32 v10, v1, s0
	v_mul_lo_u32 v12, v1, s1
	v_lshrrev_b32_e32 v1, s13, v7
	v_mul_lo_u32 v7, v1, s11
	v_mul_hi_u32 v14, s15, v1
	v_sub_u32_e32 v4, v4, v7
	v_add_u32_e32 v7, v1, v14
	v_lshrrev_b32_e32 v7, s16, v7
	v_mul_hi_u32 v15, s18, v7
	v_mul_lo_u32 v16, v7, s14
	v_mul_lo_u32 v14, v4, s2
	;; [unrolled: 1-line block ×3, first 2 shown]
	v_sub_u32_e32 v16, v1, v16
	v_add_u32_e32 v1, v7, v15
	v_lshrrev_b32_e32 v1, s19, v1
	v_mul_lo_u32 v15, v1, s17
	v_mul_lo_u32 v17, v16, s4
	;; [unrolled: 1-line block ×3, first 2 shown]
	v_add3_u32 v9, v10, v9, v14
	v_sub_u32_e32 v7, v7, v15
	v_mul_lo_u32 v15, v7, s6
	v_mul_lo_u32 v7, v7, s7
	v_add3_u32 v4, v12, v11, v4
	v_add3_u32 v9, v17, v9, v15
	;; [unrolled: 1-line block ×3, first 2 shown]
	s_cbranch_scc1 .LBB205_62
; %bb.63:
	s_and_b32 s4, s25, 3
	s_cmp_eq_u32 s4, 0
	s_cbranch_scc0 .LBB205_67
	s_branch .LBB205_69
.LBB205_64:
                                        ; implicit-def: $vgpr9
                                        ; implicit-def: $vgpr11
	s_branch .LBB205_70
.LBB205_65:
	v_mov_b32_e32 v9, 0
	v_mov_b32_e32 v11, 0
	s_branch .LBB205_69
.LBB205_66:
	v_mov_b32_e32 v9, 0
	v_mov_b32_e32 v11, 0
	;; [unrolled: 1-line block ×3, first 2 shown]
	s_and_b32 s4, s25, 3
	s_cmp_eq_u32 s4, 0
	s_cbranch_scc1 .LBB205_69
.LBB205_67:
	s_lshl_b32 s0, s24, 3
	s_add_u32 s0, s34, s0
	s_addc_u32 s1, s35, 0
	s_add_u32 s0, s0, 0xc4
	s_addc_u32 s1, s1, 0
	s_mul_i32 s2, s24, 12
	s_add_u32 s2, s34, s2
	s_addc_u32 s3, s35, 0
.LBB205_68:                             ; =>This Inner Loop Header: Depth=1
	s_load_dwordx2 s[6:7], s[2:3], 0x4
	s_load_dword s5, s[2:3], 0xc
	s_load_dwordx2 s[8:9], s[0:1], 0x0
	s_add_u32 s2, s2, 12
	s_addc_u32 s3, s3, 0
	s_waitcnt lgkmcnt(0)
	v_mul_hi_u32 v4, s7, v1
	s_add_u32 s0, s0, 8
	s_addc_u32 s1, s1, 0
	s_add_i32 s4, s4, -1
	v_add_u32_e32 v4, v1, v4
	v_lshrrev_b32_e32 v4, s5, v4
	v_mul_lo_u32 v7, v4, s6
	s_cmp_lg_u32 s4, 0
	v_sub_u32_e32 v1, v1, v7
	v_mad_u64_u32 v[9:10], s[6:7], v1, s8, v[9:10]
	v_mad_u64_u32 v[11:12], s[6:7], v1, s9, v[11:12]
	v_mov_b32_e32 v1, v4
	s_cbranch_scc1 .LBB205_68
.LBB205_69:
	s_cbranch_execnz .LBB205_72
.LBB205_70:
	s_load_dwordx4 s[0:3], s[34:35], 0x4
	s_load_dwordx2 s[4:5], s[34:35], 0xc4
	s_cmp_lt_u32 s33, 2
	s_waitcnt lgkmcnt(0)
	v_mul_hi_u32 v1, s1, v13
	v_add_u32_e32 v1, v13, v1
	v_lshrrev_b32_e32 v1, s2, v1
	v_mul_lo_u32 v4, v1, s0
	v_sub_u32_e32 v4, v13, v4
	v_mul_lo_u32 v9, v4, s4
	v_mul_lo_u32 v11, v4, s5
	s_cbranch_scc1 .LBB205_72
; %bb.71:
	s_load_dwordx4 s[0:3], s[34:35], 0x10
	s_load_dwordx2 s[4:5], s[34:35], 0xcc
	s_waitcnt lgkmcnt(0)
	v_mul_hi_u32 v4, s1, v1
	v_add_u32_e32 v4, v1, v4
	v_lshrrev_b32_e32 v4, s2, v4
	v_mul_lo_u32 v4, v4, s0
	v_sub_u32_e32 v1, v1, v4
	v_mad_u64_u32 v[9:10], s[0:1], v1, s4, v[9:10]
	v_mad_u64_u32 v[11:12], s[0:1], v1, s5, v[11:12]
.LBB205_72:
	s_load_dwordx4 s[0:3], s[34:35], 0x148
	s_load_dwordx2 s[4:5], s[34:35], 0x160
	s_waitcnt lgkmcnt(0)
	global_load_dwordx2 v[12:13], v2, s[2:3]
	global_load_dwordx2 v[14:15], v5, s[2:3]
	;; [unrolled: 1-line block ×4, first 2 shown]
	v_cmp_lt_u64_e64 s[2:3], s[4:5], 63
	s_and_b64 s[2:3], s[2:3], exec
	s_cselect_b32 s2, s4, 63
	s_waitcnt vmcnt(3)
	v_ashrrev_i64 v[1:2], s2, v[12:13]
	s_waitcnt vmcnt(2)
	v_ashrrev_i64 v[4:5], s2, v[14:15]
	;; [unrolled: 2-line block ×4, first 2 shown]
	global_store_dwordx2 v0, v[1:2], s[0:1]
	global_store_dwordx2 v3, v[4:5], s[0:1]
	;; [unrolled: 1-line block ×4, first 2 shown]
	s_endpgm
.LBB205_73:
	v_mov_b32_e32 v0, 0
	v_mov_b32_e32 v2, 0
	s_branch .LBB205_79
.LBB205_74:
	v_mov_b32_e32 v0, 0
	v_mov_b32_e32 v2, 0
	s_branch .LBB205_95
.LBB205_75:
	s_mov_b32 s58, 0
	v_mov_b32_e32 v0, 0
	v_mov_b32_e32 v2, 0
	;; [unrolled: 1-line block ×3, first 2 shown]
.LBB205_76:
	s_and_b32 s4, s59, 3
	s_cmp_eq_u32 s4, 0
	s_cbranch_scc1 .LBB205_79
; %bb.77:
	s_lshl_b32 s0, s58, 3
	s_add_u32 s0, s34, s0
	s_addc_u32 s1, s35, 0
	s_add_u32 s0, s0, 0xc4
	s_addc_u32 s1, s1, 0
	s_mul_i32 s2, s58, 12
	s_add_u32 s2, s34, s2
	s_addc_u32 s3, s35, 0
.LBB205_78:                             ; =>This Inner Loop Header: Depth=1
	s_load_dwordx2 s[6:7], s[2:3], 0x4
	s_load_dword s5, s[2:3], 0xc
	s_load_dwordx2 s[8:9], s[0:1], 0x0
	s_add_u32 s2, s2, 12
	s_addc_u32 s3, s3, 0
	s_waitcnt lgkmcnt(0)
	v_mul_hi_u32 v3, s7, v1
	s_add_u32 s0, s0, 8
	s_addc_u32 s1, s1, 0
	s_add_i32 s4, s4, -1
	v_add_u32_e32 v3, v1, v3
	v_lshrrev_b32_e32 v4, s5, v3
	v_mul_lo_u32 v3, v4, s6
	s_cmp_lg_u32 s4, 0
	v_sub_u32_e32 v3, v1, v3
	v_mad_u64_u32 v[0:1], s[6:7], v3, s8, v[0:1]
	v_mad_u64_u32 v[2:3], s[6:7], v3, s9, v[2:3]
	v_mov_b32_e32 v1, v4
	s_cbranch_scc1 .LBB205_78
.LBB205_79:
	s_cbranch_execnz .LBB205_82
.LBB205_80:
	v_mul_hi_u32 v0, s25, v7
	s_andn2_b64 vcc, exec, s[42:43]
	v_add_u32_e32 v0, v7, v0
	v_lshrrev_b32_e32 v1, s26, v0
	v_mul_lo_u32 v0, v1, s24
	v_sub_u32_e32 v2, v7, v0
	v_mul_lo_u32 v0, v2, s20
	v_mul_lo_u32 v2, v2, s21
	s_cbranch_vccnz .LBB205_82
; %bb.81:
	v_mul_hi_u32 v3, s40, v1
	v_add_u32_e32 v3, v1, v3
	v_lshrrev_b32_e32 v3, s41, v3
	v_mul_lo_u32 v3, v3, s27
	v_sub_u32_e32 v3, v1, v3
	v_mad_u64_u32 v[0:1], s[0:1], v3, s22, v[0:1]
	v_mad_u64_u32 v[2:3], s[0:1], v3, s23, v[2:3]
.LBB205_82:
	global_load_dwordx2 v[1:2], v2, s[18:19]
	v_add_u32_e32 v7, 0x80, v7
	s_waitcnt vmcnt(0)
	v_ashrrev_i64 v[1:2], s55, v[1:2]
	global_store_dwordx2 v0, v[1:2], s[16:17]
	s_or_b64 exec, exec, s[48:49]
	v_cmp_gt_i32_e32 vcc, s56, v7
	s_and_saveexec_b64 s[48:49], vcc
	s_cbranch_execnz .LBB205_15
.LBB205_83:
	s_or_b64 exec, exec, s[48:49]
	v_cmp_gt_i32_e32 vcc, s56, v7
	s_and_saveexec_b64 s[48:49], vcc
	s_cbranch_execz .LBB205_99
.LBB205_84:
	s_andn2_b64 vcc, exec, s[36:37]
	s_cbranch_vccnz .LBB205_89
; %bb.85:
	s_andn2_b64 vcc, exec, s[46:47]
	s_cbranch_vccnz .LBB205_90
; %bb.86:
	s_add_i32 s59, s57, 1
	s_cmp_eq_u32 s54, 2
	s_cbranch_scc1 .LBB205_102
; %bb.87:
	s_and_b32 s58, s59, 28
	v_mov_b32_e32 v2, 0
	s_mov_b32 s60, 0
	s_mov_b64 s[50:51], s[34:35]
	s_mov_b64 s[52:53], s[44:45]
	v_mov_b32_e32 v0, 0
	v_mov_b32_e32 v1, v7
.LBB205_88:                             ; =>This Inner Loop Header: Depth=1
	s_load_dwordx8 s[8:15], s[50:51], 0x4
	s_load_dwordx4 s[28:31], s[50:51], 0x24
	s_load_dwordx8 s[0:7], s[52:53], 0x0
	s_add_u32 s50, s50, 48
	s_addc_u32 s51, s51, 0
	s_waitcnt lgkmcnt(0)
	v_mul_hi_u32 v3, s9, v1
	s_add_i32 s60, s60, 4
	s_add_u32 s52, s52, 32
	s_addc_u32 s53, s53, 0
	v_add_u32_e32 v3, v1, v3
	v_lshrrev_b32_e32 v3, s10, v3
	v_mul_lo_u32 v4, v3, s8
	v_mul_hi_u32 v5, s12, v3
	s_cmp_eq_u32 s58, s60
	v_sub_u32_e32 v1, v1, v4
	v_add_u32_e32 v4, v3, v5
	v_mul_lo_u32 v5, v1, s0
	v_mul_lo_u32 v6, v1, s1
	v_lshrrev_b32_e32 v1, s13, v4
	v_mul_lo_u32 v4, v1, s11
	v_mul_hi_u32 v8, s15, v1
	v_sub_u32_e32 v3, v3, v4
	v_add_u32_e32 v4, v1, v8
	v_lshrrev_b32_e32 v4, s28, v4
	v_mul_hi_u32 v9, s30, v4
	v_mul_lo_u32 v10, v4, s14
	v_mul_lo_u32 v8, v3, s2
	;; [unrolled: 1-line block ×3, first 2 shown]
	v_sub_u32_e32 v10, v1, v10
	v_add_u32_e32 v1, v4, v9
	v_lshrrev_b32_e32 v1, s31, v1
	v_mul_lo_u32 v9, v1, s29
	v_mul_lo_u32 v11, v10, s4
	;; [unrolled: 1-line block ×3, first 2 shown]
	v_add3_u32 v0, v5, v0, v8
	v_sub_u32_e32 v4, v4, v9
	v_mul_lo_u32 v9, v4, s6
	v_mul_lo_u32 v4, v4, s7
	v_add3_u32 v2, v6, v2, v3
	v_add3_u32 v0, v11, v0, v9
	;; [unrolled: 1-line block ×3, first 2 shown]
	s_cbranch_scc0 .LBB205_88
	s_branch .LBB205_103
.LBB205_89:
                                        ; implicit-def: $vgpr0
                                        ; implicit-def: $vgpr2
	s_branch .LBB205_107
.LBB205_90:
	v_mov_b32_e32 v0, 0
	v_mov_b32_e32 v2, 0
	s_branch .LBB205_106
.LBB205_91:
	s_mov_b32 s58, 0
	v_mov_b32_e32 v0, 0
	v_mov_b32_e32 v2, 0
	;; [unrolled: 1-line block ×3, first 2 shown]
.LBB205_92:
	s_and_b32 s4, s59, 3
	s_cmp_eq_u32 s4, 0
	s_cbranch_scc1 .LBB205_95
; %bb.93:
	s_lshl_b32 s0, s58, 3
	s_add_u32 s0, s34, s0
	s_addc_u32 s1, s35, 0
	s_add_u32 s0, s0, 0xc4
	s_addc_u32 s1, s1, 0
	s_mul_i32 s2, s58, 12
	s_add_u32 s2, s34, s2
	s_addc_u32 s3, s35, 0
.LBB205_94:                             ; =>This Inner Loop Header: Depth=1
	s_load_dwordx2 s[6:7], s[2:3], 0x4
	s_load_dword s5, s[2:3], 0xc
	s_load_dwordx2 s[8:9], s[0:1], 0x0
	s_add_u32 s2, s2, 12
	s_addc_u32 s3, s3, 0
	s_waitcnt lgkmcnt(0)
	v_mul_hi_u32 v3, s7, v1
	s_add_u32 s0, s0, 8
	s_addc_u32 s1, s1, 0
	s_add_i32 s4, s4, -1
	v_add_u32_e32 v3, v1, v3
	v_lshrrev_b32_e32 v4, s5, v3
	v_mul_lo_u32 v3, v4, s6
	s_cmp_lg_u32 s4, 0
	v_sub_u32_e32 v3, v1, v3
	v_mad_u64_u32 v[0:1], s[6:7], v3, s8, v[0:1]
	v_mad_u64_u32 v[2:3], s[6:7], v3, s9, v[2:3]
	v_mov_b32_e32 v1, v4
	s_cbranch_scc1 .LBB205_94
.LBB205_95:
	s_cbranch_execnz .LBB205_98
.LBB205_96:
	v_mul_hi_u32 v0, s25, v7
	s_andn2_b64 vcc, exec, s[42:43]
	v_add_u32_e32 v0, v7, v0
	v_lshrrev_b32_e32 v1, s26, v0
	v_mul_lo_u32 v0, v1, s24
	v_sub_u32_e32 v2, v7, v0
	v_mul_lo_u32 v0, v2, s20
	v_mul_lo_u32 v2, v2, s21
	s_cbranch_vccnz .LBB205_98
; %bb.97:
	v_mul_hi_u32 v3, s40, v1
	v_add_u32_e32 v3, v1, v3
	v_lshrrev_b32_e32 v3, s41, v3
	v_mul_lo_u32 v3, v3, s27
	v_sub_u32_e32 v3, v1, v3
	v_mad_u64_u32 v[0:1], s[0:1], v3, s22, v[0:1]
	v_mad_u64_u32 v[2:3], s[0:1], v3, s23, v[2:3]
.LBB205_98:
	global_load_dwordx2 v[1:2], v2, s[18:19]
	v_add_u32_e32 v7, 0x80, v7
	s_waitcnt vmcnt(0)
	v_ashrrev_i64 v[1:2], s55, v[1:2]
	global_store_dwordx2 v0, v[1:2], s[16:17]
	s_or_b64 exec, exec, s[48:49]
	v_cmp_gt_i32_e32 vcc, s56, v7
	s_and_saveexec_b64 s[48:49], vcc
	s_cbranch_execnz .LBB205_84
.LBB205_99:
	s_or_b64 exec, exec, s[48:49]
	v_cmp_gt_i32_e32 vcc, s56, v7
	s_and_saveexec_b64 s[48:49], vcc
	s_cbranch_execnz .LBB205_110
.LBB205_100:
	s_or_b64 exec, exec, s[48:49]
                                        ; implicit-def: $vgpr13
                                        ; implicit-def: $vgpr7
	s_andn2_saveexec_b64 s[0:1], s[38:39]
	s_cbranch_execnz .LBB205_8
.LBB205_101:
	s_endpgm
.LBB205_102:
	s_mov_b32 s58, 0
	v_mov_b32_e32 v0, 0
	v_mov_b32_e32 v2, 0
	;; [unrolled: 1-line block ×3, first 2 shown]
.LBB205_103:
	s_and_b32 s4, s59, 3
	s_cmp_eq_u32 s4, 0
	s_cbranch_scc1 .LBB205_106
; %bb.104:
	s_lshl_b32 s0, s58, 3
	s_add_u32 s0, s34, s0
	s_addc_u32 s1, s35, 0
	s_add_u32 s0, s0, 0xc4
	s_addc_u32 s1, s1, 0
	s_mul_i32 s2, s58, 12
	s_add_u32 s2, s34, s2
	s_addc_u32 s3, s35, 0
.LBB205_105:                            ; =>This Inner Loop Header: Depth=1
	s_load_dwordx2 s[6:7], s[2:3], 0x4
	s_load_dword s5, s[2:3], 0xc
	s_load_dwordx2 s[8:9], s[0:1], 0x0
	s_add_u32 s2, s2, 12
	s_addc_u32 s3, s3, 0
	s_waitcnt lgkmcnt(0)
	v_mul_hi_u32 v3, s7, v1
	s_add_u32 s0, s0, 8
	s_addc_u32 s1, s1, 0
	s_add_i32 s4, s4, -1
	v_add_u32_e32 v3, v1, v3
	v_lshrrev_b32_e32 v4, s5, v3
	v_mul_lo_u32 v3, v4, s6
	s_cmp_lg_u32 s4, 0
	v_sub_u32_e32 v3, v1, v3
	v_mad_u64_u32 v[0:1], s[6:7], v3, s8, v[0:1]
	v_mad_u64_u32 v[2:3], s[6:7], v3, s9, v[2:3]
	v_mov_b32_e32 v1, v4
	s_cbranch_scc1 .LBB205_105
.LBB205_106:
	s_cbranch_execnz .LBB205_109
.LBB205_107:
	v_mul_hi_u32 v0, s25, v7
	s_andn2_b64 vcc, exec, s[42:43]
	v_add_u32_e32 v0, v7, v0
	v_lshrrev_b32_e32 v1, s26, v0
	v_mul_lo_u32 v0, v1, s24
	v_sub_u32_e32 v2, v7, v0
	v_mul_lo_u32 v0, v2, s20
	v_mul_lo_u32 v2, v2, s21
	s_cbranch_vccnz .LBB205_109
; %bb.108:
	v_mul_hi_u32 v3, s40, v1
	v_add_u32_e32 v3, v1, v3
	v_lshrrev_b32_e32 v3, s41, v3
	v_mul_lo_u32 v3, v3, s27
	v_sub_u32_e32 v3, v1, v3
	v_mad_u64_u32 v[0:1], s[0:1], v3, s22, v[0:1]
	v_mad_u64_u32 v[2:3], s[0:1], v3, s23, v[2:3]
.LBB205_109:
	global_load_dwordx2 v[1:2], v2, s[18:19]
	v_add_u32_e32 v7, 0x80, v7
	s_waitcnt vmcnt(0)
	v_ashrrev_i64 v[1:2], s55, v[1:2]
	global_store_dwordx2 v0, v[1:2], s[16:17]
	s_or_b64 exec, exec, s[48:49]
	v_cmp_gt_i32_e32 vcc, s56, v7
	s_and_saveexec_b64 s[48:49], vcc
	s_cbranch_execz .LBB205_100
.LBB205_110:
	s_andn2_b64 vcc, exec, s[36:37]
	s_cbranch_vccnz .LBB205_115
; %bb.111:
	s_andn2_b64 vcc, exec, s[46:47]
	s_cbranch_vccnz .LBB205_116
; %bb.112:
	s_add_i32 s57, s57, 1
	s_cmp_eq_u32 s54, 2
	s_cbranch_scc1 .LBB205_117
; %bb.113:
	s_and_b32 s50, s57, 28
	v_mov_b32_e32 v2, 0
	s_mov_b32 s51, 0
	s_mov_b64 s[46:47], s[34:35]
	v_mov_b32_e32 v0, 0
	v_mov_b32_e32 v1, v7
.LBB205_114:                            ; =>This Inner Loop Header: Depth=1
	s_load_dwordx8 s[8:15], s[46:47], 0x4
	s_load_dwordx4 s[28:31], s[46:47], 0x24
	s_load_dwordx8 s[0:7], s[44:45], 0x0
	s_add_u32 s46, s46, 48
	s_addc_u32 s47, s47, 0
	s_waitcnt lgkmcnt(0)
	v_mul_hi_u32 v3, s9, v1
	s_add_i32 s51, s51, 4
	s_add_u32 s44, s44, 32
	s_addc_u32 s45, s45, 0
	v_add_u32_e32 v3, v1, v3
	v_lshrrev_b32_e32 v3, s10, v3
	v_mul_lo_u32 v4, v3, s8
	v_mul_hi_u32 v5, s12, v3
	s_cmp_eq_u32 s50, s51
	v_sub_u32_e32 v1, v1, v4
	v_add_u32_e32 v4, v3, v5
	v_mul_lo_u32 v5, v1, s0
	v_mul_lo_u32 v6, v1, s1
	v_lshrrev_b32_e32 v1, s13, v4
	v_mul_lo_u32 v4, v1, s11
	v_mul_hi_u32 v8, s15, v1
	v_sub_u32_e32 v3, v3, v4
	v_add_u32_e32 v4, v1, v8
	v_lshrrev_b32_e32 v4, s28, v4
	v_mul_hi_u32 v9, s30, v4
	v_mul_lo_u32 v10, v4, s14
	v_mul_lo_u32 v8, v3, s2
	;; [unrolled: 1-line block ×3, first 2 shown]
	v_sub_u32_e32 v10, v1, v10
	v_add_u32_e32 v1, v4, v9
	v_lshrrev_b32_e32 v1, s31, v1
	v_mul_lo_u32 v9, v1, s29
	v_mul_lo_u32 v11, v10, s4
	;; [unrolled: 1-line block ×3, first 2 shown]
	v_add3_u32 v0, v5, v0, v8
	v_sub_u32_e32 v4, v4, v9
	v_mul_lo_u32 v9, v4, s6
	v_mul_lo_u32 v4, v4, s7
	v_add3_u32 v2, v6, v2, v3
	v_add3_u32 v0, v11, v0, v9
	;; [unrolled: 1-line block ×3, first 2 shown]
	s_cbranch_scc0 .LBB205_114
	s_branch .LBB205_118
.LBB205_115:
                                        ; implicit-def: $vgpr0
                                        ; implicit-def: $vgpr2
	s_branch .LBB205_122
.LBB205_116:
	v_mov_b32_e32 v0, 0
	v_mov_b32_e32 v2, 0
	s_branch .LBB205_121
.LBB205_117:
	s_mov_b32 s50, 0
	v_mov_b32_e32 v0, 0
	v_mov_b32_e32 v2, 0
	;; [unrolled: 1-line block ×3, first 2 shown]
.LBB205_118:
	s_and_b32 s4, s57, 3
	s_cmp_eq_u32 s4, 0
	s_cbranch_scc1 .LBB205_121
; %bb.119:
	s_lshl_b32 s0, s50, 3
	s_add_u32 s0, s34, s0
	s_addc_u32 s1, s35, 0
	s_add_u32 s0, s0, 0xc4
	s_addc_u32 s1, s1, 0
	s_mul_i32 s2, s50, 12
	s_add_u32 s2, s34, s2
	s_addc_u32 s3, s35, 0
.LBB205_120:                            ; =>This Inner Loop Header: Depth=1
	s_load_dwordx2 s[6:7], s[2:3], 0x4
	s_load_dword s5, s[2:3], 0xc
	s_load_dwordx2 s[8:9], s[0:1], 0x0
	s_add_u32 s2, s2, 12
	s_addc_u32 s3, s3, 0
	s_waitcnt lgkmcnt(0)
	v_mul_hi_u32 v3, s7, v1
	s_add_u32 s0, s0, 8
	s_addc_u32 s1, s1, 0
	s_add_i32 s4, s4, -1
	v_add_u32_e32 v3, v1, v3
	v_lshrrev_b32_e32 v4, s5, v3
	v_mul_lo_u32 v3, v4, s6
	s_cmp_lg_u32 s4, 0
	v_sub_u32_e32 v3, v1, v3
	v_mad_u64_u32 v[0:1], s[6:7], v3, s8, v[0:1]
	v_mad_u64_u32 v[2:3], s[6:7], v3, s9, v[2:3]
	v_mov_b32_e32 v1, v4
	s_cbranch_scc1 .LBB205_120
.LBB205_121:
	s_cbranch_execnz .LBB205_124
.LBB205_122:
	v_mul_hi_u32 v0, s25, v7
	s_andn2_b64 vcc, exec, s[42:43]
	v_add_u32_e32 v0, v7, v0
	v_lshrrev_b32_e32 v1, s26, v0
	v_mul_lo_u32 v0, v1, s24
	v_sub_u32_e32 v2, v7, v0
	v_mul_lo_u32 v0, v2, s20
	v_mul_lo_u32 v2, v2, s21
	s_cbranch_vccnz .LBB205_124
; %bb.123:
	v_mul_hi_u32 v3, s40, v1
	v_add_u32_e32 v3, v1, v3
	v_lshrrev_b32_e32 v3, s41, v3
	v_mul_lo_u32 v3, v3, s27
	v_sub_u32_e32 v3, v1, v3
	v_mad_u64_u32 v[0:1], s[0:1], v3, s22, v[0:1]
	v_mad_u64_u32 v[2:3], s[0:1], v3, s23, v[2:3]
.LBB205_124:
	global_load_dwordx2 v[1:2], v2, s[18:19]
	s_waitcnt vmcnt(0)
	v_ashrrev_i64 v[1:2], s55, v[1:2]
	global_store_dwordx2 v0, v[1:2], s[16:17]
	s_or_b64 exec, exec, s[48:49]
                                        ; implicit-def: $vgpr13
                                        ; implicit-def: $vgpr7
	s_andn2_saveexec_b64 s[0:1], s[38:39]
	s_cbranch_execz .LBB205_101
	s_branch .LBB205_8
	.section	.rodata,"a",@progbits
	.p2align	6, 0x0
	.amdhsa_kernel _ZN2at6native32elementwise_kernel_manual_unrollILi128ELi4EZNS0_22gpu_kernel_impl_nocastINS0_13BUnaryFunctorIlllZZZNS0_18rshift_kernel_cudaERNS_18TensorIteratorBaseEENKUlvE_clEvENKUlvE2_clEvEUlllE_EEEEvS5_RKT_EUlibE_EEviT1_
		.amdhsa_group_segment_fixed_size 0
		.amdhsa_private_segment_fixed_size 0
		.amdhsa_kernarg_size 368
		.amdhsa_user_sgpr_count 6
		.amdhsa_user_sgpr_private_segment_buffer 1
		.amdhsa_user_sgpr_dispatch_ptr 0
		.amdhsa_user_sgpr_queue_ptr 0
		.amdhsa_user_sgpr_kernarg_segment_ptr 1
		.amdhsa_user_sgpr_dispatch_id 0
		.amdhsa_user_sgpr_flat_scratch_init 0
		.amdhsa_user_sgpr_private_segment_size 0
		.amdhsa_uses_dynamic_stack 0
		.amdhsa_system_sgpr_private_segment_wavefront_offset 0
		.amdhsa_system_sgpr_workgroup_id_x 1
		.amdhsa_system_sgpr_workgroup_id_y 0
		.amdhsa_system_sgpr_workgroup_id_z 0
		.amdhsa_system_sgpr_workgroup_info 0
		.amdhsa_system_vgpr_workitem_id 0
		.amdhsa_next_free_vgpr 20
		.amdhsa_next_free_sgpr 61
		.amdhsa_reserve_vcc 1
		.amdhsa_reserve_flat_scratch 0
		.amdhsa_float_round_mode_32 0
		.amdhsa_float_round_mode_16_64 0
		.amdhsa_float_denorm_mode_32 3
		.amdhsa_float_denorm_mode_16_64 3
		.amdhsa_dx10_clamp 1
		.amdhsa_ieee_mode 1
		.amdhsa_fp16_overflow 0
		.amdhsa_exception_fp_ieee_invalid_op 0
		.amdhsa_exception_fp_denorm_src 0
		.amdhsa_exception_fp_ieee_div_zero 0
		.amdhsa_exception_fp_ieee_overflow 0
		.amdhsa_exception_fp_ieee_underflow 0
		.amdhsa_exception_fp_ieee_inexact 0
		.amdhsa_exception_int_div_zero 0
	.end_amdhsa_kernel
	.section	.text._ZN2at6native32elementwise_kernel_manual_unrollILi128ELi4EZNS0_22gpu_kernel_impl_nocastINS0_13BUnaryFunctorIlllZZZNS0_18rshift_kernel_cudaERNS_18TensorIteratorBaseEENKUlvE_clEvENKUlvE2_clEvEUlllE_EEEEvS5_RKT_EUlibE_EEviT1_,"axG",@progbits,_ZN2at6native32elementwise_kernel_manual_unrollILi128ELi4EZNS0_22gpu_kernel_impl_nocastINS0_13BUnaryFunctorIlllZZZNS0_18rshift_kernel_cudaERNS_18TensorIteratorBaseEENKUlvE_clEvENKUlvE2_clEvEUlllE_EEEEvS5_RKT_EUlibE_EEviT1_,comdat
.Lfunc_end205:
	.size	_ZN2at6native32elementwise_kernel_manual_unrollILi128ELi4EZNS0_22gpu_kernel_impl_nocastINS0_13BUnaryFunctorIlllZZZNS0_18rshift_kernel_cudaERNS_18TensorIteratorBaseEENKUlvE_clEvENKUlvE2_clEvEUlllE_EEEEvS5_RKT_EUlibE_EEviT1_, .Lfunc_end205-_ZN2at6native32elementwise_kernel_manual_unrollILi128ELi4EZNS0_22gpu_kernel_impl_nocastINS0_13BUnaryFunctorIlllZZZNS0_18rshift_kernel_cudaERNS_18TensorIteratorBaseEENKUlvE_clEvENKUlvE2_clEvEUlllE_EEEEvS5_RKT_EUlibE_EEviT1_
                                        ; -- End function
	.set _ZN2at6native32elementwise_kernel_manual_unrollILi128ELi4EZNS0_22gpu_kernel_impl_nocastINS0_13BUnaryFunctorIlllZZZNS0_18rshift_kernel_cudaERNS_18TensorIteratorBaseEENKUlvE_clEvENKUlvE2_clEvEUlllE_EEEEvS5_RKT_EUlibE_EEviT1_.num_vgpr, 20
	.set _ZN2at6native32elementwise_kernel_manual_unrollILi128ELi4EZNS0_22gpu_kernel_impl_nocastINS0_13BUnaryFunctorIlllZZZNS0_18rshift_kernel_cudaERNS_18TensorIteratorBaseEENKUlvE_clEvENKUlvE2_clEvEUlllE_EEEEvS5_RKT_EUlibE_EEviT1_.num_agpr, 0
	.set _ZN2at6native32elementwise_kernel_manual_unrollILi128ELi4EZNS0_22gpu_kernel_impl_nocastINS0_13BUnaryFunctorIlllZZZNS0_18rshift_kernel_cudaERNS_18TensorIteratorBaseEENKUlvE_clEvENKUlvE2_clEvEUlllE_EEEEvS5_RKT_EUlibE_EEviT1_.numbered_sgpr, 61
	.set _ZN2at6native32elementwise_kernel_manual_unrollILi128ELi4EZNS0_22gpu_kernel_impl_nocastINS0_13BUnaryFunctorIlllZZZNS0_18rshift_kernel_cudaERNS_18TensorIteratorBaseEENKUlvE_clEvENKUlvE2_clEvEUlllE_EEEEvS5_RKT_EUlibE_EEviT1_.num_named_barrier, 0
	.set _ZN2at6native32elementwise_kernel_manual_unrollILi128ELi4EZNS0_22gpu_kernel_impl_nocastINS0_13BUnaryFunctorIlllZZZNS0_18rshift_kernel_cudaERNS_18TensorIteratorBaseEENKUlvE_clEvENKUlvE2_clEvEUlllE_EEEEvS5_RKT_EUlibE_EEviT1_.private_seg_size, 0
	.set _ZN2at6native32elementwise_kernel_manual_unrollILi128ELi4EZNS0_22gpu_kernel_impl_nocastINS0_13BUnaryFunctorIlllZZZNS0_18rshift_kernel_cudaERNS_18TensorIteratorBaseEENKUlvE_clEvENKUlvE2_clEvEUlllE_EEEEvS5_RKT_EUlibE_EEviT1_.uses_vcc, 1
	.set _ZN2at6native32elementwise_kernel_manual_unrollILi128ELi4EZNS0_22gpu_kernel_impl_nocastINS0_13BUnaryFunctorIlllZZZNS0_18rshift_kernel_cudaERNS_18TensorIteratorBaseEENKUlvE_clEvENKUlvE2_clEvEUlllE_EEEEvS5_RKT_EUlibE_EEviT1_.uses_flat_scratch, 0
	.set _ZN2at6native32elementwise_kernel_manual_unrollILi128ELi4EZNS0_22gpu_kernel_impl_nocastINS0_13BUnaryFunctorIlllZZZNS0_18rshift_kernel_cudaERNS_18TensorIteratorBaseEENKUlvE_clEvENKUlvE2_clEvEUlllE_EEEEvS5_RKT_EUlibE_EEviT1_.has_dyn_sized_stack, 0
	.set _ZN2at6native32elementwise_kernel_manual_unrollILi128ELi4EZNS0_22gpu_kernel_impl_nocastINS0_13BUnaryFunctorIlllZZZNS0_18rshift_kernel_cudaERNS_18TensorIteratorBaseEENKUlvE_clEvENKUlvE2_clEvEUlllE_EEEEvS5_RKT_EUlibE_EEviT1_.has_recursion, 0
	.set _ZN2at6native32elementwise_kernel_manual_unrollILi128ELi4EZNS0_22gpu_kernel_impl_nocastINS0_13BUnaryFunctorIlllZZZNS0_18rshift_kernel_cudaERNS_18TensorIteratorBaseEENKUlvE_clEvENKUlvE2_clEvEUlllE_EEEEvS5_RKT_EUlibE_EEviT1_.has_indirect_call, 0
	.section	.AMDGPU.csdata,"",@progbits
; Kernel info:
; codeLenInByte = 5748
; TotalNumSgprs: 65
; NumVgprs: 20
; ScratchSize: 0
; MemoryBound: 0
; FloatMode: 240
; IeeeMode: 1
; LDSByteSize: 0 bytes/workgroup (compile time only)
; SGPRBlocks: 8
; VGPRBlocks: 4
; NumSGPRsForWavesPerEU: 65
; NumVGPRsForWavesPerEU: 20
; Occupancy: 10
; WaveLimiterHint : 1
; COMPUTE_PGM_RSRC2:SCRATCH_EN: 0
; COMPUTE_PGM_RSRC2:USER_SGPR: 6
; COMPUTE_PGM_RSRC2:TRAP_HANDLER: 0
; COMPUTE_PGM_RSRC2:TGID_X_EN: 1
; COMPUTE_PGM_RSRC2:TGID_Y_EN: 0
; COMPUTE_PGM_RSRC2:TGID_Z_EN: 0
; COMPUTE_PGM_RSRC2:TIDIG_COMP_CNT: 0
	.section	.text._ZN2at6native32elementwise_kernel_manual_unrollILi128ELi4EZNS0_15gpu_kernel_implINS0_13BUnaryFunctorIlllZZZNS0_18rshift_kernel_cudaERNS_18TensorIteratorBaseEENKUlvE_clEvENKUlvE2_clEvEUlllE_EEEEvS5_RKT_EUlibE_EEviT1_,"axG",@progbits,_ZN2at6native32elementwise_kernel_manual_unrollILi128ELi4EZNS0_15gpu_kernel_implINS0_13BUnaryFunctorIlllZZZNS0_18rshift_kernel_cudaERNS_18TensorIteratorBaseEENKUlvE_clEvENKUlvE2_clEvEUlllE_EEEEvS5_RKT_EUlibE_EEviT1_,comdat
	.globl	_ZN2at6native32elementwise_kernel_manual_unrollILi128ELi4EZNS0_15gpu_kernel_implINS0_13BUnaryFunctorIlllZZZNS0_18rshift_kernel_cudaERNS_18TensorIteratorBaseEENKUlvE_clEvENKUlvE2_clEvEUlllE_EEEEvS5_RKT_EUlibE_EEviT1_ ; -- Begin function _ZN2at6native32elementwise_kernel_manual_unrollILi128ELi4EZNS0_15gpu_kernel_implINS0_13BUnaryFunctorIlllZZZNS0_18rshift_kernel_cudaERNS_18TensorIteratorBaseEENKUlvE_clEvENKUlvE2_clEvEUlllE_EEEEvS5_RKT_EUlibE_EEviT1_
	.p2align	8
	.type	_ZN2at6native32elementwise_kernel_manual_unrollILi128ELi4EZNS0_15gpu_kernel_implINS0_13BUnaryFunctorIlllZZZNS0_18rshift_kernel_cudaERNS_18TensorIteratorBaseEENKUlvE_clEvENKUlvE2_clEvEUlllE_EEEEvS5_RKT_EUlibE_EEviT1_,@function
_ZN2at6native32elementwise_kernel_manual_unrollILi128ELi4EZNS0_15gpu_kernel_implINS0_13BUnaryFunctorIlllZZZNS0_18rshift_kernel_cudaERNS_18TensorIteratorBaseEENKUlvE_clEvENKUlvE2_clEvEUlllE_EEEEvS5_RKT_EUlibE_EEviT1_: ; @_ZN2at6native32elementwise_kernel_manual_unrollILi128ELi4EZNS0_15gpu_kernel_implINS0_13BUnaryFunctorIlllZZZNS0_18rshift_kernel_cudaERNS_18TensorIteratorBaseEENKUlvE_clEvENKUlvE2_clEvEUlllE_EEEEvS5_RKT_EUlibE_EEviT1_
; %bb.0:
	s_load_dword s33, s[4:5], 0x30
	s_load_dwordx2 s[2:3], s[4:5], 0x18
	s_load_dwordx2 s[12:13], s[4:5], 0x28
	s_load_dword s40, s[4:5], 0x0
	s_load_dwordx4 s[8:11], s[4:5], 0x8
	v_lshl_or_b32 v10, s6, 9, v0
	v_or_b32_e32 v0, 0x180, v10
	s_waitcnt lgkmcnt(0)
	s_bfe_u32 s44, s33, 0x80008
	v_cmp_le_i32_e32 vcc, s40, v0
	s_mov_b64 s[4:5], 0
	s_mov_b64 s[14:15], 0
	s_and_saveexec_b64 s[0:1], vcc
	s_xor_b64 s[6:7], exec, s[0:1]
	s_cbranch_execz .LBB206_1011
; %bb.1:
	v_cmp_lt_u64_e64 s[0:1], s[12:13], 63
	v_cmp_gt_i32_e32 vcc, s40, v10
	s_and_b64 s[0:1], s[0:1], exec
	s_cselect_b32 s45, s12, 63
	s_mov_b64 s[20:21], -1
	s_mov_b64 s[22:23], 0
	s_mov_b64 s[16:17], 0
	s_and_saveexec_b64 s[18:19], vcc
	s_cbranch_execz .LBB206_248
; %bb.2:
	v_mul_lo_u32 v0, v10, s3
	v_mov_b32_e32 v1, s11
	s_and_b32 s20, 0xffff, s44
	s_cmp_lt_i32 s20, 11
	v_ashrrev_i32_e32 v2, 31, v0
	v_add_co_u32_e32 v0, vcc, s10, v0
	v_addc_co_u32_e32 v1, vcc, v1, v2, vcc
	s_cbranch_scc1 .LBB206_9
; %bb.3:
	s_cmp_gt_i32 s20, 25
	s_cbranch_scc0 .LBB206_18
; %bb.4:
	s_cmp_gt_i32 s20, 28
	s_cbranch_scc0 .LBB206_22
	;; [unrolled: 3-line block ×4, first 2 shown]
; %bb.7:
	s_cmp_eq_u32 s20, 46
	s_cbranch_scc0 .LBB206_28
; %bb.8:
	global_load_dword v2, v[0:1], off
	s_mov_b32 s0, 0x2f800000
	s_mov_b32 s1, 0xcf800000
	s_waitcnt vmcnt(0)
	v_lshlrev_b32_e32 v2, 16, v2
	v_trunc_f32_e32 v2, v2
	v_mul_f32_e64 v3, |v2|, s0
	v_floor_f32_e32 v3, v3
	v_fma_f32 v4, v3, s1, |v2|
	v_cvt_u32_f32_e32 v4, v4
	v_cvt_u32_f32_e32 v3, v3
	v_ashrrev_i32_e32 v5, 31, v2
	s_mov_b64 s[0:1], -1
	v_xor_b32_e32 v2, v4, v5
	v_xor_b32_e32 v3, v3, v5
	v_sub_co_u32_e32 v2, vcc, v2, v5
	v_subb_co_u32_e32 v3, vcc, v3, v5, vcc
	s_branch .LBB206_30
.LBB206_9:
                                        ; implicit-def: $vgpr2_vgpr3
	s_mov_b64 s[0:1], 0
	s_cbranch_execnz .LBB206_199
.LBB206_10:
	s_andn2_b64 vcc, exec, s[0:1]
	s_cbranch_vccnz .LBB206_246
.LBB206_11:
	v_mul_lo_u32 v4, v10, s2
	s_waitcnt vmcnt(0)
	v_ashrrev_i64 v[0:1], s45, v[2:3]
	v_mov_b32_e32 v3, s9
	s_and_b32 s26, s33, 0xff
	v_ashrrev_i32_e32 v5, 31, v4
	v_add_co_u32_e32 v2, vcc, s8, v4
	s_cmp_lt_i32 s26, 11
	v_addc_co_u32_e32 v3, vcc, v3, v5, vcc
	s_cbranch_scc1 .LBB206_19
; %bb.12:
	s_and_b32 s27, 0xffff, s26
	s_cmp_gt_i32 s27, 25
	s_cbranch_scc0 .LBB206_23
; %bb.13:
	s_cmp_gt_i32 s27, 28
	s_cbranch_scc0 .LBB206_25
; %bb.14:
	s_cmp_gt_i32 s27, 43
	s_cbranch_scc0 .LBB206_27
; %bb.15:
	s_cmp_gt_i32 s27, 45
	s_cbranch_scc0 .LBB206_33
; %bb.16:
	s_mov_b64 s[20:21], 0
	s_mov_b64 s[0:1], -1
	s_cmp_eq_u32 s27, 46
	s_mov_b64 s[14:15], 0
	s_cbranch_scc0 .LBB206_34
; %bb.17:
	v_xor_b32_e32 v5, v0, v1
	v_ffbh_i32_e32 v4, v1
	v_ashrrev_i32_e32 v5, 31, v5
	v_add_u32_e32 v4, -1, v4
	v_add_u32_e32 v5, 32, v5
	v_min_u32_e32 v6, v4, v5
	v_lshlrev_b64 v[4:5], v6, v[0:1]
	s_movk_i32 s0, 0x7fff
	v_min_u32_e32 v4, 1, v4
	v_or_b32_e32 v4, v5, v4
	v_cvt_f32_i32_e32 v4, v4
	v_sub_u32_e32 v5, 32, v6
	s_mov_b64 s[14:15], -1
	v_ldexp_f32 v4, v4, v5
	v_bfe_u32 v5, v4, 16, 1
	v_add3_u32 v4, v4, v5, s0
	v_lshrrev_b32_e32 v4, 16, v4
	global_store_dword v[2:3], v4, off
	s_mov_b64 s[0:1], 0
	s_branch .LBB206_34
.LBB206_18:
	s_mov_b64 s[0:1], 0
                                        ; implicit-def: $vgpr2_vgpr3
	s_cbranch_execnz .LBB206_168
	s_branch .LBB206_198
.LBB206_19:
	s_mov_b64 s[0:1], 0
	s_mov_b64 s[14:15], 0
	s_cbranch_execnz .LBB206_103
.LBB206_20:
	s_andn2_b64 vcc, exec, s[14:15]
	s_cbranch_vccnz .LBB206_141
.LBB206_21:
	v_add_u32_e32 v10, 0x80, v10
	s_mov_b64 s[20:21], -1
	s_branch .LBB206_247
.LBB206_22:
	s_mov_b64 s[14:15], -1
	s_mov_b64 s[0:1], 0
                                        ; implicit-def: $vgpr2_vgpr3
	s_branch .LBB206_149
.LBB206_23:
	s_mov_b64 s[20:21], -1
	s_mov_b64 s[0:1], 0
	s_mov_b64 s[14:15], 0
	s_branch .LBB206_61
.LBB206_24:
	s_mov_b64 s[14:15], -1
	s_mov_b64 s[0:1], 0
                                        ; implicit-def: $vgpr2_vgpr3
	s_branch .LBB206_144
.LBB206_25:
	s_mov_b64 s[20:21], -1
	s_mov_b64 s[0:1], 0
	s_mov_b64 s[14:15], 0
	s_branch .LBB206_44
.LBB206_26:
	s_mov_b64 s[14:15], -1
	s_branch .LBB206_29
.LBB206_27:
	s_mov_b64 s[20:21], -1
	s_mov_b64 s[0:1], 0
	s_mov_b64 s[14:15], 0
	s_branch .LBB206_40
.LBB206_28:
	s_mov_b64 s[16:17], -1
.LBB206_29:
	s_mov_b64 s[0:1], 0
                                        ; implicit-def: $vgpr2_vgpr3
.LBB206_30:
	s_and_b64 vcc, exec, s[14:15]
	s_cbranch_vccz .LBB206_143
; %bb.31:
	s_cmp_eq_u32 s20, 44
	s_cbranch_scc0 .LBB206_142
; %bb.32:
	global_load_ubyte v2, v[0:1], off
	s_mov_b32 s0, 0x2f800000
	s_mov_b32 s1, 0xcf800000
	s_mov_b64 s[16:17], 0
	s_waitcnt vmcnt(0)
	v_lshlrev_b32_e32 v3, 23, v2
	v_trunc_f32_e32 v3, v3
	v_mul_f32_e64 v4, |v3|, s0
	v_floor_f32_e32 v4, v4
	v_fma_f32 v5, v4, s1, |v3|
	v_cvt_u32_f32_e32 v5, v5
	v_cvt_u32_f32_e32 v4, v4
	v_ashrrev_i32_e32 v3, 31, v3
	s_mov_b64 s[0:1], -1
	v_xor_b32_e32 v5, v5, v3
	v_xor_b32_e32 v4, v4, v3
	v_sub_co_u32_e32 v5, vcc, v5, v3
	v_subb_co_u32_e32 v3, vcc, v4, v3, vcc
	v_cmp_ne_u32_e32 vcc, 0, v2
	v_cndmask_b32_e32 v3, 0, v3, vcc
	v_cndmask_b32_e32 v2, 0, v5, vcc
	s_branch .LBB206_143
.LBB206_33:
	s_mov_b64 s[20:21], -1
	s_mov_b64 s[0:1], 0
	s_mov_b64 s[14:15], 0
.LBB206_34:
	s_and_b64 vcc, exec, s[20:21]
	s_cbranch_vccz .LBB206_39
; %bb.35:
	s_cmp_eq_u32 s27, 44
	s_mov_b64 s[0:1], -1
	s_cbranch_scc0 .LBB206_39
; %bb.36:
	v_xor_b32_e32 v5, v0, v1
	v_ffbh_i32_e32 v4, v1
	v_ashrrev_i32_e32 v5, 31, v5
	v_add_u32_e32 v4, -1, v4
	v_add_u32_e32 v5, 32, v5
	v_min_u32_e32 v6, v4, v5
	v_lshlrev_b64 v[4:5], v6, v[0:1]
	s_movk_i32 s0, 0xff
	v_min_u32_e32 v4, 1, v4
	v_or_b32_e32 v4, v5, v4
	v_cvt_f32_i32_e32 v4, v4
	v_sub_u32_e32 v5, 32, v6
	v_mov_b32_e32 v6, 0xff
	v_ldexp_f32 v4, v4, v5
	v_bfe_u32 v5, v4, 23, 8
	v_cmp_ne_u32_e32 vcc, s0, v5
	s_and_saveexec_b64 s[14:15], vcc
; %bb.37:
	s_mov_b32 s0, 0x3fffff
	v_lshrrev_b32_e32 v6, 23, v4
	v_and_b32_e32 v7, 0x400000, v4
	v_and_or_b32 v4, v4, s0, v5
	v_cmp_ne_u32_e32 vcc, 0, v7
	v_cmp_ne_u32_e64 s[0:1], 0, v4
	s_and_b64 s[0:1], vcc, s[0:1]
	v_cndmask_b32_e64 v4, 0, 1, s[0:1]
	v_add_u32_e32 v6, v6, v4
; %bb.38:
	s_or_b64 exec, exec, s[14:15]
	s_mov_b64 s[14:15], -1
	s_mov_b64 s[0:1], 0
	global_store_byte v[2:3], v6, off
.LBB206_39:
	s_mov_b64 s[20:21], 0
.LBB206_40:
	s_and_b64 vcc, exec, s[20:21]
	s_cbranch_vccz .LBB206_43
; %bb.41:
	s_cmp_eq_u32 s27, 29
	s_mov_b64 s[0:1], -1
	s_cbranch_scc0 .LBB206_43
; %bb.42:
	global_store_dwordx2 v[2:3], v[0:1], off
	s_mov_b64 s[14:15], -1
	s_mov_b64 s[0:1], 0
.LBB206_43:
	s_mov_b64 s[20:21], 0
.LBB206_44:
	s_and_b64 vcc, exec, s[20:21]
	s_cbranch_vccz .LBB206_60
; %bb.45:
	s_cmp_lt_i32 s27, 27
	s_mov_b64 s[14:15], -1
	s_cbranch_scc1 .LBB206_51
; %bb.46:
	s_cmp_gt_i32 s27, 27
	s_cbranch_scc0 .LBB206_48
; %bb.47:
	s_mov_b64 s[14:15], 0
	global_store_dword v[2:3], v0, off
.LBB206_48:
	s_andn2_b64 vcc, exec, s[14:15]
	s_cbranch_vccnz .LBB206_50
; %bb.49:
	global_store_short v[2:3], v0, off
.LBB206_50:
	s_mov_b64 s[14:15], 0
.LBB206_51:
	s_andn2_b64 vcc, exec, s[14:15]
	s_cbranch_vccnz .LBB206_59
; %bb.52:
	v_xor_b32_e32 v5, v0, v1
	v_ffbh_i32_e32 v4, v1
	v_ashrrev_i32_e32 v5, 31, v5
	v_add_u32_e32 v4, -1, v4
	v_add_u32_e32 v5, 32, v5
	v_min_u32_e32 v6, v4, v5
	v_lshlrev_b64 v[4:5], v6, v[0:1]
	s_mov_b32 s14, 0x43800000
	v_min_u32_e32 v4, 1, v4
	v_or_b32_e32 v4, v5, v4
	v_cvt_f32_i32_e32 v4, v4
	v_sub_u32_e32 v5, 32, v6
	v_mov_b32_e32 v6, 0x80
	v_ldexp_f32 v4, v4, v5
	v_and_b32_e32 v5, 0x7fffffff, v4
	v_cmp_gt_u32_e32 vcc, s14, v5
	s_and_saveexec_b64 s[14:15], vcc
	s_cbranch_execz .LBB206_58
; %bb.53:
	s_mov_b32 s20, 0x3bffffff
	v_cmp_lt_u32_e32 vcc, s20, v5
	s_mov_b64 s[20:21], 0
                                        ; implicit-def: $vgpr5
	s_and_saveexec_b64 s[24:25], vcc
	s_xor_b64 s[24:25], exec, s[24:25]
	s_cbranch_execz .LBB206_275
; %bb.54:
	v_bfe_u32 v5, v4, 20, 1
	s_mov_b32 s28, 0x487ffff
	v_add3_u32 v5, v4, v5, s28
	s_mov_b64 s[20:21], exec
	v_lshrrev_b32_e32 v5, 20, v5
	s_andn2_saveexec_b64 s[24:25], s[24:25]
	s_cbranch_execnz .LBB206_276
.LBB206_55:
	s_or_b64 exec, exec, s[24:25]
	v_mov_b32_e32 v6, 0
	s_and_saveexec_b64 s[24:25], s[20:21]
.LBB206_56:
	v_lshrrev_b32_e32 v4, 24, v4
	s_movk_i32 s20, 0x80
	v_and_or_b32 v6, v4, s20, v5
.LBB206_57:
	s_or_b64 exec, exec, s[24:25]
.LBB206_58:
	s_or_b64 exec, exec, s[14:15]
	global_store_byte v[2:3], v6, off
.LBB206_59:
	s_mov_b64 s[14:15], -1
.LBB206_60:
	s_mov_b64 s[20:21], 0
.LBB206_61:
	s_and_b64 vcc, exec, s[20:21]
	s_cbranch_vccz .LBB206_102
; %bb.62:
	s_cmp_gt_i32 s27, 22
	s_mov_b64 s[20:21], -1
	s_cbranch_scc0 .LBB206_94
; %bb.63:
	s_cmp_lt_i32 s27, 24
	s_mov_b64 s[14:15], -1
	s_cbranch_scc1 .LBB206_83
; %bb.64:
	s_cmp_gt_i32 s27, 24
	s_cbranch_scc0 .LBB206_72
; %bb.65:
	v_xor_b32_e32 v5, v0, v1
	v_ffbh_i32_e32 v4, v1
	v_ashrrev_i32_e32 v5, 31, v5
	v_add_u32_e32 v4, -1, v4
	v_add_u32_e32 v5, 32, v5
	v_min_u32_e32 v6, v4, v5
	v_lshlrev_b64 v[4:5], v6, v[0:1]
	s_mov_b32 s14, 0x47800000
	v_min_u32_e32 v4, 1, v4
	v_or_b32_e32 v4, v5, v4
	v_cvt_f32_i32_e32 v4, v4
	v_sub_u32_e32 v5, 32, v6
	v_mov_b32_e32 v6, 0x80
	v_ldexp_f32 v4, v4, v5
	v_and_b32_e32 v5, 0x7fffffff, v4
	v_cmp_gt_u32_e32 vcc, s14, v5
	s_and_saveexec_b64 s[14:15], vcc
	s_cbranch_execz .LBB206_71
; %bb.66:
	s_mov_b32 s20, 0x37ffffff
	v_cmp_lt_u32_e32 vcc, s20, v5
	s_mov_b64 s[20:21], 0
                                        ; implicit-def: $vgpr5
	s_and_saveexec_b64 s[24:25], vcc
	s_xor_b64 s[24:25], exec, s[24:25]
	s_cbranch_execz .LBB206_279
; %bb.67:
	v_bfe_u32 v5, v4, 21, 1
	s_mov_b32 s28, 0x88fffff
	v_add3_u32 v5, v4, v5, s28
	s_mov_b64 s[20:21], exec
	v_lshrrev_b32_e32 v5, 21, v5
	s_andn2_saveexec_b64 s[24:25], s[24:25]
	s_cbranch_execnz .LBB206_280
.LBB206_68:
	s_or_b64 exec, exec, s[24:25]
	v_mov_b32_e32 v6, 0
	s_and_saveexec_b64 s[24:25], s[20:21]
.LBB206_69:
	v_lshrrev_b32_e32 v4, 24, v4
	s_movk_i32 s20, 0x80
	v_and_or_b32 v6, v4, s20, v5
.LBB206_70:
	s_or_b64 exec, exec, s[24:25]
.LBB206_71:
	s_or_b64 exec, exec, s[14:15]
	s_mov_b64 s[14:15], 0
	global_store_byte v[2:3], v6, off
.LBB206_72:
	s_and_b64 vcc, exec, s[14:15]
	s_cbranch_vccz .LBB206_82
; %bb.73:
	v_xor_b32_e32 v5, v0, v1
	v_ffbh_i32_e32 v4, v1
	v_ashrrev_i32_e32 v5, 31, v5
	v_add_u32_e32 v4, -1, v4
	v_add_u32_e32 v5, 32, v5
	v_min_u32_e32 v6, v4, v5
	v_lshlrev_b64 v[4:5], v6, v[0:1]
	s_mov_b32 s14, 0x43f00000
	v_min_u32_e32 v4, 1, v4
	v_or_b32_e32 v4, v5, v4
	v_cvt_f32_i32_e32 v4, v4
	v_sub_u32_e32 v5, 32, v6
	v_ldexp_f32 v4, v4, v5
	v_and_b32_e32 v6, 0x7fffffff, v4
	v_cmp_gt_u32_e32 vcc, s14, v6
                                        ; implicit-def: $vgpr5
	s_and_saveexec_b64 s[14:15], vcc
	s_xor_b64 s[14:15], exec, s[14:15]
	s_cbranch_execz .LBB206_79
; %bb.74:
	s_mov_b32 s20, 0x3c7fffff
	v_cmp_lt_u32_e32 vcc, s20, v6
                                        ; implicit-def: $vgpr5
	s_and_saveexec_b64 s[20:21], vcc
	s_xor_b64 s[20:21], exec, s[20:21]
; %bb.75:
	v_bfe_u32 v5, v4, 20, 1
	s_mov_b32 s24, 0x407ffff
	v_add3_u32 v5, v4, v5, s24
	v_lshrrev_b32_e32 v6, 20, v5
	v_and_b32_e32 v5, 0xff00000, v5
	s_mov_b32 s24, 0x7f00000
	v_mov_b32_e32 v7, 0x7e
	v_cmp_ne_u32_e32 vcc, s24, v5
	v_cndmask_b32_e32 v5, v7, v6, vcc
; %bb.76:
	s_andn2_saveexec_b64 s[20:21], s[20:21]
; %bb.77:
	s_mov_b32 s24, 0x46800000
	v_add_f32_e64 v5, |v4|, s24
; %bb.78:
	s_or_b64 exec, exec, s[20:21]
                                        ; implicit-def: $vgpr6
.LBB206_79:
	s_andn2_saveexec_b64 s[14:15], s[14:15]
; %bb.80:
	s_mov_b32 s20, 0x7f800000
	v_mov_b32_e32 v5, 0x7e
	v_mov_b32_e32 v7, 0x7f
	v_cmp_lt_u32_e32 vcc, s20, v6
	v_cndmask_b32_e32 v5, v5, v7, vcc
; %bb.81:
	s_or_b64 exec, exec, s[14:15]
	v_lshrrev_b32_e32 v4, 24, v4
	s_movk_i32 s14, 0x80
	v_and_or_b32 v4, v4, s14, v5
	global_store_byte v[2:3], v4, off
.LBB206_82:
	s_mov_b64 s[14:15], 0
.LBB206_83:
	s_andn2_b64 vcc, exec, s[14:15]
	s_cbranch_vccnz .LBB206_93
; %bb.84:
	v_xor_b32_e32 v5, v0, v1
	v_ffbh_i32_e32 v4, v1
	v_ashrrev_i32_e32 v5, 31, v5
	v_add_u32_e32 v4, -1, v4
	v_add_u32_e32 v5, 32, v5
	v_min_u32_e32 v6, v4, v5
	v_lshlrev_b64 v[4:5], v6, v[0:1]
	s_mov_b32 s14, 0x47800000
	v_min_u32_e32 v4, 1, v4
	v_or_b32_e32 v4, v5, v4
	v_cvt_f32_i32_e32 v4, v4
	v_sub_u32_e32 v5, 32, v6
	v_ldexp_f32 v4, v4, v5
	v_and_b32_e32 v6, 0x7fffffff, v4
	v_cmp_gt_u32_e32 vcc, s14, v6
                                        ; implicit-def: $vgpr5
	s_and_saveexec_b64 s[14:15], vcc
	s_xor_b64 s[14:15], exec, s[14:15]
	s_cbranch_execz .LBB206_90
; %bb.85:
	s_mov_b32 s20, 0x387fffff
	v_cmp_lt_u32_e32 vcc, s20, v6
                                        ; implicit-def: $vgpr5
	s_and_saveexec_b64 s[20:21], vcc
	s_xor_b64 s[20:21], exec, s[20:21]
; %bb.86:
	v_bfe_u32 v5, v4, 21, 1
	s_mov_b32 s24, 0x80fffff
	v_add3_u32 v5, v4, v5, s24
	v_lshrrev_b32_e32 v5, 21, v5
; %bb.87:
	s_andn2_saveexec_b64 s[20:21], s[20:21]
; %bb.88:
	s_mov_b32 s24, 0x43000000
	v_add_f32_e64 v5, |v4|, s24
; %bb.89:
	s_or_b64 exec, exec, s[20:21]
                                        ; implicit-def: $vgpr6
.LBB206_90:
	s_andn2_saveexec_b64 s[14:15], s[14:15]
; %bb.91:
	s_mov_b32 s20, 0x7f800000
	v_mov_b32_e32 v5, 0x7c
	v_mov_b32_e32 v7, 0x7f
	v_cmp_lt_u32_e32 vcc, s20, v6
	v_cndmask_b32_e32 v5, v5, v7, vcc
; %bb.92:
	s_or_b64 exec, exec, s[14:15]
	v_lshrrev_b32_e32 v4, 24, v4
	s_movk_i32 s14, 0x80
	v_and_or_b32 v4, v4, s14, v5
	global_store_byte v[2:3], v4, off
.LBB206_93:
	s_mov_b64 s[20:21], 0
	s_mov_b64 s[14:15], -1
.LBB206_94:
	s_andn2_b64 vcc, exec, s[20:21]
	s_cbranch_vccnz .LBB206_102
; %bb.95:
	s_cmp_gt_i32 s27, 14
	s_mov_b64 s[20:21], -1
	s_cbranch_scc0 .LBB206_99
; %bb.96:
	s_cmp_eq_u32 s27, 15
	s_mov_b64 s[0:1], -1
	s_cbranch_scc0 .LBB206_98
; %bb.97:
	v_xor_b32_e32 v5, v0, v1
	v_ffbh_i32_e32 v4, v1
	v_ashrrev_i32_e32 v5, 31, v5
	v_add_u32_e32 v4, -1, v4
	v_add_u32_e32 v5, 32, v5
	v_min_u32_e32 v6, v4, v5
	v_lshlrev_b64 v[4:5], v6, v[0:1]
	s_movk_i32 s0, 0x7fff
	v_min_u32_e32 v4, 1, v4
	v_or_b32_e32 v4, v5, v4
	v_cvt_f32_i32_e32 v4, v4
	v_sub_u32_e32 v5, 32, v6
	s_mov_b64 s[14:15], -1
	v_ldexp_f32 v4, v4, v5
	v_bfe_u32 v5, v4, 16, 1
	v_add3_u32 v4, v4, v5, s0
	global_store_short_d16_hi v[2:3], v4, off
	s_mov_b64 s[0:1], 0
.LBB206_98:
	s_mov_b64 s[20:21], 0
.LBB206_99:
	s_and_b64 vcc, exec, s[20:21]
	s_cbranch_vccz .LBB206_102
; %bb.100:
	s_cmp_eq_u32 s27, 11
	s_mov_b64 s[0:1], -1
	s_cbranch_scc0 .LBB206_102
; %bb.101:
	v_cmp_ne_u64_e32 vcc, 0, v[0:1]
	s_mov_b64 s[0:1], 0
	v_cndmask_b32_e64 v4, 0, 1, vcc
	s_mov_b64 s[14:15], -1
	global_store_byte v[2:3], v4, off
.LBB206_102:
	s_branch .LBB206_20
.LBB206_103:
	s_and_b32 s20, 0xffff, s26
	s_cmp_lt_i32 s20, 5
	s_mov_b64 s[14:15], -1
	s_cbranch_scc1 .LBB206_124
; %bb.104:
	s_cmp_lt_i32 s20, 8
	s_cbranch_scc1 .LBB206_114
; %bb.105:
	s_cmp_lt_i32 s20, 9
	s_cbranch_scc1 .LBB206_111
; %bb.106:
	s_cmp_gt_i32 s20, 9
	s_cbranch_scc0 .LBB206_108
; %bb.107:
	v_cvt_f64_i32_e32 v[4:5], v1
	v_cvt_f64_u32_e32 v[6:7], v0
	s_mov_b64 s[14:15], 0
	v_ldexp_f64 v[4:5], v[4:5], 32
	v_add_f64 v[4:5], v[4:5], v[6:7]
	v_mov_b32_e32 v6, 0
	v_mov_b32_e32 v7, v6
	global_store_dwordx4 v[2:3], v[4:7], off
.LBB206_108:
	s_andn2_b64 vcc, exec, s[14:15]
	s_cbranch_vccnz .LBB206_110
; %bb.109:
	v_xor_b32_e32 v5, v0, v1
	v_ffbh_i32_e32 v4, v1
	v_ashrrev_i32_e32 v5, 31, v5
	v_add_u32_e32 v4, -1, v4
	v_add_u32_e32 v5, 32, v5
	v_min_u32_e32 v6, v4, v5
	v_lshlrev_b64 v[4:5], v6, v[0:1]
	v_min_u32_e32 v4, 1, v4
	v_or_b32_e32 v4, v5, v4
	v_cvt_f32_i32_e32 v4, v4
	v_sub_u32_e32 v5, 32, v6
	v_ldexp_f32 v4, v4, v5
	v_mov_b32_e32 v5, 0
	global_store_dwordx2 v[2:3], v[4:5], off
.LBB206_110:
	s_mov_b64 s[14:15], 0
.LBB206_111:
	s_andn2_b64 vcc, exec, s[14:15]
	s_cbranch_vccnz .LBB206_113
; %bb.112:
	v_xor_b32_e32 v5, v0, v1
	v_ffbh_i32_e32 v4, v1
	v_ashrrev_i32_e32 v5, 31, v5
	v_add_u32_e32 v4, -1, v4
	v_add_u32_e32 v5, 32, v5
	v_min_u32_e32 v6, v4, v5
	v_lshlrev_b64 v[4:5], v6, v[0:1]
	v_min_u32_e32 v4, 1, v4
	v_or_b32_e32 v4, v5, v4
	v_cvt_f32_i32_e32 v4, v4
	v_sub_u32_e32 v5, 32, v6
	v_ldexp_f32 v4, v4, v5
	v_cvt_f16_f32_e32 v4, v4
	global_store_dword v[2:3], v4, off
.LBB206_113:
	s_mov_b64 s[14:15], 0
.LBB206_114:
	s_andn2_b64 vcc, exec, s[14:15]
	s_cbranch_vccnz .LBB206_123
; %bb.115:
	s_cmp_lt_i32 s20, 6
	s_mov_b64 s[14:15], -1
	s_cbranch_scc1 .LBB206_121
; %bb.116:
	s_cmp_gt_i32 s20, 6
	s_cbranch_scc0 .LBB206_118
; %bb.117:
	v_cvt_f64_i32_e32 v[4:5], v1
	v_cvt_f64_u32_e32 v[6:7], v0
	s_mov_b64 s[14:15], 0
	v_ldexp_f64 v[4:5], v[4:5], 32
	v_add_f64 v[4:5], v[4:5], v[6:7]
	global_store_dwordx2 v[2:3], v[4:5], off
.LBB206_118:
	s_andn2_b64 vcc, exec, s[14:15]
	s_cbranch_vccnz .LBB206_120
; %bb.119:
	v_xor_b32_e32 v5, v0, v1
	v_ffbh_i32_e32 v4, v1
	v_ashrrev_i32_e32 v5, 31, v5
	v_add_u32_e32 v4, -1, v4
	v_add_u32_e32 v5, 32, v5
	v_min_u32_e32 v6, v4, v5
	v_lshlrev_b64 v[4:5], v6, v[0:1]
	v_min_u32_e32 v4, 1, v4
	v_or_b32_e32 v4, v5, v4
	v_cvt_f32_i32_e32 v4, v4
	v_sub_u32_e32 v5, 32, v6
	v_ldexp_f32 v4, v4, v5
	global_store_dword v[2:3], v4, off
.LBB206_120:
	s_mov_b64 s[14:15], 0
.LBB206_121:
	s_andn2_b64 vcc, exec, s[14:15]
	s_cbranch_vccnz .LBB206_123
; %bb.122:
	v_xor_b32_e32 v5, v0, v1
	v_ffbh_i32_e32 v4, v1
	v_ashrrev_i32_e32 v5, 31, v5
	v_add_u32_e32 v4, -1, v4
	v_add_u32_e32 v5, 32, v5
	v_min_u32_e32 v6, v4, v5
	v_lshlrev_b64 v[4:5], v6, v[0:1]
	v_min_u32_e32 v4, 1, v4
	v_or_b32_e32 v4, v5, v4
	v_cvt_f32_i32_e32 v4, v4
	v_sub_u32_e32 v5, 32, v6
	v_ldexp_f32 v4, v4, v5
	v_cvt_f16_f32_e32 v4, v4
	global_store_short v[2:3], v4, off
.LBB206_123:
	s_mov_b64 s[14:15], 0
.LBB206_124:
	s_andn2_b64 vcc, exec, s[14:15]
	s_cbranch_vccnz .LBB206_140
; %bb.125:
	s_cmp_lt_i32 s20, 2
	s_mov_b64 s[14:15], -1
	s_cbranch_scc1 .LBB206_135
; %bb.126:
	s_cmp_lt_i32 s20, 3
	s_cbranch_scc1 .LBB206_132
; %bb.127:
	s_cmp_gt_i32 s20, 3
	s_cbranch_scc0 .LBB206_129
; %bb.128:
	global_store_dwordx2 v[2:3], v[0:1], off
	s_mov_b64 s[14:15], 0
.LBB206_129:
	s_andn2_b64 vcc, exec, s[14:15]
	s_cbranch_vccnz .LBB206_131
; %bb.130:
	global_store_dword v[2:3], v0, off
.LBB206_131:
	s_mov_b64 s[14:15], 0
.LBB206_132:
	s_andn2_b64 vcc, exec, s[14:15]
	s_cbranch_vccnz .LBB206_134
; %bb.133:
	global_store_short v[2:3], v0, off
.LBB206_134:
	s_mov_b64 s[14:15], 0
.LBB206_135:
	s_andn2_b64 vcc, exec, s[14:15]
	s_cbranch_vccnz .LBB206_140
; %bb.136:
	s_cmp_gt_i32 s20, 0
	s_mov_b64 s[14:15], -1
	s_cbranch_scc0 .LBB206_138
; %bb.137:
	global_store_byte v[2:3], v0, off
	s_mov_b64 s[14:15], 0
.LBB206_138:
	s_andn2_b64 vcc, exec, s[14:15]
	s_cbranch_vccnz .LBB206_140
; %bb.139:
	global_store_byte v[2:3], v0, off
.LBB206_140:
	s_branch .LBB206_21
.LBB206_141:
	s_mov_b64 s[20:21], 0
                                        ; implicit-def: $vgpr10
	s_branch .LBB206_247
.LBB206_142:
	s_mov_b64 s[16:17], -1
                                        ; implicit-def: $vgpr2_vgpr3
.LBB206_143:
	s_mov_b64 s[14:15], 0
.LBB206_144:
	s_and_b64 vcc, exec, s[14:15]
	s_cbranch_vccz .LBB206_148
; %bb.145:
	s_cmp_eq_u32 s20, 29
	s_cbranch_scc0 .LBB206_147
; %bb.146:
	global_load_dwordx2 v[2:3], v[0:1], off
	s_mov_b64 s[0:1], -1
	s_mov_b64 s[16:17], 0
	s_branch .LBB206_148
.LBB206_147:
	s_mov_b64 s[16:17], -1
                                        ; implicit-def: $vgpr2_vgpr3
.LBB206_148:
	s_mov_b64 s[14:15], 0
.LBB206_149:
	s_and_b64 vcc, exec, s[14:15]
	s_cbranch_vccz .LBB206_167
; %bb.150:
	s_cmp_lt_i32 s20, 27
	s_cbranch_scc1 .LBB206_153
; %bb.151:
	s_cmp_gt_i32 s20, 27
	s_cbranch_scc0 .LBB206_154
; %bb.152:
	global_load_dword v2, v[0:1], off
	s_waitcnt vmcnt(1)
	v_mov_b32_e32 v3, 0
	s_mov_b64 s[0:1], 0
	s_branch .LBB206_155
.LBB206_153:
	s_mov_b64 s[0:1], -1
                                        ; implicit-def: $vgpr2_vgpr3
	s_branch .LBB206_158
.LBB206_154:
	s_mov_b64 s[0:1], -1
                                        ; implicit-def: $vgpr2_vgpr3
.LBB206_155:
	s_andn2_b64 vcc, exec, s[0:1]
	s_cbranch_vccnz .LBB206_157
; %bb.156:
	global_load_ushort v2, v[0:1], off
	s_mov_b32 s0, 0
	s_waitcnt vmcnt(1)
	v_mov_b32_e32 v3, s0
	s_waitcnt vmcnt(0)
	v_and_b32_e32 v2, 0xffff, v2
.LBB206_157:
	s_mov_b64 s[0:1], 0
.LBB206_158:
	s_andn2_b64 vcc, exec, s[0:1]
	s_cbranch_vccnz .LBB206_166
; %bb.159:
	global_load_ubyte v4, v[0:1], off
	s_movk_i32 s0, 0x7f
	s_mov_b64 s[14:15], 0
	s_waitcnt vmcnt(0)
	v_cmp_lt_i16_e32 vcc, s0, v4
	s_and_saveexec_b64 s[0:1], vcc
	s_xor_b64 s[0:1], exec, s[0:1]
; %bb.160:
	s_movk_i32 s14, 0x80
	v_cmp_ne_u16_e32 vcc, s14, v4
	s_and_b64 s[14:15], vcc, exec
; %bb.161:
	s_andn2_saveexec_b64 s[0:1], s[0:1]
; %bb.162:
	v_cmp_ne_u16_e32 vcc, 0, v4
	s_andn2_b64 s[14:15], s[14:15], exec
	s_and_b64 s[24:25], vcc, exec
	s_or_b64 s[14:15], s[14:15], s[24:25]
; %bb.163:
	s_or_b64 exec, exec, s[0:1]
	v_mov_b32_e32 v2, 0
	v_mov_b32_e32 v3, 0
	s_and_saveexec_b64 s[0:1], s[14:15]
	s_cbranch_execz .LBB206_165
; %bb.164:
	v_and_b32_e32 v3, 0xffff, v4
	v_lshlrev_b32_e32 v2, 24, v4
	v_and_b32_e32 v4, 7, v3
	v_ffbh_u32_e32 v6, v4
	v_min_u32_e32 v6, 32, v6
	v_subrev_u32_e32 v7, 28, v6
	v_bfe_u32 v5, v3, 3, 4
	v_lshlrev_b32_e32 v3, v7, v3
	v_sub_u32_e32 v6, 29, v6
	v_and_b32_e32 v3, 7, v3
	v_cmp_eq_u32_e32 vcc, 0, v5
	v_cndmask_b32_e32 v5, v5, v6, vcc
	v_cndmask_b32_e32 v3, v4, v3, vcc
	v_mov_b32_e32 v4, 0x3b800000
	v_lshlrev_b32_e32 v3, 20, v3
	v_and_b32_e32 v2, 0x80000000, v2
	v_lshl_add_u32 v4, v5, 23, v4
	v_or3_b32 v2, v2, v4, v3
	v_trunc_f32_e32 v2, v2
	s_mov_b32 s14, 0x2f800000
	v_mul_f32_e64 v3, |v2|, s14
	v_floor_f32_e32 v3, v3
	s_mov_b32 s14, 0xcf800000
	v_fma_f32 v4, v3, s14, |v2|
	v_cvt_u32_f32_e32 v4, v4
	v_cvt_u32_f32_e32 v3, v3
	v_ashrrev_i32_e32 v5, 31, v2
	v_xor_b32_e32 v2, v4, v5
	v_xor_b32_e32 v3, v3, v5
	v_sub_co_u32_e32 v2, vcc, v2, v5
	v_subb_co_u32_e32 v3, vcc, v3, v5, vcc
.LBB206_165:
	s_or_b64 exec, exec, s[0:1]
.LBB206_166:
	s_mov_b64 s[0:1], -1
.LBB206_167:
	s_branch .LBB206_198
.LBB206_168:
	s_cmp_gt_i32 s20, 22
	s_cbranch_scc0 .LBB206_178
; %bb.169:
	s_cmp_lt_i32 s20, 24
	s_cbranch_scc1 .LBB206_179
; %bb.170:
	s_cmp_gt_i32 s20, 24
	s_cbranch_scc0 .LBB206_180
; %bb.171:
	global_load_ubyte v4, v[0:1], off
	s_movk_i32 s0, 0x7f
	s_mov_b64 s[14:15], 0
	s_waitcnt vmcnt(0)
	v_cmp_lt_i16_e32 vcc, s0, v4
	s_and_saveexec_b64 s[0:1], vcc
	s_xor_b64 s[0:1], exec, s[0:1]
; %bb.172:
	s_movk_i32 s14, 0x80
	v_cmp_ne_u16_e32 vcc, s14, v4
	s_and_b64 s[14:15], vcc, exec
; %bb.173:
	s_andn2_saveexec_b64 s[0:1], s[0:1]
; %bb.174:
	v_cmp_ne_u16_e32 vcc, 0, v4
	s_andn2_b64 s[14:15], s[14:15], exec
	s_and_b64 s[24:25], vcc, exec
	s_or_b64 s[14:15], s[14:15], s[24:25]
; %bb.175:
	s_or_b64 exec, exec, s[0:1]
	v_mov_b32_e32 v2, 0
	v_mov_b32_e32 v3, 0
	s_and_saveexec_b64 s[0:1], s[14:15]
	s_cbranch_execz .LBB206_177
; %bb.176:
	v_and_b32_e32 v3, 0xffff, v4
	v_lshlrev_b32_e32 v2, 24, v4
	v_and_b32_e32 v4, 3, v3
	v_ffbh_u32_e32 v6, v4
	v_min_u32_e32 v6, 32, v6
	v_subrev_u32_e32 v7, 29, v6
	v_bfe_u32 v5, v3, 2, 5
	v_lshlrev_b32_e32 v3, v7, v3
	v_sub_u32_e32 v6, 30, v6
	v_and_b32_e32 v3, 3, v3
	v_cmp_eq_u32_e32 vcc, 0, v5
	v_cndmask_b32_e32 v5, v5, v6, vcc
	v_cndmask_b32_e32 v3, v4, v3, vcc
	v_mov_b32_e32 v4, 0x37800000
	v_lshlrev_b32_e32 v3, 21, v3
	v_and_b32_e32 v2, 0x80000000, v2
	v_lshl_add_u32 v4, v5, 23, v4
	v_or3_b32 v2, v2, v4, v3
	v_trunc_f32_e32 v2, v2
	s_mov_b32 s14, 0x2f800000
	v_mul_f32_e64 v3, |v2|, s14
	v_floor_f32_e32 v3, v3
	s_mov_b32 s14, 0xcf800000
	v_fma_f32 v4, v3, s14, |v2|
	v_cvt_u32_f32_e32 v4, v4
	v_cvt_u32_f32_e32 v3, v3
	v_ashrrev_i32_e32 v5, 31, v2
	v_xor_b32_e32 v2, v4, v5
	v_xor_b32_e32 v3, v3, v5
	v_sub_co_u32_e32 v2, vcc, v2, v5
	v_subb_co_u32_e32 v3, vcc, v3, v5, vcc
.LBB206_177:
	s_or_b64 exec, exec, s[0:1]
	s_mov_b64 s[0:1], 0
	s_branch .LBB206_181
.LBB206_178:
	s_mov_b64 s[14:15], -1
                                        ; implicit-def: $vgpr2_vgpr3
	s_branch .LBB206_187
.LBB206_179:
	s_mov_b64 s[0:1], -1
                                        ; implicit-def: $vgpr2_vgpr3
	s_branch .LBB206_184
.LBB206_180:
	s_mov_b64 s[0:1], -1
                                        ; implicit-def: $vgpr2_vgpr3
.LBB206_181:
	s_and_b64 vcc, exec, s[0:1]
	s_cbranch_vccz .LBB206_183
; %bb.182:
	global_load_ubyte v2, v[0:1], off
	s_mov_b32 s0, 0x7f800000
	s_brev_b32 s1, 1
	s_mov_b32 s14, 0x2f800000
	s_mov_b32 s15, 0xcf800000
	s_waitcnt vmcnt(0)
	v_lshlrev_b32_e32 v2, 24, v2
	v_and_b32_e32 v3, 0x7f000000, v2
	v_ffbh_u32_e32 v4, v3
	v_min_u32_e32 v4, 32, v4
	v_sub_u32_e64 v4, v4, 4 clamp
	v_lshlrev_b32_e32 v6, v4, v3
	v_lshlrev_b32_e32 v4, 23, v4
	v_lshrrev_b32_e32 v6, 4, v6
	v_add_u32_e32 v5, 0x1000000, v3
	v_sub_u32_e32 v4, v6, v4
	v_ashrrev_i32_e32 v5, 8, v5
	v_add_u32_e32 v4, 0x3c000000, v4
	v_and_or_b32 v4, v5, s0, v4
	v_cmp_ne_u32_e32 vcc, 0, v3
	v_cndmask_b32_e32 v3, 0, v4, vcc
	v_and_or_b32 v2, v2, s1, v3
	v_trunc_f32_e32 v2, v2
	v_mul_f32_e64 v3, |v2|, s14
	v_floor_f32_e32 v3, v3
	v_fma_f32 v4, v3, s15, |v2|
	v_cvt_u32_f32_e32 v4, v4
	v_cvt_u32_f32_e32 v3, v3
	v_ashrrev_i32_e32 v5, 31, v2
	v_xor_b32_e32 v2, v4, v5
	v_xor_b32_e32 v3, v3, v5
	v_sub_co_u32_e32 v2, vcc, v2, v5
	v_subb_co_u32_e32 v3, vcc, v3, v5, vcc
.LBB206_183:
	s_mov_b64 s[0:1], 0
.LBB206_184:
	s_andn2_b64 vcc, exec, s[0:1]
	s_cbranch_vccnz .LBB206_186
; %bb.185:
	global_load_ubyte v2, v[0:1], off
	s_movk_i32 s0, 0x7f00
	s_brev_b32 s1, 16
	s_brev_b32 s14, 1
	s_mov_b32 s15, 0x2f800000
	s_mov_b32 s21, 0xcf800000
	s_waitcnt vmcnt(0)
	v_lshlrev_b16_e32 v3, 8, v2
	v_lshlrev_b32_e32 v2, 25, v2
	v_lshrrev_b32_e32 v4, 4, v2
	v_and_or_b32 v5, v3, s0, 0.5
	v_or_b32_e32 v4, 0x70000000, v4
	v_add_f32_e32 v5, -0.5, v5
	v_mul_f32_e32 v4, 0x7800000, v4
	v_cmp_gt_u32_e32 vcc, s1, v2
	v_bfe_i32 v3, v3, 0, 16
	v_cndmask_b32_e32 v2, v4, v5, vcc
	v_and_or_b32 v2, v3, s14, v2
	v_trunc_f32_e32 v2, v2
	v_mul_f32_e64 v3, |v2|, s15
	v_floor_f32_e32 v3, v3
	v_fma_f32 v4, v3, s21, |v2|
	v_cvt_u32_f32_e32 v4, v4
	v_cvt_u32_f32_e32 v3, v3
	v_ashrrev_i32_e32 v5, 31, v2
	v_xor_b32_e32 v2, v4, v5
	v_xor_b32_e32 v3, v3, v5
	v_sub_co_u32_e32 v2, vcc, v2, v5
	v_subb_co_u32_e32 v3, vcc, v3, v5, vcc
.LBB206_186:
	s_mov_b64 s[14:15], 0
	s_mov_b64 s[0:1], -1
.LBB206_187:
	s_andn2_b64 vcc, exec, s[14:15]
	s_cbranch_vccnz .LBB206_198
; %bb.188:
	s_cmp_gt_i32 s20, 14
	s_cbranch_scc0 .LBB206_191
; %bb.189:
	s_cmp_eq_u32 s20, 15
	s_cbranch_scc0 .LBB206_192
; %bb.190:
	global_load_ushort v2, v[0:1], off
	s_mov_b32 s0, 0x2f800000
	s_mov_b32 s1, 0xcf800000
	s_mov_b64 s[16:17], 0
	s_waitcnt vmcnt(0)
	v_lshlrev_b32_e32 v2, 16, v2
	v_trunc_f32_e32 v2, v2
	v_mul_f32_e64 v3, |v2|, s0
	v_floor_f32_e32 v3, v3
	v_fma_f32 v4, v3, s1, |v2|
	v_cvt_u32_f32_e32 v4, v4
	v_cvt_u32_f32_e32 v3, v3
	v_ashrrev_i32_e32 v5, 31, v2
	s_mov_b64 s[0:1], -1
	v_xor_b32_e32 v2, v4, v5
	v_xor_b32_e32 v3, v3, v5
	v_sub_co_u32_e32 v2, vcc, v2, v5
	v_subb_co_u32_e32 v3, vcc, v3, v5, vcc
	s_branch .LBB206_193
.LBB206_191:
	s_mov_b64 s[14:15], -1
                                        ; implicit-def: $vgpr2_vgpr3
	s_branch .LBB206_194
.LBB206_192:
	s_mov_b64 s[16:17], -1
                                        ; implicit-def: $vgpr2_vgpr3
.LBB206_193:
	s_mov_b64 s[14:15], 0
.LBB206_194:
	s_and_b64 vcc, exec, s[14:15]
	s_cbranch_vccz .LBB206_198
; %bb.195:
	s_cmp_eq_u32 s20, 11
	s_cbranch_scc0 .LBB206_197
; %bb.196:
	global_load_ubyte v2, v[0:1], off
	s_mov_b32 s14, 0
	s_mov_b64 s[0:1], -1
	s_waitcnt vmcnt(1)
	v_mov_b32_e32 v3, s14
	s_mov_b64 s[16:17], 0
	s_waitcnt vmcnt(0)
	v_cmp_ne_u16_e32 vcc, 0, v2
	v_cndmask_b32_e64 v2, 0, 1, vcc
	s_branch .LBB206_198
.LBB206_197:
	s_mov_b64 s[16:17], -1
                                        ; implicit-def: $vgpr2_vgpr3
.LBB206_198:
	s_branch .LBB206_10
.LBB206_199:
	s_cmp_lt_i32 s20, 5
	s_cbranch_scc1 .LBB206_204
; %bb.200:
	s_cmp_lt_i32 s20, 8
	s_cbranch_scc1 .LBB206_205
; %bb.201:
	;; [unrolled: 3-line block ×3, first 2 shown]
	s_cmp_gt_i32 s20, 9
	s_cbranch_scc0 .LBB206_207
; %bb.203:
	global_load_dwordx2 v[2:3], v[0:1], off
	s_movk_i32 s0, 0xffe0
	s_waitcnt vmcnt(0)
	v_trunc_f64_e32 v[2:3], v[2:3]
	v_ldexp_f64 v[4:5], v[2:3], s0
	s_mov_b32 s0, 0
	s_mov_b32 s1, 0xc1f00000
	v_floor_f64_e32 v[4:5], v[4:5]
	v_fma_f64 v[6:7], v[4:5], s[0:1], v[2:3]
	v_cvt_i32_f64_e32 v3, v[4:5]
	s_mov_b64 s[0:1], 0
	v_cvt_u32_f64_e32 v2, v[6:7]
	s_branch .LBB206_208
.LBB206_204:
                                        ; implicit-def: $vgpr2_vgpr3
	s_branch .LBB206_226
.LBB206_205:
	s_mov_b64 s[0:1], -1
                                        ; implicit-def: $vgpr2_vgpr3
	s_branch .LBB206_214
.LBB206_206:
	s_mov_b64 s[0:1], -1
                                        ; implicit-def: $vgpr2_vgpr3
	s_branch .LBB206_211
.LBB206_207:
	s_mov_b64 s[0:1], -1
                                        ; implicit-def: $vgpr2_vgpr3
.LBB206_208:
	s_andn2_b64 vcc, exec, s[0:1]
	s_cbranch_vccnz .LBB206_210
; %bb.209:
	global_load_dword v2, v[0:1], off
	s_mov_b32 s0, 0x2f800000
	s_mov_b32 s1, 0xcf800000
	s_waitcnt vmcnt(0)
	v_trunc_f32_e32 v2, v2
	v_mul_f32_e64 v3, |v2|, s0
	v_floor_f32_e32 v3, v3
	v_cvt_u32_f32_e32 v4, v3
	v_fma_f32 v3, v3, s1, |v2|
	v_cvt_u32_f32_e32 v3, v3
	v_ashrrev_i32_e32 v5, 31, v2
	v_xor_b32_e32 v4, v4, v5
	v_xor_b32_e32 v2, v3, v5
	v_sub_co_u32_e32 v2, vcc, v2, v5
	v_subb_co_u32_e32 v3, vcc, v4, v5, vcc
.LBB206_210:
	s_mov_b64 s[0:1], 0
.LBB206_211:
	s_andn2_b64 vcc, exec, s[0:1]
	s_cbranch_vccnz .LBB206_213
; %bb.212:
	global_load_dword v2, v[0:1], off
	s_waitcnt vmcnt(0)
	v_cvt_f32_f16_e32 v2, v2
	v_cvt_i32_f32_e32 v2, v2
	v_ashrrev_i32_e32 v3, 31, v2
.LBB206_213:
	s_mov_b64 s[0:1], 0
.LBB206_214:
	s_andn2_b64 vcc, exec, s[0:1]
	s_cbranch_vccnz .LBB206_225
; %bb.215:
	s_cmp_lt_i32 s20, 6
	s_cbranch_scc1 .LBB206_218
; %bb.216:
	s_cmp_gt_i32 s20, 6
	s_cbranch_scc0 .LBB206_219
; %bb.217:
	global_load_dwordx2 v[2:3], v[0:1], off
	s_movk_i32 s0, 0xffe0
	s_waitcnt vmcnt(0)
	v_trunc_f64_e32 v[2:3], v[2:3]
	v_ldexp_f64 v[4:5], v[2:3], s0
	s_mov_b32 s0, 0
	s_mov_b32 s1, 0xc1f00000
	v_floor_f64_e32 v[4:5], v[4:5]
	v_fma_f64 v[6:7], v[4:5], s[0:1], v[2:3]
	v_cvt_i32_f64_e32 v3, v[4:5]
	s_mov_b64 s[0:1], 0
	v_cvt_u32_f64_e32 v2, v[6:7]
	s_branch .LBB206_220
.LBB206_218:
	s_mov_b64 s[0:1], -1
                                        ; implicit-def: $vgpr2_vgpr3
	s_branch .LBB206_223
.LBB206_219:
	s_mov_b64 s[0:1], -1
                                        ; implicit-def: $vgpr2_vgpr3
.LBB206_220:
	s_andn2_b64 vcc, exec, s[0:1]
	s_cbranch_vccnz .LBB206_222
; %bb.221:
	global_load_dword v2, v[0:1], off
	s_mov_b32 s0, 0x2f800000
	s_mov_b32 s1, 0xcf800000
	s_waitcnt vmcnt(0)
	v_trunc_f32_e32 v2, v2
	v_mul_f32_e64 v3, |v2|, s0
	v_floor_f32_e32 v3, v3
	v_cvt_u32_f32_e32 v4, v3
	v_fma_f32 v3, v3, s1, |v2|
	v_cvt_u32_f32_e32 v3, v3
	v_ashrrev_i32_e32 v5, 31, v2
	v_xor_b32_e32 v4, v4, v5
	v_xor_b32_e32 v2, v3, v5
	v_sub_co_u32_e32 v2, vcc, v2, v5
	v_subb_co_u32_e32 v3, vcc, v4, v5, vcc
.LBB206_222:
	s_mov_b64 s[0:1], 0
.LBB206_223:
	s_andn2_b64 vcc, exec, s[0:1]
	s_cbranch_vccnz .LBB206_225
; %bb.224:
	global_load_ushort v2, v[0:1], off
	s_waitcnt vmcnt(0)
	v_cvt_f32_f16_e32 v2, v2
	v_cvt_i32_f32_e32 v2, v2
	v_ashrrev_i32_e32 v3, 31, v2
.LBB206_225:
	s_cbranch_execnz .LBB206_245
.LBB206_226:
	s_cmp_lt_i32 s20, 2
	s_cbranch_scc1 .LBB206_230
; %bb.227:
	s_cmp_lt_i32 s20, 3
	s_cbranch_scc1 .LBB206_231
; %bb.228:
	s_cmp_gt_i32 s20, 3
	s_cbranch_scc0 .LBB206_232
; %bb.229:
	global_load_dwordx2 v[2:3], v[0:1], off
	s_mov_b64 s[0:1], 0
	s_branch .LBB206_233
.LBB206_230:
	s_mov_b64 s[0:1], -1
                                        ; implicit-def: $vgpr2_vgpr3
	s_branch .LBB206_239
.LBB206_231:
	s_mov_b64 s[0:1], -1
                                        ; implicit-def: $vgpr2_vgpr3
	s_branch .LBB206_236
.LBB206_232:
	s_mov_b64 s[0:1], -1
                                        ; implicit-def: $vgpr2_vgpr3
.LBB206_233:
	s_andn2_b64 vcc, exec, s[0:1]
	s_cbranch_vccnz .LBB206_235
; %bb.234:
	global_load_dword v2, v[0:1], off
	s_waitcnt vmcnt(0)
	v_ashrrev_i32_e32 v3, 31, v2
.LBB206_235:
	s_mov_b64 s[0:1], 0
.LBB206_236:
	s_andn2_b64 vcc, exec, s[0:1]
	s_cbranch_vccnz .LBB206_238
; %bb.237:
	global_load_ushort v2, v[0:1], off
	s_waitcnt vmcnt(0)
	v_bfe_i32 v2, v2, 0, 16
	v_ashrrev_i32_e32 v3, 31, v2
.LBB206_238:
	s_mov_b64 s[0:1], 0
.LBB206_239:
	s_andn2_b64 vcc, exec, s[0:1]
	s_cbranch_vccnz .LBB206_245
; %bb.240:
	s_cmp_gt_i32 s20, 0
	s_cbranch_scc0 .LBB206_242
; %bb.241:
	global_load_sbyte v2, v[0:1], off
	s_mov_b64 s[0:1], 0
	s_waitcnt vmcnt(0)
	v_bfe_i32 v2, v2, 0, 16
	v_ashrrev_i32_e32 v3, 31, v2
	s_branch .LBB206_243
.LBB206_242:
	s_mov_b64 s[0:1], -1
                                        ; implicit-def: $vgpr2_vgpr3
.LBB206_243:
	s_andn2_b64 vcc, exec, s[0:1]
	s_cbranch_vccnz .LBB206_245
; %bb.244:
	global_load_ubyte v0, v[0:1], off
	s_mov_b32 s0, 0
	s_waitcnt vmcnt(1)
	v_mov_b32_e32 v3, s0
	s_waitcnt vmcnt(0)
	v_and_b32_e32 v2, 0xffff, v0
.LBB206_245:
	s_branch .LBB206_11
.LBB206_246:
	s_mov_b64 s[0:1], 0
                                        ; implicit-def: $vgpr10
	s_mov_b64 s[20:21], 0
.LBB206_247:
	s_and_b64 s[14:15], s[0:1], exec
	s_and_b64 s[16:17], s[16:17], exec
	s_orn2_b64 s[20:21], s[20:21], exec
.LBB206_248:
	s_or_b64 exec, exec, s[18:19]
	s_mov_b64 s[24:25], 0
	s_mov_b64 s[0:1], 0
                                        ; implicit-def: $vgpr0_vgpr1
                                        ; implicit-def: $vgpr4_vgpr5
	s_and_saveexec_b64 s[18:19], s[20:21]
	s_cbranch_execz .LBB206_257
; %bb.249:
	v_cmp_gt_i32_e32 vcc, s40, v10
	s_mov_b64 s[0:1], -1
	s_mov_b64 s[20:21], s[16:17]
	s_mov_b64 s[22:23], s[14:15]
	s_and_saveexec_b64 s[24:25], vcc
	s_cbranch_execz .LBB206_505
; %bb.250:
	v_mul_lo_u32 v0, v10, s3
	v_mov_b32_e32 v1, s11
	s_and_b32 s26, 0xffff, s44
	s_cmp_lt_i32 s26, 11
	s_waitcnt vmcnt(0)
	v_ashrrev_i32_e32 v2, 31, v0
	v_add_co_u32_e32 v0, vcc, s10, v0
	v_addc_co_u32_e32 v1, vcc, v1, v2, vcc
	s_cbranch_scc1 .LBB206_260
; %bb.251:
	s_cmp_gt_i32 s26, 25
	s_cbranch_scc0 .LBB206_269
; %bb.252:
	s_cmp_gt_i32 s26, 28
	s_cbranch_scc0 .LBB206_271
	;; [unrolled: 3-line block ×4, first 2 shown]
; %bb.255:
	s_cmp_eq_u32 s26, 46
	s_mov_b64 s[22:23], 0
	s_cbranch_scc0 .LBB206_281
; %bb.256:
	global_load_dword v2, v[0:1], off
	s_mov_b32 s0, 0x2f800000
	s_mov_b32 s1, 0xcf800000
	s_mov_b64 s[20:21], 0
	s_waitcnt vmcnt(0)
	v_lshlrev_b32_e32 v2, 16, v2
	v_trunc_f32_e32 v2, v2
	v_mul_f32_e64 v3, |v2|, s0
	v_floor_f32_e32 v3, v3
	v_fma_f32 v4, v3, s1, |v2|
	v_cvt_u32_f32_e32 v4, v4
	v_cvt_u32_f32_e32 v3, v3
	v_ashrrev_i32_e32 v5, 31, v2
	s_mov_b64 s[0:1], -1
	v_xor_b32_e32 v2, v4, v5
	v_xor_b32_e32 v3, v3, v5
	v_sub_co_u32_e32 v2, vcc, v2, v5
	v_subb_co_u32_e32 v3, vcc, v3, v5, vcc
	s_branch .LBB206_282
.LBB206_257:
	s_or_b64 exec, exec, s[18:19]
	s_mov_b64 s[18:19], 0
	s_and_saveexec_b64 s[20:21], s[16:17]
	s_cbranch_execnz .LBB206_843
.LBB206_258:
	s_or_b64 exec, exec, s[20:21]
	s_and_saveexec_b64 s[16:17], s[22:23]
	s_xor_b64 s[16:17], exec, s[16:17]
	s_cbranch_execz .LBB206_844
.LBB206_259:
	global_load_ubyte v2, v[0:1], off
	s_mov_b32 s20, 0
	s_waitcnt vmcnt(1)
	v_mov_b32_e32 v5, s20
	s_or_b64 s[0:1], s[0:1], exec
	s_waitcnt vmcnt(0)
	v_cmp_ne_u16_e32 vcc, 0, v2
	v_cndmask_b32_e64 v4, 0, 1, vcc
	s_or_b64 exec, exec, s[16:17]
	s_and_saveexec_b64 s[16:17], s[24:25]
	s_cbranch_execz .LBB206_890
	s_branch .LBB206_845
.LBB206_260:
	s_mov_b64 s[0:1], 0
                                        ; implicit-def: $vgpr2_vgpr3
	s_mov_b64 s[20:21], s[16:17]
	s_cbranch_execnz .LBB206_455
.LBB206_261:
	s_andn2_b64 vcc, exec, s[0:1]
	s_cbranch_vccnz .LBB206_503
.LBB206_262:
	v_mul_lo_u32 v4, v10, s2
	s_waitcnt vmcnt(0)
	v_ashrrev_i64 v[0:1], s45, v[2:3]
	v_mov_b32_e32 v3, s9
	s_and_b32 s30, s33, 0xff
	v_ashrrev_i32_e32 v5, 31, v4
	v_add_co_u32_e32 v2, vcc, s8, v4
	s_cmp_lt_i32 s30, 11
	v_addc_co_u32_e32 v3, vcc, v3, v5, vcc
	s_cbranch_scc1 .LBB206_270
; %bb.263:
	s_and_b32 s31, 0xffff, s30
	s_cmp_gt_i32 s31, 25
	s_cbranch_scc0 .LBB206_272
; %bb.264:
	s_cmp_gt_i32 s31, 28
	s_cbranch_scc0 .LBB206_274
; %bb.265:
	;; [unrolled: 3-line block ×4, first 2 shown]
	s_mov_b64 s[26:27], 0
	s_mov_b64 s[0:1], -1
	s_cmp_eq_u32 s31, 46
	s_mov_b64 s[22:23], 0
	s_cbranch_scc0 .LBB206_286
; %bb.268:
	v_xor_b32_e32 v5, v0, v1
	v_ffbh_i32_e32 v4, v1
	v_ashrrev_i32_e32 v5, 31, v5
	v_add_u32_e32 v4, -1, v4
	v_add_u32_e32 v5, 32, v5
	v_min_u32_e32 v6, v4, v5
	v_lshlrev_b64 v[4:5], v6, v[0:1]
	s_movk_i32 s0, 0x7fff
	v_min_u32_e32 v4, 1, v4
	v_or_b32_e32 v4, v5, v4
	v_cvt_f32_i32_e32 v4, v4
	v_sub_u32_e32 v5, 32, v6
	s_mov_b64 s[22:23], -1
	v_ldexp_f32 v4, v4, v5
	v_bfe_u32 v5, v4, 16, 1
	v_add3_u32 v4, v4, v5, s0
	v_lshrrev_b32_e32 v4, 16, v4
	global_store_dword v[2:3], v4, off
	s_mov_b64 s[0:1], 0
	s_branch .LBB206_286
.LBB206_269:
	s_mov_b64 s[22:23], -1
	s_mov_b64 s[0:1], 0
	s_mov_b64 s[20:21], s[16:17]
                                        ; implicit-def: $vgpr2_vgpr3
	s_branch .LBB206_423
.LBB206_270:
	s_mov_b64 s[26:27], -1
	s_mov_b64 s[22:23], 0
	s_mov_b64 s[0:1], s[14:15]
	s_branch .LBB206_355
.LBB206_271:
	s_mov_b64 s[22:23], -1
	s_mov_b64 s[0:1], 0
	s_mov_b64 s[20:21], s[16:17]
                                        ; implicit-def: $vgpr2_vgpr3
	s_branch .LBB206_404
.LBB206_272:
	s_mov_b64 s[26:27], -1
	s_mov_b64 s[22:23], 0
	s_mov_b64 s[0:1], s[14:15]
	s_branch .LBB206_313
.LBB206_273:
	s_mov_b64 s[22:23], -1
	s_mov_b64 s[0:1], 0
	s_mov_b64 s[20:21], s[16:17]
                                        ; implicit-def: $vgpr2_vgpr3
	s_branch .LBB206_399
.LBB206_274:
	s_mov_b64 s[26:27], -1
	s_mov_b64 s[22:23], 0
	s_mov_b64 s[0:1], s[14:15]
	s_branch .LBB206_296
.LBB206_275:
	s_andn2_saveexec_b64 s[24:25], s[24:25]
	s_cbranch_execz .LBB206_55
.LBB206_276:
	s_mov_b32 s28, 0x46000000
	v_add_f32_e64 v5, |v4|, s28
	v_and_b32_e32 v5, 0xff, v5
	v_cmp_ne_u32_e32 vcc, 0, v5
	s_andn2_b64 s[20:21], s[20:21], exec
	s_and_b64 s[28:29], vcc, exec
	s_or_b64 s[20:21], s[20:21], s[28:29]
	s_or_b64 exec, exec, s[24:25]
	v_mov_b32_e32 v6, 0
	s_and_saveexec_b64 s[24:25], s[20:21]
	s_cbranch_execnz .LBB206_56
	s_branch .LBB206_57
.LBB206_277:
	s_mov_b64 s[22:23], -1
	s_mov_b64 s[0:1], 0
	s_mov_b64 s[20:21], s[16:17]
                                        ; implicit-def: $vgpr2_vgpr3
	s_branch .LBB206_282
.LBB206_278:
	s_mov_b64 s[26:27], -1
	s_mov_b64 s[22:23], 0
	s_mov_b64 s[0:1], s[14:15]
	s_branch .LBB206_292
.LBB206_279:
	s_andn2_saveexec_b64 s[24:25], s[24:25]
	s_cbranch_execz .LBB206_68
.LBB206_280:
	s_mov_b32 s28, 0x42800000
	v_add_f32_e64 v5, |v4|, s28
	v_and_b32_e32 v5, 0xff, v5
	v_cmp_ne_u32_e32 vcc, 0, v5
	s_andn2_b64 s[20:21], s[20:21], exec
	s_and_b64 s[28:29], vcc, exec
	s_or_b64 s[20:21], s[20:21], s[28:29]
	s_or_b64 exec, exec, s[24:25]
	v_mov_b32_e32 v6, 0
	s_and_saveexec_b64 s[24:25], s[20:21]
	s_cbranch_execnz .LBB206_69
	s_branch .LBB206_70
.LBB206_281:
	s_mov_b64 s[20:21], -1
                                        ; implicit-def: $vgpr2_vgpr3
	s_mov_b64 s[0:1], 0
.LBB206_282:
	s_and_b64 vcc, exec, s[22:23]
	s_cbranch_vccz .LBB206_398
; %bb.283:
	s_cmp_eq_u32 s26, 44
	s_cbranch_scc0 .LBB206_397
; %bb.284:
	global_load_ubyte v2, v[0:1], off
	s_mov_b32 s0, 0x2f800000
	s_mov_b32 s1, 0xcf800000
	s_mov_b64 s[20:21], 0
	s_waitcnt vmcnt(0)
	v_lshlrev_b32_e32 v3, 23, v2
	v_trunc_f32_e32 v3, v3
	v_mul_f32_e64 v4, |v3|, s0
	v_floor_f32_e32 v4, v4
	v_fma_f32 v5, v4, s1, |v3|
	v_cvt_u32_f32_e32 v5, v5
	v_cvt_u32_f32_e32 v4, v4
	v_ashrrev_i32_e32 v3, 31, v3
	s_mov_b64 s[0:1], -1
	v_xor_b32_e32 v5, v5, v3
	v_xor_b32_e32 v4, v4, v3
	v_sub_co_u32_e32 v5, vcc, v5, v3
	v_subb_co_u32_e32 v3, vcc, v4, v3, vcc
	v_cmp_ne_u32_e32 vcc, 0, v2
	v_cndmask_b32_e32 v3, 0, v3, vcc
	v_cndmask_b32_e32 v2, 0, v5, vcc
	s_branch .LBB206_398
.LBB206_285:
	s_mov_b64 s[26:27], -1
	s_mov_b64 s[22:23], 0
	s_mov_b64 s[0:1], s[14:15]
.LBB206_286:
	s_and_b64 vcc, exec, s[26:27]
	s_cbranch_vccz .LBB206_291
; %bb.287:
	s_cmp_eq_u32 s31, 44
	s_mov_b64 s[0:1], -1
	s_cbranch_scc0 .LBB206_291
; %bb.288:
	v_xor_b32_e32 v5, v0, v1
	v_ffbh_i32_e32 v4, v1
	v_ashrrev_i32_e32 v5, 31, v5
	v_add_u32_e32 v4, -1, v4
	v_add_u32_e32 v5, 32, v5
	v_min_u32_e32 v6, v4, v5
	v_lshlrev_b64 v[4:5], v6, v[0:1]
	s_movk_i32 s0, 0xff
	v_min_u32_e32 v4, 1, v4
	v_or_b32_e32 v4, v5, v4
	v_cvt_f32_i32_e32 v4, v4
	v_sub_u32_e32 v5, 32, v6
	v_mov_b32_e32 v6, 0xff
	v_ldexp_f32 v4, v4, v5
	v_bfe_u32 v5, v4, 23, 8
	v_cmp_ne_u32_e32 vcc, s0, v5
	s_and_saveexec_b64 s[22:23], vcc
; %bb.289:
	s_mov_b32 s0, 0x3fffff
	v_lshrrev_b32_e32 v6, 23, v4
	v_and_b32_e32 v7, 0x400000, v4
	v_and_or_b32 v4, v4, s0, v5
	v_cmp_ne_u32_e32 vcc, 0, v7
	v_cmp_ne_u32_e64 s[0:1], 0, v4
	s_and_b64 s[0:1], vcc, s[0:1]
	v_cndmask_b32_e64 v4, 0, 1, s[0:1]
	v_add_u32_e32 v6, v6, v4
; %bb.290:
	s_or_b64 exec, exec, s[22:23]
	s_mov_b64 s[22:23], -1
	s_mov_b64 s[0:1], 0
	global_store_byte v[2:3], v6, off
.LBB206_291:
	s_mov_b64 s[26:27], 0
.LBB206_292:
	s_and_b64 vcc, exec, s[26:27]
	s_cbranch_vccz .LBB206_295
; %bb.293:
	s_cmp_eq_u32 s31, 29
	s_mov_b64 s[0:1], -1
	s_cbranch_scc0 .LBB206_295
; %bb.294:
	global_store_dwordx2 v[2:3], v[0:1], off
	s_mov_b64 s[22:23], -1
	s_mov_b64 s[0:1], 0
.LBB206_295:
	s_mov_b64 s[26:27], 0
.LBB206_296:
	s_and_b64 vcc, exec, s[26:27]
	s_cbranch_vccz .LBB206_312
; %bb.297:
	s_cmp_lt_i32 s31, 27
	s_mov_b64 s[22:23], -1
	s_cbranch_scc1 .LBB206_303
; %bb.298:
	s_cmp_gt_i32 s31, 27
	s_cbranch_scc0 .LBB206_300
; %bb.299:
	s_mov_b64 s[22:23], 0
	global_store_dword v[2:3], v0, off
.LBB206_300:
	s_andn2_b64 vcc, exec, s[22:23]
	s_cbranch_vccnz .LBB206_302
; %bb.301:
	global_store_short v[2:3], v0, off
.LBB206_302:
	s_mov_b64 s[22:23], 0
.LBB206_303:
	s_andn2_b64 vcc, exec, s[22:23]
	s_cbranch_vccnz .LBB206_311
; %bb.304:
	v_xor_b32_e32 v5, v0, v1
	v_ffbh_i32_e32 v4, v1
	v_ashrrev_i32_e32 v5, 31, v5
	v_add_u32_e32 v4, -1, v4
	v_add_u32_e32 v5, 32, v5
	v_min_u32_e32 v6, v4, v5
	v_lshlrev_b64 v[4:5], v6, v[0:1]
	s_mov_b32 s22, 0x43800000
	v_min_u32_e32 v4, 1, v4
	v_or_b32_e32 v4, v5, v4
	v_cvt_f32_i32_e32 v4, v4
	v_sub_u32_e32 v5, 32, v6
	v_mov_b32_e32 v6, 0x80
	v_ldexp_f32 v4, v4, v5
	v_and_b32_e32 v5, 0x7fffffff, v4
	v_cmp_gt_u32_e32 vcc, s22, v5
	s_and_saveexec_b64 s[22:23], vcc
	s_cbranch_execz .LBB206_310
; %bb.305:
	s_mov_b32 s26, 0x3bffffff
	v_cmp_lt_u32_e32 vcc, s26, v5
	s_mov_b64 s[26:27], 0
                                        ; implicit-def: $vgpr5
	s_and_saveexec_b64 s[28:29], vcc
	s_xor_b64 s[28:29], exec, s[28:29]
	s_cbranch_execz .LBB206_518
; %bb.306:
	v_bfe_u32 v5, v4, 20, 1
	s_mov_b32 s34, 0x487ffff
	v_add3_u32 v5, v4, v5, s34
	s_mov_b64 s[26:27], exec
	v_lshrrev_b32_e32 v5, 20, v5
	s_andn2_saveexec_b64 s[28:29], s[28:29]
	s_cbranch_execnz .LBB206_519
.LBB206_307:
	s_or_b64 exec, exec, s[28:29]
	v_mov_b32_e32 v6, 0
	s_and_saveexec_b64 s[28:29], s[26:27]
.LBB206_308:
	v_lshrrev_b32_e32 v4, 24, v4
	s_movk_i32 s26, 0x80
	v_and_or_b32 v6, v4, s26, v5
.LBB206_309:
	s_or_b64 exec, exec, s[28:29]
.LBB206_310:
	s_or_b64 exec, exec, s[22:23]
	global_store_byte v[2:3], v6, off
.LBB206_311:
	s_mov_b64 s[22:23], -1
.LBB206_312:
	s_mov_b64 s[26:27], 0
.LBB206_313:
	s_and_b64 vcc, exec, s[26:27]
	s_cbranch_vccz .LBB206_354
; %bb.314:
	s_cmp_gt_i32 s31, 22
	s_mov_b64 s[26:27], -1
	s_cbranch_scc0 .LBB206_346
; %bb.315:
	s_cmp_lt_i32 s31, 24
	s_mov_b64 s[22:23], -1
	s_cbranch_scc1 .LBB206_335
; %bb.316:
	s_cmp_gt_i32 s31, 24
	s_cbranch_scc0 .LBB206_324
; %bb.317:
	v_xor_b32_e32 v5, v0, v1
	v_ffbh_i32_e32 v4, v1
	v_ashrrev_i32_e32 v5, 31, v5
	v_add_u32_e32 v4, -1, v4
	v_add_u32_e32 v5, 32, v5
	v_min_u32_e32 v6, v4, v5
	v_lshlrev_b64 v[4:5], v6, v[0:1]
	s_mov_b32 s22, 0x47800000
	v_min_u32_e32 v4, 1, v4
	v_or_b32_e32 v4, v5, v4
	v_cvt_f32_i32_e32 v4, v4
	v_sub_u32_e32 v5, 32, v6
	v_mov_b32_e32 v6, 0x80
	v_ldexp_f32 v4, v4, v5
	v_and_b32_e32 v5, 0x7fffffff, v4
	v_cmp_gt_u32_e32 vcc, s22, v5
	s_and_saveexec_b64 s[22:23], vcc
	s_cbranch_execz .LBB206_323
; %bb.318:
	s_mov_b32 s26, 0x37ffffff
	v_cmp_lt_u32_e32 vcc, s26, v5
	s_mov_b64 s[26:27], 0
                                        ; implicit-def: $vgpr5
	s_and_saveexec_b64 s[28:29], vcc
	s_xor_b64 s[28:29], exec, s[28:29]
	s_cbranch_execz .LBB206_521
; %bb.319:
	v_bfe_u32 v5, v4, 21, 1
	s_mov_b32 s34, 0x88fffff
	v_add3_u32 v5, v4, v5, s34
	s_mov_b64 s[26:27], exec
	v_lshrrev_b32_e32 v5, 21, v5
	s_andn2_saveexec_b64 s[28:29], s[28:29]
	s_cbranch_execnz .LBB206_522
.LBB206_320:
	s_or_b64 exec, exec, s[28:29]
	v_mov_b32_e32 v6, 0
	s_and_saveexec_b64 s[28:29], s[26:27]
.LBB206_321:
	v_lshrrev_b32_e32 v4, 24, v4
	s_movk_i32 s26, 0x80
	v_and_or_b32 v6, v4, s26, v5
.LBB206_322:
	s_or_b64 exec, exec, s[28:29]
.LBB206_323:
	s_or_b64 exec, exec, s[22:23]
	s_mov_b64 s[22:23], 0
	global_store_byte v[2:3], v6, off
.LBB206_324:
	s_and_b64 vcc, exec, s[22:23]
	s_cbranch_vccz .LBB206_334
; %bb.325:
	v_xor_b32_e32 v5, v0, v1
	v_ffbh_i32_e32 v4, v1
	v_ashrrev_i32_e32 v5, 31, v5
	v_add_u32_e32 v4, -1, v4
	v_add_u32_e32 v5, 32, v5
	v_min_u32_e32 v6, v4, v5
	v_lshlrev_b64 v[4:5], v6, v[0:1]
	s_mov_b32 s22, 0x43f00000
	v_min_u32_e32 v4, 1, v4
	v_or_b32_e32 v4, v5, v4
	v_cvt_f32_i32_e32 v4, v4
	v_sub_u32_e32 v5, 32, v6
	v_ldexp_f32 v4, v4, v5
	v_and_b32_e32 v6, 0x7fffffff, v4
	v_cmp_gt_u32_e32 vcc, s22, v6
                                        ; implicit-def: $vgpr5
	s_and_saveexec_b64 s[22:23], vcc
	s_xor_b64 s[22:23], exec, s[22:23]
	s_cbranch_execz .LBB206_331
; %bb.326:
	s_mov_b32 s26, 0x3c7fffff
	v_cmp_lt_u32_e32 vcc, s26, v6
                                        ; implicit-def: $vgpr5
	s_and_saveexec_b64 s[26:27], vcc
	s_xor_b64 s[26:27], exec, s[26:27]
; %bb.327:
	v_bfe_u32 v5, v4, 20, 1
	s_mov_b32 s28, 0x407ffff
	v_add3_u32 v5, v4, v5, s28
	v_lshrrev_b32_e32 v6, 20, v5
	v_and_b32_e32 v5, 0xff00000, v5
	s_mov_b32 s28, 0x7f00000
	v_mov_b32_e32 v7, 0x7e
	v_cmp_ne_u32_e32 vcc, s28, v5
	v_cndmask_b32_e32 v5, v7, v6, vcc
; %bb.328:
	s_andn2_saveexec_b64 s[26:27], s[26:27]
; %bb.329:
	s_mov_b32 s28, 0x46800000
	v_add_f32_e64 v5, |v4|, s28
; %bb.330:
	s_or_b64 exec, exec, s[26:27]
                                        ; implicit-def: $vgpr6
.LBB206_331:
	s_andn2_saveexec_b64 s[22:23], s[22:23]
; %bb.332:
	s_mov_b32 s26, 0x7f800000
	v_mov_b32_e32 v5, 0x7e
	v_mov_b32_e32 v7, 0x7f
	v_cmp_lt_u32_e32 vcc, s26, v6
	v_cndmask_b32_e32 v5, v5, v7, vcc
; %bb.333:
	s_or_b64 exec, exec, s[22:23]
	v_lshrrev_b32_e32 v4, 24, v4
	s_movk_i32 s22, 0x80
	v_and_or_b32 v4, v4, s22, v5
	global_store_byte v[2:3], v4, off
.LBB206_334:
	s_mov_b64 s[22:23], 0
.LBB206_335:
	s_andn2_b64 vcc, exec, s[22:23]
	s_cbranch_vccnz .LBB206_345
; %bb.336:
	v_xor_b32_e32 v5, v0, v1
	v_ffbh_i32_e32 v4, v1
	v_ashrrev_i32_e32 v5, 31, v5
	v_add_u32_e32 v4, -1, v4
	v_add_u32_e32 v5, 32, v5
	v_min_u32_e32 v6, v4, v5
	v_lshlrev_b64 v[4:5], v6, v[0:1]
	s_mov_b32 s22, 0x47800000
	v_min_u32_e32 v4, 1, v4
	v_or_b32_e32 v4, v5, v4
	v_cvt_f32_i32_e32 v4, v4
	v_sub_u32_e32 v5, 32, v6
	v_ldexp_f32 v4, v4, v5
	v_and_b32_e32 v6, 0x7fffffff, v4
	v_cmp_gt_u32_e32 vcc, s22, v6
                                        ; implicit-def: $vgpr5
	s_and_saveexec_b64 s[22:23], vcc
	s_xor_b64 s[22:23], exec, s[22:23]
	s_cbranch_execz .LBB206_342
; %bb.337:
	s_mov_b32 s26, 0x387fffff
	v_cmp_lt_u32_e32 vcc, s26, v6
                                        ; implicit-def: $vgpr5
	s_and_saveexec_b64 s[26:27], vcc
	s_xor_b64 s[26:27], exec, s[26:27]
; %bb.338:
	v_bfe_u32 v5, v4, 21, 1
	s_mov_b32 s28, 0x80fffff
	v_add3_u32 v5, v4, v5, s28
	v_lshrrev_b32_e32 v5, 21, v5
; %bb.339:
	s_andn2_saveexec_b64 s[26:27], s[26:27]
; %bb.340:
	s_mov_b32 s28, 0x43000000
	v_add_f32_e64 v5, |v4|, s28
; %bb.341:
	s_or_b64 exec, exec, s[26:27]
                                        ; implicit-def: $vgpr6
.LBB206_342:
	s_andn2_saveexec_b64 s[22:23], s[22:23]
; %bb.343:
	s_mov_b32 s26, 0x7f800000
	v_mov_b32_e32 v5, 0x7c
	v_mov_b32_e32 v7, 0x7f
	v_cmp_lt_u32_e32 vcc, s26, v6
	v_cndmask_b32_e32 v5, v5, v7, vcc
; %bb.344:
	s_or_b64 exec, exec, s[22:23]
	v_lshrrev_b32_e32 v4, 24, v4
	s_movk_i32 s22, 0x80
	v_and_or_b32 v4, v4, s22, v5
	global_store_byte v[2:3], v4, off
.LBB206_345:
	s_mov_b64 s[26:27], 0
	s_mov_b64 s[22:23], -1
.LBB206_346:
	s_andn2_b64 vcc, exec, s[26:27]
	s_cbranch_vccnz .LBB206_354
; %bb.347:
	s_cmp_gt_i32 s31, 14
	s_mov_b64 s[26:27], -1
	s_cbranch_scc0 .LBB206_351
; %bb.348:
	s_cmp_eq_u32 s31, 15
	s_mov_b64 s[0:1], -1
	s_cbranch_scc0 .LBB206_350
; %bb.349:
	v_xor_b32_e32 v5, v0, v1
	v_ffbh_i32_e32 v4, v1
	v_ashrrev_i32_e32 v5, 31, v5
	v_add_u32_e32 v4, -1, v4
	v_add_u32_e32 v5, 32, v5
	v_min_u32_e32 v6, v4, v5
	v_lshlrev_b64 v[4:5], v6, v[0:1]
	s_movk_i32 s0, 0x7fff
	v_min_u32_e32 v4, 1, v4
	v_or_b32_e32 v4, v5, v4
	v_cvt_f32_i32_e32 v4, v4
	v_sub_u32_e32 v5, 32, v6
	s_mov_b64 s[22:23], -1
	v_ldexp_f32 v4, v4, v5
	v_bfe_u32 v5, v4, 16, 1
	v_add3_u32 v4, v4, v5, s0
	global_store_short_d16_hi v[2:3], v4, off
	s_mov_b64 s[0:1], 0
.LBB206_350:
	s_mov_b64 s[26:27], 0
.LBB206_351:
	s_and_b64 vcc, exec, s[26:27]
	s_cbranch_vccz .LBB206_354
; %bb.352:
	s_cmp_eq_u32 s31, 11
	s_mov_b64 s[0:1], -1
	s_cbranch_scc0 .LBB206_354
; %bb.353:
	v_cmp_ne_u64_e32 vcc, 0, v[0:1]
	s_mov_b64 s[0:1], 0
	v_cndmask_b32_e64 v4, 0, 1, vcc
	s_mov_b64 s[22:23], -1
	global_store_byte v[2:3], v4, off
.LBB206_354:
	s_mov_b64 s[26:27], 0
.LBB206_355:
	s_and_b64 vcc, exec, s[26:27]
	s_cbranch_vccz .LBB206_394
; %bb.356:
	s_and_b32 s26, 0xffff, s30
	s_cmp_lt_i32 s26, 5
	s_mov_b64 s[22:23], -1
	s_cbranch_scc1 .LBB206_377
; %bb.357:
	s_cmp_lt_i32 s26, 8
	s_cbranch_scc1 .LBB206_367
; %bb.358:
	s_cmp_lt_i32 s26, 9
	s_cbranch_scc1 .LBB206_364
; %bb.359:
	s_cmp_gt_i32 s26, 9
	s_cbranch_scc0 .LBB206_361
; %bb.360:
	v_cvt_f64_i32_e32 v[4:5], v1
	v_cvt_f64_u32_e32 v[6:7], v0
	s_mov_b64 s[22:23], 0
	v_ldexp_f64 v[4:5], v[4:5], 32
	v_add_f64 v[4:5], v[4:5], v[6:7]
	v_mov_b32_e32 v6, 0
	v_mov_b32_e32 v7, v6
	global_store_dwordx4 v[2:3], v[4:7], off
.LBB206_361:
	s_andn2_b64 vcc, exec, s[22:23]
	s_cbranch_vccnz .LBB206_363
; %bb.362:
	v_xor_b32_e32 v5, v0, v1
	v_ffbh_i32_e32 v4, v1
	v_ashrrev_i32_e32 v5, 31, v5
	v_add_u32_e32 v4, -1, v4
	v_add_u32_e32 v5, 32, v5
	v_min_u32_e32 v6, v4, v5
	v_lshlrev_b64 v[4:5], v6, v[0:1]
	v_min_u32_e32 v4, 1, v4
	v_or_b32_e32 v4, v5, v4
	v_cvt_f32_i32_e32 v4, v4
	v_sub_u32_e32 v5, 32, v6
	v_ldexp_f32 v4, v4, v5
	v_mov_b32_e32 v5, 0
	global_store_dwordx2 v[2:3], v[4:5], off
.LBB206_363:
	s_mov_b64 s[22:23], 0
.LBB206_364:
	s_andn2_b64 vcc, exec, s[22:23]
	s_cbranch_vccnz .LBB206_366
; %bb.365:
	v_xor_b32_e32 v5, v0, v1
	v_ffbh_i32_e32 v4, v1
	v_ashrrev_i32_e32 v5, 31, v5
	v_add_u32_e32 v4, -1, v4
	v_add_u32_e32 v5, 32, v5
	v_min_u32_e32 v6, v4, v5
	v_lshlrev_b64 v[4:5], v6, v[0:1]
	v_min_u32_e32 v4, 1, v4
	v_or_b32_e32 v4, v5, v4
	v_cvt_f32_i32_e32 v4, v4
	v_sub_u32_e32 v5, 32, v6
	v_ldexp_f32 v4, v4, v5
	v_cvt_f16_f32_e32 v4, v4
	global_store_dword v[2:3], v4, off
.LBB206_366:
	s_mov_b64 s[22:23], 0
.LBB206_367:
	s_andn2_b64 vcc, exec, s[22:23]
	s_cbranch_vccnz .LBB206_376
; %bb.368:
	s_cmp_lt_i32 s26, 6
	s_mov_b64 s[22:23], -1
	s_cbranch_scc1 .LBB206_374
; %bb.369:
	s_cmp_gt_i32 s26, 6
	s_cbranch_scc0 .LBB206_371
; %bb.370:
	v_cvt_f64_i32_e32 v[4:5], v1
	v_cvt_f64_u32_e32 v[6:7], v0
	s_mov_b64 s[22:23], 0
	v_ldexp_f64 v[4:5], v[4:5], 32
	v_add_f64 v[4:5], v[4:5], v[6:7]
	global_store_dwordx2 v[2:3], v[4:5], off
.LBB206_371:
	s_andn2_b64 vcc, exec, s[22:23]
	s_cbranch_vccnz .LBB206_373
; %bb.372:
	v_xor_b32_e32 v5, v0, v1
	v_ffbh_i32_e32 v4, v1
	v_ashrrev_i32_e32 v5, 31, v5
	v_add_u32_e32 v4, -1, v4
	v_add_u32_e32 v5, 32, v5
	v_min_u32_e32 v6, v4, v5
	v_lshlrev_b64 v[4:5], v6, v[0:1]
	v_min_u32_e32 v4, 1, v4
	v_or_b32_e32 v4, v5, v4
	v_cvt_f32_i32_e32 v4, v4
	v_sub_u32_e32 v5, 32, v6
	v_ldexp_f32 v4, v4, v5
	global_store_dword v[2:3], v4, off
.LBB206_373:
	s_mov_b64 s[22:23], 0
.LBB206_374:
	s_andn2_b64 vcc, exec, s[22:23]
	s_cbranch_vccnz .LBB206_376
; %bb.375:
	v_xor_b32_e32 v5, v0, v1
	v_ffbh_i32_e32 v4, v1
	v_ashrrev_i32_e32 v5, 31, v5
	v_add_u32_e32 v4, -1, v4
	v_add_u32_e32 v5, 32, v5
	v_min_u32_e32 v6, v4, v5
	v_lshlrev_b64 v[4:5], v6, v[0:1]
	v_min_u32_e32 v4, 1, v4
	v_or_b32_e32 v4, v5, v4
	v_cvt_f32_i32_e32 v4, v4
	v_sub_u32_e32 v5, 32, v6
	v_ldexp_f32 v4, v4, v5
	v_cvt_f16_f32_e32 v4, v4
	global_store_short v[2:3], v4, off
.LBB206_376:
	s_mov_b64 s[22:23], 0
.LBB206_377:
	s_andn2_b64 vcc, exec, s[22:23]
	s_cbranch_vccnz .LBB206_393
; %bb.378:
	s_cmp_lt_i32 s26, 2
	s_mov_b64 s[22:23], -1
	s_cbranch_scc1 .LBB206_388
; %bb.379:
	s_cmp_lt_i32 s26, 3
	s_cbranch_scc1 .LBB206_385
; %bb.380:
	s_cmp_gt_i32 s26, 3
	s_cbranch_scc0 .LBB206_382
; %bb.381:
	s_mov_b64 s[22:23], 0
	global_store_dwordx2 v[2:3], v[0:1], off
.LBB206_382:
	s_andn2_b64 vcc, exec, s[22:23]
	s_cbranch_vccnz .LBB206_384
; %bb.383:
	global_store_dword v[2:3], v0, off
.LBB206_384:
	s_mov_b64 s[22:23], 0
.LBB206_385:
	s_andn2_b64 vcc, exec, s[22:23]
	s_cbranch_vccnz .LBB206_387
; %bb.386:
	global_store_short v[2:3], v0, off
.LBB206_387:
	s_mov_b64 s[22:23], 0
.LBB206_388:
	s_andn2_b64 vcc, exec, s[22:23]
	s_cbranch_vccnz .LBB206_393
; %bb.389:
	s_cmp_gt_i32 s26, 0
	s_mov_b64 s[22:23], -1
	s_cbranch_scc0 .LBB206_391
; %bb.390:
	s_mov_b64 s[22:23], 0
	global_store_byte v[2:3], v0, off
.LBB206_391:
	s_andn2_b64 vcc, exec, s[22:23]
	s_cbranch_vccnz .LBB206_393
; %bb.392:
	global_store_byte v[2:3], v0, off
.LBB206_393:
	s_mov_b64 s[22:23], -1
.LBB206_394:
	s_andn2_b64 vcc, exec, s[22:23]
	s_cbranch_vccnz .LBB206_396
; %bb.395:
	v_add_u32_e32 v10, 0x80, v10
	s_mov_b64 s[26:27], -1
	s_branch .LBB206_504
.LBB206_396:
	s_mov_b64 s[26:27], 0
                                        ; implicit-def: $vgpr10
	s_branch .LBB206_504
.LBB206_397:
	s_mov_b64 s[20:21], -1
                                        ; implicit-def: $vgpr2_vgpr3
.LBB206_398:
	s_mov_b64 s[22:23], 0
.LBB206_399:
	s_and_b64 vcc, exec, s[22:23]
	s_cbranch_vccz .LBB206_403
; %bb.400:
	s_cmp_eq_u32 s26, 29
	s_cbranch_scc0 .LBB206_402
; %bb.401:
	global_load_dwordx2 v[2:3], v[0:1], off
	s_mov_b64 s[0:1], -1
	s_mov_b64 s[20:21], 0
	s_branch .LBB206_403
.LBB206_402:
	s_mov_b64 s[20:21], -1
                                        ; implicit-def: $vgpr2_vgpr3
.LBB206_403:
	s_mov_b64 s[22:23], 0
.LBB206_404:
	s_and_b64 vcc, exec, s[22:23]
	s_cbranch_vccz .LBB206_422
; %bb.405:
	s_cmp_lt_i32 s26, 27
	s_cbranch_scc1 .LBB206_408
; %bb.406:
	s_cmp_gt_i32 s26, 27
	s_cbranch_scc0 .LBB206_409
; %bb.407:
	global_load_dword v2, v[0:1], off
	s_waitcnt vmcnt(1)
	v_mov_b32_e32 v3, 0
	s_mov_b64 s[0:1], 0
	s_branch .LBB206_410
.LBB206_408:
	s_mov_b64 s[0:1], -1
                                        ; implicit-def: $vgpr2_vgpr3
	s_branch .LBB206_413
.LBB206_409:
	s_mov_b64 s[0:1], -1
                                        ; implicit-def: $vgpr2_vgpr3
.LBB206_410:
	s_andn2_b64 vcc, exec, s[0:1]
	s_cbranch_vccnz .LBB206_412
; %bb.411:
	global_load_ushort v2, v[0:1], off
	s_mov_b32 s0, 0
	s_waitcnt vmcnt(1)
	v_mov_b32_e32 v3, s0
	s_waitcnt vmcnt(0)
	v_and_b32_e32 v2, 0xffff, v2
.LBB206_412:
	s_mov_b64 s[0:1], 0
.LBB206_413:
	s_andn2_b64 vcc, exec, s[0:1]
	s_cbranch_vccnz .LBB206_421
; %bb.414:
	global_load_ubyte v4, v[0:1], off
	s_movk_i32 s0, 0x7f
	s_mov_b64 s[22:23], 0
	s_waitcnt vmcnt(0)
	v_cmp_lt_i16_e32 vcc, s0, v4
	s_and_saveexec_b64 s[0:1], vcc
	s_xor_b64 s[0:1], exec, s[0:1]
; %bb.415:
	s_movk_i32 s22, 0x80
	v_cmp_ne_u16_e32 vcc, s22, v4
	s_and_b64 s[22:23], vcc, exec
; %bb.416:
	s_andn2_saveexec_b64 s[0:1], s[0:1]
; %bb.417:
	v_cmp_ne_u16_e32 vcc, 0, v4
	s_andn2_b64 s[22:23], s[22:23], exec
	s_and_b64 s[28:29], vcc, exec
	s_or_b64 s[22:23], s[22:23], s[28:29]
; %bb.418:
	s_or_b64 exec, exec, s[0:1]
	v_mov_b32_e32 v2, 0
	v_mov_b32_e32 v3, 0
	s_and_saveexec_b64 s[0:1], s[22:23]
	s_cbranch_execz .LBB206_420
; %bb.419:
	v_and_b32_e32 v3, 0xffff, v4
	v_lshlrev_b32_e32 v2, 24, v4
	v_and_b32_e32 v4, 7, v3
	v_ffbh_u32_e32 v6, v4
	v_min_u32_e32 v6, 32, v6
	v_subrev_u32_e32 v7, 28, v6
	v_bfe_u32 v5, v3, 3, 4
	v_lshlrev_b32_e32 v3, v7, v3
	v_sub_u32_e32 v6, 29, v6
	v_and_b32_e32 v3, 7, v3
	v_cmp_eq_u32_e32 vcc, 0, v5
	v_cndmask_b32_e32 v5, v5, v6, vcc
	v_cndmask_b32_e32 v3, v4, v3, vcc
	v_mov_b32_e32 v4, 0x3b800000
	v_lshlrev_b32_e32 v3, 20, v3
	v_and_b32_e32 v2, 0x80000000, v2
	v_lshl_add_u32 v4, v5, 23, v4
	v_or3_b32 v2, v2, v4, v3
	v_trunc_f32_e32 v2, v2
	s_mov_b32 s22, 0x2f800000
	v_mul_f32_e64 v3, |v2|, s22
	v_floor_f32_e32 v3, v3
	s_mov_b32 s22, 0xcf800000
	v_fma_f32 v4, v3, s22, |v2|
	v_cvt_u32_f32_e32 v4, v4
	v_cvt_u32_f32_e32 v3, v3
	v_ashrrev_i32_e32 v5, 31, v2
	v_xor_b32_e32 v2, v4, v5
	v_xor_b32_e32 v3, v3, v5
	v_sub_co_u32_e32 v2, vcc, v2, v5
	v_subb_co_u32_e32 v3, vcc, v3, v5, vcc
.LBB206_420:
	s_or_b64 exec, exec, s[0:1]
.LBB206_421:
	s_mov_b64 s[0:1], -1
.LBB206_422:
	s_mov_b64 s[22:23], 0
.LBB206_423:
	s_and_b64 vcc, exec, s[22:23]
	s_cbranch_vccz .LBB206_454
; %bb.424:
	s_cmp_gt_i32 s26, 22
	s_cbranch_scc0 .LBB206_434
; %bb.425:
	s_cmp_lt_i32 s26, 24
	s_cbranch_scc1 .LBB206_435
; %bb.426:
	s_cmp_gt_i32 s26, 24
	s_cbranch_scc0 .LBB206_436
; %bb.427:
	global_load_ubyte v4, v[0:1], off
	s_movk_i32 s0, 0x7f
	s_mov_b64 s[22:23], 0
	s_waitcnt vmcnt(0)
	v_cmp_lt_i16_e32 vcc, s0, v4
	s_and_saveexec_b64 s[0:1], vcc
	s_xor_b64 s[0:1], exec, s[0:1]
; %bb.428:
	s_movk_i32 s22, 0x80
	v_cmp_ne_u16_e32 vcc, s22, v4
	s_and_b64 s[22:23], vcc, exec
; %bb.429:
	s_andn2_saveexec_b64 s[0:1], s[0:1]
; %bb.430:
	v_cmp_ne_u16_e32 vcc, 0, v4
	s_andn2_b64 s[22:23], s[22:23], exec
	s_and_b64 s[28:29], vcc, exec
	s_or_b64 s[22:23], s[22:23], s[28:29]
; %bb.431:
	s_or_b64 exec, exec, s[0:1]
	v_mov_b32_e32 v2, 0
	v_mov_b32_e32 v3, 0
	s_and_saveexec_b64 s[0:1], s[22:23]
	s_cbranch_execz .LBB206_433
; %bb.432:
	v_and_b32_e32 v3, 0xffff, v4
	v_lshlrev_b32_e32 v2, 24, v4
	v_and_b32_e32 v4, 3, v3
	v_ffbh_u32_e32 v6, v4
	v_min_u32_e32 v6, 32, v6
	v_subrev_u32_e32 v7, 29, v6
	v_bfe_u32 v5, v3, 2, 5
	v_lshlrev_b32_e32 v3, v7, v3
	v_sub_u32_e32 v6, 30, v6
	v_and_b32_e32 v3, 3, v3
	v_cmp_eq_u32_e32 vcc, 0, v5
	v_cndmask_b32_e32 v5, v5, v6, vcc
	v_cndmask_b32_e32 v3, v4, v3, vcc
	v_mov_b32_e32 v4, 0x37800000
	v_lshlrev_b32_e32 v3, 21, v3
	v_and_b32_e32 v2, 0x80000000, v2
	v_lshl_add_u32 v4, v5, 23, v4
	v_or3_b32 v2, v2, v4, v3
	v_trunc_f32_e32 v2, v2
	s_mov_b32 s22, 0x2f800000
	v_mul_f32_e64 v3, |v2|, s22
	v_floor_f32_e32 v3, v3
	s_mov_b32 s22, 0xcf800000
	v_fma_f32 v4, v3, s22, |v2|
	v_cvt_u32_f32_e32 v4, v4
	v_cvt_u32_f32_e32 v3, v3
	v_ashrrev_i32_e32 v5, 31, v2
	v_xor_b32_e32 v2, v4, v5
	v_xor_b32_e32 v3, v3, v5
	v_sub_co_u32_e32 v2, vcc, v2, v5
	v_subb_co_u32_e32 v3, vcc, v3, v5, vcc
.LBB206_433:
	s_or_b64 exec, exec, s[0:1]
	s_mov_b64 s[0:1], 0
	s_branch .LBB206_437
.LBB206_434:
	s_mov_b64 s[22:23], -1
                                        ; implicit-def: $vgpr2_vgpr3
	s_branch .LBB206_443
.LBB206_435:
	s_mov_b64 s[0:1], -1
                                        ; implicit-def: $vgpr2_vgpr3
	s_branch .LBB206_440
.LBB206_436:
	s_mov_b64 s[0:1], -1
                                        ; implicit-def: $vgpr2_vgpr3
.LBB206_437:
	s_and_b64 vcc, exec, s[0:1]
	s_cbranch_vccz .LBB206_439
; %bb.438:
	global_load_ubyte v2, v[0:1], off
	s_mov_b32 s0, 0x7f800000
	s_brev_b32 s1, 1
	s_mov_b32 s22, 0x2f800000
	s_mov_b32 s23, 0xcf800000
	s_waitcnt vmcnt(0)
	v_lshlrev_b32_e32 v2, 24, v2
	v_and_b32_e32 v3, 0x7f000000, v2
	v_ffbh_u32_e32 v4, v3
	v_min_u32_e32 v4, 32, v4
	v_sub_u32_e64 v4, v4, 4 clamp
	v_lshlrev_b32_e32 v6, v4, v3
	v_lshlrev_b32_e32 v4, 23, v4
	v_lshrrev_b32_e32 v6, 4, v6
	v_add_u32_e32 v5, 0x1000000, v3
	v_sub_u32_e32 v4, v6, v4
	v_ashrrev_i32_e32 v5, 8, v5
	v_add_u32_e32 v4, 0x3c000000, v4
	v_and_or_b32 v4, v5, s0, v4
	v_cmp_ne_u32_e32 vcc, 0, v3
	v_cndmask_b32_e32 v3, 0, v4, vcc
	v_and_or_b32 v2, v2, s1, v3
	v_trunc_f32_e32 v2, v2
	v_mul_f32_e64 v3, |v2|, s22
	v_floor_f32_e32 v3, v3
	v_fma_f32 v4, v3, s23, |v2|
	v_cvt_u32_f32_e32 v4, v4
	v_cvt_u32_f32_e32 v3, v3
	v_ashrrev_i32_e32 v5, 31, v2
	v_xor_b32_e32 v2, v4, v5
	v_xor_b32_e32 v3, v3, v5
	v_sub_co_u32_e32 v2, vcc, v2, v5
	v_subb_co_u32_e32 v3, vcc, v3, v5, vcc
.LBB206_439:
	s_mov_b64 s[0:1], 0
.LBB206_440:
	s_andn2_b64 vcc, exec, s[0:1]
	s_cbranch_vccnz .LBB206_442
; %bb.441:
	global_load_ubyte v2, v[0:1], off
	s_movk_i32 s0, 0x7f00
	s_brev_b32 s1, 16
	s_brev_b32 s22, 1
	s_mov_b32 s23, 0x2f800000
	s_mov_b32 s27, 0xcf800000
	s_waitcnt vmcnt(0)
	v_lshlrev_b16_e32 v3, 8, v2
	v_lshlrev_b32_e32 v2, 25, v2
	v_lshrrev_b32_e32 v4, 4, v2
	v_and_or_b32 v5, v3, s0, 0.5
	v_or_b32_e32 v4, 0x70000000, v4
	v_add_f32_e32 v5, -0.5, v5
	v_mul_f32_e32 v4, 0x7800000, v4
	v_cmp_gt_u32_e32 vcc, s1, v2
	v_bfe_i32 v3, v3, 0, 16
	v_cndmask_b32_e32 v2, v4, v5, vcc
	v_and_or_b32 v2, v3, s22, v2
	v_trunc_f32_e32 v2, v2
	v_mul_f32_e64 v3, |v2|, s23
	v_floor_f32_e32 v3, v3
	v_fma_f32 v4, v3, s27, |v2|
	v_cvt_u32_f32_e32 v4, v4
	v_cvt_u32_f32_e32 v3, v3
	v_ashrrev_i32_e32 v5, 31, v2
	v_xor_b32_e32 v2, v4, v5
	v_xor_b32_e32 v3, v3, v5
	v_sub_co_u32_e32 v2, vcc, v2, v5
	v_subb_co_u32_e32 v3, vcc, v3, v5, vcc
.LBB206_442:
	s_mov_b64 s[22:23], 0
	s_mov_b64 s[0:1], -1
.LBB206_443:
	s_andn2_b64 vcc, exec, s[22:23]
	s_cbranch_vccnz .LBB206_454
; %bb.444:
	s_cmp_gt_i32 s26, 14
	s_cbranch_scc0 .LBB206_447
; %bb.445:
	s_cmp_eq_u32 s26, 15
	s_cbranch_scc0 .LBB206_448
; %bb.446:
	global_load_ushort v2, v[0:1], off
	s_mov_b32 s0, 0x2f800000
	s_mov_b32 s1, 0xcf800000
	s_mov_b64 s[20:21], 0
	s_waitcnt vmcnt(0)
	v_lshlrev_b32_e32 v2, 16, v2
	v_trunc_f32_e32 v2, v2
	v_mul_f32_e64 v3, |v2|, s0
	v_floor_f32_e32 v3, v3
	v_fma_f32 v4, v3, s1, |v2|
	v_cvt_u32_f32_e32 v4, v4
	v_cvt_u32_f32_e32 v3, v3
	v_ashrrev_i32_e32 v5, 31, v2
	s_mov_b64 s[0:1], -1
	v_xor_b32_e32 v2, v4, v5
	v_xor_b32_e32 v3, v3, v5
	v_sub_co_u32_e32 v2, vcc, v2, v5
	v_subb_co_u32_e32 v3, vcc, v3, v5, vcc
	s_branch .LBB206_449
.LBB206_447:
	s_mov_b64 s[22:23], -1
                                        ; implicit-def: $vgpr2_vgpr3
	s_branch .LBB206_450
.LBB206_448:
	s_mov_b64 s[20:21], -1
                                        ; implicit-def: $vgpr2_vgpr3
.LBB206_449:
	s_mov_b64 s[22:23], 0
.LBB206_450:
	s_and_b64 vcc, exec, s[22:23]
	s_cbranch_vccz .LBB206_454
; %bb.451:
	s_cmp_eq_u32 s26, 11
	s_cbranch_scc0 .LBB206_453
; %bb.452:
	global_load_ubyte v2, v[0:1], off
	s_mov_b32 s20, 0
	s_mov_b64 s[0:1], -1
	s_waitcnt vmcnt(1)
	v_mov_b32_e32 v3, s20
	s_mov_b64 s[20:21], 0
	s_waitcnt vmcnt(0)
	v_cmp_ne_u16_e32 vcc, 0, v2
	v_cndmask_b32_e64 v2, 0, 1, vcc
	s_branch .LBB206_454
.LBB206_453:
	s_mov_b64 s[20:21], -1
                                        ; implicit-def: $vgpr2_vgpr3
.LBB206_454:
	s_branch .LBB206_261
.LBB206_455:
	s_cmp_lt_i32 s26, 5
	s_cbranch_scc1 .LBB206_460
; %bb.456:
	s_cmp_lt_i32 s26, 8
	s_cbranch_scc1 .LBB206_461
; %bb.457:
	;; [unrolled: 3-line block ×3, first 2 shown]
	s_cmp_gt_i32 s26, 9
	s_cbranch_scc0 .LBB206_463
; %bb.459:
	global_load_dwordx2 v[2:3], v[0:1], off
	s_movk_i32 s0, 0xffe0
	s_waitcnt vmcnt(0)
	v_trunc_f64_e32 v[2:3], v[2:3]
	v_ldexp_f64 v[4:5], v[2:3], s0
	s_mov_b32 s0, 0
	s_mov_b32 s1, 0xc1f00000
	v_floor_f64_e32 v[4:5], v[4:5]
	v_fma_f64 v[6:7], v[4:5], s[0:1], v[2:3]
	v_cvt_i32_f64_e32 v3, v[4:5]
	s_mov_b64 s[0:1], 0
	v_cvt_u32_f64_e32 v2, v[6:7]
	s_branch .LBB206_464
.LBB206_460:
	s_mov_b64 s[0:1], -1
                                        ; implicit-def: $vgpr2_vgpr3
	s_branch .LBB206_482
.LBB206_461:
	s_mov_b64 s[0:1], -1
                                        ; implicit-def: $vgpr2_vgpr3
	s_branch .LBB206_470
.LBB206_462:
	s_mov_b64 s[0:1], -1
                                        ; implicit-def: $vgpr2_vgpr3
	s_branch .LBB206_467
.LBB206_463:
	s_mov_b64 s[0:1], -1
                                        ; implicit-def: $vgpr2_vgpr3
.LBB206_464:
	s_andn2_b64 vcc, exec, s[0:1]
	s_cbranch_vccnz .LBB206_466
; %bb.465:
	global_load_dword v2, v[0:1], off
	s_mov_b32 s0, 0x2f800000
	s_mov_b32 s1, 0xcf800000
	s_waitcnt vmcnt(0)
	v_trunc_f32_e32 v2, v2
	v_mul_f32_e64 v3, |v2|, s0
	v_floor_f32_e32 v3, v3
	v_cvt_u32_f32_e32 v4, v3
	v_fma_f32 v3, v3, s1, |v2|
	v_cvt_u32_f32_e32 v3, v3
	v_ashrrev_i32_e32 v5, 31, v2
	v_xor_b32_e32 v4, v4, v5
	v_xor_b32_e32 v2, v3, v5
	v_sub_co_u32_e32 v2, vcc, v2, v5
	v_subb_co_u32_e32 v3, vcc, v4, v5, vcc
.LBB206_466:
	s_mov_b64 s[0:1], 0
.LBB206_467:
	s_andn2_b64 vcc, exec, s[0:1]
	s_cbranch_vccnz .LBB206_469
; %bb.468:
	global_load_dword v2, v[0:1], off
	s_waitcnt vmcnt(0)
	v_cvt_f32_f16_e32 v2, v2
	v_cvt_i32_f32_e32 v2, v2
	v_ashrrev_i32_e32 v3, 31, v2
.LBB206_469:
	s_mov_b64 s[0:1], 0
.LBB206_470:
	s_andn2_b64 vcc, exec, s[0:1]
	s_cbranch_vccnz .LBB206_481
; %bb.471:
	s_cmp_lt_i32 s26, 6
	s_cbranch_scc1 .LBB206_474
; %bb.472:
	s_cmp_gt_i32 s26, 6
	s_cbranch_scc0 .LBB206_475
; %bb.473:
	global_load_dwordx2 v[2:3], v[0:1], off
	s_movk_i32 s0, 0xffe0
	s_waitcnt vmcnt(0)
	v_trunc_f64_e32 v[2:3], v[2:3]
	v_ldexp_f64 v[4:5], v[2:3], s0
	s_mov_b32 s0, 0
	s_mov_b32 s1, 0xc1f00000
	v_floor_f64_e32 v[4:5], v[4:5]
	v_fma_f64 v[6:7], v[4:5], s[0:1], v[2:3]
	v_cvt_i32_f64_e32 v3, v[4:5]
	s_mov_b64 s[0:1], 0
	v_cvt_u32_f64_e32 v2, v[6:7]
	s_branch .LBB206_476
.LBB206_474:
	s_mov_b64 s[0:1], -1
                                        ; implicit-def: $vgpr2_vgpr3
	s_branch .LBB206_479
.LBB206_475:
	s_mov_b64 s[0:1], -1
                                        ; implicit-def: $vgpr2_vgpr3
.LBB206_476:
	s_andn2_b64 vcc, exec, s[0:1]
	s_cbranch_vccnz .LBB206_478
; %bb.477:
	global_load_dword v2, v[0:1], off
	s_mov_b32 s0, 0x2f800000
	s_mov_b32 s1, 0xcf800000
	s_waitcnt vmcnt(0)
	v_trunc_f32_e32 v2, v2
	v_mul_f32_e64 v3, |v2|, s0
	v_floor_f32_e32 v3, v3
	v_cvt_u32_f32_e32 v4, v3
	v_fma_f32 v3, v3, s1, |v2|
	v_cvt_u32_f32_e32 v3, v3
	v_ashrrev_i32_e32 v5, 31, v2
	v_xor_b32_e32 v4, v4, v5
	v_xor_b32_e32 v2, v3, v5
	v_sub_co_u32_e32 v2, vcc, v2, v5
	v_subb_co_u32_e32 v3, vcc, v4, v5, vcc
.LBB206_478:
	s_mov_b64 s[0:1], 0
.LBB206_479:
	s_andn2_b64 vcc, exec, s[0:1]
	s_cbranch_vccnz .LBB206_481
; %bb.480:
	global_load_ushort v2, v[0:1], off
	s_waitcnt vmcnt(0)
	v_cvt_f32_f16_e32 v2, v2
	v_cvt_i32_f32_e32 v2, v2
	v_ashrrev_i32_e32 v3, 31, v2
.LBB206_481:
	s_mov_b64 s[0:1], 0
.LBB206_482:
	s_andn2_b64 vcc, exec, s[0:1]
	s_cbranch_vccnz .LBB206_502
; %bb.483:
	s_cmp_lt_i32 s26, 2
	s_cbranch_scc1 .LBB206_487
; %bb.484:
	s_cmp_lt_i32 s26, 3
	s_cbranch_scc1 .LBB206_488
; %bb.485:
	s_cmp_gt_i32 s26, 3
	s_cbranch_scc0 .LBB206_489
; %bb.486:
	global_load_dwordx2 v[2:3], v[0:1], off
	s_mov_b64 s[0:1], 0
	s_branch .LBB206_490
.LBB206_487:
	s_mov_b64 s[0:1], -1
                                        ; implicit-def: $vgpr2_vgpr3
	s_branch .LBB206_496
.LBB206_488:
	s_mov_b64 s[0:1], -1
                                        ; implicit-def: $vgpr2_vgpr3
	s_branch .LBB206_493
.LBB206_489:
	s_mov_b64 s[0:1], -1
                                        ; implicit-def: $vgpr2_vgpr3
.LBB206_490:
	s_andn2_b64 vcc, exec, s[0:1]
	s_cbranch_vccnz .LBB206_492
; %bb.491:
	global_load_dword v2, v[0:1], off
	s_waitcnt vmcnt(0)
	v_ashrrev_i32_e32 v3, 31, v2
.LBB206_492:
	s_mov_b64 s[0:1], 0
.LBB206_493:
	s_andn2_b64 vcc, exec, s[0:1]
	s_cbranch_vccnz .LBB206_495
; %bb.494:
	global_load_ushort v2, v[0:1], off
	s_waitcnt vmcnt(0)
	v_bfe_i32 v2, v2, 0, 16
	v_ashrrev_i32_e32 v3, 31, v2
.LBB206_495:
	s_mov_b64 s[0:1], 0
.LBB206_496:
	s_andn2_b64 vcc, exec, s[0:1]
	s_cbranch_vccnz .LBB206_502
; %bb.497:
	s_cmp_gt_i32 s26, 0
	s_cbranch_scc0 .LBB206_499
; %bb.498:
	global_load_sbyte v2, v[0:1], off
	s_mov_b64 s[0:1], 0
	s_waitcnt vmcnt(0)
	v_bfe_i32 v2, v2, 0, 16
	v_ashrrev_i32_e32 v3, 31, v2
	s_branch .LBB206_500
.LBB206_499:
	s_mov_b64 s[0:1], -1
                                        ; implicit-def: $vgpr2_vgpr3
.LBB206_500:
	s_andn2_b64 vcc, exec, s[0:1]
	s_cbranch_vccnz .LBB206_502
; %bb.501:
	global_load_ubyte v0, v[0:1], off
	s_mov_b32 s0, 0
	s_waitcnt vmcnt(1)
	v_mov_b32_e32 v3, s0
	s_waitcnt vmcnt(0)
	v_and_b32_e32 v2, 0xffff, v0
.LBB206_502:
	s_branch .LBB206_262
.LBB206_503:
	s_mov_b64 s[26:27], 0
                                        ; implicit-def: $vgpr10
	s_mov_b64 s[0:1], s[14:15]
.LBB206_504:
	s_andn2_b64 s[22:23], s[14:15], exec
	s_and_b64 s[0:1], s[0:1], exec
	s_or_b64 s[22:23], s[22:23], s[0:1]
	s_andn2_b64 s[0:1], s[16:17], exec
	s_and_b64 s[20:21], s[20:21], exec
	s_or_b64 s[20:21], s[0:1], s[20:21]
	s_orn2_b64 s[0:1], s[26:27], exec
.LBB206_505:
	s_or_b64 exec, exec, s[24:25]
	s_mov_b64 s[26:27], 0
	s_mov_b64 s[28:29], 0
	;; [unrolled: 1-line block ×3, first 2 shown]
                                        ; implicit-def: $vgpr0_vgpr1
                                        ; implicit-def: $vgpr4_vgpr5
	s_and_saveexec_b64 s[24:25], s[0:1]
	s_cbranch_execz .LBB206_842
; %bb.506:
	v_cmp_gt_i32_e32 vcc, s40, v10
	s_mov_b64 s[36:37], -1
	s_mov_b64 s[0:1], s[20:21]
	s_mov_b64 s[30:31], s[22:23]
	s_and_saveexec_b64 s[26:27], vcc
	s_cbranch_execz .LBB206_760
; %bb.507:
	v_mul_lo_u32 v0, v10, s3
	v_mov_b32_e32 v1, s11
	s_and_b32 s34, 0xffff, s44
	s_cmp_lt_i32 s34, 11
	s_waitcnt vmcnt(0)
	v_ashrrev_i32_e32 v2, 31, v0
	v_add_co_u32_e32 v0, vcc, s10, v0
	v_addc_co_u32_e32 v1, vcc, v1, v2, vcc
	s_cbranch_scc1 .LBB206_514
; %bb.508:
	s_cmp_gt_i32 s34, 25
	s_cbranch_scc0 .LBB206_515
; %bb.509:
	s_cmp_gt_i32 s34, 28
	s_cbranch_scc0 .LBB206_516
	;; [unrolled: 3-line block ×4, first 2 shown]
; %bb.512:
	s_cmp_eq_u32 s34, 46
	s_mov_b64 s[30:31], 0
	s_cbranch_scc0 .LBB206_523
; %bb.513:
	global_load_dword v2, v[0:1], off
	s_mov_b32 s0, 0x2f800000
	s_mov_b32 s1, 0xcf800000
	s_waitcnt vmcnt(0)
	v_lshlrev_b32_e32 v2, 16, v2
	v_trunc_f32_e32 v2, v2
	v_mul_f32_e64 v3, |v2|, s0
	v_floor_f32_e32 v3, v3
	v_fma_f32 v4, v3, s1, |v2|
	v_cvt_u32_f32_e32 v4, v4
	v_cvt_u32_f32_e32 v3, v3
	v_ashrrev_i32_e32 v5, 31, v2
	s_mov_b64 s[0:1], -1
	v_xor_b32_e32 v2, v4, v5
	v_xor_b32_e32 v3, v3, v5
	v_sub_co_u32_e32 v2, vcc, v2, v5
	v_subb_co_u32_e32 v3, vcc, v3, v5, vcc
	s_branch .LBB206_524
.LBB206_514:
	s_mov_b64 s[30:31], -1
	s_mov_b64 s[0:1], 0
                                        ; implicit-def: $vgpr2_vgpr3
	s_mov_b64 s[28:29], s[20:21]
	s_branch .LBB206_585
.LBB206_515:
	s_mov_b64 s[30:31], -1
	s_mov_b64 s[0:1], 0
	s_mov_b64 s[28:29], s[20:21]
                                        ; implicit-def: $vgpr2_vgpr3
	s_branch .LBB206_553
.LBB206_516:
	s_mov_b64 s[30:31], -1
	s_mov_b64 s[0:1], 0
	s_mov_b64 s[28:29], s[20:21]
                                        ; implicit-def: $vgpr2_vgpr3
	s_branch .LBB206_534
.LBB206_517:
	s_mov_b64 s[30:31], -1
	s_mov_b64 s[0:1], 0
	s_mov_b64 s[28:29], s[20:21]
                                        ; implicit-def: $vgpr2_vgpr3
	s_branch .LBB206_529
.LBB206_518:
	s_andn2_saveexec_b64 s[28:29], s[28:29]
	s_cbranch_execz .LBB206_307
.LBB206_519:
	s_mov_b32 s34, 0x46000000
	v_add_f32_e64 v5, |v4|, s34
	v_and_b32_e32 v5, 0xff, v5
	v_cmp_ne_u32_e32 vcc, 0, v5
	s_andn2_b64 s[26:27], s[26:27], exec
	s_and_b64 s[34:35], vcc, exec
	s_or_b64 s[26:27], s[26:27], s[34:35]
	s_or_b64 exec, exec, s[28:29]
	v_mov_b32_e32 v6, 0
	s_and_saveexec_b64 s[28:29], s[26:27]
	s_cbranch_execnz .LBB206_308
	s_branch .LBB206_309
.LBB206_520:
	s_mov_b64 s[30:31], -1
	s_mov_b64 s[0:1], 0
	s_mov_b64 s[28:29], s[20:21]
                                        ; implicit-def: $vgpr2_vgpr3
	s_branch .LBB206_524
.LBB206_521:
	s_andn2_saveexec_b64 s[28:29], s[28:29]
	s_cbranch_execz .LBB206_320
.LBB206_522:
	s_mov_b32 s34, 0x42800000
	v_add_f32_e64 v5, |v4|, s34
	v_and_b32_e32 v5, 0xff, v5
	v_cmp_ne_u32_e32 vcc, 0, v5
	s_andn2_b64 s[26:27], s[26:27], exec
	s_and_b64 s[34:35], vcc, exec
	s_or_b64 s[26:27], s[26:27], s[34:35]
	s_or_b64 exec, exec, s[28:29]
	v_mov_b32_e32 v6, 0
	s_and_saveexec_b64 s[28:29], s[26:27]
	s_cbranch_execnz .LBB206_321
	s_branch .LBB206_322
.LBB206_523:
	s_mov_b64 s[28:29], -1
                                        ; implicit-def: $vgpr2_vgpr3
	s_mov_b64 s[0:1], 0
.LBB206_524:
	s_and_b64 vcc, exec, s[30:31]
	s_cbranch_vccz .LBB206_528
; %bb.525:
	s_cmp_eq_u32 s34, 44
	s_cbranch_scc0 .LBB206_527
; %bb.526:
	global_load_ubyte v2, v[0:1], off
	s_mov_b32 s0, 0x2f800000
	s_mov_b32 s1, 0xcf800000
	s_mov_b64 s[28:29], 0
	s_waitcnt vmcnt(0)
	v_lshlrev_b32_e32 v3, 23, v2
	v_trunc_f32_e32 v3, v3
	v_mul_f32_e64 v4, |v3|, s0
	v_floor_f32_e32 v4, v4
	v_fma_f32 v5, v4, s1, |v3|
	v_cvt_u32_f32_e32 v5, v5
	v_cvt_u32_f32_e32 v4, v4
	v_ashrrev_i32_e32 v3, 31, v3
	s_mov_b64 s[0:1], -1
	v_xor_b32_e32 v5, v5, v3
	v_xor_b32_e32 v4, v4, v3
	v_sub_co_u32_e32 v5, vcc, v5, v3
	v_subb_co_u32_e32 v3, vcc, v4, v3, vcc
	v_cmp_ne_u32_e32 vcc, 0, v2
	v_cndmask_b32_e32 v3, 0, v3, vcc
	v_cndmask_b32_e32 v2, 0, v5, vcc
	s_branch .LBB206_528
.LBB206_527:
	s_mov_b64 s[28:29], -1
                                        ; implicit-def: $vgpr2_vgpr3
.LBB206_528:
	s_mov_b64 s[30:31], 0
.LBB206_529:
	s_and_b64 vcc, exec, s[30:31]
	s_cbranch_vccz .LBB206_533
; %bb.530:
	s_cmp_eq_u32 s34, 29
	s_cbranch_scc0 .LBB206_532
; %bb.531:
	global_load_dwordx2 v[2:3], v[0:1], off
	s_mov_b64 s[0:1], -1
	s_mov_b64 s[28:29], 0
	s_branch .LBB206_533
.LBB206_532:
	s_mov_b64 s[28:29], -1
                                        ; implicit-def: $vgpr2_vgpr3
.LBB206_533:
	s_mov_b64 s[30:31], 0
.LBB206_534:
	s_and_b64 vcc, exec, s[30:31]
	s_cbranch_vccz .LBB206_552
; %bb.535:
	s_cmp_lt_i32 s34, 27
	s_cbranch_scc1 .LBB206_538
; %bb.536:
	s_cmp_gt_i32 s34, 27
	s_cbranch_scc0 .LBB206_539
; %bb.537:
	global_load_dword v2, v[0:1], off
	s_waitcnt vmcnt(1)
	v_mov_b32_e32 v3, 0
	s_mov_b64 s[0:1], 0
	s_branch .LBB206_540
.LBB206_538:
	s_mov_b64 s[0:1], -1
                                        ; implicit-def: $vgpr2_vgpr3
	s_branch .LBB206_543
.LBB206_539:
	s_mov_b64 s[0:1], -1
                                        ; implicit-def: $vgpr2_vgpr3
.LBB206_540:
	s_andn2_b64 vcc, exec, s[0:1]
	s_cbranch_vccnz .LBB206_542
; %bb.541:
	global_load_ushort v2, v[0:1], off
	s_mov_b32 s0, 0
	s_waitcnt vmcnt(1)
	v_mov_b32_e32 v3, s0
	s_waitcnt vmcnt(0)
	v_and_b32_e32 v2, 0xffff, v2
.LBB206_542:
	s_mov_b64 s[0:1], 0
.LBB206_543:
	s_andn2_b64 vcc, exec, s[0:1]
	s_cbranch_vccnz .LBB206_551
; %bb.544:
	global_load_ubyte v4, v[0:1], off
	s_movk_i32 s0, 0x7f
	s_mov_b64 s[30:31], 0
	s_waitcnt vmcnt(0)
	v_cmp_lt_i16_e32 vcc, s0, v4
	s_and_saveexec_b64 s[0:1], vcc
	s_xor_b64 s[0:1], exec, s[0:1]
; %bb.545:
	s_movk_i32 s30, 0x80
	v_cmp_ne_u16_e32 vcc, s30, v4
	s_and_b64 s[30:31], vcc, exec
; %bb.546:
	s_andn2_saveexec_b64 s[0:1], s[0:1]
; %bb.547:
	v_cmp_ne_u16_e32 vcc, 0, v4
	s_andn2_b64 s[30:31], s[30:31], exec
	s_and_b64 s[36:37], vcc, exec
	s_or_b64 s[30:31], s[30:31], s[36:37]
; %bb.548:
	s_or_b64 exec, exec, s[0:1]
	v_mov_b32_e32 v2, 0
	v_mov_b32_e32 v3, 0
	s_and_saveexec_b64 s[0:1], s[30:31]
	s_cbranch_execz .LBB206_550
; %bb.549:
	v_and_b32_e32 v3, 0xffff, v4
	v_lshlrev_b32_e32 v2, 24, v4
	v_and_b32_e32 v4, 7, v3
	v_ffbh_u32_e32 v6, v4
	v_min_u32_e32 v6, 32, v6
	v_subrev_u32_e32 v7, 28, v6
	v_bfe_u32 v5, v3, 3, 4
	v_lshlrev_b32_e32 v3, v7, v3
	v_sub_u32_e32 v6, 29, v6
	v_and_b32_e32 v3, 7, v3
	v_cmp_eq_u32_e32 vcc, 0, v5
	v_cndmask_b32_e32 v5, v5, v6, vcc
	v_cndmask_b32_e32 v3, v4, v3, vcc
	v_mov_b32_e32 v4, 0x3b800000
	v_lshlrev_b32_e32 v3, 20, v3
	v_and_b32_e32 v2, 0x80000000, v2
	v_lshl_add_u32 v4, v5, 23, v4
	v_or3_b32 v2, v2, v4, v3
	v_trunc_f32_e32 v2, v2
	s_mov_b32 s30, 0x2f800000
	v_mul_f32_e64 v3, |v2|, s30
	v_floor_f32_e32 v3, v3
	s_mov_b32 s30, 0xcf800000
	v_fma_f32 v4, v3, s30, |v2|
	v_cvt_u32_f32_e32 v4, v4
	v_cvt_u32_f32_e32 v3, v3
	v_ashrrev_i32_e32 v5, 31, v2
	v_xor_b32_e32 v2, v4, v5
	v_xor_b32_e32 v3, v3, v5
	v_sub_co_u32_e32 v2, vcc, v2, v5
	v_subb_co_u32_e32 v3, vcc, v3, v5, vcc
.LBB206_550:
	s_or_b64 exec, exec, s[0:1]
.LBB206_551:
	s_mov_b64 s[0:1], -1
.LBB206_552:
	s_mov_b64 s[30:31], 0
.LBB206_553:
	s_and_b64 vcc, exec, s[30:31]
	s_cbranch_vccz .LBB206_584
; %bb.554:
	s_cmp_gt_i32 s34, 22
	s_cbranch_scc0 .LBB206_564
; %bb.555:
	s_cmp_lt_i32 s34, 24
	s_cbranch_scc1 .LBB206_565
; %bb.556:
	s_cmp_gt_i32 s34, 24
	s_cbranch_scc0 .LBB206_566
; %bb.557:
	global_load_ubyte v4, v[0:1], off
	s_movk_i32 s0, 0x7f
	s_mov_b64 s[30:31], 0
	s_waitcnt vmcnt(0)
	v_cmp_lt_i16_e32 vcc, s0, v4
	s_and_saveexec_b64 s[0:1], vcc
	s_xor_b64 s[0:1], exec, s[0:1]
; %bb.558:
	s_movk_i32 s30, 0x80
	v_cmp_ne_u16_e32 vcc, s30, v4
	s_and_b64 s[30:31], vcc, exec
; %bb.559:
	s_andn2_saveexec_b64 s[0:1], s[0:1]
; %bb.560:
	v_cmp_ne_u16_e32 vcc, 0, v4
	s_andn2_b64 s[30:31], s[30:31], exec
	s_and_b64 s[36:37], vcc, exec
	s_or_b64 s[30:31], s[30:31], s[36:37]
; %bb.561:
	s_or_b64 exec, exec, s[0:1]
	v_mov_b32_e32 v2, 0
	v_mov_b32_e32 v3, 0
	s_and_saveexec_b64 s[0:1], s[30:31]
	s_cbranch_execz .LBB206_563
; %bb.562:
	v_and_b32_e32 v3, 0xffff, v4
	v_lshlrev_b32_e32 v2, 24, v4
	v_and_b32_e32 v4, 3, v3
	v_ffbh_u32_e32 v6, v4
	v_min_u32_e32 v6, 32, v6
	v_subrev_u32_e32 v7, 29, v6
	v_bfe_u32 v5, v3, 2, 5
	v_lshlrev_b32_e32 v3, v7, v3
	v_sub_u32_e32 v6, 30, v6
	v_and_b32_e32 v3, 3, v3
	v_cmp_eq_u32_e32 vcc, 0, v5
	v_cndmask_b32_e32 v5, v5, v6, vcc
	v_cndmask_b32_e32 v3, v4, v3, vcc
	v_mov_b32_e32 v4, 0x37800000
	v_lshlrev_b32_e32 v3, 21, v3
	v_and_b32_e32 v2, 0x80000000, v2
	v_lshl_add_u32 v4, v5, 23, v4
	v_or3_b32 v2, v2, v4, v3
	v_trunc_f32_e32 v2, v2
	s_mov_b32 s30, 0x2f800000
	v_mul_f32_e64 v3, |v2|, s30
	v_floor_f32_e32 v3, v3
	s_mov_b32 s30, 0xcf800000
	v_fma_f32 v4, v3, s30, |v2|
	v_cvt_u32_f32_e32 v4, v4
	v_cvt_u32_f32_e32 v3, v3
	v_ashrrev_i32_e32 v5, 31, v2
	v_xor_b32_e32 v2, v4, v5
	v_xor_b32_e32 v3, v3, v5
	v_sub_co_u32_e32 v2, vcc, v2, v5
	v_subb_co_u32_e32 v3, vcc, v3, v5, vcc
.LBB206_563:
	s_or_b64 exec, exec, s[0:1]
	s_mov_b64 s[0:1], 0
	s_branch .LBB206_567
.LBB206_564:
	s_mov_b64 s[30:31], -1
                                        ; implicit-def: $vgpr2_vgpr3
	s_branch .LBB206_573
.LBB206_565:
	s_mov_b64 s[0:1], -1
                                        ; implicit-def: $vgpr2_vgpr3
	s_branch .LBB206_570
.LBB206_566:
	s_mov_b64 s[0:1], -1
                                        ; implicit-def: $vgpr2_vgpr3
.LBB206_567:
	s_and_b64 vcc, exec, s[0:1]
	s_cbranch_vccz .LBB206_569
; %bb.568:
	global_load_ubyte v2, v[0:1], off
	s_mov_b32 s0, 0x7f800000
	s_brev_b32 s1, 1
	s_mov_b32 s30, 0x2f800000
	s_mov_b32 s31, 0xcf800000
	s_waitcnt vmcnt(0)
	v_lshlrev_b32_e32 v2, 24, v2
	v_and_b32_e32 v3, 0x7f000000, v2
	v_ffbh_u32_e32 v4, v3
	v_min_u32_e32 v4, 32, v4
	v_sub_u32_e64 v4, v4, 4 clamp
	v_lshlrev_b32_e32 v6, v4, v3
	v_lshlrev_b32_e32 v4, 23, v4
	v_lshrrev_b32_e32 v6, 4, v6
	v_add_u32_e32 v5, 0x1000000, v3
	v_sub_u32_e32 v4, v6, v4
	v_ashrrev_i32_e32 v5, 8, v5
	v_add_u32_e32 v4, 0x3c000000, v4
	v_and_or_b32 v4, v5, s0, v4
	v_cmp_ne_u32_e32 vcc, 0, v3
	v_cndmask_b32_e32 v3, 0, v4, vcc
	v_and_or_b32 v2, v2, s1, v3
	v_trunc_f32_e32 v2, v2
	v_mul_f32_e64 v3, |v2|, s30
	v_floor_f32_e32 v3, v3
	v_fma_f32 v4, v3, s31, |v2|
	v_cvt_u32_f32_e32 v4, v4
	v_cvt_u32_f32_e32 v3, v3
	v_ashrrev_i32_e32 v5, 31, v2
	v_xor_b32_e32 v2, v4, v5
	v_xor_b32_e32 v3, v3, v5
	v_sub_co_u32_e32 v2, vcc, v2, v5
	v_subb_co_u32_e32 v3, vcc, v3, v5, vcc
.LBB206_569:
	s_mov_b64 s[0:1], 0
.LBB206_570:
	s_andn2_b64 vcc, exec, s[0:1]
	s_cbranch_vccnz .LBB206_572
; %bb.571:
	global_load_ubyte v2, v[0:1], off
	s_movk_i32 s0, 0x7f00
	s_brev_b32 s1, 16
	s_brev_b32 s30, 1
	s_mov_b32 s31, 0x2f800000
	s_mov_b32 s35, 0xcf800000
	s_waitcnt vmcnt(0)
	v_lshlrev_b16_e32 v3, 8, v2
	v_lshlrev_b32_e32 v2, 25, v2
	v_lshrrev_b32_e32 v4, 4, v2
	v_and_or_b32 v5, v3, s0, 0.5
	v_or_b32_e32 v4, 0x70000000, v4
	v_add_f32_e32 v5, -0.5, v5
	v_mul_f32_e32 v4, 0x7800000, v4
	v_cmp_gt_u32_e32 vcc, s1, v2
	v_bfe_i32 v3, v3, 0, 16
	v_cndmask_b32_e32 v2, v4, v5, vcc
	v_and_or_b32 v2, v3, s30, v2
	v_trunc_f32_e32 v2, v2
	v_mul_f32_e64 v3, |v2|, s31
	v_floor_f32_e32 v3, v3
	v_fma_f32 v4, v3, s35, |v2|
	v_cvt_u32_f32_e32 v4, v4
	v_cvt_u32_f32_e32 v3, v3
	v_ashrrev_i32_e32 v5, 31, v2
	v_xor_b32_e32 v2, v4, v5
	v_xor_b32_e32 v3, v3, v5
	v_sub_co_u32_e32 v2, vcc, v2, v5
	v_subb_co_u32_e32 v3, vcc, v3, v5, vcc
.LBB206_572:
	s_mov_b64 s[30:31], 0
	s_mov_b64 s[0:1], -1
.LBB206_573:
	s_andn2_b64 vcc, exec, s[30:31]
	s_cbranch_vccnz .LBB206_584
; %bb.574:
	s_cmp_gt_i32 s34, 14
	s_cbranch_scc0 .LBB206_577
; %bb.575:
	s_cmp_eq_u32 s34, 15
	s_cbranch_scc0 .LBB206_578
; %bb.576:
	global_load_ushort v2, v[0:1], off
	s_mov_b32 s0, 0x2f800000
	s_mov_b32 s1, 0xcf800000
	s_mov_b64 s[28:29], 0
	s_waitcnt vmcnt(0)
	v_lshlrev_b32_e32 v2, 16, v2
	v_trunc_f32_e32 v2, v2
	v_mul_f32_e64 v3, |v2|, s0
	v_floor_f32_e32 v3, v3
	v_fma_f32 v4, v3, s1, |v2|
	v_cvt_u32_f32_e32 v4, v4
	v_cvt_u32_f32_e32 v3, v3
	v_ashrrev_i32_e32 v5, 31, v2
	s_mov_b64 s[0:1], -1
	v_xor_b32_e32 v2, v4, v5
	v_xor_b32_e32 v3, v3, v5
	v_sub_co_u32_e32 v2, vcc, v2, v5
	v_subb_co_u32_e32 v3, vcc, v3, v5, vcc
	s_branch .LBB206_579
.LBB206_577:
	s_mov_b64 s[30:31], -1
                                        ; implicit-def: $vgpr2_vgpr3
	s_branch .LBB206_580
.LBB206_578:
	s_mov_b64 s[28:29], -1
                                        ; implicit-def: $vgpr2_vgpr3
.LBB206_579:
	s_mov_b64 s[30:31], 0
.LBB206_580:
	s_and_b64 vcc, exec, s[30:31]
	s_cbranch_vccz .LBB206_584
; %bb.581:
	s_cmp_eq_u32 s34, 11
	s_cbranch_scc0 .LBB206_583
; %bb.582:
	global_load_ubyte v2, v[0:1], off
	s_mov_b32 s28, 0
	s_mov_b64 s[0:1], -1
	s_waitcnt vmcnt(1)
	v_mov_b32_e32 v3, s28
	s_mov_b64 s[28:29], 0
	s_waitcnt vmcnt(0)
	v_cmp_ne_u16_e32 vcc, 0, v2
	v_cndmask_b32_e64 v2, 0, 1, vcc
	s_branch .LBB206_584
.LBB206_583:
	s_mov_b64 s[28:29], -1
                                        ; implicit-def: $vgpr2_vgpr3
.LBB206_584:
	s_mov_b64 s[30:31], 0
.LBB206_585:
	s_and_b64 vcc, exec, s[30:31]
	s_cbranch_vccz .LBB206_634
; %bb.586:
	s_cmp_lt_i32 s34, 5
	s_cbranch_scc1 .LBB206_591
; %bb.587:
	s_cmp_lt_i32 s34, 8
	s_cbranch_scc1 .LBB206_592
	;; [unrolled: 3-line block ×3, first 2 shown]
; %bb.589:
	s_cmp_gt_i32 s34, 9
	s_cbranch_scc0 .LBB206_594
; %bb.590:
	global_load_dwordx2 v[2:3], v[0:1], off
	s_movk_i32 s0, 0xffe0
	s_waitcnt vmcnt(0)
	v_trunc_f64_e32 v[2:3], v[2:3]
	v_ldexp_f64 v[4:5], v[2:3], s0
	s_mov_b32 s0, 0
	s_mov_b32 s1, 0xc1f00000
	v_floor_f64_e32 v[4:5], v[4:5]
	v_fma_f64 v[6:7], v[4:5], s[0:1], v[2:3]
	v_cvt_i32_f64_e32 v3, v[4:5]
	s_mov_b64 s[0:1], 0
	v_cvt_u32_f64_e32 v2, v[6:7]
	s_branch .LBB206_595
.LBB206_591:
	s_mov_b64 s[0:1], -1
                                        ; implicit-def: $vgpr2_vgpr3
	s_branch .LBB206_613
.LBB206_592:
	s_mov_b64 s[0:1], -1
                                        ; implicit-def: $vgpr2_vgpr3
	s_branch .LBB206_601
.LBB206_593:
	s_mov_b64 s[0:1], -1
                                        ; implicit-def: $vgpr2_vgpr3
	s_branch .LBB206_598
.LBB206_594:
	s_mov_b64 s[0:1], -1
                                        ; implicit-def: $vgpr2_vgpr3
.LBB206_595:
	s_andn2_b64 vcc, exec, s[0:1]
	s_cbranch_vccnz .LBB206_597
; %bb.596:
	global_load_dword v2, v[0:1], off
	s_mov_b32 s0, 0x2f800000
	s_mov_b32 s1, 0xcf800000
	s_waitcnt vmcnt(0)
	v_trunc_f32_e32 v2, v2
	v_mul_f32_e64 v3, |v2|, s0
	v_floor_f32_e32 v3, v3
	v_cvt_u32_f32_e32 v4, v3
	v_fma_f32 v3, v3, s1, |v2|
	v_cvt_u32_f32_e32 v3, v3
	v_ashrrev_i32_e32 v5, 31, v2
	v_xor_b32_e32 v4, v4, v5
	v_xor_b32_e32 v2, v3, v5
	v_sub_co_u32_e32 v2, vcc, v2, v5
	v_subb_co_u32_e32 v3, vcc, v4, v5, vcc
.LBB206_597:
	s_mov_b64 s[0:1], 0
.LBB206_598:
	s_andn2_b64 vcc, exec, s[0:1]
	s_cbranch_vccnz .LBB206_600
; %bb.599:
	global_load_dword v2, v[0:1], off
	s_waitcnt vmcnt(0)
	v_cvt_f32_f16_e32 v2, v2
	v_cvt_i32_f32_e32 v2, v2
	v_ashrrev_i32_e32 v3, 31, v2
.LBB206_600:
	s_mov_b64 s[0:1], 0
.LBB206_601:
	s_andn2_b64 vcc, exec, s[0:1]
	s_cbranch_vccnz .LBB206_612
; %bb.602:
	s_cmp_lt_i32 s34, 6
	s_cbranch_scc1 .LBB206_605
; %bb.603:
	s_cmp_gt_i32 s34, 6
	s_cbranch_scc0 .LBB206_606
; %bb.604:
	global_load_dwordx2 v[2:3], v[0:1], off
	s_movk_i32 s0, 0xffe0
	s_waitcnt vmcnt(0)
	v_trunc_f64_e32 v[2:3], v[2:3]
	v_ldexp_f64 v[4:5], v[2:3], s0
	s_mov_b32 s0, 0
	s_mov_b32 s1, 0xc1f00000
	v_floor_f64_e32 v[4:5], v[4:5]
	v_fma_f64 v[6:7], v[4:5], s[0:1], v[2:3]
	v_cvt_i32_f64_e32 v3, v[4:5]
	s_mov_b64 s[0:1], 0
	v_cvt_u32_f64_e32 v2, v[6:7]
	s_branch .LBB206_607
.LBB206_605:
	s_mov_b64 s[0:1], -1
                                        ; implicit-def: $vgpr2_vgpr3
	s_branch .LBB206_610
.LBB206_606:
	s_mov_b64 s[0:1], -1
                                        ; implicit-def: $vgpr2_vgpr3
.LBB206_607:
	s_andn2_b64 vcc, exec, s[0:1]
	s_cbranch_vccnz .LBB206_609
; %bb.608:
	global_load_dword v2, v[0:1], off
	s_mov_b32 s0, 0x2f800000
	s_mov_b32 s1, 0xcf800000
	s_waitcnt vmcnt(0)
	v_trunc_f32_e32 v2, v2
	v_mul_f32_e64 v3, |v2|, s0
	v_floor_f32_e32 v3, v3
	v_cvt_u32_f32_e32 v4, v3
	v_fma_f32 v3, v3, s1, |v2|
	v_cvt_u32_f32_e32 v3, v3
	v_ashrrev_i32_e32 v5, 31, v2
	v_xor_b32_e32 v4, v4, v5
	v_xor_b32_e32 v2, v3, v5
	v_sub_co_u32_e32 v2, vcc, v2, v5
	v_subb_co_u32_e32 v3, vcc, v4, v5, vcc
.LBB206_609:
	s_mov_b64 s[0:1], 0
.LBB206_610:
	s_andn2_b64 vcc, exec, s[0:1]
	s_cbranch_vccnz .LBB206_612
; %bb.611:
	global_load_ushort v2, v[0:1], off
	s_waitcnt vmcnt(0)
	v_cvt_f32_f16_e32 v2, v2
	v_cvt_i32_f32_e32 v2, v2
	v_ashrrev_i32_e32 v3, 31, v2
.LBB206_612:
	s_mov_b64 s[0:1], 0
.LBB206_613:
	s_andn2_b64 vcc, exec, s[0:1]
	s_cbranch_vccnz .LBB206_633
; %bb.614:
	s_cmp_lt_i32 s34, 2
	s_cbranch_scc1 .LBB206_618
; %bb.615:
	s_cmp_lt_i32 s34, 3
	s_cbranch_scc1 .LBB206_619
; %bb.616:
	s_cmp_gt_i32 s34, 3
	s_cbranch_scc0 .LBB206_620
; %bb.617:
	global_load_dwordx2 v[2:3], v[0:1], off
	s_mov_b64 s[0:1], 0
	s_branch .LBB206_621
.LBB206_618:
	s_mov_b64 s[0:1], -1
                                        ; implicit-def: $vgpr2_vgpr3
	s_branch .LBB206_627
.LBB206_619:
	s_mov_b64 s[0:1], -1
                                        ; implicit-def: $vgpr2_vgpr3
	s_branch .LBB206_624
.LBB206_620:
	s_mov_b64 s[0:1], -1
                                        ; implicit-def: $vgpr2_vgpr3
.LBB206_621:
	s_andn2_b64 vcc, exec, s[0:1]
	s_cbranch_vccnz .LBB206_623
; %bb.622:
	global_load_dword v2, v[0:1], off
	s_waitcnt vmcnt(0)
	v_ashrrev_i32_e32 v3, 31, v2
.LBB206_623:
	s_mov_b64 s[0:1], 0
.LBB206_624:
	s_andn2_b64 vcc, exec, s[0:1]
	s_cbranch_vccnz .LBB206_626
; %bb.625:
	global_load_ushort v2, v[0:1], off
	s_waitcnt vmcnt(0)
	v_bfe_i32 v2, v2, 0, 16
	v_ashrrev_i32_e32 v3, 31, v2
.LBB206_626:
	s_mov_b64 s[0:1], 0
.LBB206_627:
	s_andn2_b64 vcc, exec, s[0:1]
	s_cbranch_vccnz .LBB206_633
; %bb.628:
	s_cmp_gt_i32 s34, 0
	s_cbranch_scc0 .LBB206_630
; %bb.629:
	global_load_sbyte v2, v[0:1], off
	s_mov_b64 s[0:1], 0
	s_waitcnt vmcnt(0)
	v_bfe_i32 v2, v2, 0, 16
	v_ashrrev_i32_e32 v3, 31, v2
	s_branch .LBB206_631
.LBB206_630:
	s_mov_b64 s[0:1], -1
                                        ; implicit-def: $vgpr2_vgpr3
.LBB206_631:
	s_andn2_b64 vcc, exec, s[0:1]
	s_cbranch_vccnz .LBB206_633
; %bb.632:
	global_load_ubyte v0, v[0:1], off
	s_mov_b32 s0, 0
	s_waitcnt vmcnt(1)
	v_mov_b32_e32 v3, s0
	s_waitcnt vmcnt(0)
	v_and_b32_e32 v2, 0xffff, v0
.LBB206_633:
	s_mov_b64 s[0:1], -1
.LBB206_634:
	s_andn2_b64 vcc, exec, s[0:1]
	s_cbranch_vccnz .LBB206_642
; %bb.635:
	v_mul_lo_u32 v4, v10, s2
	s_waitcnt vmcnt(0)
	v_ashrrev_i64 v[0:1], s45, v[2:3]
	v_mov_b32_e32 v3, s9
	s_and_b32 s38, s33, 0xff
	v_ashrrev_i32_e32 v5, 31, v4
	v_add_co_u32_e32 v2, vcc, s8, v4
	s_cmp_lt_i32 s38, 11
	v_addc_co_u32_e32 v3, vcc, v3, v5, vcc
	s_cbranch_scc1 .LBB206_643
; %bb.636:
	s_and_b32 s39, 0xffff, s38
	s_cmp_gt_i32 s39, 25
	s_cbranch_scc0 .LBB206_644
; %bb.637:
	s_cmp_gt_i32 s39, 28
	s_cbranch_scc0 .LBB206_645
; %bb.638:
	;; [unrolled: 3-line block ×4, first 2 shown]
	s_mov_b64 s[34:35], 0
	s_mov_b64 s[0:1], -1
	s_cmp_eq_u32 s39, 46
	s_mov_b64 s[30:31], 0
	s_cbranch_scc0 .LBB206_648
; %bb.641:
	v_xor_b32_e32 v5, v0, v1
	v_ffbh_i32_e32 v4, v1
	v_ashrrev_i32_e32 v5, 31, v5
	v_add_u32_e32 v4, -1, v4
	v_add_u32_e32 v5, 32, v5
	v_min_u32_e32 v6, v4, v5
	v_lshlrev_b64 v[4:5], v6, v[0:1]
	s_movk_i32 s0, 0x7fff
	v_min_u32_e32 v4, 1, v4
	v_or_b32_e32 v4, v5, v4
	v_cvt_f32_i32_e32 v4, v4
	v_sub_u32_e32 v5, 32, v6
	s_mov_b64 s[30:31], -1
	v_ldexp_f32 v4, v4, v5
	v_bfe_u32 v5, v4, 16, 1
	v_add3_u32 v4, v4, v5, s0
	v_lshrrev_b32_e32 v4, 16, v4
	global_store_dword v[2:3], v4, off
	s_mov_b64 s[0:1], 0
	s_branch .LBB206_648
.LBB206_642:
	s_mov_b64 s[34:35], 0
                                        ; implicit-def: $vgpr10
	s_mov_b64 s[0:1], s[22:23]
	s_branch .LBB206_759
.LBB206_643:
	s_mov_b64 s[34:35], -1
	s_mov_b64 s[30:31], 0
	s_mov_b64 s[0:1], s[22:23]
	s_branch .LBB206_717
.LBB206_644:
	s_mov_b64 s[34:35], -1
	s_mov_b64 s[30:31], 0
	s_mov_b64 s[0:1], s[22:23]
	s_branch .LBB206_675
.LBB206_645:
	s_mov_b64 s[34:35], -1
	s_mov_b64 s[30:31], 0
	s_mov_b64 s[0:1], s[22:23]
	s_branch .LBB206_658
.LBB206_646:
	s_mov_b64 s[34:35], -1
	s_mov_b64 s[30:31], 0
	s_mov_b64 s[0:1], s[22:23]
	s_branch .LBB206_654
.LBB206_647:
	s_mov_b64 s[34:35], -1
	s_mov_b64 s[30:31], 0
	s_mov_b64 s[0:1], s[22:23]
.LBB206_648:
	s_and_b64 vcc, exec, s[34:35]
	s_cbranch_vccz .LBB206_653
; %bb.649:
	s_cmp_eq_u32 s39, 44
	s_mov_b64 s[0:1], -1
	s_cbranch_scc0 .LBB206_653
; %bb.650:
	v_xor_b32_e32 v5, v0, v1
	v_ffbh_i32_e32 v4, v1
	v_ashrrev_i32_e32 v5, 31, v5
	v_add_u32_e32 v4, -1, v4
	v_add_u32_e32 v5, 32, v5
	v_min_u32_e32 v6, v4, v5
	v_lshlrev_b64 v[4:5], v6, v[0:1]
	s_movk_i32 s0, 0xff
	v_min_u32_e32 v4, 1, v4
	v_or_b32_e32 v4, v5, v4
	v_cvt_f32_i32_e32 v4, v4
	v_sub_u32_e32 v5, 32, v6
	v_mov_b32_e32 v6, 0xff
	v_ldexp_f32 v4, v4, v5
	v_bfe_u32 v5, v4, 23, 8
	v_cmp_ne_u32_e32 vcc, s0, v5
	s_and_saveexec_b64 s[30:31], vcc
; %bb.651:
	s_mov_b32 s0, 0x3fffff
	v_lshrrev_b32_e32 v6, 23, v4
	v_and_b32_e32 v7, 0x400000, v4
	v_and_or_b32 v4, v4, s0, v5
	v_cmp_ne_u32_e32 vcc, 0, v7
	v_cmp_ne_u32_e64 s[0:1], 0, v4
	s_and_b64 s[0:1], vcc, s[0:1]
	v_cndmask_b32_e64 v4, 0, 1, s[0:1]
	v_add_u32_e32 v6, v6, v4
; %bb.652:
	s_or_b64 exec, exec, s[30:31]
	s_mov_b64 s[30:31], -1
	s_mov_b64 s[0:1], 0
	global_store_byte v[2:3], v6, off
.LBB206_653:
	s_mov_b64 s[34:35], 0
.LBB206_654:
	s_and_b64 vcc, exec, s[34:35]
	s_cbranch_vccz .LBB206_657
; %bb.655:
	s_cmp_eq_u32 s39, 29
	s_mov_b64 s[0:1], -1
	s_cbranch_scc0 .LBB206_657
; %bb.656:
	global_store_dwordx2 v[2:3], v[0:1], off
	s_mov_b64 s[30:31], -1
	s_mov_b64 s[0:1], 0
.LBB206_657:
	s_mov_b64 s[34:35], 0
.LBB206_658:
	s_and_b64 vcc, exec, s[34:35]
	s_cbranch_vccz .LBB206_674
; %bb.659:
	s_cmp_lt_i32 s39, 27
	s_mov_b64 s[30:31], -1
	s_cbranch_scc1 .LBB206_665
; %bb.660:
	s_cmp_gt_i32 s39, 27
	s_cbranch_scc0 .LBB206_662
; %bb.661:
	s_mov_b64 s[30:31], 0
	global_store_dword v[2:3], v0, off
.LBB206_662:
	s_andn2_b64 vcc, exec, s[30:31]
	s_cbranch_vccnz .LBB206_664
; %bb.663:
	global_store_short v[2:3], v0, off
.LBB206_664:
	s_mov_b64 s[30:31], 0
.LBB206_665:
	s_andn2_b64 vcc, exec, s[30:31]
	s_cbranch_vccnz .LBB206_673
; %bb.666:
	v_xor_b32_e32 v5, v0, v1
	v_ffbh_i32_e32 v4, v1
	v_ashrrev_i32_e32 v5, 31, v5
	v_add_u32_e32 v4, -1, v4
	v_add_u32_e32 v5, 32, v5
	v_min_u32_e32 v6, v4, v5
	v_lshlrev_b64 v[4:5], v6, v[0:1]
	s_mov_b32 s30, 0x43800000
	v_min_u32_e32 v4, 1, v4
	v_or_b32_e32 v4, v5, v4
	v_cvt_f32_i32_e32 v4, v4
	v_sub_u32_e32 v5, 32, v6
	v_mov_b32_e32 v6, 0x80
	v_ldexp_f32 v4, v4, v5
	v_and_b32_e32 v5, 0x7fffffff, v4
	v_cmp_gt_u32_e32 vcc, s30, v5
	s_and_saveexec_b64 s[30:31], vcc
	s_cbranch_execz .LBB206_672
; %bb.667:
	s_mov_b32 s34, 0x3bffffff
	v_cmp_lt_u32_e32 vcc, s34, v5
	s_mov_b64 s[34:35], 0
                                        ; implicit-def: $vgpr5
	s_and_saveexec_b64 s[36:37], vcc
	s_xor_b64 s[36:37], exec, s[36:37]
	s_cbranch_execz .LBB206_773
; %bb.668:
	v_bfe_u32 v5, v4, 20, 1
	s_mov_b32 s41, 0x487ffff
	v_add3_u32 v5, v4, v5, s41
	s_mov_b64 s[34:35], exec
	v_lshrrev_b32_e32 v5, 20, v5
	s_andn2_saveexec_b64 s[36:37], s[36:37]
	s_cbranch_execnz .LBB206_774
.LBB206_669:
	s_or_b64 exec, exec, s[36:37]
	v_mov_b32_e32 v6, 0
	s_and_saveexec_b64 s[36:37], s[34:35]
.LBB206_670:
	v_lshrrev_b32_e32 v4, 24, v4
	s_movk_i32 s34, 0x80
	v_and_or_b32 v6, v4, s34, v5
.LBB206_671:
	s_or_b64 exec, exec, s[36:37]
.LBB206_672:
	s_or_b64 exec, exec, s[30:31]
	global_store_byte v[2:3], v6, off
.LBB206_673:
	s_mov_b64 s[30:31], -1
.LBB206_674:
	s_mov_b64 s[34:35], 0
.LBB206_675:
	s_and_b64 vcc, exec, s[34:35]
	s_cbranch_vccz .LBB206_716
; %bb.676:
	s_cmp_gt_i32 s39, 22
	s_mov_b64 s[34:35], -1
	s_cbranch_scc0 .LBB206_708
; %bb.677:
	s_cmp_lt_i32 s39, 24
	s_mov_b64 s[30:31], -1
	s_cbranch_scc1 .LBB206_697
; %bb.678:
	s_cmp_gt_i32 s39, 24
	s_cbranch_scc0 .LBB206_686
; %bb.679:
	v_xor_b32_e32 v5, v0, v1
	v_ffbh_i32_e32 v4, v1
	v_ashrrev_i32_e32 v5, 31, v5
	v_add_u32_e32 v4, -1, v4
	v_add_u32_e32 v5, 32, v5
	v_min_u32_e32 v6, v4, v5
	v_lshlrev_b64 v[4:5], v6, v[0:1]
	s_mov_b32 s30, 0x47800000
	v_min_u32_e32 v4, 1, v4
	v_or_b32_e32 v4, v5, v4
	v_cvt_f32_i32_e32 v4, v4
	v_sub_u32_e32 v5, 32, v6
	v_mov_b32_e32 v6, 0x80
	v_ldexp_f32 v4, v4, v5
	v_and_b32_e32 v5, 0x7fffffff, v4
	v_cmp_gt_u32_e32 vcc, s30, v5
	s_and_saveexec_b64 s[30:31], vcc
	s_cbranch_execz .LBB206_685
; %bb.680:
	s_mov_b32 s34, 0x37ffffff
	v_cmp_lt_u32_e32 vcc, s34, v5
	s_mov_b64 s[34:35], 0
                                        ; implicit-def: $vgpr5
	s_and_saveexec_b64 s[36:37], vcc
	s_xor_b64 s[36:37], exec, s[36:37]
	s_cbranch_execz .LBB206_776
; %bb.681:
	v_bfe_u32 v5, v4, 21, 1
	s_mov_b32 s41, 0x88fffff
	v_add3_u32 v5, v4, v5, s41
	s_mov_b64 s[34:35], exec
	v_lshrrev_b32_e32 v5, 21, v5
	s_andn2_saveexec_b64 s[36:37], s[36:37]
	s_cbranch_execnz .LBB206_777
.LBB206_682:
	s_or_b64 exec, exec, s[36:37]
	v_mov_b32_e32 v6, 0
	s_and_saveexec_b64 s[36:37], s[34:35]
.LBB206_683:
	v_lshrrev_b32_e32 v4, 24, v4
	s_movk_i32 s34, 0x80
	v_and_or_b32 v6, v4, s34, v5
.LBB206_684:
	s_or_b64 exec, exec, s[36:37]
.LBB206_685:
	s_or_b64 exec, exec, s[30:31]
	s_mov_b64 s[30:31], 0
	global_store_byte v[2:3], v6, off
.LBB206_686:
	s_and_b64 vcc, exec, s[30:31]
	s_cbranch_vccz .LBB206_696
; %bb.687:
	v_xor_b32_e32 v5, v0, v1
	v_ffbh_i32_e32 v4, v1
	v_ashrrev_i32_e32 v5, 31, v5
	v_add_u32_e32 v4, -1, v4
	v_add_u32_e32 v5, 32, v5
	v_min_u32_e32 v6, v4, v5
	v_lshlrev_b64 v[4:5], v6, v[0:1]
	s_mov_b32 s30, 0x43f00000
	v_min_u32_e32 v4, 1, v4
	v_or_b32_e32 v4, v5, v4
	v_cvt_f32_i32_e32 v4, v4
	v_sub_u32_e32 v5, 32, v6
	v_ldexp_f32 v4, v4, v5
	v_and_b32_e32 v6, 0x7fffffff, v4
	v_cmp_gt_u32_e32 vcc, s30, v6
                                        ; implicit-def: $vgpr5
	s_and_saveexec_b64 s[30:31], vcc
	s_xor_b64 s[30:31], exec, s[30:31]
	s_cbranch_execz .LBB206_693
; %bb.688:
	s_mov_b32 s34, 0x3c7fffff
	v_cmp_lt_u32_e32 vcc, s34, v6
                                        ; implicit-def: $vgpr5
	s_and_saveexec_b64 s[34:35], vcc
	s_xor_b64 s[34:35], exec, s[34:35]
; %bb.689:
	v_bfe_u32 v5, v4, 20, 1
	s_mov_b32 s36, 0x407ffff
	v_add3_u32 v5, v4, v5, s36
	v_lshrrev_b32_e32 v6, 20, v5
	v_and_b32_e32 v5, 0xff00000, v5
	s_mov_b32 s36, 0x7f00000
	v_mov_b32_e32 v7, 0x7e
	v_cmp_ne_u32_e32 vcc, s36, v5
	v_cndmask_b32_e32 v5, v7, v6, vcc
; %bb.690:
	s_andn2_saveexec_b64 s[34:35], s[34:35]
; %bb.691:
	s_mov_b32 s36, 0x46800000
	v_add_f32_e64 v5, |v4|, s36
; %bb.692:
	s_or_b64 exec, exec, s[34:35]
                                        ; implicit-def: $vgpr6
.LBB206_693:
	s_andn2_saveexec_b64 s[30:31], s[30:31]
; %bb.694:
	s_mov_b32 s34, 0x7f800000
	v_mov_b32_e32 v5, 0x7e
	v_mov_b32_e32 v7, 0x7f
	v_cmp_lt_u32_e32 vcc, s34, v6
	v_cndmask_b32_e32 v5, v5, v7, vcc
; %bb.695:
	s_or_b64 exec, exec, s[30:31]
	v_lshrrev_b32_e32 v4, 24, v4
	s_movk_i32 s30, 0x80
	v_and_or_b32 v4, v4, s30, v5
	global_store_byte v[2:3], v4, off
.LBB206_696:
	s_mov_b64 s[30:31], 0
.LBB206_697:
	s_andn2_b64 vcc, exec, s[30:31]
	s_cbranch_vccnz .LBB206_707
; %bb.698:
	v_xor_b32_e32 v5, v0, v1
	v_ffbh_i32_e32 v4, v1
	v_ashrrev_i32_e32 v5, 31, v5
	v_add_u32_e32 v4, -1, v4
	v_add_u32_e32 v5, 32, v5
	v_min_u32_e32 v6, v4, v5
	v_lshlrev_b64 v[4:5], v6, v[0:1]
	s_mov_b32 s30, 0x47800000
	v_min_u32_e32 v4, 1, v4
	v_or_b32_e32 v4, v5, v4
	v_cvt_f32_i32_e32 v4, v4
	v_sub_u32_e32 v5, 32, v6
	v_ldexp_f32 v4, v4, v5
	v_and_b32_e32 v6, 0x7fffffff, v4
	v_cmp_gt_u32_e32 vcc, s30, v6
                                        ; implicit-def: $vgpr5
	s_and_saveexec_b64 s[30:31], vcc
	s_xor_b64 s[30:31], exec, s[30:31]
	s_cbranch_execz .LBB206_704
; %bb.699:
	s_mov_b32 s34, 0x387fffff
	v_cmp_lt_u32_e32 vcc, s34, v6
                                        ; implicit-def: $vgpr5
	s_and_saveexec_b64 s[34:35], vcc
	s_xor_b64 s[34:35], exec, s[34:35]
; %bb.700:
	v_bfe_u32 v5, v4, 21, 1
	s_mov_b32 s36, 0x80fffff
	v_add3_u32 v5, v4, v5, s36
	v_lshrrev_b32_e32 v5, 21, v5
; %bb.701:
	s_andn2_saveexec_b64 s[34:35], s[34:35]
; %bb.702:
	s_mov_b32 s36, 0x43000000
	v_add_f32_e64 v5, |v4|, s36
; %bb.703:
	s_or_b64 exec, exec, s[34:35]
                                        ; implicit-def: $vgpr6
.LBB206_704:
	s_andn2_saveexec_b64 s[30:31], s[30:31]
; %bb.705:
	s_mov_b32 s34, 0x7f800000
	v_mov_b32_e32 v5, 0x7c
	v_mov_b32_e32 v7, 0x7f
	v_cmp_lt_u32_e32 vcc, s34, v6
	v_cndmask_b32_e32 v5, v5, v7, vcc
; %bb.706:
	s_or_b64 exec, exec, s[30:31]
	v_lshrrev_b32_e32 v4, 24, v4
	s_movk_i32 s30, 0x80
	v_and_or_b32 v4, v4, s30, v5
	global_store_byte v[2:3], v4, off
.LBB206_707:
	s_mov_b64 s[34:35], 0
	s_mov_b64 s[30:31], -1
.LBB206_708:
	s_andn2_b64 vcc, exec, s[34:35]
	s_cbranch_vccnz .LBB206_716
; %bb.709:
	s_cmp_gt_i32 s39, 14
	s_mov_b64 s[34:35], -1
	s_cbranch_scc0 .LBB206_713
; %bb.710:
	s_cmp_eq_u32 s39, 15
	s_mov_b64 s[0:1], -1
	s_cbranch_scc0 .LBB206_712
; %bb.711:
	v_xor_b32_e32 v5, v0, v1
	v_ffbh_i32_e32 v4, v1
	v_ashrrev_i32_e32 v5, 31, v5
	v_add_u32_e32 v4, -1, v4
	v_add_u32_e32 v5, 32, v5
	v_min_u32_e32 v6, v4, v5
	v_lshlrev_b64 v[4:5], v6, v[0:1]
	s_movk_i32 s0, 0x7fff
	v_min_u32_e32 v4, 1, v4
	v_or_b32_e32 v4, v5, v4
	v_cvt_f32_i32_e32 v4, v4
	v_sub_u32_e32 v5, 32, v6
	s_mov_b64 s[30:31], -1
	v_ldexp_f32 v4, v4, v5
	v_bfe_u32 v5, v4, 16, 1
	v_add3_u32 v4, v4, v5, s0
	global_store_short_d16_hi v[2:3], v4, off
	s_mov_b64 s[0:1], 0
.LBB206_712:
	s_mov_b64 s[34:35], 0
.LBB206_713:
	s_and_b64 vcc, exec, s[34:35]
	s_cbranch_vccz .LBB206_716
; %bb.714:
	s_cmp_eq_u32 s39, 11
	s_mov_b64 s[0:1], -1
	s_cbranch_scc0 .LBB206_716
; %bb.715:
	v_cmp_ne_u64_e32 vcc, 0, v[0:1]
	s_mov_b64 s[0:1], 0
	v_cndmask_b32_e64 v4, 0, 1, vcc
	s_mov_b64 s[30:31], -1
	global_store_byte v[2:3], v4, off
.LBB206_716:
	s_mov_b64 s[34:35], 0
.LBB206_717:
	s_and_b64 vcc, exec, s[34:35]
	s_cbranch_vccz .LBB206_756
; %bb.718:
	s_and_b32 s34, 0xffff, s38
	s_cmp_lt_i32 s34, 5
	s_mov_b64 s[30:31], -1
	s_cbranch_scc1 .LBB206_739
; %bb.719:
	s_cmp_lt_i32 s34, 8
	s_cbranch_scc1 .LBB206_729
; %bb.720:
	s_cmp_lt_i32 s34, 9
	s_cbranch_scc1 .LBB206_726
; %bb.721:
	s_cmp_gt_i32 s34, 9
	s_cbranch_scc0 .LBB206_723
; %bb.722:
	v_cvt_f64_i32_e32 v[4:5], v1
	v_cvt_f64_u32_e32 v[6:7], v0
	s_mov_b64 s[30:31], 0
	v_ldexp_f64 v[4:5], v[4:5], 32
	v_add_f64 v[4:5], v[4:5], v[6:7]
	v_mov_b32_e32 v6, 0
	v_mov_b32_e32 v7, v6
	global_store_dwordx4 v[2:3], v[4:7], off
.LBB206_723:
	s_andn2_b64 vcc, exec, s[30:31]
	s_cbranch_vccnz .LBB206_725
; %bb.724:
	v_xor_b32_e32 v5, v0, v1
	v_ffbh_i32_e32 v4, v1
	v_ashrrev_i32_e32 v5, 31, v5
	v_add_u32_e32 v4, -1, v4
	v_add_u32_e32 v5, 32, v5
	v_min_u32_e32 v6, v4, v5
	v_lshlrev_b64 v[4:5], v6, v[0:1]
	v_min_u32_e32 v4, 1, v4
	v_or_b32_e32 v4, v5, v4
	v_cvt_f32_i32_e32 v4, v4
	v_sub_u32_e32 v5, 32, v6
	v_ldexp_f32 v4, v4, v5
	v_mov_b32_e32 v5, 0
	global_store_dwordx2 v[2:3], v[4:5], off
.LBB206_725:
	s_mov_b64 s[30:31], 0
.LBB206_726:
	s_andn2_b64 vcc, exec, s[30:31]
	s_cbranch_vccnz .LBB206_728
; %bb.727:
	v_xor_b32_e32 v5, v0, v1
	v_ffbh_i32_e32 v4, v1
	v_ashrrev_i32_e32 v5, 31, v5
	v_add_u32_e32 v4, -1, v4
	v_add_u32_e32 v5, 32, v5
	v_min_u32_e32 v6, v4, v5
	v_lshlrev_b64 v[4:5], v6, v[0:1]
	v_min_u32_e32 v4, 1, v4
	v_or_b32_e32 v4, v5, v4
	v_cvt_f32_i32_e32 v4, v4
	v_sub_u32_e32 v5, 32, v6
	v_ldexp_f32 v4, v4, v5
	v_cvt_f16_f32_e32 v4, v4
	global_store_dword v[2:3], v4, off
.LBB206_728:
	s_mov_b64 s[30:31], 0
.LBB206_729:
	s_andn2_b64 vcc, exec, s[30:31]
	s_cbranch_vccnz .LBB206_738
; %bb.730:
	s_cmp_lt_i32 s34, 6
	s_mov_b64 s[30:31], -1
	s_cbranch_scc1 .LBB206_736
; %bb.731:
	s_cmp_gt_i32 s34, 6
	s_cbranch_scc0 .LBB206_733
; %bb.732:
	v_cvt_f64_i32_e32 v[4:5], v1
	v_cvt_f64_u32_e32 v[6:7], v0
	s_mov_b64 s[30:31], 0
	v_ldexp_f64 v[4:5], v[4:5], 32
	v_add_f64 v[4:5], v[4:5], v[6:7]
	global_store_dwordx2 v[2:3], v[4:5], off
.LBB206_733:
	s_andn2_b64 vcc, exec, s[30:31]
	s_cbranch_vccnz .LBB206_735
; %bb.734:
	v_xor_b32_e32 v5, v0, v1
	v_ffbh_i32_e32 v4, v1
	v_ashrrev_i32_e32 v5, 31, v5
	v_add_u32_e32 v4, -1, v4
	v_add_u32_e32 v5, 32, v5
	v_min_u32_e32 v6, v4, v5
	v_lshlrev_b64 v[4:5], v6, v[0:1]
	v_min_u32_e32 v4, 1, v4
	v_or_b32_e32 v4, v5, v4
	v_cvt_f32_i32_e32 v4, v4
	v_sub_u32_e32 v5, 32, v6
	v_ldexp_f32 v4, v4, v5
	global_store_dword v[2:3], v4, off
.LBB206_735:
	s_mov_b64 s[30:31], 0
.LBB206_736:
	s_andn2_b64 vcc, exec, s[30:31]
	s_cbranch_vccnz .LBB206_738
; %bb.737:
	v_xor_b32_e32 v5, v0, v1
	v_ffbh_i32_e32 v4, v1
	v_ashrrev_i32_e32 v5, 31, v5
	v_add_u32_e32 v4, -1, v4
	v_add_u32_e32 v5, 32, v5
	v_min_u32_e32 v6, v4, v5
	v_lshlrev_b64 v[4:5], v6, v[0:1]
	v_min_u32_e32 v4, 1, v4
	v_or_b32_e32 v4, v5, v4
	v_cvt_f32_i32_e32 v4, v4
	v_sub_u32_e32 v5, 32, v6
	v_ldexp_f32 v4, v4, v5
	v_cvt_f16_f32_e32 v4, v4
	global_store_short v[2:3], v4, off
.LBB206_738:
	s_mov_b64 s[30:31], 0
.LBB206_739:
	s_andn2_b64 vcc, exec, s[30:31]
	s_cbranch_vccnz .LBB206_755
; %bb.740:
	s_cmp_lt_i32 s34, 2
	s_mov_b64 s[30:31], -1
	s_cbranch_scc1 .LBB206_750
; %bb.741:
	s_cmp_lt_i32 s34, 3
	s_cbranch_scc1 .LBB206_747
; %bb.742:
	s_cmp_gt_i32 s34, 3
	s_cbranch_scc0 .LBB206_744
; %bb.743:
	s_mov_b64 s[30:31], 0
	global_store_dwordx2 v[2:3], v[0:1], off
.LBB206_744:
	s_andn2_b64 vcc, exec, s[30:31]
	s_cbranch_vccnz .LBB206_746
; %bb.745:
	global_store_dword v[2:3], v0, off
.LBB206_746:
	s_mov_b64 s[30:31], 0
.LBB206_747:
	s_andn2_b64 vcc, exec, s[30:31]
	s_cbranch_vccnz .LBB206_749
; %bb.748:
	global_store_short v[2:3], v0, off
.LBB206_749:
	s_mov_b64 s[30:31], 0
.LBB206_750:
	s_andn2_b64 vcc, exec, s[30:31]
	s_cbranch_vccnz .LBB206_755
; %bb.751:
	s_cmp_gt_i32 s34, 0
	s_mov_b64 s[30:31], -1
	s_cbranch_scc0 .LBB206_753
; %bb.752:
	s_mov_b64 s[30:31], 0
	global_store_byte v[2:3], v0, off
.LBB206_753:
	s_andn2_b64 vcc, exec, s[30:31]
	s_cbranch_vccnz .LBB206_755
; %bb.754:
	global_store_byte v[2:3], v0, off
.LBB206_755:
	s_mov_b64 s[30:31], -1
.LBB206_756:
	s_andn2_b64 vcc, exec, s[30:31]
	s_cbranch_vccnz .LBB206_758
; %bb.757:
	v_add_u32_e32 v10, 0x80, v10
	s_mov_b64 s[34:35], -1
	s_branch .LBB206_759
.LBB206_758:
	s_mov_b64 s[34:35], 0
                                        ; implicit-def: $vgpr10
.LBB206_759:
	s_andn2_b64 s[30:31], s[22:23], exec
	s_and_b64 s[0:1], s[0:1], exec
	s_or_b64 s[30:31], s[30:31], s[0:1]
	s_andn2_b64 s[0:1], s[20:21], exec
	s_and_b64 s[28:29], s[28:29], exec
	s_or_b64 s[0:1], s[0:1], s[28:29]
	s_orn2_b64 s[36:37], s[34:35], exec
.LBB206_760:
	s_or_b64 exec, exec, s[26:27]
	s_mov_b64 s[34:35], 0
	s_mov_b64 s[28:29], 0
	;; [unrolled: 1-line block ×3, first 2 shown]
                                        ; implicit-def: $vgpr0_vgpr1
                                        ; implicit-def: $vgpr4_vgpr5
	s_and_saveexec_b64 s[26:27], s[36:37]
	s_cbranch_execz .LBB206_841
; %bb.761:
	v_cmp_gt_i32_e32 vcc, s40, v10
	s_mov_b64 s[36:37], 0
	s_mov_b64 s[40:41], s[0:1]
	s_mov_b64 s[42:43], 0
                                        ; implicit-def: $vgpr0_vgpr1
                                        ; implicit-def: $vgpr4_vgpr5
	s_and_saveexec_b64 s[28:29], vcc
	s_cbranch_execz .LBB206_840
; %bb.762:
	v_mul_lo_u32 v0, v10, s3
	v_mov_b32_e32 v1, s11
	s_and_b32 s42, 0xffff, s44
	s_cmp_lt_i32 s42, 11
	s_waitcnt vmcnt(0)
	v_ashrrev_i32_e32 v2, 31, v0
	v_add_co_u32_e32 v0, vcc, s10, v0
	v_addc_co_u32_e32 v1, vcc, v1, v2, vcc
	s_cbranch_scc1 .LBB206_769
; %bb.763:
	s_cmp_gt_i32 s42, 25
	s_cbranch_scc0 .LBB206_770
; %bb.764:
	s_cmp_gt_i32 s42, 28
	s_cbranch_scc0 .LBB206_771
	;; [unrolled: 3-line block ×4, first 2 shown]
; %bb.767:
	s_cmp_eq_u32 s42, 46
	s_mov_b64 s[40:41], 0
	s_cbranch_scc0 .LBB206_778
; %bb.768:
	global_load_dword v2, v[0:1], off
	s_mov_b32 s34, 0x2f800000
	s_mov_b32 s35, 0xcf800000
	s_mov_b64 s[38:39], -1
	s_waitcnt vmcnt(0)
	v_lshlrev_b32_e32 v2, 16, v2
	v_trunc_f32_e32 v2, v2
	v_mul_f32_e64 v3, |v2|, s34
	v_floor_f32_e32 v3, v3
	v_fma_f32 v4, v3, s35, |v2|
	v_cvt_u32_f32_e32 v4, v4
	v_cvt_u32_f32_e32 v3, v3
	v_ashrrev_i32_e32 v2, 31, v2
	s_mov_b64 s[34:35], 0
	v_xor_b32_e32 v4, v4, v2
	v_xor_b32_e32 v3, v3, v2
	v_sub_co_u32_e32 v4, vcc, v4, v2
	v_subb_co_u32_e32 v5, vcc, v3, v2, vcc
	s_branch .LBB206_780
.LBB206_769:
	s_mov_b64 s[40:41], -1
                                        ; implicit-def: $vgpr4_vgpr5
	s_mov_b64 s[34:35], s[0:1]
	s_branch .LBB206_839
.LBB206_770:
	s_mov_b64 s[40:41], -1
	s_mov_b64 s[34:35], s[0:1]
                                        ; implicit-def: $vgpr4_vgpr5
	s_branch .LBB206_809
.LBB206_771:
	s_mov_b64 s[40:41], -1
	s_mov_b64 s[34:35], s[0:1]
                                        ; implicit-def: $vgpr4_vgpr5
	s_branch .LBB206_790
.LBB206_772:
	s_mov_b64 s[40:41], -1
	s_mov_b64 s[34:35], s[0:1]
                                        ; implicit-def: $vgpr4_vgpr5
	s_branch .LBB206_785
.LBB206_773:
	s_andn2_saveexec_b64 s[36:37], s[36:37]
	s_cbranch_execz .LBB206_669
.LBB206_774:
	s_mov_b32 s41, 0x46000000
	v_add_f32_e64 v5, |v4|, s41
	v_and_b32_e32 v5, 0xff, v5
	v_cmp_ne_u32_e32 vcc, 0, v5
	s_andn2_b64 s[34:35], s[34:35], exec
	s_and_b64 s[42:43], vcc, exec
	s_or_b64 s[34:35], s[34:35], s[42:43]
	s_or_b64 exec, exec, s[36:37]
	v_mov_b32_e32 v6, 0
	s_and_saveexec_b64 s[36:37], s[34:35]
	s_cbranch_execnz .LBB206_670
	s_branch .LBB206_671
.LBB206_775:
	s_mov_b64 s[40:41], -1
	s_mov_b64 s[34:35], s[0:1]
	s_branch .LBB206_779
.LBB206_776:
	s_andn2_saveexec_b64 s[36:37], s[36:37]
	s_cbranch_execz .LBB206_682
.LBB206_777:
	s_mov_b32 s41, 0x42800000
	v_add_f32_e64 v5, |v4|, s41
	v_and_b32_e32 v5, 0xff, v5
	v_cmp_ne_u32_e32 vcc, 0, v5
	s_andn2_b64 s[34:35], s[34:35], exec
	s_and_b64 s[42:43], vcc, exec
	s_or_b64 s[34:35], s[34:35], s[42:43]
	s_or_b64 exec, exec, s[36:37]
	v_mov_b32_e32 v6, 0
	s_and_saveexec_b64 s[36:37], s[34:35]
	s_cbranch_execnz .LBB206_683
	s_branch .LBB206_684
.LBB206_778:
	s_mov_b64 s[34:35], -1
.LBB206_779:
                                        ; implicit-def: $vgpr4_vgpr5
.LBB206_780:
	s_and_b64 vcc, exec, s[40:41]
	s_cbranch_vccz .LBB206_784
; %bb.781:
	s_cmp_eq_u32 s42, 44
	s_cbranch_scc0 .LBB206_783
; %bb.782:
	global_load_ubyte v2, v[0:1], off
	s_mov_b32 s34, 0x2f800000
	s_mov_b32 s35, 0xcf800000
	s_mov_b64 s[38:39], -1
	s_waitcnt vmcnt(0)
	v_lshlrev_b32_e32 v3, 23, v2
	v_trunc_f32_e32 v3, v3
	v_mul_f32_e64 v4, |v3|, s34
	v_floor_f32_e32 v4, v4
	v_fma_f32 v5, v4, s35, |v3|
	v_cvt_u32_f32_e32 v5, v5
	v_cvt_u32_f32_e32 v4, v4
	v_ashrrev_i32_e32 v3, 31, v3
	s_mov_b64 s[34:35], 0
	v_xor_b32_e32 v5, v5, v3
	v_xor_b32_e32 v4, v4, v3
	v_sub_co_u32_e32 v6, vcc, v5, v3
	v_subb_co_u32_e32 v3, vcc, v4, v3, vcc
	v_cmp_ne_u32_e32 vcc, 0, v2
	v_cndmask_b32_e32 v5, 0, v3, vcc
	v_cndmask_b32_e32 v4, 0, v6, vcc
	s_branch .LBB206_784
.LBB206_783:
	s_mov_b64 s[34:35], -1
                                        ; implicit-def: $vgpr4_vgpr5
.LBB206_784:
	s_mov_b64 s[40:41], 0
.LBB206_785:
	s_and_b64 vcc, exec, s[40:41]
	s_cbranch_vccz .LBB206_789
; %bb.786:
	s_cmp_eq_u32 s42, 29
	s_cbranch_scc0 .LBB206_788
; %bb.787:
	global_load_dwordx2 v[4:5], v[0:1], off
	s_mov_b64 s[34:35], 0
	s_mov_b64 s[38:39], -1
	s_branch .LBB206_789
.LBB206_788:
	s_mov_b64 s[34:35], -1
                                        ; implicit-def: $vgpr4_vgpr5
.LBB206_789:
	s_mov_b64 s[40:41], 0
.LBB206_790:
	s_and_b64 vcc, exec, s[40:41]
	s_cbranch_vccz .LBB206_808
; %bb.791:
	s_cmp_lt_i32 s42, 27
	s_cbranch_scc1 .LBB206_794
; %bb.792:
	s_cmp_gt_i32 s42, 27
	s_cbranch_scc0 .LBB206_795
; %bb.793:
	global_load_dword v4, v[0:1], off
	s_waitcnt vmcnt(1)
	v_mov_b32_e32 v5, 0
	s_mov_b64 s[38:39], 0
	s_branch .LBB206_796
.LBB206_794:
	s_mov_b64 s[38:39], -1
                                        ; implicit-def: $vgpr4_vgpr5
	s_branch .LBB206_799
.LBB206_795:
	s_mov_b64 s[38:39], -1
                                        ; implicit-def: $vgpr4_vgpr5
.LBB206_796:
	s_andn2_b64 vcc, exec, s[38:39]
	s_cbranch_vccnz .LBB206_798
; %bb.797:
	global_load_ushort v2, v[0:1], off
	s_mov_b32 s38, 0
	s_waitcnt vmcnt(1)
	v_mov_b32_e32 v5, s38
	s_waitcnt vmcnt(0)
	v_and_b32_e32 v4, 0xffff, v2
.LBB206_798:
	s_mov_b64 s[38:39], 0
.LBB206_799:
	s_andn2_b64 vcc, exec, s[38:39]
	s_cbranch_vccnz .LBB206_807
; %bb.800:
	global_load_ubyte v2, v[0:1], off
	s_movk_i32 s38, 0x7f
	s_mov_b64 s[40:41], 0
	s_waitcnt vmcnt(0)
	v_cmp_lt_i16_e32 vcc, s38, v2
	s_and_saveexec_b64 s[38:39], vcc
	s_xor_b64 s[38:39], exec, s[38:39]
; %bb.801:
	s_movk_i32 s40, 0x80
	v_cmp_ne_u16_e32 vcc, s40, v2
	s_and_b64 s[40:41], vcc, exec
; %bb.802:
	s_andn2_saveexec_b64 s[38:39], s[38:39]
; %bb.803:
	v_cmp_ne_u16_e32 vcc, 0, v2
	s_andn2_b64 s[40:41], s[40:41], exec
	s_and_b64 s[46:47], vcc, exec
	s_or_b64 s[40:41], s[40:41], s[46:47]
; %bb.804:
	s_or_b64 exec, exec, s[38:39]
	v_mov_b32_e32 v4, 0
	v_mov_b32_e32 v5, 0
	s_and_saveexec_b64 s[38:39], s[40:41]
	s_cbranch_execz .LBB206_806
; %bb.805:
	v_lshlrev_b32_e32 v3, 24, v2
	v_and_b32_e32 v2, 0xffff, v2
	v_and_b32_e32 v4, 7, v2
	v_ffbh_u32_e32 v6, v4
	v_min_u32_e32 v6, 32, v6
	v_subrev_u32_e32 v7, 28, v6
	v_bfe_u32 v5, v2, 3, 4
	v_lshlrev_b32_e32 v2, v7, v2
	v_sub_u32_e32 v6, 29, v6
	v_and_b32_e32 v2, 7, v2
	v_cmp_eq_u32_e32 vcc, 0, v5
	v_cndmask_b32_e32 v5, v5, v6, vcc
	v_cndmask_b32_e32 v2, v4, v2, vcc
	v_mov_b32_e32 v4, 0x3b800000
	v_lshlrev_b32_e32 v2, 20, v2
	v_and_b32_e32 v3, 0x80000000, v3
	v_lshl_add_u32 v4, v5, 23, v4
	v_or3_b32 v2, v3, v4, v2
	v_trunc_f32_e32 v2, v2
	s_mov_b32 s40, 0x2f800000
	v_mul_f32_e64 v3, |v2|, s40
	v_floor_f32_e32 v3, v3
	s_mov_b32 s40, 0xcf800000
	v_fma_f32 v4, v3, s40, |v2|
	v_cvt_u32_f32_e32 v4, v4
	v_cvt_u32_f32_e32 v3, v3
	v_ashrrev_i32_e32 v2, 31, v2
	v_xor_b32_e32 v4, v4, v2
	v_xor_b32_e32 v3, v3, v2
	v_sub_co_u32_e32 v4, vcc, v4, v2
	v_subb_co_u32_e32 v5, vcc, v3, v2, vcc
.LBB206_806:
	s_or_b64 exec, exec, s[38:39]
.LBB206_807:
	s_mov_b64 s[38:39], -1
.LBB206_808:
	s_mov_b64 s[40:41], 0
.LBB206_809:
	s_and_b64 vcc, exec, s[40:41]
	s_cbranch_vccz .LBB206_838
; %bb.810:
	s_cmp_gt_i32 s42, 22
	s_cbranch_scc0 .LBB206_820
; %bb.811:
	s_cmp_lt_i32 s42, 24
	s_cbranch_scc1 .LBB206_821
; %bb.812:
	s_cmp_gt_i32 s42, 24
	s_cbranch_scc0 .LBB206_822
; %bb.813:
	global_load_ubyte v2, v[0:1], off
	s_movk_i32 s36, 0x7f
	s_mov_b64 s[38:39], 0
	s_waitcnt vmcnt(0)
	v_cmp_lt_i16_e32 vcc, s36, v2
	s_and_saveexec_b64 s[36:37], vcc
	s_xor_b64 s[36:37], exec, s[36:37]
; %bb.814:
	s_movk_i32 s38, 0x80
	v_cmp_ne_u16_e32 vcc, s38, v2
	s_and_b64 s[38:39], vcc, exec
; %bb.815:
	s_andn2_saveexec_b64 s[36:37], s[36:37]
; %bb.816:
	v_cmp_ne_u16_e32 vcc, 0, v2
	s_andn2_b64 s[38:39], s[38:39], exec
	s_and_b64 s[40:41], vcc, exec
	s_or_b64 s[38:39], s[38:39], s[40:41]
; %bb.817:
	s_or_b64 exec, exec, s[36:37]
	v_mov_b32_e32 v4, 0
	v_mov_b32_e32 v5, 0
	s_and_saveexec_b64 s[36:37], s[38:39]
	s_cbranch_execz .LBB206_819
; %bb.818:
	v_lshlrev_b32_e32 v3, 24, v2
	v_and_b32_e32 v2, 0xffff, v2
	v_and_b32_e32 v4, 3, v2
	v_ffbh_u32_e32 v6, v4
	v_min_u32_e32 v6, 32, v6
	v_subrev_u32_e32 v7, 29, v6
	v_bfe_u32 v5, v2, 2, 5
	v_lshlrev_b32_e32 v2, v7, v2
	v_sub_u32_e32 v6, 30, v6
	v_and_b32_e32 v2, 3, v2
	v_cmp_eq_u32_e32 vcc, 0, v5
	v_cndmask_b32_e32 v5, v5, v6, vcc
	v_cndmask_b32_e32 v2, v4, v2, vcc
	v_mov_b32_e32 v4, 0x37800000
	v_lshlrev_b32_e32 v2, 21, v2
	v_and_b32_e32 v3, 0x80000000, v3
	v_lshl_add_u32 v4, v5, 23, v4
	v_or3_b32 v2, v3, v4, v2
	v_trunc_f32_e32 v2, v2
	s_mov_b32 s38, 0x2f800000
	v_mul_f32_e64 v3, |v2|, s38
	v_floor_f32_e32 v3, v3
	s_mov_b32 s38, 0xcf800000
	v_fma_f32 v4, v3, s38, |v2|
	v_cvt_u32_f32_e32 v4, v4
	v_cvt_u32_f32_e32 v3, v3
	v_ashrrev_i32_e32 v2, 31, v2
	v_xor_b32_e32 v4, v4, v2
	v_xor_b32_e32 v3, v3, v2
	v_sub_co_u32_e32 v4, vcc, v4, v2
	v_subb_co_u32_e32 v5, vcc, v3, v2, vcc
.LBB206_819:
	s_or_b64 exec, exec, s[36:37]
	s_mov_b64 s[36:37], 0
	s_branch .LBB206_823
.LBB206_820:
	s_mov_b64 s[36:37], -1
                                        ; implicit-def: $vgpr4_vgpr5
	s_branch .LBB206_829
.LBB206_821:
	s_mov_b64 s[36:37], -1
                                        ; implicit-def: $vgpr4_vgpr5
	s_branch .LBB206_826
.LBB206_822:
	s_mov_b64 s[36:37], -1
                                        ; implicit-def: $vgpr4_vgpr5
.LBB206_823:
	s_and_b64 vcc, exec, s[36:37]
	s_cbranch_vccz .LBB206_825
; %bb.824:
	global_load_ubyte v2, v[0:1], off
	s_mov_b32 s36, 0x7f800000
	s_brev_b32 s37, 1
	s_mov_b32 s38, 0x2f800000
	s_mov_b32 s39, 0xcf800000
	s_waitcnt vmcnt(0)
	v_lshlrev_b32_e32 v2, 24, v2
	v_and_b32_e32 v3, 0x7f000000, v2
	v_ffbh_u32_e32 v4, v3
	v_min_u32_e32 v4, 32, v4
	v_sub_u32_e64 v4, v4, 4 clamp
	v_lshlrev_b32_e32 v6, v4, v3
	v_lshlrev_b32_e32 v4, 23, v4
	v_lshrrev_b32_e32 v6, 4, v6
	v_add_u32_e32 v5, 0x1000000, v3
	v_sub_u32_e32 v4, v6, v4
	v_ashrrev_i32_e32 v5, 8, v5
	v_add_u32_e32 v4, 0x3c000000, v4
	v_and_or_b32 v4, v5, s36, v4
	v_cmp_ne_u32_e32 vcc, 0, v3
	v_cndmask_b32_e32 v3, 0, v4, vcc
	v_and_or_b32 v2, v2, s37, v3
	v_trunc_f32_e32 v2, v2
	v_mul_f32_e64 v3, |v2|, s38
	v_floor_f32_e32 v3, v3
	v_fma_f32 v4, v3, s39, |v2|
	v_cvt_u32_f32_e32 v4, v4
	v_cvt_u32_f32_e32 v3, v3
	v_ashrrev_i32_e32 v2, 31, v2
	v_xor_b32_e32 v4, v4, v2
	v_xor_b32_e32 v3, v3, v2
	v_sub_co_u32_e32 v4, vcc, v4, v2
	v_subb_co_u32_e32 v5, vcc, v3, v2, vcc
.LBB206_825:
	s_mov_b64 s[36:37], 0
.LBB206_826:
	s_andn2_b64 vcc, exec, s[36:37]
	s_cbranch_vccnz .LBB206_828
; %bb.827:
	global_load_ubyte v2, v[0:1], off
	s_movk_i32 s36, 0x7f00
	s_brev_b32 s37, 16
	s_brev_b32 s38, 1
	s_mov_b32 s39, 0x2f800000
	s_mov_b32 s40, 0xcf800000
	s_waitcnt vmcnt(0)
	v_lshlrev_b16_e32 v3, 8, v2
	v_lshlrev_b32_e32 v2, 25, v2
	v_lshrrev_b32_e32 v4, 4, v2
	v_and_or_b32 v5, v3, s36, 0.5
	v_or_b32_e32 v4, 0x70000000, v4
	v_add_f32_e32 v5, -0.5, v5
	v_mul_f32_e32 v4, 0x7800000, v4
	v_cmp_gt_u32_e32 vcc, s37, v2
	v_bfe_i32 v3, v3, 0, 16
	v_cndmask_b32_e32 v2, v4, v5, vcc
	v_and_or_b32 v2, v3, s38, v2
	v_trunc_f32_e32 v2, v2
	v_mul_f32_e64 v3, |v2|, s39
	v_floor_f32_e32 v3, v3
	v_fma_f32 v4, v3, s40, |v2|
	v_cvt_u32_f32_e32 v4, v4
	v_cvt_u32_f32_e32 v3, v3
	v_ashrrev_i32_e32 v2, 31, v2
	v_xor_b32_e32 v4, v4, v2
	v_xor_b32_e32 v3, v3, v2
	v_sub_co_u32_e32 v4, vcc, v4, v2
	v_subb_co_u32_e32 v5, vcc, v3, v2, vcc
.LBB206_828:
	s_mov_b64 s[36:37], 0
	s_mov_b64 s[38:39], -1
.LBB206_829:
	s_andn2_b64 vcc, exec, s[36:37]
	s_mov_b64 s[36:37], 0
	s_cbranch_vccnz .LBB206_838
; %bb.830:
	s_cmp_gt_i32 s42, 14
	s_cbranch_scc0 .LBB206_833
; %bb.831:
	s_cmp_eq_u32 s42, 15
	s_cbranch_scc0 .LBB206_834
; %bb.832:
	global_load_ushort v2, v[0:1], off
	s_mov_b32 s34, 0x2f800000
	s_mov_b32 s35, 0xcf800000
	s_mov_b64 s[38:39], -1
	s_waitcnt vmcnt(0)
	v_lshlrev_b32_e32 v2, 16, v2
	v_trunc_f32_e32 v2, v2
	v_mul_f32_e64 v3, |v2|, s34
	v_floor_f32_e32 v3, v3
	v_fma_f32 v4, v3, s35, |v2|
	v_cvt_u32_f32_e32 v4, v4
	v_cvt_u32_f32_e32 v3, v3
	v_ashrrev_i32_e32 v2, 31, v2
	s_mov_b64 s[34:35], 0
	v_xor_b32_e32 v4, v4, v2
	v_xor_b32_e32 v3, v3, v2
	v_sub_co_u32_e32 v4, vcc, v4, v2
	v_subb_co_u32_e32 v5, vcc, v3, v2, vcc
	s_branch .LBB206_835
.LBB206_833:
	s_mov_b64 s[40:41], -1
                                        ; implicit-def: $vgpr4_vgpr5
	s_branch .LBB206_836
.LBB206_834:
	s_mov_b64 s[34:35], -1
                                        ; implicit-def: $vgpr4_vgpr5
.LBB206_835:
	s_mov_b64 s[40:41], 0
.LBB206_836:
	s_and_b64 vcc, exec, s[40:41]
	s_cbranch_vccz .LBB206_838
; %bb.837:
	s_cmp_lg_u32 s42, 11
	s_cselect_b64 s[40:41], -1, 0
	s_andn2_b64 s[34:35], s[34:35], exec
	s_and_b64 s[40:41], s[40:41], exec
	s_mov_b64 s[36:37], -1
	s_or_b64 s[34:35], s[34:35], s[40:41]
.LBB206_838:
	s_mov_b64 s[40:41], 0
.LBB206_839:
	s_and_b64 s[42:43], s[40:41], exec
	s_andn2_b64 s[40:41], s[0:1], exec
	s_and_b64 s[34:35], s[34:35], exec
	s_and_b64 s[38:39], s[38:39], exec
	;; [unrolled: 1-line block ×3, first 2 shown]
	s_or_b64 s[40:41], s[40:41], s[34:35]
.LBB206_840:
	s_or_b64 exec, exec, s[28:29]
	s_and_b64 s[34:35], s[36:37], exec
	s_andn2_b64 s[0:1], s[0:1], exec
	s_and_b64 s[36:37], s[40:41], exec
	s_and_b64 s[38:39], s[38:39], exec
	;; [unrolled: 1-line block ×3, first 2 shown]
	s_or_b64 s[0:1], s[0:1], s[36:37]
.LBB206_841:
	s_or_b64 exec, exec, s[26:27]
	s_andn2_b64 s[22:23], s[22:23], exec
	s_and_b64 s[26:27], s[30:31], exec
	s_andn2_b64 s[20:21], s[20:21], exec
	s_and_b64 s[0:1], s[0:1], exec
	s_or_b64 s[22:23], s[22:23], s[26:27]
	s_and_b64 s[30:31], s[38:39], exec
	s_and_b64 s[28:29], s[28:29], exec
	;; [unrolled: 1-line block ×3, first 2 shown]
	s_or_b64 s[20:21], s[20:21], s[0:1]
.LBB206_842:
	s_or_b64 exec, exec, s[24:25]
	s_andn2_b64 s[0:1], s[14:15], exec
	s_and_b64 s[14:15], s[22:23], exec
	s_andn2_b64 s[16:17], s[16:17], exec
	s_and_b64 s[20:21], s[20:21], exec
	s_or_b64 s[14:15], s[0:1], s[14:15]
	s_and_b64 s[0:1], s[30:31], exec
	s_and_b64 s[24:25], s[28:29], exec
	;; [unrolled: 1-line block ×3, first 2 shown]
	s_or_b64 s[16:17], s[16:17], s[20:21]
	s_or_b64 exec, exec, s[18:19]
	s_mov_b64 s[18:19], 0
	s_and_saveexec_b64 s[20:21], s[16:17]
	s_cbranch_execz .LBB206_258
.LBB206_843:
	s_mov_b64 s[18:19], exec
	s_andn2_b64 s[22:23], s[22:23], exec
	s_trap 2
	s_or_b64 exec, exec, s[20:21]
	s_and_saveexec_b64 s[16:17], s[22:23]
	s_xor_b64 s[16:17], exec, s[16:17]
	s_cbranch_execnz .LBB206_259
.LBB206_844:
	s_or_b64 exec, exec, s[16:17]
	s_and_saveexec_b64 s[16:17], s[24:25]
	s_cbranch_execz .LBB206_890
.LBB206_845:
	s_sext_i32_i16 s20, s44
	s_cmp_lt_i32 s20, 5
	s_cbranch_scc1 .LBB206_850
; %bb.846:
	s_cmp_lt_i32 s20, 8
	s_cbranch_scc1 .LBB206_851
; %bb.847:
	s_cmp_lt_i32 s20, 9
	s_cbranch_scc1 .LBB206_852
; %bb.848:
	s_cmp_gt_i32 s20, 9
	s_cbranch_scc0 .LBB206_853
; %bb.849:
	global_load_dwordx2 v[2:3], v[0:1], off
	s_movk_i32 s20, 0xffe0
	s_waitcnt vmcnt(0)
	v_trunc_f64_e32 v[2:3], v[2:3]
	v_ldexp_f64 v[4:5], v[2:3], s20
	s_mov_b32 s20, 0
	s_mov_b32 s21, 0xc1f00000
	v_floor_f64_e32 v[4:5], v[4:5]
	v_fma_f64 v[2:3], v[4:5], s[20:21], v[2:3]
	v_cvt_i32_f64_e32 v5, v[4:5]
	s_mov_b64 s[20:21], 0
	v_cvt_u32_f64_e32 v4, v[2:3]
	s_branch .LBB206_854
.LBB206_850:
                                        ; implicit-def: $vgpr4_vgpr5
	s_branch .LBB206_871
.LBB206_851:
                                        ; implicit-def: $vgpr4_vgpr5
	s_branch .LBB206_860
.LBB206_852:
	s_mov_b64 s[20:21], -1
                                        ; implicit-def: $vgpr4_vgpr5
	s_branch .LBB206_857
.LBB206_853:
	s_mov_b64 s[20:21], -1
                                        ; implicit-def: $vgpr4_vgpr5
.LBB206_854:
	s_andn2_b64 vcc, exec, s[20:21]
	s_cbranch_vccnz .LBB206_856
; %bb.855:
	global_load_dword v2, v[0:1], off
	s_mov_b32 s20, 0x2f800000
	s_mov_b32 s21, 0xcf800000
	s_waitcnt vmcnt(0)
	v_trunc_f32_e32 v2, v2
	v_mul_f32_e64 v3, |v2|, s20
	v_floor_f32_e32 v3, v3
	v_cvt_u32_f32_e32 v4, v3
	v_fma_f32 v3, v3, s21, |v2|
	v_cvt_u32_f32_e32 v3, v3
	v_ashrrev_i32_e32 v2, 31, v2
	v_xor_b32_e32 v5, v4, v2
	v_xor_b32_e32 v3, v3, v2
	v_sub_co_u32_e32 v4, vcc, v3, v2
	v_subb_co_u32_e32 v5, vcc, v5, v2, vcc
.LBB206_856:
	s_mov_b64 s[20:21], 0
.LBB206_857:
	s_andn2_b64 vcc, exec, s[20:21]
	s_cbranch_vccnz .LBB206_859
; %bb.858:
	global_load_dword v2, v[0:1], off
	s_waitcnt vmcnt(0)
	v_cvt_f32_f16_e32 v2, v2
	v_cvt_i32_f32_e32 v4, v2
	v_ashrrev_i32_e32 v5, 31, v4
.LBB206_859:
	s_cbranch_execnz .LBB206_870
.LBB206_860:
	s_sext_i32_i16 s20, s44
	s_cmp_lt_i32 s20, 6
	s_cbranch_scc1 .LBB206_863
; %bb.861:
	s_cmp_gt_i32 s20, 6
	s_cbranch_scc0 .LBB206_864
; %bb.862:
	global_load_dwordx2 v[2:3], v[0:1], off
	s_movk_i32 s20, 0xffe0
	s_waitcnt vmcnt(0)
	v_trunc_f64_e32 v[2:3], v[2:3]
	v_ldexp_f64 v[4:5], v[2:3], s20
	s_mov_b32 s20, 0
	s_mov_b32 s21, 0xc1f00000
	v_floor_f64_e32 v[4:5], v[4:5]
	v_fma_f64 v[2:3], v[4:5], s[20:21], v[2:3]
	v_cvt_i32_f64_e32 v5, v[4:5]
	s_mov_b64 s[20:21], 0
	v_cvt_u32_f64_e32 v4, v[2:3]
	s_branch .LBB206_865
.LBB206_863:
	s_mov_b64 s[20:21], -1
                                        ; implicit-def: $vgpr4_vgpr5
	s_branch .LBB206_868
.LBB206_864:
	s_mov_b64 s[20:21], -1
                                        ; implicit-def: $vgpr4_vgpr5
.LBB206_865:
	s_andn2_b64 vcc, exec, s[20:21]
	s_cbranch_vccnz .LBB206_867
; %bb.866:
	global_load_dword v2, v[0:1], off
	s_mov_b32 s20, 0x2f800000
	s_mov_b32 s21, 0xcf800000
	s_waitcnt vmcnt(0)
	v_trunc_f32_e32 v2, v2
	v_mul_f32_e64 v3, |v2|, s20
	v_floor_f32_e32 v3, v3
	v_cvt_u32_f32_e32 v4, v3
	v_fma_f32 v3, v3, s21, |v2|
	v_cvt_u32_f32_e32 v3, v3
	v_ashrrev_i32_e32 v2, 31, v2
	v_xor_b32_e32 v5, v4, v2
	v_xor_b32_e32 v3, v3, v2
	v_sub_co_u32_e32 v4, vcc, v3, v2
	v_subb_co_u32_e32 v5, vcc, v5, v2, vcc
.LBB206_867:
	s_mov_b64 s[20:21], 0
.LBB206_868:
	s_andn2_b64 vcc, exec, s[20:21]
	s_cbranch_vccnz .LBB206_870
; %bb.869:
	global_load_ushort v2, v[0:1], off
	s_waitcnt vmcnt(0)
	v_cvt_f32_f16_e32 v2, v2
	v_cvt_i32_f32_e32 v4, v2
	v_ashrrev_i32_e32 v5, 31, v4
.LBB206_870:
	s_cbranch_execnz .LBB206_889
.LBB206_871:
	s_sext_i32_i16 s20, s44
	s_cmp_lt_i32 s20, 2
	s_cbranch_scc1 .LBB206_875
; %bb.872:
	s_cmp_lt_i32 s20, 3
	s_cbranch_scc1 .LBB206_876
; %bb.873:
	s_cmp_gt_i32 s20, 3
	s_cbranch_scc0 .LBB206_877
; %bb.874:
	global_load_dwordx2 v[4:5], v[0:1], off
	s_mov_b64 s[20:21], 0
	s_branch .LBB206_878
.LBB206_875:
                                        ; implicit-def: $vgpr4_vgpr5
	s_branch .LBB206_884
.LBB206_876:
	s_mov_b64 s[20:21], -1
                                        ; implicit-def: $vgpr4_vgpr5
	s_branch .LBB206_881
.LBB206_877:
	s_mov_b64 s[20:21], -1
                                        ; implicit-def: $vgpr4_vgpr5
.LBB206_878:
	s_andn2_b64 vcc, exec, s[20:21]
	s_cbranch_vccnz .LBB206_880
; %bb.879:
	global_load_dword v4, v[0:1], off
	s_waitcnt vmcnt(0)
	v_ashrrev_i32_e32 v5, 31, v4
.LBB206_880:
	s_mov_b64 s[20:21], 0
.LBB206_881:
	s_andn2_b64 vcc, exec, s[20:21]
	s_cbranch_vccnz .LBB206_883
; %bb.882:
	global_load_ushort v2, v[0:1], off
	s_waitcnt vmcnt(0)
	v_bfe_i32 v4, v2, 0, 16
	v_ashrrev_i32_e32 v5, 31, v4
.LBB206_883:
	s_cbranch_execnz .LBB206_889
.LBB206_884:
	s_sext_i32_i16 s20, s44
	s_cmp_gt_i32 s20, 0
	s_cbranch_scc0 .LBB206_886
; %bb.885:
	global_load_sbyte v2, v[0:1], off
	s_mov_b64 s[20:21], 0
	s_waitcnt vmcnt(0)
	v_bfe_i32 v4, v2, 0, 16
	v_ashrrev_i32_e32 v5, 31, v4
	s_branch .LBB206_887
.LBB206_886:
	s_mov_b64 s[20:21], -1
                                        ; implicit-def: $vgpr4_vgpr5
.LBB206_887:
	s_andn2_b64 vcc, exec, s[20:21]
	s_cbranch_vccnz .LBB206_889
; %bb.888:
	global_load_ubyte v0, v[0:1], off
	s_mov_b32 s20, 0
	s_waitcnt vmcnt(1)
	v_mov_b32_e32 v5, s20
	s_waitcnt vmcnt(0)
	v_and_b32_e32 v4, 0xffff, v0
.LBB206_889:
	s_or_b64 s[0:1], s[0:1], exec
.LBB206_890:
	s_or_b64 exec, exec, s[16:17]
	s_mov_b64 s[22:23], 0
	s_mov_b64 s[20:21], 0
                                        ; implicit-def: $sgpr28
                                        ; implicit-def: $vgpr2_vgpr3
                                        ; implicit-def: $vgpr0_vgpr1
	s_and_saveexec_b64 s[16:17], s[0:1]
	s_cbranch_execz .LBB206_898
; %bb.891:
	s_waitcnt vmcnt(0)
	v_mul_lo_u32 v2, v10, s2
	v_ashrrev_i64 v[0:1], s45, v[4:5]
	v_mov_b32_e32 v3, s9
	s_and_b32 s28, s33, 0xff
	v_ashrrev_i32_e32 v4, 31, v2
	v_add_co_u32_e32 v2, vcc, s8, v2
	s_cmp_lt_i32 s28, 11
	v_addc_co_u32_e32 v3, vcc, v3, v4, vcc
	s_cbranch_scc1 .LBB206_901
; %bb.892:
	s_and_b32 s29, 0xffff, s28
	s_mov_b64 s[22:23], -1
	s_cmp_gt_i32 s29, 25
	s_mov_b64 s[0:1], s[14:15]
	s_cbranch_scc0 .LBB206_929
; %bb.893:
	s_mov_b64 s[20:21], -1
	s_cmp_gt_i32 s29, 28
	s_mov_b64 s[0:1], s[14:15]
	s_cbranch_scc0 .LBB206_913
; %bb.894:
	s_cmp_gt_i32 s29, 43
	s_mov_b64 s[0:1], s[14:15]
	s_cbranch_scc0 .LBB206_909
; %bb.895:
	;; [unrolled: 4-line block ×3, first 2 shown]
	s_cmp_eq_u32 s29, 46
	s_mov_b64 s[0:1], -1
	s_cbranch_scc0 .LBB206_902
; %bb.897:
	v_xor_b32_e32 v5, v0, v1
	v_ffbh_i32_e32 v4, v1
	v_ashrrev_i32_e32 v5, 31, v5
	v_add_u32_e32 v4, -1, v4
	v_add_u32_e32 v5, 32, v5
	v_min_u32_e32 v6, v4, v5
	v_lshlrev_b64 v[4:5], v6, v[0:1]
	s_movk_i32 s0, 0x7fff
	v_min_u32_e32 v4, 1, v4
	v_or_b32_e32 v4, v5, v4
	v_cvt_f32_i32_e32 v4, v4
	v_sub_u32_e32 v5, 32, v6
	s_mov_b64 s[20:21], 0
	v_ldexp_f32 v4, v4, v5
	v_bfe_u32 v5, v4, 16, 1
	v_add3_u32 v4, v4, v5, s0
	v_lshrrev_b32_e32 v4, 16, v4
	global_store_dword v[2:3], v4, off
	s_mov_b64 s[0:1], 0
	s_branch .LBB206_903
.LBB206_898:
	s_or_b64 exec, exec, s[16:17]
	s_and_saveexec_b64 s[0:1], s[14:15]
	s_cbranch_execnz .LBB206_971
.LBB206_899:
	s_or_b64 exec, exec, s[0:1]
	s_and_saveexec_b64 s[0:1], s[22:23]
	s_xor_b64 s[0:1], exec, s[0:1]
	s_cbranch_execz .LBB206_972
.LBB206_900:
	v_cmp_ne_u64_e32 vcc, 0, v[0:1]
	s_waitcnt vmcnt(0)
	v_cndmask_b32_e64 v4, 0, 1, vcc
	global_store_byte v[2:3], v4, off
	s_or_b64 exec, exec, s[0:1]
	s_and_saveexec_b64 s[0:1], s[20:21]
	s_xor_b64 s[0:1], exec, s[0:1]
	s_cbranch_execz .LBB206_1010
	s_branch .LBB206_973
.LBB206_901:
	s_mov_b64 s[20:21], -1
	s_mov_b64 s[0:1], s[14:15]
	s_branch .LBB206_970
.LBB206_902:
	s_mov_b64 s[20:21], 0
.LBB206_903:
	s_and_b64 vcc, exec, s[20:21]
	s_cbranch_vccz .LBB206_908
; %bb.904:
	s_cmp_eq_u32 s29, 44
	s_mov_b64 s[0:1], -1
	s_cbranch_scc0 .LBB206_908
; %bb.905:
	v_xor_b32_e32 v5, v0, v1
	v_ffbh_i32_e32 v4, v1
	v_ashrrev_i32_e32 v5, 31, v5
	v_add_u32_e32 v4, -1, v4
	v_add_u32_e32 v5, 32, v5
	v_min_u32_e32 v6, v4, v5
	v_lshlrev_b64 v[4:5], v6, v[0:1]
	s_movk_i32 s0, 0xff
	v_min_u32_e32 v4, 1, v4
	v_or_b32_e32 v4, v5, v4
	v_cvt_f32_i32_e32 v4, v4
	v_sub_u32_e32 v5, 32, v6
	v_mov_b32_e32 v6, 0xff
	v_ldexp_f32 v4, v4, v5
	v_bfe_u32 v5, v4, 23, 8
	v_cmp_ne_u32_e32 vcc, s0, v5
	s_and_saveexec_b64 s[20:21], vcc
; %bb.906:
	s_mov_b32 s0, 0x3fffff
	v_lshrrev_b32_e32 v6, 23, v4
	v_and_b32_e32 v7, 0x400000, v4
	v_and_or_b32 v4, v4, s0, v5
	v_cmp_ne_u32_e32 vcc, 0, v7
	v_cmp_ne_u32_e64 s[0:1], 0, v4
	s_and_b64 s[0:1], vcc, s[0:1]
	v_cndmask_b32_e64 v4, 0, 1, s[0:1]
	v_add_u32_e32 v6, v6, v4
; %bb.907:
	s_or_b64 exec, exec, s[20:21]
	s_mov_b64 s[0:1], 0
	global_store_byte v[2:3], v6, off
.LBB206_908:
	s_mov_b64 s[20:21], 0
.LBB206_909:
	s_and_b64 vcc, exec, s[20:21]
	s_cbranch_vccz .LBB206_912
; %bb.910:
	s_cmp_eq_u32 s29, 29
	s_mov_b64 s[0:1], -1
	s_cbranch_scc0 .LBB206_912
; %bb.911:
	global_store_dwordx2 v[2:3], v[0:1], off
	s_mov_b64 s[0:1], 0
.LBB206_912:
	s_mov_b64 s[20:21], 0
.LBB206_913:
	s_and_b64 vcc, exec, s[20:21]
	s_cbranch_vccz .LBB206_928
; %bb.914:
	s_cmp_lt_i32 s29, 27
	s_mov_b64 s[20:21], -1
	s_cbranch_scc1 .LBB206_920
; %bb.915:
	s_cmp_gt_i32 s29, 27
	s_cbranch_scc0 .LBB206_917
; %bb.916:
	s_mov_b64 s[20:21], 0
	global_store_dword v[2:3], v0, off
.LBB206_917:
	s_andn2_b64 vcc, exec, s[20:21]
	s_cbranch_vccnz .LBB206_919
; %bb.918:
	global_store_short v[2:3], v0, off
.LBB206_919:
	s_mov_b64 s[20:21], 0
.LBB206_920:
	s_andn2_b64 vcc, exec, s[20:21]
	s_cbranch_vccnz .LBB206_928
; %bb.921:
	v_xor_b32_e32 v5, v0, v1
	v_ffbh_i32_e32 v4, v1
	v_ashrrev_i32_e32 v5, 31, v5
	v_add_u32_e32 v4, -1, v4
	v_add_u32_e32 v5, 32, v5
	v_min_u32_e32 v6, v4, v5
	v_lshlrev_b64 v[4:5], v6, v[0:1]
	s_mov_b32 s20, 0x43800000
	v_min_u32_e32 v4, 1, v4
	v_or_b32_e32 v4, v5, v4
	v_cvt_f32_i32_e32 v4, v4
	v_sub_u32_e32 v5, 32, v6
	v_mov_b32_e32 v6, 0x80
	v_ldexp_f32 v4, v4, v5
	v_and_b32_e32 v5, 0x7fffffff, v4
	v_cmp_gt_u32_e32 vcc, s20, v5
	s_and_saveexec_b64 s[20:21], vcc
	s_cbranch_execz .LBB206_927
; %bb.922:
	s_mov_b32 s22, 0x3bffffff
	v_cmp_lt_u32_e32 vcc, s22, v5
	s_mov_b64 s[22:23], 0
                                        ; implicit-def: $vgpr5
	s_and_saveexec_b64 s[24:25], vcc
	s_xor_b64 s[24:25], exec, s[24:25]
	s_cbranch_execz .LBB206_1025
; %bb.923:
	v_bfe_u32 v5, v4, 20, 1
	s_mov_b32 s26, 0x487ffff
	v_add3_u32 v5, v4, v5, s26
	s_mov_b64 s[22:23], exec
	v_lshrrev_b32_e32 v5, 20, v5
	s_andn2_saveexec_b64 s[24:25], s[24:25]
	s_cbranch_execnz .LBB206_1026
.LBB206_924:
	s_or_b64 exec, exec, s[24:25]
	v_mov_b32_e32 v6, 0
	s_and_saveexec_b64 s[24:25], s[22:23]
.LBB206_925:
	v_lshrrev_b32_e32 v4, 24, v4
	s_movk_i32 s22, 0x80
	v_and_or_b32 v6, v4, s22, v5
.LBB206_926:
	s_or_b64 exec, exec, s[24:25]
.LBB206_927:
	s_or_b64 exec, exec, s[20:21]
	global_store_byte v[2:3], v6, off
.LBB206_928:
	s_mov_b64 s[22:23], 0
.LBB206_929:
	s_mov_b64 s[20:21], 0
	s_and_b64 vcc, exec, s[22:23]
	s_cbranch_vccz .LBB206_969
; %bb.930:
	s_cmp_gt_i32 s29, 22
	s_mov_b64 s[22:23], -1
	s_cbranch_scc0 .LBB206_962
; %bb.931:
	s_cmp_lt_i32 s29, 24
	s_cbranch_scc1 .LBB206_951
; %bb.932:
	s_cmp_gt_i32 s29, 24
	s_cbranch_scc0 .LBB206_940
; %bb.933:
	v_xor_b32_e32 v5, v0, v1
	v_ffbh_i32_e32 v4, v1
	v_ashrrev_i32_e32 v5, 31, v5
	v_add_u32_e32 v4, -1, v4
	v_add_u32_e32 v5, 32, v5
	v_min_u32_e32 v6, v4, v5
	v_lshlrev_b64 v[4:5], v6, v[0:1]
	s_mov_b32 s22, 0x47800000
	v_min_u32_e32 v4, 1, v4
	v_or_b32_e32 v4, v5, v4
	v_cvt_f32_i32_e32 v4, v4
	v_sub_u32_e32 v5, 32, v6
	v_mov_b32_e32 v6, 0x80
	v_ldexp_f32 v4, v4, v5
	v_and_b32_e32 v5, 0x7fffffff, v4
	v_cmp_gt_u32_e32 vcc, s22, v5
	s_and_saveexec_b64 s[22:23], vcc
	s_cbranch_execz .LBB206_939
; %bb.934:
	s_mov_b32 s24, 0x37ffffff
	v_cmp_lt_u32_e32 vcc, s24, v5
	s_mov_b64 s[24:25], 0
                                        ; implicit-def: $vgpr5
	s_and_saveexec_b64 s[26:27], vcc
	s_xor_b64 s[26:27], exec, s[26:27]
	s_cbranch_execz .LBB206_1145
; %bb.935:
	v_bfe_u32 v5, v4, 21, 1
	s_mov_b32 s30, 0x88fffff
	v_add3_u32 v5, v4, v5, s30
	s_mov_b64 s[24:25], exec
	v_lshrrev_b32_e32 v5, 21, v5
	s_andn2_saveexec_b64 s[26:27], s[26:27]
	s_cbranch_execnz .LBB206_1146
.LBB206_936:
	s_or_b64 exec, exec, s[26:27]
	v_mov_b32_e32 v6, 0
	s_and_saveexec_b64 s[26:27], s[24:25]
.LBB206_937:
	v_lshrrev_b32_e32 v4, 24, v4
	s_movk_i32 s24, 0x80
	v_and_or_b32 v6, v4, s24, v5
.LBB206_938:
	s_or_b64 exec, exec, s[26:27]
.LBB206_939:
	s_or_b64 exec, exec, s[22:23]
	s_mov_b64 s[22:23], 0
	global_store_byte v[2:3], v6, off
.LBB206_940:
	s_and_b64 vcc, exec, s[22:23]
	s_cbranch_vccz .LBB206_950
; %bb.941:
	v_xor_b32_e32 v5, v0, v1
	v_ffbh_i32_e32 v4, v1
	v_ashrrev_i32_e32 v5, 31, v5
	v_add_u32_e32 v4, -1, v4
	v_add_u32_e32 v5, 32, v5
	v_min_u32_e32 v6, v4, v5
	v_lshlrev_b64 v[4:5], v6, v[0:1]
	s_mov_b32 s22, 0x43f00000
	v_min_u32_e32 v4, 1, v4
	v_or_b32_e32 v4, v5, v4
	v_cvt_f32_i32_e32 v4, v4
	v_sub_u32_e32 v5, 32, v6
	v_ldexp_f32 v4, v4, v5
	v_and_b32_e32 v6, 0x7fffffff, v4
	v_cmp_gt_u32_e32 vcc, s22, v6
                                        ; implicit-def: $vgpr5
	s_and_saveexec_b64 s[22:23], vcc
	s_xor_b64 s[22:23], exec, s[22:23]
	s_cbranch_execz .LBB206_947
; %bb.942:
	s_mov_b32 s24, 0x3c7fffff
	v_cmp_lt_u32_e32 vcc, s24, v6
                                        ; implicit-def: $vgpr5
	s_and_saveexec_b64 s[24:25], vcc
	s_xor_b64 s[24:25], exec, s[24:25]
; %bb.943:
	v_bfe_u32 v5, v4, 20, 1
	s_mov_b32 s26, 0x407ffff
	v_add3_u32 v5, v4, v5, s26
	v_lshrrev_b32_e32 v6, 20, v5
	v_and_b32_e32 v5, 0xff00000, v5
	s_mov_b32 s26, 0x7f00000
	v_mov_b32_e32 v7, 0x7e
	v_cmp_ne_u32_e32 vcc, s26, v5
	v_cndmask_b32_e32 v5, v7, v6, vcc
; %bb.944:
	s_andn2_saveexec_b64 s[24:25], s[24:25]
; %bb.945:
	s_mov_b32 s26, 0x46800000
	v_add_f32_e64 v5, |v4|, s26
; %bb.946:
	s_or_b64 exec, exec, s[24:25]
                                        ; implicit-def: $vgpr6
.LBB206_947:
	s_andn2_saveexec_b64 s[22:23], s[22:23]
; %bb.948:
	s_mov_b32 s24, 0x7f800000
	v_mov_b32_e32 v5, 0x7e
	v_mov_b32_e32 v7, 0x7f
	v_cmp_lt_u32_e32 vcc, s24, v6
	v_cndmask_b32_e32 v5, v5, v7, vcc
; %bb.949:
	s_or_b64 exec, exec, s[22:23]
	v_lshrrev_b32_e32 v4, 24, v4
	s_movk_i32 s22, 0x80
	v_and_or_b32 v4, v4, s22, v5
	global_store_byte v[2:3], v4, off
.LBB206_950:
	s_mov_b64 s[22:23], 0
.LBB206_951:
	s_andn2_b64 vcc, exec, s[22:23]
	s_cbranch_vccnz .LBB206_961
; %bb.952:
	v_xor_b32_e32 v5, v0, v1
	v_ffbh_i32_e32 v4, v1
	v_ashrrev_i32_e32 v5, 31, v5
	v_add_u32_e32 v4, -1, v4
	v_add_u32_e32 v5, 32, v5
	v_min_u32_e32 v6, v4, v5
	v_lshlrev_b64 v[4:5], v6, v[0:1]
	s_mov_b32 s22, 0x47800000
	v_min_u32_e32 v4, 1, v4
	v_or_b32_e32 v4, v5, v4
	v_cvt_f32_i32_e32 v4, v4
	v_sub_u32_e32 v5, 32, v6
	v_ldexp_f32 v4, v4, v5
	v_and_b32_e32 v6, 0x7fffffff, v4
	v_cmp_gt_u32_e32 vcc, s22, v6
                                        ; implicit-def: $vgpr5
	s_and_saveexec_b64 s[22:23], vcc
	s_xor_b64 s[22:23], exec, s[22:23]
	s_cbranch_execz .LBB206_958
; %bb.953:
	s_mov_b32 s24, 0x387fffff
	v_cmp_lt_u32_e32 vcc, s24, v6
                                        ; implicit-def: $vgpr5
	s_and_saveexec_b64 s[24:25], vcc
	s_xor_b64 s[24:25], exec, s[24:25]
; %bb.954:
	v_bfe_u32 v5, v4, 21, 1
	s_mov_b32 s26, 0x80fffff
	v_add3_u32 v5, v4, v5, s26
	v_lshrrev_b32_e32 v5, 21, v5
; %bb.955:
	s_andn2_saveexec_b64 s[24:25], s[24:25]
; %bb.956:
	s_mov_b32 s26, 0x43000000
	v_add_f32_e64 v5, |v4|, s26
; %bb.957:
	s_or_b64 exec, exec, s[24:25]
                                        ; implicit-def: $vgpr6
.LBB206_958:
	s_andn2_saveexec_b64 s[22:23], s[22:23]
; %bb.959:
	s_mov_b32 s24, 0x7f800000
	v_mov_b32_e32 v5, 0x7c
	v_mov_b32_e32 v7, 0x7f
	v_cmp_lt_u32_e32 vcc, s24, v6
	v_cndmask_b32_e32 v5, v5, v7, vcc
; %bb.960:
	s_or_b64 exec, exec, s[22:23]
	v_lshrrev_b32_e32 v4, 24, v4
	s_movk_i32 s22, 0x80
	v_and_or_b32 v4, v4, s22, v5
	global_store_byte v[2:3], v4, off
.LBB206_961:
	s_mov_b64 s[22:23], 0
.LBB206_962:
	s_andn2_b64 vcc, exec, s[22:23]
	s_mov_b64 s[22:23], 0
	s_cbranch_vccnz .LBB206_970
; %bb.963:
	s_cmp_gt_i32 s29, 14
	s_mov_b64 s[24:25], -1
	s_cbranch_scc0 .LBB206_967
; %bb.964:
	s_cmp_eq_u32 s29, 15
	s_mov_b64 s[0:1], -1
	s_cbranch_scc0 .LBB206_966
; %bb.965:
	v_xor_b32_e32 v5, v0, v1
	v_ffbh_i32_e32 v4, v1
	v_ashrrev_i32_e32 v5, 31, v5
	v_add_u32_e32 v4, -1, v4
	v_add_u32_e32 v5, 32, v5
	v_min_u32_e32 v6, v4, v5
	v_lshlrev_b64 v[4:5], v6, v[0:1]
	s_movk_i32 s0, 0x7fff
	v_min_u32_e32 v4, 1, v4
	v_or_b32_e32 v4, v5, v4
	v_cvt_f32_i32_e32 v4, v4
	v_sub_u32_e32 v5, 32, v6
	v_ldexp_f32 v4, v4, v5
	v_bfe_u32 v5, v4, 16, 1
	v_add3_u32 v4, v4, v5, s0
	global_store_short_d16_hi v[2:3], v4, off
	s_mov_b64 s[0:1], 0
.LBB206_966:
	s_mov_b64 s[24:25], 0
.LBB206_967:
	s_and_b64 vcc, exec, s[24:25]
	s_cbranch_vccz .LBB206_970
; %bb.968:
	s_cmp_lg_u32 s29, 11
	s_cselect_b64 s[24:25], -1, 0
	s_andn2_b64 s[0:1], s[0:1], exec
	s_and_b64 s[24:25], s[24:25], exec
	s_mov_b64 s[22:23], -1
	s_or_b64 s[0:1], s[0:1], s[24:25]
	s_branch .LBB206_970
.LBB206_969:
	s_mov_b64 s[22:23], 0
.LBB206_970:
	s_andn2_b64 s[14:15], s[14:15], exec
	s_and_b64 s[0:1], s[0:1], exec
	s_and_b64 s[20:21], s[20:21], exec
	;; [unrolled: 1-line block ×3, first 2 shown]
	s_or_b64 s[14:15], s[14:15], s[0:1]
	s_or_b64 exec, exec, s[16:17]
	s_and_saveexec_b64 s[0:1], s[14:15]
	s_cbranch_execz .LBB206_899
.LBB206_971:
	s_or_b64 s[18:19], s[18:19], exec
	s_andn2_b64 s[22:23], s[22:23], exec
	s_trap 2
	s_or_b64 exec, exec, s[0:1]
	s_and_saveexec_b64 s[0:1], s[22:23]
	s_xor_b64 s[0:1], exec, s[0:1]
	s_cbranch_execnz .LBB206_900
.LBB206_972:
	s_or_b64 exec, exec, s[0:1]
	s_and_saveexec_b64 s[0:1], s[20:21]
	s_xor_b64 s[0:1], exec, s[0:1]
	s_cbranch_execz .LBB206_1010
.LBB206_973:
	s_sext_i32_i16 s16, s28
	s_cmp_lt_i32 s16, 5
	s_mov_b64 s[14:15], -1
	s_cbranch_scc1 .LBB206_994
; %bb.974:
	s_cmp_lt_i32 s16, 8
	s_cbranch_scc1 .LBB206_984
; %bb.975:
	s_cmp_lt_i32 s16, 9
	s_cbranch_scc1 .LBB206_981
; %bb.976:
	s_cmp_gt_i32 s16, 9
	s_cbranch_scc0 .LBB206_978
; %bb.977:
	s_waitcnt vmcnt(0)
	v_cvt_f64_i32_e32 v[4:5], v1
	v_cvt_f64_u32_e32 v[6:7], v0
	s_mov_b64 s[14:15], 0
	v_ldexp_f64 v[4:5], v[4:5], 32
	v_add_f64 v[4:5], v[4:5], v[6:7]
	v_mov_b32_e32 v6, 0
	v_mov_b32_e32 v7, v6
	global_store_dwordx4 v[2:3], v[4:7], off
.LBB206_978:
	s_andn2_b64 vcc, exec, s[14:15]
	s_cbranch_vccnz .LBB206_980
; %bb.979:
	s_waitcnt vmcnt(0)
	v_xor_b32_e32 v5, v0, v1
	v_ffbh_i32_e32 v4, v1
	v_ashrrev_i32_e32 v5, 31, v5
	v_add_u32_e32 v4, -1, v4
	v_add_u32_e32 v5, 32, v5
	v_min_u32_e32 v6, v4, v5
	v_lshlrev_b64 v[4:5], v6, v[0:1]
	v_min_u32_e32 v4, 1, v4
	v_or_b32_e32 v4, v5, v4
	v_cvt_f32_i32_e32 v4, v4
	v_sub_u32_e32 v5, 32, v6
	v_ldexp_f32 v4, v4, v5
	v_mov_b32_e32 v5, 0
	global_store_dwordx2 v[2:3], v[4:5], off
.LBB206_980:
	s_mov_b64 s[14:15], 0
.LBB206_981:
	s_andn2_b64 vcc, exec, s[14:15]
	s_cbranch_vccnz .LBB206_983
; %bb.982:
	s_waitcnt vmcnt(0)
	v_xor_b32_e32 v5, v0, v1
	v_ffbh_i32_e32 v4, v1
	v_ashrrev_i32_e32 v5, 31, v5
	v_add_u32_e32 v4, -1, v4
	v_add_u32_e32 v5, 32, v5
	v_min_u32_e32 v6, v4, v5
	v_lshlrev_b64 v[4:5], v6, v[0:1]
	v_min_u32_e32 v4, 1, v4
	v_or_b32_e32 v4, v5, v4
	v_cvt_f32_i32_e32 v4, v4
	v_sub_u32_e32 v5, 32, v6
	v_ldexp_f32 v4, v4, v5
	v_cvt_f16_f32_e32 v4, v4
	global_store_dword v[2:3], v4, off
.LBB206_983:
	s_mov_b64 s[14:15], 0
.LBB206_984:
	s_andn2_b64 vcc, exec, s[14:15]
	s_cbranch_vccnz .LBB206_993
; %bb.985:
	s_sext_i32_i16 s16, s28
	s_cmp_lt_i32 s16, 6
	s_mov_b64 s[14:15], -1
	s_cbranch_scc1 .LBB206_991
; %bb.986:
	s_cmp_gt_i32 s16, 6
	s_cbranch_scc0 .LBB206_988
; %bb.987:
	s_waitcnt vmcnt(0)
	v_cvt_f64_i32_e32 v[4:5], v1
	v_cvt_f64_u32_e32 v[6:7], v0
	s_mov_b64 s[14:15], 0
	v_ldexp_f64 v[4:5], v[4:5], 32
	v_add_f64 v[4:5], v[4:5], v[6:7]
	global_store_dwordx2 v[2:3], v[4:5], off
.LBB206_988:
	s_andn2_b64 vcc, exec, s[14:15]
	s_cbranch_vccnz .LBB206_990
; %bb.989:
	s_waitcnt vmcnt(0)
	v_xor_b32_e32 v5, v0, v1
	v_ffbh_i32_e32 v4, v1
	v_ashrrev_i32_e32 v5, 31, v5
	v_add_u32_e32 v4, -1, v4
	v_add_u32_e32 v5, 32, v5
	v_min_u32_e32 v6, v4, v5
	v_lshlrev_b64 v[4:5], v6, v[0:1]
	v_min_u32_e32 v4, 1, v4
	v_or_b32_e32 v4, v5, v4
	v_cvt_f32_i32_e32 v4, v4
	v_sub_u32_e32 v5, 32, v6
	v_ldexp_f32 v4, v4, v5
	global_store_dword v[2:3], v4, off
.LBB206_990:
	s_mov_b64 s[14:15], 0
.LBB206_991:
	s_andn2_b64 vcc, exec, s[14:15]
	s_cbranch_vccnz .LBB206_993
; %bb.992:
	s_waitcnt vmcnt(0)
	v_xor_b32_e32 v5, v0, v1
	v_ffbh_i32_e32 v4, v1
	v_ashrrev_i32_e32 v5, 31, v5
	v_add_u32_e32 v4, -1, v4
	v_add_u32_e32 v5, 32, v5
	v_min_u32_e32 v6, v4, v5
	v_lshlrev_b64 v[4:5], v6, v[0:1]
	v_min_u32_e32 v4, 1, v4
	v_or_b32_e32 v4, v5, v4
	v_cvt_f32_i32_e32 v4, v4
	v_sub_u32_e32 v5, 32, v6
	v_ldexp_f32 v4, v4, v5
	v_cvt_f16_f32_e32 v4, v4
	global_store_short v[2:3], v4, off
.LBB206_993:
	s_mov_b64 s[14:15], 0
.LBB206_994:
	s_andn2_b64 vcc, exec, s[14:15]
	s_cbranch_vccnz .LBB206_1010
; %bb.995:
	s_sext_i32_i16 s16, s28
	s_cmp_lt_i32 s16, 2
	s_mov_b64 s[14:15], -1
	s_cbranch_scc1 .LBB206_1005
; %bb.996:
	s_cmp_lt_i32 s16, 3
	s_cbranch_scc1 .LBB206_1002
; %bb.997:
	s_cmp_gt_i32 s16, 3
	s_cbranch_scc0 .LBB206_999
; %bb.998:
	s_mov_b64 s[14:15], 0
	s_waitcnt vmcnt(0)
	global_store_dwordx2 v[2:3], v[0:1], off
.LBB206_999:
	s_andn2_b64 vcc, exec, s[14:15]
	s_cbranch_vccnz .LBB206_1001
; %bb.1000:
	s_waitcnt vmcnt(0)
	global_store_dword v[2:3], v0, off
.LBB206_1001:
	s_mov_b64 s[14:15], 0
.LBB206_1002:
	s_andn2_b64 vcc, exec, s[14:15]
	s_cbranch_vccnz .LBB206_1004
; %bb.1003:
	s_waitcnt vmcnt(0)
	global_store_short v[2:3], v0, off
.LBB206_1004:
	s_mov_b64 s[14:15], 0
.LBB206_1005:
	s_andn2_b64 vcc, exec, s[14:15]
	s_cbranch_vccnz .LBB206_1010
; %bb.1006:
	s_sext_i32_i16 s14, s28
	s_cmp_gt_i32 s14, 0
	s_mov_b64 s[14:15], -1
	s_cbranch_scc0 .LBB206_1008
; %bb.1007:
	s_mov_b64 s[14:15], 0
	s_waitcnt vmcnt(0)
	global_store_byte v[2:3], v0, off
.LBB206_1008:
	s_andn2_b64 vcc, exec, s[14:15]
	s_cbranch_vccnz .LBB206_1010
; %bb.1009:
	s_waitcnt vmcnt(0)
	global_store_byte v[2:3], v0, off
.LBB206_1010:
	s_or_b64 exec, exec, s[0:1]
	s_and_b64 s[14:15], s[18:19], exec
                                        ; implicit-def: $vgpr10
.LBB206_1011:
	s_or_saveexec_b64 s[6:7], s[6:7]
	s_mov_b64 s[0:1], 0
                                        ; implicit-def: $sgpr20
                                        ; implicit-def: $vgpr2_vgpr3
                                        ; implicit-def: $vgpr0_vgpr1
	s_xor_b64 exec, exec, s[6:7]
	s_cbranch_execz .LBB206_1942
; %bb.1012:
	s_waitcnt vmcnt(0)
	v_mul_lo_u32 v4, s3, v10
	v_mov_b32_e32 v0, s11
	s_and_b32 s22, 0xffff, s44
	s_cmp_lt_i32 s22, 11
	v_ashrrev_i32_e32 v1, 31, v4
	v_add_co_u32_e32 v2, vcc, s10, v4
	v_addc_co_u32_e32 v3, vcc, v0, v1, vcc
	s_cbranch_scc1 .LBB206_1019
; %bb.1013:
	s_cmp_gt_i32 s22, 25
	s_cbranch_scc0 .LBB206_1021
; %bb.1014:
	s_cmp_gt_i32 s22, 28
	s_cbranch_scc0 .LBB206_1022
	;; [unrolled: 3-line block ×4, first 2 shown]
; %bb.1017:
	s_cmp_eq_u32 s22, 46
	s_mov_b64 s[16:17], 0
	s_cbranch_scc0 .LBB206_1027
; %bb.1018:
	global_load_dword v0, v[2:3], off
	s_mov_b32 s0, 0x2f800000
	s_mov_b32 s1, 0xcf800000
	s_mov_b64 s[18:19], -1
	s_waitcnt vmcnt(0)
	v_lshlrev_b32_e32 v0, 16, v0
	v_trunc_f32_e32 v0, v0
	v_mul_f32_e64 v1, |v0|, s0
	v_floor_f32_e32 v1, v1
	v_fma_f32 v5, v1, s1, |v0|
	v_cvt_u32_f32_e32 v5, v5
	v_cvt_u32_f32_e32 v1, v1
	v_ashrrev_i32_e32 v6, 31, v0
	s_mov_b64 s[0:1], 0
	v_xor_b32_e32 v0, v5, v6
	v_xor_b32_e32 v1, v1, v6
	v_sub_co_u32_e32 v0, vcc, v0, v6
	v_subb_co_u32_e32 v1, vcc, v1, v6, vcc
	s_branch .LBB206_1028
.LBB206_1019:
	s_mov_b64 s[18:19], 0
                                        ; implicit-def: $vgpr0_vgpr1
	s_mov_b64 s[16:17], s[14:15]
	s_cbranch_execnz .LBB206_1086
.LBB206_1020:
	s_andn2_b64 vcc, exec, s[18:19]
	s_cbranch_vccz .LBB206_1131
	s_branch .LBB206_1940
.LBB206_1021:
	s_mov_b64 s[18:19], 0
                                        ; implicit-def: $vgpr0_vgpr1
	s_cbranch_execnz .LBB206_1055
	s_branch .LBB206_1082
.LBB206_1022:
	s_mov_b64 s[18:19], 0
                                        ; implicit-def: $vgpr0_vgpr1
	s_cbranch_execz .LBB206_1054
	s_branch .LBB206_1037
.LBB206_1023:
	s_mov_b64 s[18:19], 0
                                        ; implicit-def: $vgpr0_vgpr1
	s_cbranch_execnz .LBB206_1033
	s_branch .LBB206_1036
.LBB206_1024:
	s_mov_b64 s[16:17], -1
	s_mov_b64 s[18:19], 0
                                        ; implicit-def: $vgpr0_vgpr1
	s_branch .LBB206_1028
.LBB206_1025:
	s_andn2_saveexec_b64 s[24:25], s[24:25]
	s_cbranch_execz .LBB206_924
.LBB206_1026:
	s_mov_b32 s26, 0x46000000
	v_add_f32_e64 v5, |v4|, s26
	v_and_b32_e32 v5, 0xff, v5
	v_cmp_ne_u32_e32 vcc, 0, v5
	s_andn2_b64 s[22:23], s[22:23], exec
	s_and_b64 s[26:27], vcc, exec
	s_or_b64 s[22:23], s[22:23], s[26:27]
	s_or_b64 exec, exec, s[24:25]
	v_mov_b32_e32 v6, 0
	s_and_saveexec_b64 s[24:25], s[22:23]
	s_cbranch_execnz .LBB206_925
	s_branch .LBB206_926
.LBB206_1027:
	s_mov_b64 s[0:1], -1
                                        ; implicit-def: $vgpr0_vgpr1
	s_mov_b64 s[18:19], 0
.LBB206_1028:
	s_and_b64 vcc, exec, s[16:17]
	s_cbranch_vccz .LBB206_1031
; %bb.1029:
	s_cmp_eq_u32 s22, 44
	s_cbranch_scc0 .LBB206_1032
; %bb.1030:
	global_load_ubyte v0, v[2:3], off
	s_mov_b32 s0, 0x2f800000
	s_mov_b32 s1, 0xcf800000
	s_mov_b64 s[18:19], -1
	s_waitcnt vmcnt(0)
	v_lshlrev_b32_e32 v1, 23, v0
	v_trunc_f32_e32 v1, v1
	v_mul_f32_e64 v5, |v1|, s0
	v_floor_f32_e32 v5, v5
	v_fma_f32 v6, v5, s1, |v1|
	v_cvt_u32_f32_e32 v6, v6
	v_cvt_u32_f32_e32 v5, v5
	v_ashrrev_i32_e32 v1, 31, v1
	s_mov_b64 s[0:1], 0
	v_xor_b32_e32 v6, v6, v1
	v_xor_b32_e32 v5, v5, v1
	v_sub_co_u32_e32 v6, vcc, v6, v1
	v_subb_co_u32_e32 v1, vcc, v5, v1, vcc
	v_cmp_ne_u32_e32 vcc, 0, v0
	v_cndmask_b32_e32 v1, 0, v1, vcc
	v_cndmask_b32_e32 v0, 0, v6, vcc
.LBB206_1031:
	s_branch .LBB206_1036
.LBB206_1032:
	s_mov_b64 s[0:1], -1
                                        ; implicit-def: $vgpr0_vgpr1
	s_branch .LBB206_1036
.LBB206_1033:
	s_cmp_eq_u32 s22, 29
	s_cbranch_scc0 .LBB206_1035
; %bb.1034:
	global_load_dwordx2 v[0:1], v[2:3], off
	s_mov_b64 s[0:1], 0
	s_mov_b64 s[18:19], -1
	s_branch .LBB206_1036
.LBB206_1035:
	s_mov_b64 s[0:1], -1
                                        ; implicit-def: $vgpr0_vgpr1
.LBB206_1036:
	s_branch .LBB206_1054
.LBB206_1037:
	s_cmp_lt_i32 s22, 27
	s_cbranch_scc1 .LBB206_1040
; %bb.1038:
	s_cmp_gt_i32 s22, 27
	s_cbranch_scc0 .LBB206_1041
; %bb.1039:
	global_load_dword v0, v[2:3], off
	s_waitcnt vmcnt(1)
	v_mov_b32_e32 v1, 0
	s_mov_b64 s[16:17], 0
	s_branch .LBB206_1042
.LBB206_1040:
	s_mov_b64 s[16:17], -1
                                        ; implicit-def: $vgpr0_vgpr1
	s_branch .LBB206_1045
.LBB206_1041:
	s_mov_b64 s[16:17], -1
                                        ; implicit-def: $vgpr0_vgpr1
.LBB206_1042:
	s_andn2_b64 vcc, exec, s[16:17]
	s_cbranch_vccnz .LBB206_1044
; %bb.1043:
	global_load_ushort v0, v[2:3], off
	s_mov_b32 s16, 0
	s_waitcnt vmcnt(1)
	v_mov_b32_e32 v1, s16
	s_waitcnt vmcnt(0)
	v_and_b32_e32 v0, 0xffff, v0
.LBB206_1044:
	s_mov_b64 s[16:17], 0
.LBB206_1045:
	s_andn2_b64 vcc, exec, s[16:17]
	s_cbranch_vccnz .LBB206_1053
; %bb.1046:
	global_load_ubyte v5, v[2:3], off
	s_movk_i32 s16, 0x7f
	s_mov_b64 s[18:19], 0
	s_waitcnt vmcnt(0)
	v_cmp_lt_i16_e32 vcc, s16, v5
	s_and_saveexec_b64 s[16:17], vcc
	s_xor_b64 s[16:17], exec, s[16:17]
; %bb.1047:
	s_movk_i32 s18, 0x80
	v_cmp_ne_u16_e32 vcc, s18, v5
	s_and_b64 s[18:19], vcc, exec
; %bb.1048:
	s_andn2_saveexec_b64 s[16:17], s[16:17]
; %bb.1049:
	v_cmp_ne_u16_e32 vcc, 0, v5
	s_andn2_b64 s[18:19], s[18:19], exec
	s_and_b64 s[20:21], vcc, exec
	s_or_b64 s[18:19], s[18:19], s[20:21]
; %bb.1050:
	s_or_b64 exec, exec, s[16:17]
	v_mov_b32_e32 v0, 0
	v_mov_b32_e32 v1, 0
	s_and_saveexec_b64 s[16:17], s[18:19]
	s_cbranch_execz .LBB206_1052
; %bb.1051:
	v_and_b32_e32 v1, 0xffff, v5
	v_lshlrev_b32_e32 v0, 24, v5
	v_and_b32_e32 v5, 7, v1
	v_ffbh_u32_e32 v7, v5
	v_min_u32_e32 v7, 32, v7
	v_subrev_u32_e32 v8, 28, v7
	v_bfe_u32 v6, v1, 3, 4
	v_lshlrev_b32_e32 v1, v8, v1
	v_sub_u32_e32 v7, 29, v7
	v_and_b32_e32 v1, 7, v1
	v_cmp_eq_u32_e32 vcc, 0, v6
	v_cndmask_b32_e32 v6, v6, v7, vcc
	v_cndmask_b32_e32 v1, v5, v1, vcc
	v_mov_b32_e32 v5, 0x3b800000
	v_lshlrev_b32_e32 v1, 20, v1
	v_and_b32_e32 v0, 0x80000000, v0
	v_lshl_add_u32 v5, v6, 23, v5
	v_or3_b32 v0, v0, v5, v1
	v_trunc_f32_e32 v0, v0
	s_mov_b32 s18, 0x2f800000
	v_mul_f32_e64 v1, |v0|, s18
	v_floor_f32_e32 v1, v1
	s_mov_b32 s18, 0xcf800000
	v_fma_f32 v5, v1, s18, |v0|
	v_cvt_u32_f32_e32 v5, v5
	v_cvt_u32_f32_e32 v1, v1
	v_ashrrev_i32_e32 v6, 31, v0
	v_xor_b32_e32 v0, v5, v6
	v_xor_b32_e32 v1, v1, v6
	v_sub_co_u32_e32 v0, vcc, v0, v6
	v_subb_co_u32_e32 v1, vcc, v1, v6, vcc
.LBB206_1052:
	s_or_b64 exec, exec, s[16:17]
.LBB206_1053:
	s_mov_b64 s[18:19], -1
.LBB206_1054:
	s_branch .LBB206_1082
.LBB206_1055:
	s_cmp_gt_i32 s22, 22
	s_cbranch_scc0 .LBB206_1065
; %bb.1056:
	s_cmp_lt_i32 s22, 24
	s_cbranch_scc1 .LBB206_1066
; %bb.1057:
	s_cmp_gt_i32 s22, 24
	s_cbranch_scc0 .LBB206_1067
; %bb.1058:
	global_load_ubyte v5, v[2:3], off
	s_movk_i32 s4, 0x7f
	s_mov_b64 s[16:17], 0
	s_waitcnt vmcnt(0)
	v_cmp_lt_i16_e32 vcc, s4, v5
	s_and_saveexec_b64 s[4:5], vcc
	s_xor_b64 s[4:5], exec, s[4:5]
; %bb.1059:
	s_movk_i32 s16, 0x80
	v_cmp_ne_u16_e32 vcc, s16, v5
	s_and_b64 s[16:17], vcc, exec
; %bb.1060:
	s_andn2_saveexec_b64 s[4:5], s[4:5]
; %bb.1061:
	v_cmp_ne_u16_e32 vcc, 0, v5
	s_andn2_b64 s[16:17], s[16:17], exec
	s_and_b64 s[18:19], vcc, exec
	s_or_b64 s[16:17], s[16:17], s[18:19]
; %bb.1062:
	s_or_b64 exec, exec, s[4:5]
	v_mov_b32_e32 v0, 0
	v_mov_b32_e32 v1, 0
	s_and_saveexec_b64 s[4:5], s[16:17]
	s_cbranch_execz .LBB206_1064
; %bb.1063:
	v_and_b32_e32 v1, 0xffff, v5
	v_lshlrev_b32_e32 v0, 24, v5
	v_and_b32_e32 v5, 3, v1
	v_ffbh_u32_e32 v7, v5
	v_min_u32_e32 v7, 32, v7
	v_subrev_u32_e32 v8, 29, v7
	v_bfe_u32 v6, v1, 2, 5
	v_lshlrev_b32_e32 v1, v8, v1
	v_sub_u32_e32 v7, 30, v7
	v_and_b32_e32 v1, 3, v1
	v_cmp_eq_u32_e32 vcc, 0, v6
	v_cndmask_b32_e32 v6, v6, v7, vcc
	v_cndmask_b32_e32 v1, v5, v1, vcc
	v_mov_b32_e32 v5, 0x37800000
	v_lshlrev_b32_e32 v1, 21, v1
	v_and_b32_e32 v0, 0x80000000, v0
	v_lshl_add_u32 v5, v6, 23, v5
	v_or3_b32 v0, v0, v5, v1
	v_trunc_f32_e32 v0, v0
	s_mov_b32 s16, 0x2f800000
	v_mul_f32_e64 v1, |v0|, s16
	v_floor_f32_e32 v1, v1
	s_mov_b32 s16, 0xcf800000
	v_fma_f32 v5, v1, s16, |v0|
	v_cvt_u32_f32_e32 v5, v5
	v_cvt_u32_f32_e32 v1, v1
	v_ashrrev_i32_e32 v6, 31, v0
	v_xor_b32_e32 v0, v5, v6
	v_xor_b32_e32 v1, v1, v6
	v_sub_co_u32_e32 v0, vcc, v0, v6
	v_subb_co_u32_e32 v1, vcc, v1, v6, vcc
.LBB206_1064:
	s_or_b64 exec, exec, s[4:5]
	s_mov_b64 s[4:5], 0
	s_branch .LBB206_1068
.LBB206_1065:
                                        ; implicit-def: $vgpr0_vgpr1
	s_mov_b64 s[4:5], 0
	s_branch .LBB206_1074
.LBB206_1066:
	s_mov_b64 s[4:5], -1
                                        ; implicit-def: $vgpr0_vgpr1
	s_branch .LBB206_1071
.LBB206_1067:
	s_mov_b64 s[4:5], -1
                                        ; implicit-def: $vgpr0_vgpr1
.LBB206_1068:
	s_and_b64 vcc, exec, s[4:5]
	s_cbranch_vccz .LBB206_1070
; %bb.1069:
	global_load_ubyte v0, v[2:3], off
	s_mov_b32 s4, 0x7f800000
	s_brev_b32 s5, 1
	s_mov_b32 s16, 0x2f800000
	s_mov_b32 s17, 0xcf800000
	s_waitcnt vmcnt(0)
	v_lshlrev_b32_e32 v0, 24, v0
	v_and_b32_e32 v1, 0x7f000000, v0
	v_ffbh_u32_e32 v5, v1
	v_min_u32_e32 v5, 32, v5
	v_sub_u32_e64 v5, v5, 4 clamp
	v_lshlrev_b32_e32 v7, v5, v1
	v_lshlrev_b32_e32 v5, 23, v5
	v_lshrrev_b32_e32 v7, 4, v7
	v_add_u32_e32 v6, 0x1000000, v1
	v_sub_u32_e32 v5, v7, v5
	v_ashrrev_i32_e32 v6, 8, v6
	v_add_u32_e32 v5, 0x3c000000, v5
	v_and_or_b32 v5, v6, s4, v5
	v_cmp_ne_u32_e32 vcc, 0, v1
	v_cndmask_b32_e32 v1, 0, v5, vcc
	v_and_or_b32 v0, v0, s5, v1
	v_trunc_f32_e32 v0, v0
	v_mul_f32_e64 v1, |v0|, s16
	v_floor_f32_e32 v1, v1
	v_fma_f32 v5, v1, s17, |v0|
	v_cvt_u32_f32_e32 v5, v5
	v_cvt_u32_f32_e32 v1, v1
	v_ashrrev_i32_e32 v6, 31, v0
	v_xor_b32_e32 v0, v5, v6
	v_xor_b32_e32 v1, v1, v6
	v_sub_co_u32_e32 v0, vcc, v0, v6
	v_subb_co_u32_e32 v1, vcc, v1, v6, vcc
.LBB206_1070:
	s_mov_b64 s[4:5], 0
.LBB206_1071:
	s_andn2_b64 vcc, exec, s[4:5]
	s_cbranch_vccnz .LBB206_1073
; %bb.1072:
	global_load_ubyte v0, v[2:3], off
	s_movk_i32 s4, 0x7f00
	s_brev_b32 s5, 16
	s_brev_b32 s16, 1
	s_mov_b32 s17, 0x2f800000
	s_mov_b32 s18, 0xcf800000
	s_waitcnt vmcnt(0)
	v_lshlrev_b16_e32 v1, 8, v0
	v_lshlrev_b32_e32 v0, 25, v0
	v_lshrrev_b32_e32 v5, 4, v0
	v_and_or_b32 v6, v1, s4, 0.5
	v_or_b32_e32 v5, 0x70000000, v5
	v_add_f32_e32 v6, -0.5, v6
	v_mul_f32_e32 v5, 0x7800000, v5
	v_cmp_gt_u32_e32 vcc, s5, v0
	v_bfe_i32 v1, v1, 0, 16
	v_cndmask_b32_e32 v0, v5, v6, vcc
	v_and_or_b32 v0, v1, s16, v0
	v_trunc_f32_e32 v0, v0
	v_mul_f32_e64 v1, |v0|, s17
	v_floor_f32_e32 v1, v1
	v_fma_f32 v5, v1, s18, |v0|
	v_cvt_u32_f32_e32 v5, v5
	v_cvt_u32_f32_e32 v1, v1
	v_ashrrev_i32_e32 v6, 31, v0
	v_xor_b32_e32 v0, v5, v6
	v_xor_b32_e32 v1, v1, v6
	v_sub_co_u32_e32 v0, vcc, v0, v6
	v_subb_co_u32_e32 v1, vcc, v1, v6, vcc
.LBB206_1073:
	s_mov_b64 s[18:19], -1
	s_mov_b64 s[4:5], 0
	s_cbranch_execnz .LBB206_1082
.LBB206_1074:
	s_cmp_gt_i32 s22, 14
	s_cbranch_scc0 .LBB206_1077
; %bb.1075:
	s_cmp_eq_u32 s22, 15
	s_cbranch_scc0 .LBB206_1078
; %bb.1076:
	global_load_ushort v0, v[2:3], off
	s_mov_b32 s0, 0x2f800000
	s_mov_b32 s1, 0xcf800000
	s_mov_b64 s[18:19], -1
	s_waitcnt vmcnt(0)
	v_lshlrev_b32_e32 v0, 16, v0
	v_trunc_f32_e32 v0, v0
	v_mul_f32_e64 v1, |v0|, s0
	v_floor_f32_e32 v1, v1
	v_fma_f32 v5, v1, s1, |v0|
	v_cvt_u32_f32_e32 v5, v5
	v_cvt_u32_f32_e32 v1, v1
	v_ashrrev_i32_e32 v6, 31, v0
	s_mov_b64 s[0:1], 0
	v_xor_b32_e32 v0, v5, v6
	v_xor_b32_e32 v1, v1, v6
	v_sub_co_u32_e32 v0, vcc, v0, v6
	v_subb_co_u32_e32 v1, vcc, v1, v6, vcc
	s_branch .LBB206_1079
.LBB206_1077:
	s_mov_b64 s[16:17], -1
                                        ; implicit-def: $vgpr0_vgpr1
	s_branch .LBB206_1080
.LBB206_1078:
	s_mov_b64 s[0:1], -1
                                        ; implicit-def: $vgpr0_vgpr1
.LBB206_1079:
	s_mov_b64 s[16:17], 0
.LBB206_1080:
	s_and_b64 vcc, exec, s[16:17]
	s_cbranch_vccz .LBB206_1082
; %bb.1081:
	s_cmp_lg_u32 s22, 11
	s_mov_b64 s[4:5], -1
	s_cselect_b64 s[0:1], -1, 0
.LBB206_1082:
	s_and_b64 vcc, exec, s[0:1]
	s_mov_b64 s[16:17], s[14:15]
	s_cbranch_vccnz .LBB206_1143
; %bb.1083:
	s_andn2_b64 vcc, exec, s[4:5]
	s_cbranch_vccnz .LBB206_1085
.LBB206_1084:
	global_load_ubyte v0, v[2:3], off
	s_mov_b32 s0, 0
	s_waitcnt vmcnt(1)
	v_mov_b32_e32 v1, s0
	s_mov_b64 s[18:19], -1
	s_waitcnt vmcnt(0)
	v_cmp_ne_u16_e32 vcc, 0, v0
	v_cndmask_b32_e64 v0, 0, 1, vcc
.LBB206_1085:
	s_branch .LBB206_1020
.LBB206_1086:
	s_cmp_lt_i32 s22, 5
	s_cbranch_scc1 .LBB206_1091
; %bb.1087:
	s_cmp_lt_i32 s22, 8
	s_cbranch_scc1 .LBB206_1092
; %bb.1088:
	;; [unrolled: 3-line block ×3, first 2 shown]
	s_cmp_gt_i32 s22, 9
	s_cbranch_scc0 .LBB206_1094
; %bb.1090:
	global_load_dwordx2 v[0:1], v[2:3], off
	s_movk_i32 s0, 0xffe0
	s_waitcnt vmcnt(0)
	v_trunc_f64_e32 v[0:1], v[0:1]
	v_ldexp_f64 v[5:6], v[0:1], s0
	s_mov_b32 s0, 0
	s_mov_b32 s1, 0xc1f00000
	v_floor_f64_e32 v[5:6], v[5:6]
	v_fma_f64 v[7:8], v[5:6], s[0:1], v[0:1]
	v_cvt_i32_f64_e32 v1, v[5:6]
	s_mov_b64 s[0:1], 0
	v_cvt_u32_f64_e32 v0, v[7:8]
	s_branch .LBB206_1095
.LBB206_1091:
                                        ; implicit-def: $vgpr0_vgpr1
	s_branch .LBB206_1112
.LBB206_1092:
                                        ; implicit-def: $vgpr0_vgpr1
	s_branch .LBB206_1101
.LBB206_1093:
	s_mov_b64 s[0:1], -1
                                        ; implicit-def: $vgpr0_vgpr1
	s_branch .LBB206_1098
.LBB206_1094:
	s_mov_b64 s[0:1], -1
                                        ; implicit-def: $vgpr0_vgpr1
.LBB206_1095:
	s_andn2_b64 vcc, exec, s[0:1]
	s_cbranch_vccnz .LBB206_1097
; %bb.1096:
	global_load_dword v0, v[2:3], off
	s_mov_b32 s0, 0x2f800000
	s_mov_b32 s1, 0xcf800000
	s_waitcnt vmcnt(0)
	v_trunc_f32_e32 v0, v0
	v_mul_f32_e64 v1, |v0|, s0
	v_floor_f32_e32 v1, v1
	v_cvt_u32_f32_e32 v5, v1
	v_fma_f32 v1, v1, s1, |v0|
	v_cvt_u32_f32_e32 v1, v1
	v_ashrrev_i32_e32 v6, 31, v0
	v_xor_b32_e32 v5, v5, v6
	v_xor_b32_e32 v0, v1, v6
	v_sub_co_u32_e32 v0, vcc, v0, v6
	v_subb_co_u32_e32 v1, vcc, v5, v6, vcc
.LBB206_1097:
	s_mov_b64 s[0:1], 0
.LBB206_1098:
	s_andn2_b64 vcc, exec, s[0:1]
	s_cbranch_vccnz .LBB206_1100
; %bb.1099:
	global_load_dword v0, v[2:3], off
	s_waitcnt vmcnt(0)
	v_cvt_f32_f16_e32 v0, v0
	v_cvt_i32_f32_e32 v0, v0
	v_ashrrev_i32_e32 v1, 31, v0
.LBB206_1100:
	s_cbranch_execnz .LBB206_1111
.LBB206_1101:
	s_cmp_lt_i32 s22, 6
	s_cbranch_scc1 .LBB206_1104
; %bb.1102:
	s_cmp_gt_i32 s22, 6
	s_cbranch_scc0 .LBB206_1105
; %bb.1103:
	global_load_dwordx2 v[0:1], v[2:3], off
	s_movk_i32 s0, 0xffe0
	s_waitcnt vmcnt(0)
	v_trunc_f64_e32 v[0:1], v[0:1]
	v_ldexp_f64 v[5:6], v[0:1], s0
	s_mov_b32 s0, 0
	s_mov_b32 s1, 0xc1f00000
	v_floor_f64_e32 v[5:6], v[5:6]
	v_fma_f64 v[7:8], v[5:6], s[0:1], v[0:1]
	v_cvt_i32_f64_e32 v1, v[5:6]
	s_mov_b64 s[0:1], 0
	v_cvt_u32_f64_e32 v0, v[7:8]
	s_branch .LBB206_1106
.LBB206_1104:
	s_mov_b64 s[0:1], -1
                                        ; implicit-def: $vgpr0_vgpr1
	s_branch .LBB206_1109
.LBB206_1105:
	s_mov_b64 s[0:1], -1
                                        ; implicit-def: $vgpr0_vgpr1
.LBB206_1106:
	s_andn2_b64 vcc, exec, s[0:1]
	s_cbranch_vccnz .LBB206_1108
; %bb.1107:
	global_load_dword v0, v[2:3], off
	s_mov_b32 s0, 0x2f800000
	s_mov_b32 s1, 0xcf800000
	s_waitcnt vmcnt(0)
	v_trunc_f32_e32 v0, v0
	v_mul_f32_e64 v1, |v0|, s0
	v_floor_f32_e32 v1, v1
	v_cvt_u32_f32_e32 v5, v1
	v_fma_f32 v1, v1, s1, |v0|
	v_cvt_u32_f32_e32 v1, v1
	v_ashrrev_i32_e32 v6, 31, v0
	v_xor_b32_e32 v5, v5, v6
	v_xor_b32_e32 v0, v1, v6
	v_sub_co_u32_e32 v0, vcc, v0, v6
	v_subb_co_u32_e32 v1, vcc, v5, v6, vcc
.LBB206_1108:
	s_mov_b64 s[0:1], 0
.LBB206_1109:
	s_andn2_b64 vcc, exec, s[0:1]
	s_cbranch_vccnz .LBB206_1111
; %bb.1110:
	global_load_ushort v0, v[2:3], off
	s_waitcnt vmcnt(0)
	v_cvt_f32_f16_e32 v0, v0
	v_cvt_i32_f32_e32 v0, v0
	v_ashrrev_i32_e32 v1, 31, v0
.LBB206_1111:
	s_cbranch_execnz .LBB206_1130
.LBB206_1112:
	s_cmp_lt_i32 s22, 2
	s_cbranch_scc1 .LBB206_1116
; %bb.1113:
	s_cmp_lt_i32 s22, 3
	s_cbranch_scc1 .LBB206_1117
; %bb.1114:
	s_cmp_gt_i32 s22, 3
	s_cbranch_scc0 .LBB206_1118
; %bb.1115:
	global_load_dwordx2 v[0:1], v[2:3], off
	s_mov_b64 s[0:1], 0
	s_branch .LBB206_1119
.LBB206_1116:
                                        ; implicit-def: $vgpr0_vgpr1
	s_branch .LBB206_1125
.LBB206_1117:
	s_mov_b64 s[0:1], -1
                                        ; implicit-def: $vgpr0_vgpr1
	s_branch .LBB206_1122
.LBB206_1118:
	s_mov_b64 s[0:1], -1
                                        ; implicit-def: $vgpr0_vgpr1
.LBB206_1119:
	s_andn2_b64 vcc, exec, s[0:1]
	s_cbranch_vccnz .LBB206_1121
; %bb.1120:
	global_load_dword v0, v[2:3], off
	s_waitcnt vmcnt(0)
	v_ashrrev_i32_e32 v1, 31, v0
.LBB206_1121:
	s_mov_b64 s[0:1], 0
.LBB206_1122:
	s_andn2_b64 vcc, exec, s[0:1]
	s_cbranch_vccnz .LBB206_1124
; %bb.1123:
	global_load_ushort v0, v[2:3], off
	s_waitcnt vmcnt(0)
	v_bfe_i32 v0, v0, 0, 16
	v_ashrrev_i32_e32 v1, 31, v0
.LBB206_1124:
	s_cbranch_execnz .LBB206_1130
.LBB206_1125:
	s_cmp_gt_i32 s22, 0
	s_cbranch_scc0 .LBB206_1127
; %bb.1126:
	global_load_sbyte v0, v[2:3], off
	s_mov_b64 s[0:1], 0
	s_waitcnt vmcnt(0)
	v_bfe_i32 v0, v0, 0, 16
	v_ashrrev_i32_e32 v1, 31, v0
	s_branch .LBB206_1128
.LBB206_1127:
	s_mov_b64 s[0:1], -1
                                        ; implicit-def: $vgpr0_vgpr1
.LBB206_1128:
	s_andn2_b64 vcc, exec, s[0:1]
	s_cbranch_vccnz .LBB206_1130
; %bb.1129:
	global_load_ubyte v0, v[2:3], off
	s_mov_b32 s0, 0
	s_waitcnt vmcnt(1)
	v_mov_b32_e32 v1, s0
	s_waitcnt vmcnt(0)
	v_and_b32_e32 v0, 0xffff, v0
.LBB206_1130:
.LBB206_1131:
	s_lshl_b32 s3, s3, 7
	v_add_u32_e32 v6, s3, v4
	v_ashrrev_i32_e32 v2, 31, v6
	v_mov_b32_e32 v3, s11
	v_add_co_u32_e32 v4, vcc, s10, v6
	s_cmp_lt_i32 s22, 11
	v_addc_co_u32_e32 v5, vcc, v3, v2, vcc
	s_cbranch_scc1 .LBB206_1138
; %bb.1132:
	s_cmp_gt_i32 s22, 25
	s_mov_b64 s[4:5], 0
	s_cbranch_scc0 .LBB206_1140
; %bb.1133:
	s_cmp_gt_i32 s22, 28
	s_cbranch_scc0 .LBB206_1141
; %bb.1134:
	s_cmp_gt_i32 s22, 43
	;; [unrolled: 3-line block ×3, first 2 shown]
	s_cbranch_scc0 .LBB206_1144
; %bb.1136:
	s_cmp_eq_u32 s22, 46
	s_mov_b64 s[20:21], 0
	s_cbranch_scc0 .LBB206_1147
; %bb.1137:
	global_load_dword v2, v[4:5], off
	s_mov_b32 s0, 0x2f800000
	s_mov_b32 s1, 0xcf800000
	s_mov_b64 s[18:19], -1
	s_waitcnt vmcnt(0)
	v_lshlrev_b32_e32 v2, 16, v2
	v_trunc_f32_e32 v2, v2
	v_mul_f32_e64 v3, |v2|, s0
	v_floor_f32_e32 v3, v3
	v_fma_f32 v7, v3, s1, |v2|
	v_cvt_u32_f32_e32 v7, v7
	v_cvt_u32_f32_e32 v3, v3
	v_ashrrev_i32_e32 v8, 31, v2
	s_mov_b64 s[0:1], 0
	v_xor_b32_e32 v2, v7, v8
	v_xor_b32_e32 v3, v3, v8
	v_sub_co_u32_e32 v2, vcc, v2, v8
	v_subb_co_u32_e32 v3, vcc, v3, v8, vcc
	s_branch .LBB206_1148
.LBB206_1138:
	s_mov_b64 s[18:19], 0
                                        ; implicit-def: $vgpr2_vgpr3
	s_cbranch_execnz .LBB206_1209
.LBB206_1139:
	s_andn2_b64 vcc, exec, s[18:19]
	s_cbranch_vccnz .LBB206_1940
	s_branch .LBB206_1256
.LBB206_1140:
	s_mov_b64 s[18:19], 0
	s_mov_b64 s[0:1], 0
                                        ; implicit-def: $vgpr2_vgpr3
	s_cbranch_execnz .LBB206_1177
	s_branch .LBB206_1205
.LBB206_1141:
	s_mov_b64 s[20:21], -1
	s_mov_b64 s[18:19], 0
	s_mov_b64 s[0:1], 0
                                        ; implicit-def: $vgpr2_vgpr3
	s_branch .LBB206_1158
.LBB206_1142:
	s_mov_b64 s[20:21], -1
	s_mov_b64 s[18:19], 0
	s_mov_b64 s[0:1], 0
                                        ; implicit-def: $vgpr2_vgpr3
	s_branch .LBB206_1153
.LBB206_1143:
	s_or_b64 s[16:17], s[14:15], exec
	s_trap 2
	s_cbranch_execz .LBB206_1084
	s_branch .LBB206_1085
.LBB206_1144:
	s_mov_b64 s[20:21], -1
	s_mov_b64 s[18:19], 0
	s_mov_b64 s[0:1], 0
                                        ; implicit-def: $vgpr2_vgpr3
	s_branch .LBB206_1148
.LBB206_1145:
	s_andn2_saveexec_b64 s[26:27], s[26:27]
	s_cbranch_execz .LBB206_936
.LBB206_1146:
	s_mov_b32 s30, 0x42800000
	v_add_f32_e64 v5, |v4|, s30
	v_and_b32_e32 v5, 0xff, v5
	v_cmp_ne_u32_e32 vcc, 0, v5
	s_andn2_b64 s[24:25], s[24:25], exec
	s_and_b64 s[30:31], vcc, exec
	s_or_b64 s[24:25], s[24:25], s[30:31]
	s_or_b64 exec, exec, s[26:27]
	v_mov_b32_e32 v6, 0
	s_and_saveexec_b64 s[26:27], s[24:25]
	s_cbranch_execnz .LBB206_937
	s_branch .LBB206_938
.LBB206_1147:
	s_mov_b64 s[0:1], -1
                                        ; implicit-def: $vgpr2_vgpr3
	s_mov_b64 s[18:19], 0
.LBB206_1148:
	s_and_b64 vcc, exec, s[20:21]
	s_cbranch_vccz .LBB206_1152
; %bb.1149:
	s_cmp_eq_u32 s22, 44
	s_cbranch_scc0 .LBB206_1151
; %bb.1150:
	global_load_ubyte v2, v[4:5], off
	s_mov_b32 s0, 0x2f800000
	s_mov_b32 s1, 0xcf800000
	s_mov_b64 s[18:19], -1
	s_waitcnt vmcnt(0)
	v_lshlrev_b32_e32 v3, 23, v2
	v_trunc_f32_e32 v3, v3
	v_mul_f32_e64 v7, |v3|, s0
	v_floor_f32_e32 v7, v7
	v_fma_f32 v8, v7, s1, |v3|
	v_cvt_u32_f32_e32 v8, v8
	v_cvt_u32_f32_e32 v7, v7
	v_ashrrev_i32_e32 v3, 31, v3
	s_mov_b64 s[0:1], 0
	v_xor_b32_e32 v8, v8, v3
	v_xor_b32_e32 v7, v7, v3
	v_sub_co_u32_e32 v8, vcc, v8, v3
	v_subb_co_u32_e32 v3, vcc, v7, v3, vcc
	v_cmp_ne_u32_e32 vcc, 0, v2
	v_cndmask_b32_e32 v3, 0, v3, vcc
	v_cndmask_b32_e32 v2, 0, v8, vcc
	s_branch .LBB206_1152
.LBB206_1151:
	s_mov_b64 s[0:1], -1
                                        ; implicit-def: $vgpr2_vgpr3
.LBB206_1152:
	s_mov_b64 s[20:21], 0
.LBB206_1153:
	s_and_b64 vcc, exec, s[20:21]
	s_cbranch_vccz .LBB206_1157
; %bb.1154:
	s_cmp_eq_u32 s22, 29
	s_cbranch_scc0 .LBB206_1156
; %bb.1155:
	global_load_dwordx2 v[2:3], v[4:5], off
	s_mov_b64 s[0:1], 0
	s_mov_b64 s[18:19], -1
	s_branch .LBB206_1157
.LBB206_1156:
	s_mov_b64 s[0:1], -1
                                        ; implicit-def: $vgpr2_vgpr3
.LBB206_1157:
	s_mov_b64 s[20:21], 0
.LBB206_1158:
	s_and_b64 vcc, exec, s[20:21]
	s_cbranch_vccz .LBB206_1176
; %bb.1159:
	s_cmp_lt_i32 s22, 27
	s_cbranch_scc1 .LBB206_1162
; %bb.1160:
	s_cmp_gt_i32 s22, 27
	s_cbranch_scc0 .LBB206_1163
; %bb.1161:
	global_load_dword v2, v[4:5], off
	s_waitcnt vmcnt(1)
	v_mov_b32_e32 v3, 0
	s_mov_b64 s[18:19], 0
	s_branch .LBB206_1164
.LBB206_1162:
	s_mov_b64 s[18:19], -1
                                        ; implicit-def: $vgpr2_vgpr3
	s_branch .LBB206_1167
.LBB206_1163:
	s_mov_b64 s[18:19], -1
                                        ; implicit-def: $vgpr2_vgpr3
.LBB206_1164:
	s_andn2_b64 vcc, exec, s[18:19]
	s_cbranch_vccnz .LBB206_1166
; %bb.1165:
	global_load_ushort v2, v[4:5], off
	s_mov_b32 s18, 0
	s_waitcnt vmcnt(1)
	v_mov_b32_e32 v3, s18
	s_waitcnt vmcnt(0)
	v_and_b32_e32 v2, 0xffff, v2
.LBB206_1166:
	s_mov_b64 s[18:19], 0
.LBB206_1167:
	s_andn2_b64 vcc, exec, s[18:19]
	s_cbranch_vccnz .LBB206_1175
; %bb.1168:
	global_load_ubyte v7, v[4:5], off
	s_movk_i32 s18, 0x7f
	s_mov_b64 s[20:21], 0
	s_waitcnt vmcnt(0)
	v_cmp_lt_i16_e32 vcc, s18, v7
	s_and_saveexec_b64 s[18:19], vcc
	s_xor_b64 s[18:19], exec, s[18:19]
; %bb.1169:
	s_movk_i32 s20, 0x80
	v_cmp_ne_u16_e32 vcc, s20, v7
	s_and_b64 s[20:21], vcc, exec
; %bb.1170:
	s_andn2_saveexec_b64 s[18:19], s[18:19]
; %bb.1171:
	v_cmp_ne_u16_e32 vcc, 0, v7
	s_andn2_b64 s[20:21], s[20:21], exec
	s_and_b64 s[24:25], vcc, exec
	s_or_b64 s[20:21], s[20:21], s[24:25]
; %bb.1172:
	s_or_b64 exec, exec, s[18:19]
	v_mov_b32_e32 v2, 0
	v_mov_b32_e32 v3, 0
	s_and_saveexec_b64 s[18:19], s[20:21]
	s_cbranch_execz .LBB206_1174
; %bb.1173:
	v_and_b32_e32 v3, 0xffff, v7
	v_lshlrev_b32_e32 v2, 24, v7
	v_and_b32_e32 v7, 7, v3
	v_ffbh_u32_e32 v9, v7
	v_min_u32_e32 v9, 32, v9
	v_subrev_u32_e32 v11, 28, v9
	v_bfe_u32 v8, v3, 3, 4
	v_lshlrev_b32_e32 v3, v11, v3
	v_sub_u32_e32 v9, 29, v9
	v_and_b32_e32 v3, 7, v3
	v_cmp_eq_u32_e32 vcc, 0, v8
	v_cndmask_b32_e32 v8, v8, v9, vcc
	v_cndmask_b32_e32 v3, v7, v3, vcc
	v_mov_b32_e32 v7, 0x3b800000
	v_lshlrev_b32_e32 v3, 20, v3
	v_and_b32_e32 v2, 0x80000000, v2
	v_lshl_add_u32 v7, v8, 23, v7
	v_or3_b32 v2, v2, v7, v3
	v_trunc_f32_e32 v2, v2
	s_mov_b32 s20, 0x2f800000
	v_mul_f32_e64 v3, |v2|, s20
	v_floor_f32_e32 v3, v3
	s_mov_b32 s20, 0xcf800000
	v_fma_f32 v7, v3, s20, |v2|
	v_cvt_u32_f32_e32 v7, v7
	v_cvt_u32_f32_e32 v3, v3
	v_ashrrev_i32_e32 v8, 31, v2
	v_xor_b32_e32 v2, v7, v8
	v_xor_b32_e32 v3, v3, v8
	v_sub_co_u32_e32 v2, vcc, v2, v8
	v_subb_co_u32_e32 v3, vcc, v3, v8, vcc
.LBB206_1174:
	s_or_b64 exec, exec, s[18:19]
.LBB206_1175:
	s_mov_b64 s[18:19], -1
.LBB206_1176:
	s_branch .LBB206_1205
.LBB206_1177:
	s_cmp_gt_i32 s22, 22
	s_cbranch_scc0 .LBB206_1187
; %bb.1178:
	s_cmp_lt_i32 s22, 24
	s_cbranch_scc1 .LBB206_1188
; %bb.1179:
	s_cmp_gt_i32 s22, 24
	s_cbranch_scc0 .LBB206_1189
; %bb.1180:
	global_load_ubyte v7, v[4:5], off
	s_movk_i32 s4, 0x7f
	s_mov_b64 s[18:19], 0
	s_waitcnt vmcnt(0)
	v_cmp_lt_i16_e32 vcc, s4, v7
	s_and_saveexec_b64 s[4:5], vcc
	s_xor_b64 s[4:5], exec, s[4:5]
; %bb.1181:
	s_movk_i32 s18, 0x80
	v_cmp_ne_u16_e32 vcc, s18, v7
	s_and_b64 s[18:19], vcc, exec
; %bb.1182:
	s_andn2_saveexec_b64 s[4:5], s[4:5]
; %bb.1183:
	v_cmp_ne_u16_e32 vcc, 0, v7
	s_andn2_b64 s[18:19], s[18:19], exec
	s_and_b64 s[20:21], vcc, exec
	s_or_b64 s[18:19], s[18:19], s[20:21]
; %bb.1184:
	s_or_b64 exec, exec, s[4:5]
	v_mov_b32_e32 v2, 0
	v_mov_b32_e32 v3, 0
	s_and_saveexec_b64 s[4:5], s[18:19]
	s_cbranch_execz .LBB206_1186
; %bb.1185:
	v_and_b32_e32 v3, 0xffff, v7
	v_lshlrev_b32_e32 v2, 24, v7
	v_and_b32_e32 v7, 3, v3
	v_ffbh_u32_e32 v9, v7
	v_min_u32_e32 v9, 32, v9
	v_subrev_u32_e32 v11, 29, v9
	v_bfe_u32 v8, v3, 2, 5
	v_lshlrev_b32_e32 v3, v11, v3
	v_sub_u32_e32 v9, 30, v9
	v_and_b32_e32 v3, 3, v3
	v_cmp_eq_u32_e32 vcc, 0, v8
	v_cndmask_b32_e32 v8, v8, v9, vcc
	v_cndmask_b32_e32 v3, v7, v3, vcc
	v_mov_b32_e32 v7, 0x37800000
	v_lshlrev_b32_e32 v3, 21, v3
	v_and_b32_e32 v2, 0x80000000, v2
	v_lshl_add_u32 v7, v8, 23, v7
	v_or3_b32 v2, v2, v7, v3
	v_trunc_f32_e32 v2, v2
	s_mov_b32 s18, 0x2f800000
	v_mul_f32_e64 v3, |v2|, s18
	v_floor_f32_e32 v3, v3
	s_mov_b32 s18, 0xcf800000
	v_fma_f32 v7, v3, s18, |v2|
	v_cvt_u32_f32_e32 v7, v7
	v_cvt_u32_f32_e32 v3, v3
	v_ashrrev_i32_e32 v8, 31, v2
	v_xor_b32_e32 v2, v7, v8
	v_xor_b32_e32 v3, v3, v8
	v_sub_co_u32_e32 v2, vcc, v2, v8
	v_subb_co_u32_e32 v3, vcc, v3, v8, vcc
.LBB206_1186:
	s_or_b64 exec, exec, s[4:5]
	s_mov_b64 s[4:5], 0
	s_branch .LBB206_1190
.LBB206_1187:
	s_mov_b64 s[4:5], -1
                                        ; implicit-def: $vgpr2_vgpr3
	s_branch .LBB206_1196
.LBB206_1188:
	s_mov_b64 s[4:5], -1
                                        ; implicit-def: $vgpr2_vgpr3
	s_branch .LBB206_1193
.LBB206_1189:
	s_mov_b64 s[4:5], -1
                                        ; implicit-def: $vgpr2_vgpr3
.LBB206_1190:
	s_and_b64 vcc, exec, s[4:5]
	s_cbranch_vccz .LBB206_1192
; %bb.1191:
	global_load_ubyte v2, v[4:5], off
	s_mov_b32 s4, 0x7f800000
	s_brev_b32 s5, 1
	s_mov_b32 s18, 0x2f800000
	s_mov_b32 s19, 0xcf800000
	s_waitcnt vmcnt(0)
	v_lshlrev_b32_e32 v2, 24, v2
	v_and_b32_e32 v3, 0x7f000000, v2
	v_ffbh_u32_e32 v7, v3
	v_min_u32_e32 v7, 32, v7
	v_sub_u32_e64 v7, v7, 4 clamp
	v_lshlrev_b32_e32 v9, v7, v3
	v_lshlrev_b32_e32 v7, 23, v7
	v_lshrrev_b32_e32 v9, 4, v9
	v_add_u32_e32 v8, 0x1000000, v3
	v_sub_u32_e32 v7, v9, v7
	v_ashrrev_i32_e32 v8, 8, v8
	v_add_u32_e32 v7, 0x3c000000, v7
	v_and_or_b32 v7, v8, s4, v7
	v_cmp_ne_u32_e32 vcc, 0, v3
	v_cndmask_b32_e32 v3, 0, v7, vcc
	v_and_or_b32 v2, v2, s5, v3
	v_trunc_f32_e32 v2, v2
	v_mul_f32_e64 v3, |v2|, s18
	v_floor_f32_e32 v3, v3
	v_fma_f32 v7, v3, s19, |v2|
	v_cvt_u32_f32_e32 v7, v7
	v_cvt_u32_f32_e32 v3, v3
	v_ashrrev_i32_e32 v8, 31, v2
	v_xor_b32_e32 v2, v7, v8
	v_xor_b32_e32 v3, v3, v8
	v_sub_co_u32_e32 v2, vcc, v2, v8
	v_subb_co_u32_e32 v3, vcc, v3, v8, vcc
.LBB206_1192:
	s_mov_b64 s[4:5], 0
.LBB206_1193:
	s_andn2_b64 vcc, exec, s[4:5]
	s_cbranch_vccnz .LBB206_1195
; %bb.1194:
	global_load_ubyte v2, v[4:5], off
	s_movk_i32 s4, 0x7f00
	s_brev_b32 s5, 16
	s_brev_b32 s18, 1
	s_mov_b32 s19, 0x2f800000
	s_mov_b32 s20, 0xcf800000
	s_waitcnt vmcnt(0)
	v_lshlrev_b16_e32 v3, 8, v2
	v_lshlrev_b32_e32 v2, 25, v2
	v_lshrrev_b32_e32 v7, 4, v2
	v_and_or_b32 v8, v3, s4, 0.5
	v_or_b32_e32 v7, 0x70000000, v7
	v_add_f32_e32 v8, -0.5, v8
	v_mul_f32_e32 v7, 0x7800000, v7
	v_cmp_gt_u32_e32 vcc, s5, v2
	v_bfe_i32 v3, v3, 0, 16
	v_cndmask_b32_e32 v2, v7, v8, vcc
	v_and_or_b32 v2, v3, s18, v2
	v_trunc_f32_e32 v2, v2
	v_mul_f32_e64 v3, |v2|, s19
	v_floor_f32_e32 v3, v3
	v_fma_f32 v7, v3, s20, |v2|
	v_cvt_u32_f32_e32 v7, v7
	v_cvt_u32_f32_e32 v3, v3
	v_ashrrev_i32_e32 v8, 31, v2
	v_xor_b32_e32 v2, v7, v8
	v_xor_b32_e32 v3, v3, v8
	v_sub_co_u32_e32 v2, vcc, v2, v8
	v_subb_co_u32_e32 v3, vcc, v3, v8, vcc
.LBB206_1195:
	s_mov_b64 s[4:5], 0
	s_mov_b64 s[18:19], -1
.LBB206_1196:
	s_andn2_b64 vcc, exec, s[4:5]
	s_mov_b64 s[4:5], 0
	s_cbranch_vccnz .LBB206_1205
; %bb.1197:
	s_cmp_gt_i32 s22, 14
	s_cbranch_scc0 .LBB206_1200
; %bb.1198:
	s_cmp_eq_u32 s22, 15
	s_cbranch_scc0 .LBB206_1201
; %bb.1199:
	global_load_ushort v2, v[4:5], off
	s_mov_b32 s0, 0x2f800000
	s_mov_b32 s1, 0xcf800000
	s_mov_b64 s[18:19], -1
	s_waitcnt vmcnt(0)
	v_lshlrev_b32_e32 v2, 16, v2
	v_trunc_f32_e32 v2, v2
	v_mul_f32_e64 v3, |v2|, s0
	v_floor_f32_e32 v3, v3
	v_fma_f32 v7, v3, s1, |v2|
	v_cvt_u32_f32_e32 v7, v7
	v_cvt_u32_f32_e32 v3, v3
	v_ashrrev_i32_e32 v8, 31, v2
	s_mov_b64 s[0:1], 0
	v_xor_b32_e32 v2, v7, v8
	v_xor_b32_e32 v3, v3, v8
	v_sub_co_u32_e32 v2, vcc, v2, v8
	v_subb_co_u32_e32 v3, vcc, v3, v8, vcc
	s_branch .LBB206_1202
.LBB206_1200:
	s_mov_b64 s[20:21], -1
                                        ; implicit-def: $vgpr2_vgpr3
	s_branch .LBB206_1203
.LBB206_1201:
	s_mov_b64 s[0:1], -1
                                        ; implicit-def: $vgpr2_vgpr3
.LBB206_1202:
	s_mov_b64 s[20:21], 0
.LBB206_1203:
	s_and_b64 vcc, exec, s[20:21]
	s_cbranch_vccz .LBB206_1205
; %bb.1204:
	s_cmp_lg_u32 s22, 11
	s_mov_b64 s[4:5], -1
	s_cselect_b64 s[0:1], -1, 0
.LBB206_1205:
	s_and_b64 vcc, exec, s[0:1]
	s_cbranch_vccnz .LBB206_1268
; %bb.1206:
	s_andn2_b64 vcc, exec, s[4:5]
	s_cbranch_vccnz .LBB206_1208
.LBB206_1207:
	global_load_ubyte v2, v[4:5], off
	s_mov_b32 s0, 0
	s_waitcnt vmcnt(1)
	v_mov_b32_e32 v3, s0
	s_mov_b64 s[18:19], -1
	s_waitcnt vmcnt(0)
	v_cmp_ne_u16_e32 vcc, 0, v2
	v_cndmask_b32_e64 v2, 0, 1, vcc
.LBB206_1208:
	s_branch .LBB206_1139
.LBB206_1209:
	s_cmp_lt_i32 s22, 5
	s_cbranch_scc1 .LBB206_1214
; %bb.1210:
	s_cmp_lt_i32 s22, 8
	s_cbranch_scc1 .LBB206_1215
; %bb.1211:
	;; [unrolled: 3-line block ×3, first 2 shown]
	s_cmp_gt_i32 s22, 9
	s_cbranch_scc0 .LBB206_1217
; %bb.1213:
	global_load_dwordx2 v[2:3], v[4:5], off
	s_movk_i32 s0, 0xffe0
	s_waitcnt vmcnt(0)
	v_trunc_f64_e32 v[2:3], v[2:3]
	v_ldexp_f64 v[7:8], v[2:3], s0
	s_mov_b32 s0, 0
	s_mov_b32 s1, 0xc1f00000
	v_floor_f64_e32 v[7:8], v[7:8]
	v_fma_f64 v[11:12], v[7:8], s[0:1], v[2:3]
	v_cvt_i32_f64_e32 v3, v[7:8]
	s_mov_b64 s[0:1], 0
	v_cvt_u32_f64_e32 v2, v[11:12]
	s_branch .LBB206_1218
.LBB206_1214:
                                        ; implicit-def: $vgpr2_vgpr3
	s_branch .LBB206_1236
.LBB206_1215:
	s_mov_b64 s[0:1], -1
                                        ; implicit-def: $vgpr2_vgpr3
	s_branch .LBB206_1224
.LBB206_1216:
	s_mov_b64 s[0:1], -1
                                        ; implicit-def: $vgpr2_vgpr3
	s_branch .LBB206_1221
.LBB206_1217:
	s_mov_b64 s[0:1], -1
                                        ; implicit-def: $vgpr2_vgpr3
.LBB206_1218:
	s_andn2_b64 vcc, exec, s[0:1]
	s_cbranch_vccnz .LBB206_1220
; %bb.1219:
	global_load_dword v2, v[4:5], off
	s_mov_b32 s0, 0x2f800000
	s_mov_b32 s1, 0xcf800000
	s_waitcnt vmcnt(0)
	v_trunc_f32_e32 v2, v2
	v_mul_f32_e64 v3, |v2|, s0
	v_floor_f32_e32 v3, v3
	v_cvt_u32_f32_e32 v7, v3
	v_fma_f32 v3, v3, s1, |v2|
	v_cvt_u32_f32_e32 v3, v3
	v_ashrrev_i32_e32 v8, 31, v2
	v_xor_b32_e32 v7, v7, v8
	v_xor_b32_e32 v2, v3, v8
	v_sub_co_u32_e32 v2, vcc, v2, v8
	v_subb_co_u32_e32 v3, vcc, v7, v8, vcc
.LBB206_1220:
	s_mov_b64 s[0:1], 0
.LBB206_1221:
	s_andn2_b64 vcc, exec, s[0:1]
	s_cbranch_vccnz .LBB206_1223
; %bb.1222:
	global_load_dword v2, v[4:5], off
	s_waitcnt vmcnt(0)
	v_cvt_f32_f16_e32 v2, v2
	v_cvt_i32_f32_e32 v2, v2
	v_ashrrev_i32_e32 v3, 31, v2
.LBB206_1223:
	s_mov_b64 s[0:1], 0
.LBB206_1224:
	s_andn2_b64 vcc, exec, s[0:1]
	s_cbranch_vccnz .LBB206_1235
; %bb.1225:
	s_cmp_lt_i32 s22, 6
	s_cbranch_scc1 .LBB206_1228
; %bb.1226:
	s_cmp_gt_i32 s22, 6
	s_cbranch_scc0 .LBB206_1229
; %bb.1227:
	global_load_dwordx2 v[2:3], v[4:5], off
	s_movk_i32 s0, 0xffe0
	s_waitcnt vmcnt(0)
	v_trunc_f64_e32 v[2:3], v[2:3]
	v_ldexp_f64 v[7:8], v[2:3], s0
	s_mov_b32 s0, 0
	s_mov_b32 s1, 0xc1f00000
	v_floor_f64_e32 v[7:8], v[7:8]
	v_fma_f64 v[11:12], v[7:8], s[0:1], v[2:3]
	v_cvt_i32_f64_e32 v3, v[7:8]
	s_mov_b64 s[0:1], 0
	v_cvt_u32_f64_e32 v2, v[11:12]
	s_branch .LBB206_1230
.LBB206_1228:
	s_mov_b64 s[0:1], -1
                                        ; implicit-def: $vgpr2_vgpr3
	s_branch .LBB206_1233
.LBB206_1229:
	s_mov_b64 s[0:1], -1
                                        ; implicit-def: $vgpr2_vgpr3
.LBB206_1230:
	s_andn2_b64 vcc, exec, s[0:1]
	s_cbranch_vccnz .LBB206_1232
; %bb.1231:
	global_load_dword v2, v[4:5], off
	s_mov_b32 s0, 0x2f800000
	s_mov_b32 s1, 0xcf800000
	s_waitcnt vmcnt(0)
	v_trunc_f32_e32 v2, v2
	v_mul_f32_e64 v3, |v2|, s0
	v_floor_f32_e32 v3, v3
	v_cvt_u32_f32_e32 v7, v3
	v_fma_f32 v3, v3, s1, |v2|
	v_cvt_u32_f32_e32 v3, v3
	v_ashrrev_i32_e32 v8, 31, v2
	v_xor_b32_e32 v7, v7, v8
	v_xor_b32_e32 v2, v3, v8
	v_sub_co_u32_e32 v2, vcc, v2, v8
	v_subb_co_u32_e32 v3, vcc, v7, v8, vcc
.LBB206_1232:
	s_mov_b64 s[0:1], 0
.LBB206_1233:
	s_andn2_b64 vcc, exec, s[0:1]
	s_cbranch_vccnz .LBB206_1235
; %bb.1234:
	global_load_ushort v2, v[4:5], off
	s_waitcnt vmcnt(0)
	v_cvt_f32_f16_e32 v2, v2
	v_cvt_i32_f32_e32 v2, v2
	v_ashrrev_i32_e32 v3, 31, v2
.LBB206_1235:
	s_cbranch_execnz .LBB206_1255
.LBB206_1236:
	s_cmp_lt_i32 s22, 2
	s_cbranch_scc1 .LBB206_1240
; %bb.1237:
	s_cmp_lt_i32 s22, 3
	s_cbranch_scc1 .LBB206_1241
; %bb.1238:
	s_cmp_gt_i32 s22, 3
	s_cbranch_scc0 .LBB206_1242
; %bb.1239:
	global_load_dwordx2 v[2:3], v[4:5], off
	s_mov_b64 s[0:1], 0
	s_branch .LBB206_1243
.LBB206_1240:
	s_mov_b64 s[0:1], -1
                                        ; implicit-def: $vgpr2_vgpr3
	s_branch .LBB206_1249
.LBB206_1241:
	s_mov_b64 s[0:1], -1
                                        ; implicit-def: $vgpr2_vgpr3
	s_branch .LBB206_1246
.LBB206_1242:
	s_mov_b64 s[0:1], -1
                                        ; implicit-def: $vgpr2_vgpr3
.LBB206_1243:
	s_andn2_b64 vcc, exec, s[0:1]
	s_cbranch_vccnz .LBB206_1245
; %bb.1244:
	global_load_dword v2, v[4:5], off
	s_waitcnt vmcnt(0)
	v_ashrrev_i32_e32 v3, 31, v2
.LBB206_1245:
	s_mov_b64 s[0:1], 0
.LBB206_1246:
	s_andn2_b64 vcc, exec, s[0:1]
	s_cbranch_vccnz .LBB206_1248
; %bb.1247:
	global_load_ushort v2, v[4:5], off
	s_waitcnt vmcnt(0)
	v_bfe_i32 v2, v2, 0, 16
	v_ashrrev_i32_e32 v3, 31, v2
.LBB206_1248:
	s_mov_b64 s[0:1], 0
.LBB206_1249:
	s_andn2_b64 vcc, exec, s[0:1]
	s_cbranch_vccnz .LBB206_1255
; %bb.1250:
	s_cmp_gt_i32 s22, 0
	s_cbranch_scc0 .LBB206_1252
; %bb.1251:
	global_load_sbyte v2, v[4:5], off
	s_mov_b64 s[0:1], 0
	s_waitcnt vmcnt(0)
	v_bfe_i32 v2, v2, 0, 16
	v_ashrrev_i32_e32 v3, 31, v2
	s_branch .LBB206_1253
.LBB206_1252:
	s_mov_b64 s[0:1], -1
                                        ; implicit-def: $vgpr2_vgpr3
.LBB206_1253:
	s_andn2_b64 vcc, exec, s[0:1]
	s_cbranch_vccnz .LBB206_1255
; %bb.1254:
	global_load_ubyte v2, v[4:5], off
	s_mov_b32 s0, 0
	s_waitcnt vmcnt(1)
	v_mov_b32_e32 v3, s0
	s_waitcnt vmcnt(0)
	v_and_b32_e32 v2, 0xffff, v2
.LBB206_1255:
.LBB206_1256:
	v_add_u32_e32 v8, s3, v6
	v_ashrrev_i32_e32 v4, 31, v8
	v_mov_b32_e32 v5, s11
	v_add_co_u32_e32 v6, vcc, s10, v8
	s_cmp_lt_i32 s22, 11
	v_addc_co_u32_e32 v7, vcc, v5, v4, vcc
	s_cbranch_scc1 .LBB206_1263
; %bb.1257:
	s_cmp_gt_i32 s22, 25
	s_mov_b64 s[4:5], 0
	s_cbranch_scc0 .LBB206_1265
; %bb.1258:
	s_cmp_gt_i32 s22, 28
	s_cbranch_scc0 .LBB206_1266
; %bb.1259:
	s_cmp_gt_i32 s22, 43
	;; [unrolled: 3-line block ×3, first 2 shown]
	s_cbranch_scc0 .LBB206_1269
; %bb.1261:
	s_cmp_eq_u32 s22, 46
	s_mov_b64 s[20:21], 0
	s_cbranch_scc0 .LBB206_1270
; %bb.1262:
	global_load_dword v4, v[6:7], off
	s_mov_b32 s0, 0x2f800000
	s_mov_b32 s1, 0xcf800000
	s_mov_b64 s[18:19], -1
	s_waitcnt vmcnt(0)
	v_lshlrev_b32_e32 v4, 16, v4
	v_trunc_f32_e32 v4, v4
	v_mul_f32_e64 v5, |v4|, s0
	v_floor_f32_e32 v5, v5
	v_fma_f32 v9, v5, s1, |v4|
	v_cvt_u32_f32_e32 v9, v9
	v_cvt_u32_f32_e32 v5, v5
	v_ashrrev_i32_e32 v11, 31, v4
	s_mov_b64 s[0:1], 0
	v_xor_b32_e32 v4, v9, v11
	v_xor_b32_e32 v5, v5, v11
	v_sub_co_u32_e32 v4, vcc, v4, v11
	v_subb_co_u32_e32 v5, vcc, v5, v11, vcc
	s_branch .LBB206_1271
.LBB206_1263:
	s_mov_b64 s[18:19], 0
                                        ; implicit-def: $vgpr4_vgpr5
	s_cbranch_execnz .LBB206_1333
.LBB206_1264:
	s_andn2_b64 vcc, exec, s[18:19]
	s_cbranch_vccnz .LBB206_1940
	s_branch .LBB206_1381
.LBB206_1265:
	s_mov_b64 s[20:21], -1
	s_mov_b64 s[18:19], 0
	s_mov_b64 s[0:1], 0
                                        ; implicit-def: $vgpr4_vgpr5
	s_branch .LBB206_1300
.LBB206_1266:
	s_mov_b64 s[20:21], -1
	s_mov_b64 s[18:19], 0
	s_mov_b64 s[0:1], 0
                                        ; implicit-def: $vgpr4_vgpr5
	s_branch .LBB206_1281
.LBB206_1267:
	s_mov_b64 s[20:21], -1
	s_mov_b64 s[18:19], 0
	s_mov_b64 s[0:1], 0
                                        ; implicit-def: $vgpr4_vgpr5
	s_branch .LBB206_1276
.LBB206_1268:
	s_trap 2
	s_or_b64 s[16:17], s[16:17], exec
	s_cbranch_execz .LBB206_1207
	s_branch .LBB206_1208
.LBB206_1269:
	s_mov_b64 s[20:21], -1
	s_mov_b64 s[18:19], 0
	s_mov_b64 s[0:1], 0
                                        ; implicit-def: $vgpr4_vgpr5
	s_branch .LBB206_1271
.LBB206_1270:
	s_mov_b64 s[0:1], -1
                                        ; implicit-def: $vgpr4_vgpr5
	s_mov_b64 s[18:19], 0
.LBB206_1271:
	s_and_b64 vcc, exec, s[20:21]
	s_cbranch_vccz .LBB206_1275
; %bb.1272:
	s_cmp_eq_u32 s22, 44
	s_cbranch_scc0 .LBB206_1274
; %bb.1273:
	global_load_ubyte v4, v[6:7], off
	s_mov_b32 s0, 0x2f800000
	s_mov_b32 s1, 0xcf800000
	s_mov_b64 s[18:19], -1
	s_waitcnt vmcnt(0)
	v_lshlrev_b32_e32 v5, 23, v4
	v_trunc_f32_e32 v5, v5
	v_mul_f32_e64 v9, |v5|, s0
	v_floor_f32_e32 v9, v9
	v_fma_f32 v11, v9, s1, |v5|
	v_cvt_u32_f32_e32 v11, v11
	v_cvt_u32_f32_e32 v9, v9
	v_ashrrev_i32_e32 v5, 31, v5
	s_mov_b64 s[0:1], 0
	v_xor_b32_e32 v11, v11, v5
	v_xor_b32_e32 v9, v9, v5
	v_sub_co_u32_e32 v11, vcc, v11, v5
	v_subb_co_u32_e32 v5, vcc, v9, v5, vcc
	v_cmp_ne_u32_e32 vcc, 0, v4
	v_cndmask_b32_e32 v5, 0, v5, vcc
	v_cndmask_b32_e32 v4, 0, v11, vcc
	s_branch .LBB206_1275
.LBB206_1274:
	s_mov_b64 s[0:1], -1
                                        ; implicit-def: $vgpr4_vgpr5
.LBB206_1275:
	s_mov_b64 s[20:21], 0
.LBB206_1276:
	s_and_b64 vcc, exec, s[20:21]
	s_cbranch_vccz .LBB206_1280
; %bb.1277:
	s_cmp_eq_u32 s22, 29
	s_cbranch_scc0 .LBB206_1279
; %bb.1278:
	global_load_dwordx2 v[4:5], v[6:7], off
	s_mov_b64 s[0:1], 0
	s_mov_b64 s[18:19], -1
	s_branch .LBB206_1280
.LBB206_1279:
	s_mov_b64 s[0:1], -1
                                        ; implicit-def: $vgpr4_vgpr5
.LBB206_1280:
	s_mov_b64 s[20:21], 0
.LBB206_1281:
	s_and_b64 vcc, exec, s[20:21]
	s_cbranch_vccz .LBB206_1299
; %bb.1282:
	s_cmp_lt_i32 s22, 27
	s_cbranch_scc1 .LBB206_1285
; %bb.1283:
	s_cmp_gt_i32 s22, 27
	s_cbranch_scc0 .LBB206_1286
; %bb.1284:
	global_load_dword v4, v[6:7], off
	s_waitcnt vmcnt(1)
	v_mov_b32_e32 v5, 0
	s_mov_b64 s[18:19], 0
	s_branch .LBB206_1287
.LBB206_1285:
	s_mov_b64 s[18:19], -1
                                        ; implicit-def: $vgpr4_vgpr5
	s_branch .LBB206_1290
.LBB206_1286:
	s_mov_b64 s[18:19], -1
                                        ; implicit-def: $vgpr4_vgpr5
.LBB206_1287:
	s_andn2_b64 vcc, exec, s[18:19]
	s_cbranch_vccnz .LBB206_1289
; %bb.1288:
	global_load_ushort v4, v[6:7], off
	s_mov_b32 s18, 0
	s_waitcnt vmcnt(1)
	v_mov_b32_e32 v5, s18
	s_waitcnt vmcnt(0)
	v_and_b32_e32 v4, 0xffff, v4
.LBB206_1289:
	s_mov_b64 s[18:19], 0
.LBB206_1290:
	s_andn2_b64 vcc, exec, s[18:19]
	s_cbranch_vccnz .LBB206_1298
; %bb.1291:
	global_load_ubyte v9, v[6:7], off
	s_movk_i32 s18, 0x7f
	s_mov_b64 s[20:21], 0
	s_waitcnt vmcnt(0)
	v_cmp_lt_i16_e32 vcc, s18, v9
	s_and_saveexec_b64 s[18:19], vcc
	s_xor_b64 s[18:19], exec, s[18:19]
; %bb.1292:
	s_movk_i32 s20, 0x80
	v_cmp_ne_u16_e32 vcc, s20, v9
	s_and_b64 s[20:21], vcc, exec
; %bb.1293:
	s_andn2_saveexec_b64 s[18:19], s[18:19]
; %bb.1294:
	v_cmp_ne_u16_e32 vcc, 0, v9
	s_andn2_b64 s[20:21], s[20:21], exec
	s_and_b64 s[24:25], vcc, exec
	s_or_b64 s[20:21], s[20:21], s[24:25]
; %bb.1295:
	s_or_b64 exec, exec, s[18:19]
	v_mov_b32_e32 v4, 0
	v_mov_b32_e32 v5, 0
	s_and_saveexec_b64 s[18:19], s[20:21]
	s_cbranch_execz .LBB206_1297
; %bb.1296:
	v_and_b32_e32 v5, 0xffff, v9
	v_lshlrev_b32_e32 v4, 24, v9
	v_and_b32_e32 v9, 7, v5
	v_ffbh_u32_e32 v12, v9
	v_min_u32_e32 v12, 32, v12
	v_subrev_u32_e32 v13, 28, v12
	v_bfe_u32 v11, v5, 3, 4
	v_lshlrev_b32_e32 v5, v13, v5
	v_sub_u32_e32 v12, 29, v12
	v_and_b32_e32 v5, 7, v5
	v_cmp_eq_u32_e32 vcc, 0, v11
	v_cndmask_b32_e32 v11, v11, v12, vcc
	v_cndmask_b32_e32 v5, v9, v5, vcc
	v_mov_b32_e32 v9, 0x3b800000
	v_lshlrev_b32_e32 v5, 20, v5
	v_and_b32_e32 v4, 0x80000000, v4
	v_lshl_add_u32 v9, v11, 23, v9
	v_or3_b32 v4, v4, v9, v5
	v_trunc_f32_e32 v4, v4
	s_mov_b32 s20, 0x2f800000
	v_mul_f32_e64 v5, |v4|, s20
	v_floor_f32_e32 v5, v5
	s_mov_b32 s20, 0xcf800000
	v_fma_f32 v9, v5, s20, |v4|
	v_cvt_u32_f32_e32 v9, v9
	v_cvt_u32_f32_e32 v5, v5
	v_ashrrev_i32_e32 v11, 31, v4
	v_xor_b32_e32 v4, v9, v11
	v_xor_b32_e32 v5, v5, v11
	v_sub_co_u32_e32 v4, vcc, v4, v11
	v_subb_co_u32_e32 v5, vcc, v5, v11, vcc
.LBB206_1297:
	s_or_b64 exec, exec, s[18:19]
.LBB206_1298:
	s_mov_b64 s[18:19], -1
.LBB206_1299:
	s_mov_b64 s[20:21], 0
.LBB206_1300:
	s_and_b64 vcc, exec, s[20:21]
	s_cbranch_vccz .LBB206_1329
; %bb.1301:
	s_cmp_gt_i32 s22, 22
	s_cbranch_scc0 .LBB206_1311
; %bb.1302:
	s_cmp_lt_i32 s22, 24
	s_cbranch_scc1 .LBB206_1312
; %bb.1303:
	s_cmp_gt_i32 s22, 24
	s_cbranch_scc0 .LBB206_1313
; %bb.1304:
	global_load_ubyte v9, v[6:7], off
	s_movk_i32 s4, 0x7f
	s_mov_b64 s[18:19], 0
	s_waitcnt vmcnt(0)
	v_cmp_lt_i16_e32 vcc, s4, v9
	s_and_saveexec_b64 s[4:5], vcc
	s_xor_b64 s[4:5], exec, s[4:5]
; %bb.1305:
	s_movk_i32 s18, 0x80
	v_cmp_ne_u16_e32 vcc, s18, v9
	s_and_b64 s[18:19], vcc, exec
; %bb.1306:
	s_andn2_saveexec_b64 s[4:5], s[4:5]
; %bb.1307:
	v_cmp_ne_u16_e32 vcc, 0, v9
	s_andn2_b64 s[18:19], s[18:19], exec
	s_and_b64 s[20:21], vcc, exec
	s_or_b64 s[18:19], s[18:19], s[20:21]
; %bb.1308:
	s_or_b64 exec, exec, s[4:5]
	v_mov_b32_e32 v4, 0
	v_mov_b32_e32 v5, 0
	s_and_saveexec_b64 s[4:5], s[18:19]
	s_cbranch_execz .LBB206_1310
; %bb.1309:
	v_and_b32_e32 v5, 0xffff, v9
	v_lshlrev_b32_e32 v4, 24, v9
	v_and_b32_e32 v9, 3, v5
	v_ffbh_u32_e32 v12, v9
	v_min_u32_e32 v12, 32, v12
	v_subrev_u32_e32 v13, 29, v12
	v_bfe_u32 v11, v5, 2, 5
	v_lshlrev_b32_e32 v5, v13, v5
	v_sub_u32_e32 v12, 30, v12
	v_and_b32_e32 v5, 3, v5
	v_cmp_eq_u32_e32 vcc, 0, v11
	v_cndmask_b32_e32 v11, v11, v12, vcc
	v_cndmask_b32_e32 v5, v9, v5, vcc
	v_mov_b32_e32 v9, 0x37800000
	v_lshlrev_b32_e32 v5, 21, v5
	v_and_b32_e32 v4, 0x80000000, v4
	v_lshl_add_u32 v9, v11, 23, v9
	v_or3_b32 v4, v4, v9, v5
	v_trunc_f32_e32 v4, v4
	s_mov_b32 s18, 0x2f800000
	v_mul_f32_e64 v5, |v4|, s18
	v_floor_f32_e32 v5, v5
	s_mov_b32 s18, 0xcf800000
	v_fma_f32 v9, v5, s18, |v4|
	v_cvt_u32_f32_e32 v9, v9
	v_cvt_u32_f32_e32 v5, v5
	v_ashrrev_i32_e32 v11, 31, v4
	v_xor_b32_e32 v4, v9, v11
	v_xor_b32_e32 v5, v5, v11
	v_sub_co_u32_e32 v4, vcc, v4, v11
	v_subb_co_u32_e32 v5, vcc, v5, v11, vcc
.LBB206_1310:
	s_or_b64 exec, exec, s[4:5]
	s_mov_b64 s[4:5], 0
	s_branch .LBB206_1314
.LBB206_1311:
	s_mov_b64 s[4:5], -1
                                        ; implicit-def: $vgpr4_vgpr5
	s_branch .LBB206_1320
.LBB206_1312:
	s_mov_b64 s[4:5], -1
                                        ; implicit-def: $vgpr4_vgpr5
	s_branch .LBB206_1317
.LBB206_1313:
	s_mov_b64 s[4:5], -1
                                        ; implicit-def: $vgpr4_vgpr5
.LBB206_1314:
	s_and_b64 vcc, exec, s[4:5]
	s_cbranch_vccz .LBB206_1316
; %bb.1315:
	global_load_ubyte v4, v[6:7], off
	s_mov_b32 s4, 0x7f800000
	s_brev_b32 s5, 1
	s_mov_b32 s18, 0x2f800000
	s_mov_b32 s19, 0xcf800000
	s_waitcnt vmcnt(0)
	v_lshlrev_b32_e32 v4, 24, v4
	v_and_b32_e32 v5, 0x7f000000, v4
	v_ffbh_u32_e32 v9, v5
	v_min_u32_e32 v9, 32, v9
	v_sub_u32_e64 v9, v9, 4 clamp
	v_lshlrev_b32_e32 v12, v9, v5
	v_lshlrev_b32_e32 v9, 23, v9
	v_lshrrev_b32_e32 v12, 4, v12
	v_add_u32_e32 v11, 0x1000000, v5
	v_sub_u32_e32 v9, v12, v9
	v_ashrrev_i32_e32 v11, 8, v11
	v_add_u32_e32 v9, 0x3c000000, v9
	v_and_or_b32 v9, v11, s4, v9
	v_cmp_ne_u32_e32 vcc, 0, v5
	v_cndmask_b32_e32 v5, 0, v9, vcc
	v_and_or_b32 v4, v4, s5, v5
	v_trunc_f32_e32 v4, v4
	v_mul_f32_e64 v5, |v4|, s18
	v_floor_f32_e32 v5, v5
	v_fma_f32 v9, v5, s19, |v4|
	v_cvt_u32_f32_e32 v9, v9
	v_cvt_u32_f32_e32 v5, v5
	v_ashrrev_i32_e32 v11, 31, v4
	v_xor_b32_e32 v4, v9, v11
	v_xor_b32_e32 v5, v5, v11
	v_sub_co_u32_e32 v4, vcc, v4, v11
	v_subb_co_u32_e32 v5, vcc, v5, v11, vcc
.LBB206_1316:
	s_mov_b64 s[4:5], 0
.LBB206_1317:
	s_andn2_b64 vcc, exec, s[4:5]
	s_cbranch_vccnz .LBB206_1319
; %bb.1318:
	global_load_ubyte v4, v[6:7], off
	s_movk_i32 s4, 0x7f00
	s_brev_b32 s5, 16
	s_brev_b32 s18, 1
	s_mov_b32 s19, 0x2f800000
	s_mov_b32 s20, 0xcf800000
	s_waitcnt vmcnt(0)
	v_lshlrev_b16_e32 v5, 8, v4
	v_lshlrev_b32_e32 v4, 25, v4
	v_lshrrev_b32_e32 v9, 4, v4
	v_and_or_b32 v11, v5, s4, 0.5
	v_or_b32_e32 v9, 0x70000000, v9
	v_add_f32_e32 v11, -0.5, v11
	v_mul_f32_e32 v9, 0x7800000, v9
	v_cmp_gt_u32_e32 vcc, s5, v4
	v_bfe_i32 v5, v5, 0, 16
	v_cndmask_b32_e32 v4, v9, v11, vcc
	v_and_or_b32 v4, v5, s18, v4
	v_trunc_f32_e32 v4, v4
	v_mul_f32_e64 v5, |v4|, s19
	v_floor_f32_e32 v5, v5
	v_fma_f32 v9, v5, s20, |v4|
	v_cvt_u32_f32_e32 v9, v9
	v_cvt_u32_f32_e32 v5, v5
	v_ashrrev_i32_e32 v11, 31, v4
	v_xor_b32_e32 v4, v9, v11
	v_xor_b32_e32 v5, v5, v11
	v_sub_co_u32_e32 v4, vcc, v4, v11
	v_subb_co_u32_e32 v5, vcc, v5, v11, vcc
.LBB206_1319:
	s_mov_b64 s[4:5], 0
	s_mov_b64 s[18:19], -1
.LBB206_1320:
	s_andn2_b64 vcc, exec, s[4:5]
	s_mov_b64 s[4:5], 0
	s_cbranch_vccnz .LBB206_1329
; %bb.1321:
	s_cmp_gt_i32 s22, 14
	s_cbranch_scc0 .LBB206_1324
; %bb.1322:
	s_cmp_eq_u32 s22, 15
	s_cbranch_scc0 .LBB206_1325
; %bb.1323:
	global_load_ushort v4, v[6:7], off
	s_mov_b32 s0, 0x2f800000
	s_mov_b32 s1, 0xcf800000
	s_mov_b64 s[18:19], -1
	s_waitcnt vmcnt(0)
	v_lshlrev_b32_e32 v4, 16, v4
	v_trunc_f32_e32 v4, v4
	v_mul_f32_e64 v5, |v4|, s0
	v_floor_f32_e32 v5, v5
	v_fma_f32 v9, v5, s1, |v4|
	v_cvt_u32_f32_e32 v9, v9
	v_cvt_u32_f32_e32 v5, v5
	v_ashrrev_i32_e32 v11, 31, v4
	s_mov_b64 s[0:1], 0
	v_xor_b32_e32 v4, v9, v11
	v_xor_b32_e32 v5, v5, v11
	v_sub_co_u32_e32 v4, vcc, v4, v11
	v_subb_co_u32_e32 v5, vcc, v5, v11, vcc
	s_branch .LBB206_1326
.LBB206_1324:
	s_mov_b64 s[20:21], -1
                                        ; implicit-def: $vgpr4_vgpr5
	s_branch .LBB206_1327
.LBB206_1325:
	s_mov_b64 s[0:1], -1
                                        ; implicit-def: $vgpr4_vgpr5
.LBB206_1326:
	s_mov_b64 s[20:21], 0
.LBB206_1327:
	s_and_b64 vcc, exec, s[20:21]
	s_cbranch_vccz .LBB206_1329
; %bb.1328:
	s_cmp_lg_u32 s22, 11
	s_mov_b64 s[4:5], -1
	s_cselect_b64 s[0:1], -1, 0
.LBB206_1329:
	s_and_b64 vcc, exec, s[0:1]
	s_cbranch_vccnz .LBB206_1392
; %bb.1330:
	s_andn2_b64 vcc, exec, s[4:5]
	s_cbranch_vccnz .LBB206_1332
.LBB206_1331:
	global_load_ubyte v4, v[6:7], off
	s_mov_b32 s0, 0
	s_waitcnt vmcnt(1)
	v_mov_b32_e32 v5, s0
	s_mov_b64 s[18:19], -1
	s_waitcnt vmcnt(0)
	v_cmp_ne_u16_e32 vcc, 0, v4
	v_cndmask_b32_e64 v4, 0, 1, vcc
.LBB206_1332:
	s_branch .LBB206_1264
.LBB206_1333:
	s_cmp_lt_i32 s22, 5
	s_cbranch_scc1 .LBB206_1338
; %bb.1334:
	s_cmp_lt_i32 s22, 8
	s_cbranch_scc1 .LBB206_1339
; %bb.1335:
	;; [unrolled: 3-line block ×3, first 2 shown]
	s_cmp_gt_i32 s22, 9
	s_cbranch_scc0 .LBB206_1341
; %bb.1337:
	global_load_dwordx2 v[4:5], v[6:7], off
	s_movk_i32 s0, 0xffe0
	s_waitcnt vmcnt(0)
	v_trunc_f64_e32 v[4:5], v[4:5]
	v_ldexp_f64 v[11:12], v[4:5], s0
	s_mov_b32 s0, 0
	s_mov_b32 s1, 0xc1f00000
	v_floor_f64_e32 v[11:12], v[11:12]
	v_fma_f64 v[13:14], v[11:12], s[0:1], v[4:5]
	v_cvt_i32_f64_e32 v5, v[11:12]
	s_mov_b64 s[0:1], 0
	v_cvt_u32_f64_e32 v4, v[13:14]
	s_branch .LBB206_1342
.LBB206_1338:
	s_mov_b64 s[0:1], -1
                                        ; implicit-def: $vgpr4_vgpr5
	s_branch .LBB206_1360
.LBB206_1339:
	s_mov_b64 s[0:1], -1
                                        ; implicit-def: $vgpr4_vgpr5
	s_branch .LBB206_1348
.LBB206_1340:
	s_mov_b64 s[0:1], -1
                                        ; implicit-def: $vgpr4_vgpr5
	s_branch .LBB206_1345
.LBB206_1341:
	s_mov_b64 s[0:1], -1
                                        ; implicit-def: $vgpr4_vgpr5
.LBB206_1342:
	s_andn2_b64 vcc, exec, s[0:1]
	s_cbranch_vccnz .LBB206_1344
; %bb.1343:
	global_load_dword v4, v[6:7], off
	s_mov_b32 s0, 0x2f800000
	s_mov_b32 s1, 0xcf800000
	s_waitcnt vmcnt(0)
	v_trunc_f32_e32 v4, v4
	v_mul_f32_e64 v5, |v4|, s0
	v_floor_f32_e32 v5, v5
	v_cvt_u32_f32_e32 v9, v5
	v_fma_f32 v5, v5, s1, |v4|
	v_cvt_u32_f32_e32 v5, v5
	v_ashrrev_i32_e32 v11, 31, v4
	v_xor_b32_e32 v9, v9, v11
	v_xor_b32_e32 v4, v5, v11
	v_sub_co_u32_e32 v4, vcc, v4, v11
	v_subb_co_u32_e32 v5, vcc, v9, v11, vcc
.LBB206_1344:
	s_mov_b64 s[0:1], 0
.LBB206_1345:
	s_andn2_b64 vcc, exec, s[0:1]
	s_cbranch_vccnz .LBB206_1347
; %bb.1346:
	global_load_dword v4, v[6:7], off
	s_waitcnt vmcnt(0)
	v_cvt_f32_f16_e32 v4, v4
	v_cvt_i32_f32_e32 v4, v4
	v_ashrrev_i32_e32 v5, 31, v4
.LBB206_1347:
	s_mov_b64 s[0:1], 0
.LBB206_1348:
	s_andn2_b64 vcc, exec, s[0:1]
	s_cbranch_vccnz .LBB206_1359
; %bb.1349:
	s_cmp_lt_i32 s22, 6
	s_cbranch_scc1 .LBB206_1352
; %bb.1350:
	s_cmp_gt_i32 s22, 6
	s_cbranch_scc0 .LBB206_1353
; %bb.1351:
	global_load_dwordx2 v[4:5], v[6:7], off
	s_movk_i32 s0, 0xffe0
	s_waitcnt vmcnt(0)
	v_trunc_f64_e32 v[4:5], v[4:5]
	v_ldexp_f64 v[11:12], v[4:5], s0
	s_mov_b32 s0, 0
	s_mov_b32 s1, 0xc1f00000
	v_floor_f64_e32 v[11:12], v[11:12]
	v_fma_f64 v[13:14], v[11:12], s[0:1], v[4:5]
	v_cvt_i32_f64_e32 v5, v[11:12]
	s_mov_b64 s[0:1], 0
	v_cvt_u32_f64_e32 v4, v[13:14]
	s_branch .LBB206_1354
.LBB206_1352:
	s_mov_b64 s[0:1], -1
                                        ; implicit-def: $vgpr4_vgpr5
	s_branch .LBB206_1357
.LBB206_1353:
	s_mov_b64 s[0:1], -1
                                        ; implicit-def: $vgpr4_vgpr5
.LBB206_1354:
	s_andn2_b64 vcc, exec, s[0:1]
	s_cbranch_vccnz .LBB206_1356
; %bb.1355:
	global_load_dword v4, v[6:7], off
	s_mov_b32 s0, 0x2f800000
	s_mov_b32 s1, 0xcf800000
	s_waitcnt vmcnt(0)
	v_trunc_f32_e32 v4, v4
	v_mul_f32_e64 v5, |v4|, s0
	v_floor_f32_e32 v5, v5
	v_cvt_u32_f32_e32 v9, v5
	v_fma_f32 v5, v5, s1, |v4|
	v_cvt_u32_f32_e32 v5, v5
	v_ashrrev_i32_e32 v11, 31, v4
	v_xor_b32_e32 v9, v9, v11
	v_xor_b32_e32 v4, v5, v11
	v_sub_co_u32_e32 v4, vcc, v4, v11
	v_subb_co_u32_e32 v5, vcc, v9, v11, vcc
.LBB206_1356:
	s_mov_b64 s[0:1], 0
.LBB206_1357:
	s_andn2_b64 vcc, exec, s[0:1]
	s_cbranch_vccnz .LBB206_1359
; %bb.1358:
	global_load_ushort v4, v[6:7], off
	s_waitcnt vmcnt(0)
	v_cvt_f32_f16_e32 v4, v4
	v_cvt_i32_f32_e32 v4, v4
	v_ashrrev_i32_e32 v5, 31, v4
.LBB206_1359:
	s_mov_b64 s[0:1], 0
.LBB206_1360:
	s_andn2_b64 vcc, exec, s[0:1]
	s_cbranch_vccnz .LBB206_1380
; %bb.1361:
	s_cmp_lt_i32 s22, 2
	s_cbranch_scc1 .LBB206_1365
; %bb.1362:
	s_cmp_lt_i32 s22, 3
	s_cbranch_scc1 .LBB206_1366
; %bb.1363:
	s_cmp_gt_i32 s22, 3
	s_cbranch_scc0 .LBB206_1367
; %bb.1364:
	global_load_dwordx2 v[4:5], v[6:7], off
	s_mov_b64 s[0:1], 0
	s_branch .LBB206_1368
.LBB206_1365:
	s_mov_b64 s[0:1], -1
                                        ; implicit-def: $vgpr4_vgpr5
	s_branch .LBB206_1374
.LBB206_1366:
	s_mov_b64 s[0:1], -1
                                        ; implicit-def: $vgpr4_vgpr5
	s_branch .LBB206_1371
.LBB206_1367:
	s_mov_b64 s[0:1], -1
                                        ; implicit-def: $vgpr4_vgpr5
.LBB206_1368:
	s_andn2_b64 vcc, exec, s[0:1]
	s_cbranch_vccnz .LBB206_1370
; %bb.1369:
	global_load_dword v4, v[6:7], off
	s_waitcnt vmcnt(0)
	v_ashrrev_i32_e32 v5, 31, v4
.LBB206_1370:
	s_mov_b64 s[0:1], 0
.LBB206_1371:
	s_andn2_b64 vcc, exec, s[0:1]
	s_cbranch_vccnz .LBB206_1373
; %bb.1372:
	global_load_ushort v4, v[6:7], off
	s_waitcnt vmcnt(0)
	v_bfe_i32 v4, v4, 0, 16
	v_ashrrev_i32_e32 v5, 31, v4
.LBB206_1373:
	s_mov_b64 s[0:1], 0
.LBB206_1374:
	s_andn2_b64 vcc, exec, s[0:1]
	s_cbranch_vccnz .LBB206_1380
; %bb.1375:
	s_cmp_gt_i32 s22, 0
	s_cbranch_scc0 .LBB206_1377
; %bb.1376:
	global_load_sbyte v4, v[6:7], off
	s_mov_b64 s[0:1], 0
	s_waitcnt vmcnt(0)
	v_bfe_i32 v4, v4, 0, 16
	v_ashrrev_i32_e32 v5, 31, v4
	s_branch .LBB206_1378
.LBB206_1377:
	s_mov_b64 s[0:1], -1
                                        ; implicit-def: $vgpr4_vgpr5
.LBB206_1378:
	s_andn2_b64 vcc, exec, s[0:1]
	s_cbranch_vccnz .LBB206_1380
; %bb.1379:
	global_load_ubyte v4, v[6:7], off
	s_mov_b32 s0, 0
	s_waitcnt vmcnt(1)
	v_mov_b32_e32 v5, s0
	s_waitcnt vmcnt(0)
	v_and_b32_e32 v4, 0xffff, v4
.LBB206_1380:
.LBB206_1381:
	v_add_u32_e32 v6, s3, v8
	v_ashrrev_i32_e32 v7, 31, v6
	v_mov_b32_e32 v9, s11
	v_add_co_u32_e32 v8, vcc, s10, v6
	s_cmp_lt_i32 s22, 11
	v_addc_co_u32_e32 v9, vcc, v9, v7, vcc
	s_cbranch_scc1 .LBB206_1388
; %bb.1382:
	s_cmp_gt_i32 s22, 25
	s_mov_b64 s[4:5], 0
	s_cbranch_scc0 .LBB206_1389
; %bb.1383:
	s_cmp_gt_i32 s22, 28
	s_cbranch_scc0 .LBB206_1390
; %bb.1384:
	s_cmp_gt_i32 s22, 43
	s_cbranch_scc0 .LBB206_1391
; %bb.1385:
	s_cmp_gt_i32 s22, 45
	s_cbranch_scc0 .LBB206_1393
; %bb.1386:
	s_cmp_eq_u32 s22, 46
	s_mov_b64 s[18:19], 0
	s_cbranch_scc0 .LBB206_1394
; %bb.1387:
	global_load_dword v6, v[8:9], off
	s_mov_b32 s0, 0x2f800000
	s_mov_b32 s1, 0xcf800000
	s_mov_b64 s[10:11], -1
	s_waitcnt vmcnt(0)
	v_lshlrev_b32_e32 v6, 16, v6
	v_trunc_f32_e32 v6, v6
	v_mul_f32_e64 v7, |v6|, s0
	v_floor_f32_e32 v7, v7
	v_fma_f32 v11, v7, s1, |v6|
	v_cvt_u32_f32_e32 v11, v11
	v_cvt_u32_f32_e32 v7, v7
	v_ashrrev_i32_e32 v12, 31, v6
	s_mov_b64 s[0:1], 0
	v_xor_b32_e32 v6, v11, v12
	v_xor_b32_e32 v7, v7, v12
	v_sub_co_u32_e32 v6, vcc, v6, v12
	v_subb_co_u32_e32 v7, vcc, v7, v12, vcc
	s_branch .LBB206_1395
.LBB206_1388:
	s_mov_b64 s[0:1], -1
	s_mov_b64 s[10:11], 0
                                        ; implicit-def: $vgpr6_vgpr7
	s_branch .LBB206_1457
.LBB206_1389:
	s_mov_b64 s[18:19], -1
	s_mov_b64 s[10:11], 0
	s_mov_b64 s[0:1], 0
                                        ; implicit-def: $vgpr6_vgpr7
	s_branch .LBB206_1424
.LBB206_1390:
	s_mov_b64 s[18:19], -1
	s_mov_b64 s[10:11], 0
	s_mov_b64 s[0:1], 0
                                        ; implicit-def: $vgpr6_vgpr7
	s_branch .LBB206_1405
.LBB206_1391:
	s_mov_b64 s[18:19], -1
	s_mov_b64 s[10:11], 0
	s_mov_b64 s[0:1], 0
                                        ; implicit-def: $vgpr6_vgpr7
	s_branch .LBB206_1400
.LBB206_1392:
	s_trap 2
	s_or_b64 s[16:17], s[16:17], exec
	s_cbranch_execz .LBB206_1331
	s_branch .LBB206_1332
.LBB206_1393:
	s_mov_b64 s[18:19], -1
	s_mov_b64 s[10:11], 0
	s_mov_b64 s[0:1], 0
                                        ; implicit-def: $vgpr6_vgpr7
	s_branch .LBB206_1395
.LBB206_1394:
	s_mov_b64 s[0:1], -1
                                        ; implicit-def: $vgpr6_vgpr7
	s_mov_b64 s[10:11], 0
.LBB206_1395:
	s_and_b64 vcc, exec, s[18:19]
	s_cbranch_vccz .LBB206_1399
; %bb.1396:
	s_cmp_eq_u32 s22, 44
	s_cbranch_scc0 .LBB206_1398
; %bb.1397:
	global_load_ubyte v6, v[8:9], off
	s_mov_b32 s0, 0x2f800000
	s_mov_b32 s1, 0xcf800000
	s_mov_b64 s[10:11], -1
	s_waitcnt vmcnt(0)
	v_lshlrev_b32_e32 v7, 23, v6
	v_trunc_f32_e32 v7, v7
	v_mul_f32_e64 v11, |v7|, s0
	v_floor_f32_e32 v11, v11
	v_fma_f32 v12, v11, s1, |v7|
	v_cvt_u32_f32_e32 v12, v12
	v_cvt_u32_f32_e32 v11, v11
	v_ashrrev_i32_e32 v7, 31, v7
	s_mov_b64 s[0:1], 0
	v_xor_b32_e32 v12, v12, v7
	v_xor_b32_e32 v11, v11, v7
	v_sub_co_u32_e32 v12, vcc, v12, v7
	v_subb_co_u32_e32 v7, vcc, v11, v7, vcc
	v_cmp_ne_u32_e32 vcc, 0, v6
	v_cndmask_b32_e32 v7, 0, v7, vcc
	v_cndmask_b32_e32 v6, 0, v12, vcc
	s_branch .LBB206_1399
.LBB206_1398:
	s_mov_b64 s[0:1], -1
                                        ; implicit-def: $vgpr6_vgpr7
.LBB206_1399:
	s_mov_b64 s[18:19], 0
.LBB206_1400:
	s_and_b64 vcc, exec, s[18:19]
	s_cbranch_vccz .LBB206_1404
; %bb.1401:
	s_cmp_eq_u32 s22, 29
	s_cbranch_scc0 .LBB206_1403
; %bb.1402:
	global_load_dwordx2 v[6:7], v[8:9], off
	s_mov_b64 s[0:1], 0
	s_mov_b64 s[10:11], -1
	s_branch .LBB206_1404
.LBB206_1403:
	s_mov_b64 s[0:1], -1
                                        ; implicit-def: $vgpr6_vgpr7
.LBB206_1404:
	s_mov_b64 s[18:19], 0
.LBB206_1405:
	s_and_b64 vcc, exec, s[18:19]
	s_cbranch_vccz .LBB206_1423
; %bb.1406:
	s_cmp_lt_i32 s22, 27
	s_cbranch_scc1 .LBB206_1409
; %bb.1407:
	s_cmp_gt_i32 s22, 27
	s_cbranch_scc0 .LBB206_1410
; %bb.1408:
	global_load_dword v6, v[8:9], off
	s_waitcnt vmcnt(1)
	v_mov_b32_e32 v7, 0
	s_mov_b64 s[10:11], 0
	s_branch .LBB206_1411
.LBB206_1409:
	s_mov_b64 s[10:11], -1
                                        ; implicit-def: $vgpr6_vgpr7
	s_branch .LBB206_1414
.LBB206_1410:
	s_mov_b64 s[10:11], -1
                                        ; implicit-def: $vgpr6_vgpr7
.LBB206_1411:
	s_andn2_b64 vcc, exec, s[10:11]
	s_cbranch_vccnz .LBB206_1413
; %bb.1412:
	global_load_ushort v6, v[8:9], off
	s_mov_b32 s3, 0
	s_waitcnt vmcnt(1)
	v_mov_b32_e32 v7, s3
	s_waitcnt vmcnt(0)
	v_and_b32_e32 v6, 0xffff, v6
.LBB206_1413:
	s_mov_b64 s[10:11], 0
.LBB206_1414:
	s_andn2_b64 vcc, exec, s[10:11]
	s_cbranch_vccnz .LBB206_1422
; %bb.1415:
	global_load_ubyte v11, v[8:9], off
	s_movk_i32 s3, 0x7f
	s_mov_b64 s[18:19], 0
	s_waitcnt vmcnt(0)
	v_cmp_lt_i16_e32 vcc, s3, v11
	s_and_saveexec_b64 s[10:11], vcc
	s_xor_b64 s[10:11], exec, s[10:11]
; %bb.1416:
	s_movk_i32 s3, 0x80
	v_cmp_ne_u16_e32 vcc, s3, v11
	s_and_b64 s[18:19], vcc, exec
; %bb.1417:
	s_andn2_saveexec_b64 s[10:11], s[10:11]
; %bb.1418:
	v_cmp_ne_u16_e32 vcc, 0, v11
	s_andn2_b64 s[18:19], s[18:19], exec
	s_and_b64 s[20:21], vcc, exec
	s_or_b64 s[18:19], s[18:19], s[20:21]
; %bb.1419:
	s_or_b64 exec, exec, s[10:11]
	v_mov_b32_e32 v6, 0
	v_mov_b32_e32 v7, 0
	s_and_saveexec_b64 s[10:11], s[18:19]
	s_cbranch_execz .LBB206_1421
; %bb.1420:
	v_and_b32_e32 v7, 0xffff, v11
	v_lshlrev_b32_e32 v6, 24, v11
	v_and_b32_e32 v11, 7, v7
	v_ffbh_u32_e32 v13, v11
	v_min_u32_e32 v13, 32, v13
	v_subrev_u32_e32 v14, 28, v13
	v_bfe_u32 v12, v7, 3, 4
	v_lshlrev_b32_e32 v7, v14, v7
	v_sub_u32_e32 v13, 29, v13
	v_and_b32_e32 v7, 7, v7
	v_cmp_eq_u32_e32 vcc, 0, v12
	v_cndmask_b32_e32 v12, v12, v13, vcc
	v_cndmask_b32_e32 v7, v11, v7, vcc
	v_mov_b32_e32 v11, 0x3b800000
	v_lshlrev_b32_e32 v7, 20, v7
	v_and_b32_e32 v6, 0x80000000, v6
	v_lshl_add_u32 v11, v12, 23, v11
	v_or3_b32 v6, v6, v11, v7
	v_trunc_f32_e32 v6, v6
	s_mov_b32 s3, 0x2f800000
	v_mul_f32_e64 v7, |v6|, s3
	v_floor_f32_e32 v7, v7
	s_mov_b32 s3, 0xcf800000
	v_fma_f32 v11, v7, s3, |v6|
	v_cvt_u32_f32_e32 v11, v11
	v_cvt_u32_f32_e32 v7, v7
	v_ashrrev_i32_e32 v12, 31, v6
	v_xor_b32_e32 v6, v11, v12
	v_xor_b32_e32 v7, v7, v12
	v_sub_co_u32_e32 v6, vcc, v6, v12
	v_subb_co_u32_e32 v7, vcc, v7, v12, vcc
.LBB206_1421:
	s_or_b64 exec, exec, s[10:11]
.LBB206_1422:
	s_mov_b64 s[10:11], -1
.LBB206_1423:
	s_mov_b64 s[18:19], 0
.LBB206_1424:
	s_and_b64 vcc, exec, s[18:19]
	s_cbranch_vccz .LBB206_1453
; %bb.1425:
	s_cmp_gt_i32 s22, 22
	s_cbranch_scc0 .LBB206_1435
; %bb.1426:
	s_cmp_lt_i32 s22, 24
	s_cbranch_scc1 .LBB206_1436
; %bb.1427:
	s_cmp_gt_i32 s22, 24
	s_cbranch_scc0 .LBB206_1437
; %bb.1428:
	global_load_ubyte v11, v[8:9], off
	s_movk_i32 s3, 0x7f
	s_mov_b64 s[10:11], 0
	s_waitcnt vmcnt(0)
	v_cmp_lt_i16_e32 vcc, s3, v11
	s_and_saveexec_b64 s[4:5], vcc
	s_xor_b64 s[4:5], exec, s[4:5]
; %bb.1429:
	s_movk_i32 s3, 0x80
	v_cmp_ne_u16_e32 vcc, s3, v11
	s_and_b64 s[10:11], vcc, exec
; %bb.1430:
	s_andn2_saveexec_b64 s[4:5], s[4:5]
; %bb.1431:
	v_cmp_ne_u16_e32 vcc, 0, v11
	s_andn2_b64 s[10:11], s[10:11], exec
	s_and_b64 s[18:19], vcc, exec
	s_or_b64 s[10:11], s[10:11], s[18:19]
; %bb.1432:
	s_or_b64 exec, exec, s[4:5]
	v_mov_b32_e32 v6, 0
	v_mov_b32_e32 v7, 0
	s_and_saveexec_b64 s[4:5], s[10:11]
	s_cbranch_execz .LBB206_1434
; %bb.1433:
	v_and_b32_e32 v7, 0xffff, v11
	v_lshlrev_b32_e32 v6, 24, v11
	v_and_b32_e32 v11, 3, v7
	v_ffbh_u32_e32 v13, v11
	v_min_u32_e32 v13, 32, v13
	v_subrev_u32_e32 v14, 29, v13
	v_bfe_u32 v12, v7, 2, 5
	v_lshlrev_b32_e32 v7, v14, v7
	v_sub_u32_e32 v13, 30, v13
	v_and_b32_e32 v7, 3, v7
	v_cmp_eq_u32_e32 vcc, 0, v12
	v_cndmask_b32_e32 v12, v12, v13, vcc
	v_cndmask_b32_e32 v7, v11, v7, vcc
	v_mov_b32_e32 v11, 0x37800000
	v_lshlrev_b32_e32 v7, 21, v7
	v_and_b32_e32 v6, 0x80000000, v6
	v_lshl_add_u32 v11, v12, 23, v11
	v_or3_b32 v6, v6, v11, v7
	v_trunc_f32_e32 v6, v6
	s_mov_b32 s3, 0x2f800000
	v_mul_f32_e64 v7, |v6|, s3
	v_floor_f32_e32 v7, v7
	s_mov_b32 s3, 0xcf800000
	v_fma_f32 v11, v7, s3, |v6|
	v_cvt_u32_f32_e32 v11, v11
	v_cvt_u32_f32_e32 v7, v7
	v_ashrrev_i32_e32 v12, 31, v6
	v_xor_b32_e32 v6, v11, v12
	v_xor_b32_e32 v7, v7, v12
	v_sub_co_u32_e32 v6, vcc, v6, v12
	v_subb_co_u32_e32 v7, vcc, v7, v12, vcc
.LBB206_1434:
	s_or_b64 exec, exec, s[4:5]
	s_mov_b64 s[4:5], 0
	s_branch .LBB206_1438
.LBB206_1435:
	s_mov_b64 s[4:5], -1
                                        ; implicit-def: $vgpr6_vgpr7
	s_branch .LBB206_1444
.LBB206_1436:
	s_mov_b64 s[4:5], -1
                                        ; implicit-def: $vgpr6_vgpr7
	s_branch .LBB206_1441
.LBB206_1437:
	s_mov_b64 s[4:5], -1
                                        ; implicit-def: $vgpr6_vgpr7
.LBB206_1438:
	s_and_b64 vcc, exec, s[4:5]
	s_cbranch_vccz .LBB206_1440
; %bb.1439:
	global_load_ubyte v6, v[8:9], off
	s_mov_b32 s3, 0x7f800000
	s_brev_b32 s4, 1
	s_mov_b32 s5, 0x2f800000
	s_mov_b32 s10, 0xcf800000
	s_waitcnt vmcnt(0)
	v_lshlrev_b32_e32 v6, 24, v6
	v_and_b32_e32 v7, 0x7f000000, v6
	v_ffbh_u32_e32 v11, v7
	v_min_u32_e32 v11, 32, v11
	v_sub_u32_e64 v11, v11, 4 clamp
	v_lshlrev_b32_e32 v13, v11, v7
	v_lshlrev_b32_e32 v11, 23, v11
	v_lshrrev_b32_e32 v13, 4, v13
	v_add_u32_e32 v12, 0x1000000, v7
	v_sub_u32_e32 v11, v13, v11
	v_ashrrev_i32_e32 v12, 8, v12
	v_add_u32_e32 v11, 0x3c000000, v11
	v_and_or_b32 v11, v12, s3, v11
	v_cmp_ne_u32_e32 vcc, 0, v7
	v_cndmask_b32_e32 v7, 0, v11, vcc
	v_and_or_b32 v6, v6, s4, v7
	v_trunc_f32_e32 v6, v6
	v_mul_f32_e64 v7, |v6|, s5
	v_floor_f32_e32 v7, v7
	v_fma_f32 v11, v7, s10, |v6|
	v_cvt_u32_f32_e32 v11, v11
	v_cvt_u32_f32_e32 v7, v7
	v_ashrrev_i32_e32 v12, 31, v6
	v_xor_b32_e32 v6, v11, v12
	v_xor_b32_e32 v7, v7, v12
	v_sub_co_u32_e32 v6, vcc, v6, v12
	v_subb_co_u32_e32 v7, vcc, v7, v12, vcc
.LBB206_1440:
	s_mov_b64 s[4:5], 0
.LBB206_1441:
	s_andn2_b64 vcc, exec, s[4:5]
	s_cbranch_vccnz .LBB206_1443
; %bb.1442:
	global_load_ubyte v6, v[8:9], off
	s_movk_i32 s3, 0x7f00
	s_brev_b32 s4, 16
	s_brev_b32 s5, 1
	s_mov_b32 s10, 0x2f800000
	s_mov_b32 s11, 0xcf800000
	s_waitcnt vmcnt(0)
	v_lshlrev_b16_e32 v7, 8, v6
	v_lshlrev_b32_e32 v6, 25, v6
	v_lshrrev_b32_e32 v11, 4, v6
	v_and_or_b32 v12, v7, s3, 0.5
	v_or_b32_e32 v11, 0x70000000, v11
	v_add_f32_e32 v12, -0.5, v12
	v_mul_f32_e32 v11, 0x7800000, v11
	v_cmp_gt_u32_e32 vcc, s4, v6
	v_bfe_i32 v7, v7, 0, 16
	v_cndmask_b32_e32 v6, v11, v12, vcc
	v_and_or_b32 v6, v7, s5, v6
	v_trunc_f32_e32 v6, v6
	v_mul_f32_e64 v7, |v6|, s10
	v_floor_f32_e32 v7, v7
	v_fma_f32 v11, v7, s11, |v6|
	v_cvt_u32_f32_e32 v11, v11
	v_cvt_u32_f32_e32 v7, v7
	v_ashrrev_i32_e32 v12, 31, v6
	v_xor_b32_e32 v6, v11, v12
	v_xor_b32_e32 v7, v7, v12
	v_sub_co_u32_e32 v6, vcc, v6, v12
	v_subb_co_u32_e32 v7, vcc, v7, v12, vcc
.LBB206_1443:
	s_mov_b64 s[4:5], 0
	s_mov_b64 s[10:11], -1
.LBB206_1444:
	s_andn2_b64 vcc, exec, s[4:5]
	s_mov_b64 s[4:5], 0
	s_cbranch_vccnz .LBB206_1453
; %bb.1445:
	s_cmp_gt_i32 s22, 14
	s_cbranch_scc0 .LBB206_1448
; %bb.1446:
	s_cmp_eq_u32 s22, 15
	s_cbranch_scc0 .LBB206_1449
; %bb.1447:
	global_load_ushort v6, v[8:9], off
	s_mov_b32 s0, 0x2f800000
	s_mov_b32 s1, 0xcf800000
	s_mov_b64 s[10:11], -1
	s_waitcnt vmcnt(0)
	v_lshlrev_b32_e32 v6, 16, v6
	v_trunc_f32_e32 v6, v6
	v_mul_f32_e64 v7, |v6|, s0
	v_floor_f32_e32 v7, v7
	v_fma_f32 v11, v7, s1, |v6|
	v_cvt_u32_f32_e32 v11, v11
	v_cvt_u32_f32_e32 v7, v7
	v_ashrrev_i32_e32 v12, 31, v6
	s_mov_b64 s[0:1], 0
	v_xor_b32_e32 v6, v11, v12
	v_xor_b32_e32 v7, v7, v12
	v_sub_co_u32_e32 v6, vcc, v6, v12
	v_subb_co_u32_e32 v7, vcc, v7, v12, vcc
	s_branch .LBB206_1450
.LBB206_1448:
	s_mov_b64 s[18:19], -1
                                        ; implicit-def: $vgpr6_vgpr7
	s_branch .LBB206_1451
.LBB206_1449:
	s_mov_b64 s[0:1], -1
                                        ; implicit-def: $vgpr6_vgpr7
.LBB206_1450:
	s_mov_b64 s[18:19], 0
.LBB206_1451:
	s_and_b64 vcc, exec, s[18:19]
	s_cbranch_vccz .LBB206_1453
; %bb.1452:
	s_cmp_lg_u32 s22, 11
	s_mov_b64 s[4:5], -1
	s_cselect_b64 s[0:1], -1, 0
.LBB206_1453:
	s_and_b64 vcc, exec, s[0:1]
	s_cbranch_vccnz .LBB206_1986
; %bb.1454:
	s_andn2_b64 vcc, exec, s[4:5]
	s_cbranch_vccnz .LBB206_1456
.LBB206_1455:
	global_load_ubyte v6, v[8:9], off
	s_mov_b32 s0, 0
	s_waitcnt vmcnt(1)
	v_mov_b32_e32 v7, s0
	s_mov_b64 s[10:11], -1
	s_waitcnt vmcnt(0)
	v_cmp_ne_u16_e32 vcc, 0, v6
	v_cndmask_b32_e64 v6, 0, 1, vcc
.LBB206_1456:
	s_mov_b64 s[0:1], 0
.LBB206_1457:
	s_and_b64 vcc, exec, s[0:1]
	s_cbranch_vccz .LBB206_1506
; %bb.1458:
	s_cmp_lt_i32 s22, 5
	s_cbranch_scc1 .LBB206_1463
; %bb.1459:
	s_cmp_lt_i32 s22, 8
	s_cbranch_scc1 .LBB206_1464
; %bb.1460:
	s_cmp_lt_i32 s22, 9
	s_cbranch_scc1 .LBB206_1465
; %bb.1461:
	s_cmp_gt_i32 s22, 9
	s_cbranch_scc0 .LBB206_1466
; %bb.1462:
	global_load_dwordx2 v[6:7], v[8:9], off
	s_movk_i32 s0, 0xffe0
	s_waitcnt vmcnt(0)
	v_trunc_f64_e32 v[6:7], v[6:7]
	v_ldexp_f64 v[11:12], v[6:7], s0
	s_mov_b32 s0, 0
	s_mov_b32 s1, 0xc1f00000
	v_floor_f64_e32 v[11:12], v[11:12]
	v_fma_f64 v[13:14], v[11:12], s[0:1], v[6:7]
	v_cvt_i32_f64_e32 v7, v[11:12]
	s_mov_b64 s[0:1], 0
	v_cvt_u32_f64_e32 v6, v[13:14]
	s_branch .LBB206_1467
.LBB206_1463:
	s_mov_b64 s[0:1], -1
                                        ; implicit-def: $vgpr6_vgpr7
	s_branch .LBB206_1485
.LBB206_1464:
	s_mov_b64 s[0:1], -1
                                        ; implicit-def: $vgpr6_vgpr7
	s_branch .LBB206_1473
.LBB206_1465:
	s_mov_b64 s[0:1], -1
                                        ; implicit-def: $vgpr6_vgpr7
	s_branch .LBB206_1470
.LBB206_1466:
	s_mov_b64 s[0:1], -1
                                        ; implicit-def: $vgpr6_vgpr7
.LBB206_1467:
	s_andn2_b64 vcc, exec, s[0:1]
	s_cbranch_vccnz .LBB206_1469
; %bb.1468:
	global_load_dword v6, v[8:9], off
	s_mov_b32 s0, 0x2f800000
	s_mov_b32 s1, 0xcf800000
	s_waitcnt vmcnt(0)
	v_trunc_f32_e32 v6, v6
	v_mul_f32_e64 v7, |v6|, s0
	v_floor_f32_e32 v7, v7
	v_cvt_u32_f32_e32 v11, v7
	v_fma_f32 v7, v7, s1, |v6|
	v_cvt_u32_f32_e32 v7, v7
	v_ashrrev_i32_e32 v12, 31, v6
	v_xor_b32_e32 v11, v11, v12
	v_xor_b32_e32 v6, v7, v12
	v_sub_co_u32_e32 v6, vcc, v6, v12
	v_subb_co_u32_e32 v7, vcc, v11, v12, vcc
.LBB206_1469:
	s_mov_b64 s[0:1], 0
.LBB206_1470:
	s_andn2_b64 vcc, exec, s[0:1]
	s_cbranch_vccnz .LBB206_1472
; %bb.1471:
	global_load_dword v6, v[8:9], off
	s_waitcnt vmcnt(0)
	v_cvt_f32_f16_e32 v6, v6
	v_cvt_i32_f32_e32 v6, v6
	v_ashrrev_i32_e32 v7, 31, v6
.LBB206_1472:
	s_mov_b64 s[0:1], 0
.LBB206_1473:
	s_andn2_b64 vcc, exec, s[0:1]
	s_cbranch_vccnz .LBB206_1484
; %bb.1474:
	s_cmp_lt_i32 s22, 6
	s_cbranch_scc1 .LBB206_1477
; %bb.1475:
	s_cmp_gt_i32 s22, 6
	s_cbranch_scc0 .LBB206_1478
; %bb.1476:
	global_load_dwordx2 v[6:7], v[8:9], off
	s_movk_i32 s0, 0xffe0
	s_waitcnt vmcnt(0)
	v_trunc_f64_e32 v[6:7], v[6:7]
	v_ldexp_f64 v[11:12], v[6:7], s0
	s_mov_b32 s0, 0
	s_mov_b32 s1, 0xc1f00000
	v_floor_f64_e32 v[11:12], v[11:12]
	v_fma_f64 v[13:14], v[11:12], s[0:1], v[6:7]
	v_cvt_i32_f64_e32 v7, v[11:12]
	s_mov_b64 s[0:1], 0
	v_cvt_u32_f64_e32 v6, v[13:14]
	s_branch .LBB206_1479
.LBB206_1477:
	s_mov_b64 s[0:1], -1
                                        ; implicit-def: $vgpr6_vgpr7
	s_branch .LBB206_1482
.LBB206_1478:
	s_mov_b64 s[0:1], -1
                                        ; implicit-def: $vgpr6_vgpr7
.LBB206_1479:
	s_andn2_b64 vcc, exec, s[0:1]
	s_cbranch_vccnz .LBB206_1481
; %bb.1480:
	global_load_dword v6, v[8:9], off
	s_mov_b32 s0, 0x2f800000
	s_mov_b32 s1, 0xcf800000
	s_waitcnt vmcnt(0)
	v_trunc_f32_e32 v6, v6
	v_mul_f32_e64 v7, |v6|, s0
	v_floor_f32_e32 v7, v7
	v_cvt_u32_f32_e32 v11, v7
	v_fma_f32 v7, v7, s1, |v6|
	v_cvt_u32_f32_e32 v7, v7
	v_ashrrev_i32_e32 v12, 31, v6
	v_xor_b32_e32 v11, v11, v12
	v_xor_b32_e32 v6, v7, v12
	v_sub_co_u32_e32 v6, vcc, v6, v12
	v_subb_co_u32_e32 v7, vcc, v11, v12, vcc
.LBB206_1481:
	s_mov_b64 s[0:1], 0
.LBB206_1482:
	s_andn2_b64 vcc, exec, s[0:1]
	s_cbranch_vccnz .LBB206_1484
; %bb.1483:
	global_load_ushort v6, v[8:9], off
	s_waitcnt vmcnt(0)
	v_cvt_f32_f16_e32 v6, v6
	v_cvt_i32_f32_e32 v6, v6
	v_ashrrev_i32_e32 v7, 31, v6
.LBB206_1484:
	s_mov_b64 s[0:1], 0
.LBB206_1485:
	s_andn2_b64 vcc, exec, s[0:1]
	s_cbranch_vccnz .LBB206_1505
; %bb.1486:
	s_cmp_lt_i32 s22, 2
	s_cbranch_scc1 .LBB206_1490
; %bb.1487:
	s_cmp_lt_i32 s22, 3
	s_cbranch_scc1 .LBB206_1491
; %bb.1488:
	s_cmp_gt_i32 s22, 3
	s_cbranch_scc0 .LBB206_1492
; %bb.1489:
	global_load_dwordx2 v[6:7], v[8:9], off
	s_mov_b64 s[0:1], 0
	s_branch .LBB206_1493
.LBB206_1490:
	s_mov_b64 s[0:1], -1
                                        ; implicit-def: $vgpr6_vgpr7
	s_branch .LBB206_1499
.LBB206_1491:
	s_mov_b64 s[0:1], -1
                                        ; implicit-def: $vgpr6_vgpr7
	s_branch .LBB206_1496
.LBB206_1492:
	s_mov_b64 s[0:1], -1
                                        ; implicit-def: $vgpr6_vgpr7
.LBB206_1493:
	s_andn2_b64 vcc, exec, s[0:1]
	s_cbranch_vccnz .LBB206_1495
; %bb.1494:
	global_load_dword v6, v[8:9], off
	s_waitcnt vmcnt(0)
	v_ashrrev_i32_e32 v7, 31, v6
.LBB206_1495:
	s_mov_b64 s[0:1], 0
.LBB206_1496:
	s_andn2_b64 vcc, exec, s[0:1]
	s_cbranch_vccnz .LBB206_1498
; %bb.1497:
	global_load_ushort v6, v[8:9], off
	s_waitcnt vmcnt(0)
	v_bfe_i32 v6, v6, 0, 16
	v_ashrrev_i32_e32 v7, 31, v6
.LBB206_1498:
	s_mov_b64 s[0:1], 0
.LBB206_1499:
	s_andn2_b64 vcc, exec, s[0:1]
	s_cbranch_vccnz .LBB206_1505
; %bb.1500:
	s_cmp_gt_i32 s22, 0
	s_cbranch_scc0 .LBB206_1502
; %bb.1501:
	global_load_sbyte v6, v[8:9], off
	s_mov_b64 s[0:1], 0
	s_waitcnt vmcnt(0)
	v_bfe_i32 v6, v6, 0, 16
	v_ashrrev_i32_e32 v7, 31, v6
	s_branch .LBB206_1503
.LBB206_1502:
	s_mov_b64 s[0:1], -1
                                        ; implicit-def: $vgpr6_vgpr7
.LBB206_1503:
	s_andn2_b64 vcc, exec, s[0:1]
	s_cbranch_vccnz .LBB206_1505
; %bb.1504:
	global_load_ubyte v6, v[8:9], off
	s_mov_b32 s0, 0
	s_waitcnt vmcnt(1)
	v_mov_b32_e32 v7, s0
	s_waitcnt vmcnt(0)
	v_and_b32_e32 v6, 0xffff, v6
.LBB206_1505:
	s_mov_b64 s[10:11], -1
.LBB206_1506:
	s_andn2_b64 vcc, exec, s[10:11]
	s_cbranch_vccnz .LBB206_1940
; %bb.1507:
	v_cmp_lt_u64_e64 s[0:1], s[12:13], 63
	v_mul_lo_u32 v10, s2, v10
	s_and_b64 s[0:1], s[0:1], exec
	s_cselect_b32 s21, s12, 63
	s_waitcnt vmcnt(0)
	v_ashrrev_i64 v[0:1], s21, v[0:1]
	v_ashrrev_i32_e32 v9, 31, v10
	v_mov_b32_e32 v11, s9
	s_and_b32 s20, s33, 0xff
	v_add_co_u32_e32 v8, vcc, s8, v10
	s_cmp_lt_i32 s20, 11
	v_addc_co_u32_e32 v9, vcc, v11, v9, vcc
	s_cbranch_scc1 .LBB206_1585
; %bb.1508:
	s_and_b32 s3, 0xffff, s20
	s_mov_b64 s[12:13], -1
	s_mov_b64 s[4:5], 0
	s_cmp_gt_i32 s3, 25
	s_mov_b64 s[10:11], 0
	s_mov_b64 s[0:1], 0
	s_cbranch_scc0 .LBB206_1541
; %bb.1509:
	s_cmp_gt_i32 s3, 28
	s_cbranch_scc0 .LBB206_1524
; %bb.1510:
	s_cmp_gt_i32 s3, 43
	;; [unrolled: 3-line block ×3, first 2 shown]
	s_cbranch_scc0 .LBB206_1514
; %bb.1512:
	s_mov_b64 s[0:1], -1
	s_mov_b64 s[12:13], 0
	s_cmp_eq_u32 s3, 46
	s_cbranch_scc0 .LBB206_1514
; %bb.1513:
	v_xor_b32_e32 v12, v0, v1
	v_ffbh_i32_e32 v11, v1
	v_ashrrev_i32_e32 v12, 31, v12
	v_add_u32_e32 v11, -1, v11
	v_add_u32_e32 v12, 32, v12
	v_min_u32_e32 v13, v11, v12
	v_lshlrev_b64 v[11:12], v13, v[0:1]
	s_movk_i32 s0, 0x7fff
	v_min_u32_e32 v11, 1, v11
	v_or_b32_e32 v11, v12, v11
	v_cvt_f32_i32_e32 v11, v11
	v_sub_u32_e32 v12, 32, v13
	s_mov_b64 s[10:11], -1
	v_ldexp_f32 v11, v11, v12
	v_bfe_u32 v12, v11, 16, 1
	v_add3_u32 v11, v11, v12, s0
	v_lshrrev_b32_e32 v11, 16, v11
	global_store_dword v[8:9], v11, off
	s_mov_b64 s[0:1], 0
.LBB206_1514:
	s_and_b64 vcc, exec, s[12:13]
	s_cbranch_vccz .LBB206_1519
; %bb.1515:
	s_cmp_eq_u32 s3, 44
	s_mov_b64 s[0:1], -1
	s_cbranch_scc0 .LBB206_1519
; %bb.1516:
	v_xor_b32_e32 v12, v0, v1
	v_ffbh_i32_e32 v11, v1
	v_ashrrev_i32_e32 v12, 31, v12
	v_add_u32_e32 v11, -1, v11
	v_add_u32_e32 v12, 32, v12
	v_min_u32_e32 v13, v11, v12
	v_lshlrev_b64 v[11:12], v13, v[0:1]
	s_movk_i32 s0, 0xff
	v_min_u32_e32 v11, 1, v11
	v_or_b32_e32 v11, v12, v11
	v_cvt_f32_i32_e32 v11, v11
	v_sub_u32_e32 v12, 32, v13
	v_mov_b32_e32 v13, 0xff
	v_ldexp_f32 v11, v11, v12
	v_bfe_u32 v12, v11, 23, 8
	v_cmp_ne_u32_e32 vcc, s0, v12
	s_and_saveexec_b64 s[10:11], vcc
; %bb.1517:
	s_mov_b32 s0, 0x3fffff
	v_lshrrev_b32_e32 v13, 23, v11
	v_and_b32_e32 v14, 0x400000, v11
	v_and_or_b32 v11, v11, s0, v12
	v_cmp_ne_u32_e32 vcc, 0, v14
	v_cmp_ne_u32_e64 s[0:1], 0, v11
	s_and_b64 s[0:1], vcc, s[0:1]
	v_cndmask_b32_e64 v11, 0, 1, s[0:1]
	v_add_u32_e32 v13, v13, v11
; %bb.1518:
	s_or_b64 exec, exec, s[10:11]
	s_mov_b64 s[0:1], 0
	s_mov_b64 s[10:11], -1
	global_store_byte v[8:9], v13, off
.LBB206_1519:
	s_mov_b64 s[12:13], 0
.LBB206_1520:
	s_and_b64 vcc, exec, s[12:13]
	s_cbranch_vccz .LBB206_1523
; %bb.1521:
	s_cmp_eq_u32 s3, 29
	s_mov_b64 s[0:1], -1
	s_cbranch_scc0 .LBB206_1523
; %bb.1522:
	global_store_dwordx2 v[8:9], v[0:1], off
	s_mov_b64 s[0:1], 0
	s_mov_b64 s[10:11], -1
.LBB206_1523:
	s_mov_b64 s[12:13], 0
.LBB206_1524:
	s_and_b64 vcc, exec, s[12:13]
	s_cbranch_vccz .LBB206_1540
; %bb.1525:
	s_cmp_lt_i32 s3, 27
	s_mov_b64 s[10:11], -1
	s_cbranch_scc1 .LBB206_1531
; %bb.1526:
	s_cmp_gt_i32 s3, 27
	s_cbranch_scc0 .LBB206_1528
; %bb.1527:
	s_mov_b64 s[10:11], 0
	global_store_dword v[8:9], v0, off
.LBB206_1528:
	s_andn2_b64 vcc, exec, s[10:11]
	s_cbranch_vccnz .LBB206_1530
; %bb.1529:
	global_store_short v[8:9], v0, off
.LBB206_1530:
	s_mov_b64 s[10:11], 0
.LBB206_1531:
	s_andn2_b64 vcc, exec, s[10:11]
	s_cbranch_vccnz .LBB206_1539
; %bb.1532:
	v_xor_b32_e32 v12, v0, v1
	v_ffbh_i32_e32 v11, v1
	v_ashrrev_i32_e32 v12, 31, v12
	v_add_u32_e32 v11, -1, v11
	v_add_u32_e32 v12, 32, v12
	v_min_u32_e32 v13, v11, v12
	v_lshlrev_b64 v[11:12], v13, v[0:1]
	s_mov_b32 s10, 0x43800000
	v_min_u32_e32 v11, 1, v11
	v_or_b32_e32 v11, v12, v11
	v_cvt_f32_i32_e32 v11, v11
	v_sub_u32_e32 v12, 32, v13
	v_mov_b32_e32 v13, 0x80
	v_ldexp_f32 v11, v11, v12
	v_and_b32_e32 v12, 0x7fffffff, v11
	v_cmp_gt_u32_e32 vcc, s10, v12
	s_and_saveexec_b64 s[10:11], vcc
	s_cbranch_execz .LBB206_1538
; %bb.1533:
	s_mov_b32 s12, 0x3bffffff
	v_cmp_lt_u32_e32 vcc, s12, v12
	s_mov_b64 s[12:13], 0
                                        ; implicit-def: $vgpr12
	s_and_saveexec_b64 s[18:19], vcc
	s_xor_b64 s[18:19], exec, s[18:19]
	s_cbranch_execz .LBB206_1987
; %bb.1534:
	v_bfe_u32 v12, v11, 20, 1
	s_mov_b32 s22, 0x487ffff
	v_add3_u32 v12, v11, v12, s22
	s_mov_b64 s[12:13], exec
	v_lshrrev_b32_e32 v12, 20, v12
	s_andn2_saveexec_b64 s[18:19], s[18:19]
	s_cbranch_execnz .LBB206_1988
.LBB206_1535:
	s_or_b64 exec, exec, s[18:19]
	v_mov_b32_e32 v13, 0
	s_and_saveexec_b64 s[18:19], s[12:13]
.LBB206_1536:
	v_lshrrev_b32_e32 v11, 24, v11
	s_movk_i32 s12, 0x80
	v_and_or_b32 v13, v11, s12, v12
.LBB206_1537:
	s_or_b64 exec, exec, s[18:19]
.LBB206_1538:
	s_or_b64 exec, exec, s[10:11]
	global_store_byte v[8:9], v13, off
.LBB206_1539:
	s_mov_b64 s[10:11], -1
.LBB206_1540:
	s_mov_b64 s[12:13], 0
.LBB206_1541:
	s_and_b64 vcc, exec, s[12:13]
	s_cbranch_vccz .LBB206_1581
; %bb.1542:
	s_cmp_gt_i32 s3, 22
	s_mov_b64 s[4:5], -1
	s_cbranch_scc0 .LBB206_1574
; %bb.1543:
	s_cmp_lt_i32 s3, 24
	s_cbranch_scc1 .LBB206_1563
; %bb.1544:
	s_cmp_gt_i32 s3, 24
	s_cbranch_scc0 .LBB206_1552
; %bb.1545:
	v_xor_b32_e32 v12, v0, v1
	v_ffbh_i32_e32 v11, v1
	v_ashrrev_i32_e32 v12, 31, v12
	v_add_u32_e32 v11, -1, v11
	v_add_u32_e32 v12, 32, v12
	v_min_u32_e32 v13, v11, v12
	v_lshlrev_b64 v[11:12], v13, v[0:1]
	s_mov_b32 s4, 0x47800000
	v_min_u32_e32 v11, 1, v11
	v_or_b32_e32 v11, v12, v11
	v_cvt_f32_i32_e32 v11, v11
	v_sub_u32_e32 v12, 32, v13
	v_mov_b32_e32 v13, 0x80
	v_ldexp_f32 v11, v11, v12
	v_and_b32_e32 v12, 0x7fffffff, v11
	v_cmp_gt_u32_e32 vcc, s4, v12
	s_and_saveexec_b64 s[4:5], vcc
	s_cbranch_execz .LBB206_1551
; %bb.1546:
	s_mov_b32 s10, 0x37ffffff
	v_cmp_lt_u32_e32 vcc, s10, v12
	s_mov_b64 s[10:11], 0
                                        ; implicit-def: $vgpr12
	s_and_saveexec_b64 s[12:13], vcc
	s_xor_b64 s[12:13], exec, s[12:13]
	s_cbranch_execz .LBB206_1990
; %bb.1547:
	v_bfe_u32 v12, v11, 21, 1
	s_mov_b32 s18, 0x88fffff
	v_add3_u32 v12, v11, v12, s18
	s_mov_b64 s[10:11], exec
	v_lshrrev_b32_e32 v12, 21, v12
	s_andn2_saveexec_b64 s[12:13], s[12:13]
	s_cbranch_execnz .LBB206_1991
.LBB206_1548:
	s_or_b64 exec, exec, s[12:13]
	v_mov_b32_e32 v13, 0
	s_and_saveexec_b64 s[12:13], s[10:11]
.LBB206_1549:
	v_lshrrev_b32_e32 v11, 24, v11
	s_movk_i32 s10, 0x80
	v_and_or_b32 v13, v11, s10, v12
.LBB206_1550:
	s_or_b64 exec, exec, s[12:13]
.LBB206_1551:
	s_or_b64 exec, exec, s[4:5]
	s_mov_b64 s[4:5], 0
	global_store_byte v[8:9], v13, off
.LBB206_1552:
	s_and_b64 vcc, exec, s[4:5]
	s_cbranch_vccz .LBB206_1562
; %bb.1553:
	v_xor_b32_e32 v12, v0, v1
	v_ffbh_i32_e32 v11, v1
	v_ashrrev_i32_e32 v12, 31, v12
	v_add_u32_e32 v11, -1, v11
	v_add_u32_e32 v12, 32, v12
	v_min_u32_e32 v13, v11, v12
	v_lshlrev_b64 v[11:12], v13, v[0:1]
	s_mov_b32 s4, 0x43f00000
	v_min_u32_e32 v11, 1, v11
	v_or_b32_e32 v11, v12, v11
	v_cvt_f32_i32_e32 v11, v11
	v_sub_u32_e32 v12, 32, v13
	v_ldexp_f32 v11, v11, v12
	v_and_b32_e32 v13, 0x7fffffff, v11
	v_cmp_gt_u32_e32 vcc, s4, v13
                                        ; implicit-def: $vgpr12
	s_and_saveexec_b64 s[4:5], vcc
	s_xor_b64 s[4:5], exec, s[4:5]
	s_cbranch_execz .LBB206_1559
; %bb.1554:
	s_mov_b32 s10, 0x3c7fffff
	v_cmp_lt_u32_e32 vcc, s10, v13
                                        ; implicit-def: $vgpr12
	s_and_saveexec_b64 s[10:11], vcc
	s_xor_b64 s[10:11], exec, s[10:11]
; %bb.1555:
	v_bfe_u32 v12, v11, 20, 1
	s_mov_b32 s12, 0x407ffff
	v_add3_u32 v12, v11, v12, s12
	v_lshrrev_b32_e32 v13, 20, v12
	v_and_b32_e32 v12, 0xff00000, v12
	s_mov_b32 s12, 0x7f00000
	v_mov_b32_e32 v14, 0x7e
	v_cmp_ne_u32_e32 vcc, s12, v12
	v_cndmask_b32_e32 v12, v14, v13, vcc
; %bb.1556:
	s_andn2_saveexec_b64 s[10:11], s[10:11]
; %bb.1557:
	s_mov_b32 s12, 0x46800000
	v_add_f32_e64 v12, |v11|, s12
; %bb.1558:
	s_or_b64 exec, exec, s[10:11]
                                        ; implicit-def: $vgpr13
.LBB206_1559:
	s_andn2_saveexec_b64 s[4:5], s[4:5]
; %bb.1560:
	s_mov_b32 s10, 0x7f800000
	v_mov_b32_e32 v12, 0x7e
	v_mov_b32_e32 v14, 0x7f
	v_cmp_lt_u32_e32 vcc, s10, v13
	v_cndmask_b32_e32 v12, v12, v14, vcc
; %bb.1561:
	s_or_b64 exec, exec, s[4:5]
	v_lshrrev_b32_e32 v11, 24, v11
	s_movk_i32 s4, 0x80
	v_and_or_b32 v11, v11, s4, v12
	global_store_byte v[8:9], v11, off
.LBB206_1562:
	s_mov_b64 s[4:5], 0
.LBB206_1563:
	s_andn2_b64 vcc, exec, s[4:5]
	s_cbranch_vccnz .LBB206_1573
; %bb.1564:
	v_xor_b32_e32 v12, v0, v1
	v_ffbh_i32_e32 v11, v1
	v_ashrrev_i32_e32 v12, 31, v12
	v_add_u32_e32 v11, -1, v11
	v_add_u32_e32 v12, 32, v12
	v_min_u32_e32 v13, v11, v12
	v_lshlrev_b64 v[11:12], v13, v[0:1]
	s_mov_b32 s4, 0x47800000
	v_min_u32_e32 v11, 1, v11
	v_or_b32_e32 v11, v12, v11
	v_cvt_f32_i32_e32 v11, v11
	v_sub_u32_e32 v12, 32, v13
	v_ldexp_f32 v11, v11, v12
	v_and_b32_e32 v13, 0x7fffffff, v11
	v_cmp_gt_u32_e32 vcc, s4, v13
                                        ; implicit-def: $vgpr12
	s_and_saveexec_b64 s[4:5], vcc
	s_xor_b64 s[4:5], exec, s[4:5]
	s_cbranch_execz .LBB206_1570
; %bb.1565:
	s_mov_b32 s10, 0x387fffff
	v_cmp_lt_u32_e32 vcc, s10, v13
                                        ; implicit-def: $vgpr12
	s_and_saveexec_b64 s[10:11], vcc
	s_xor_b64 s[10:11], exec, s[10:11]
; %bb.1566:
	v_bfe_u32 v12, v11, 21, 1
	s_mov_b32 s12, 0x80fffff
	v_add3_u32 v12, v11, v12, s12
	v_lshrrev_b32_e32 v12, 21, v12
; %bb.1567:
	s_andn2_saveexec_b64 s[10:11], s[10:11]
; %bb.1568:
	s_mov_b32 s12, 0x43000000
	v_add_f32_e64 v12, |v11|, s12
; %bb.1569:
	s_or_b64 exec, exec, s[10:11]
                                        ; implicit-def: $vgpr13
.LBB206_1570:
	s_andn2_saveexec_b64 s[4:5], s[4:5]
; %bb.1571:
	s_mov_b32 s10, 0x7f800000
	v_mov_b32_e32 v12, 0x7c
	v_mov_b32_e32 v14, 0x7f
	v_cmp_lt_u32_e32 vcc, s10, v13
	v_cndmask_b32_e32 v12, v12, v14, vcc
; %bb.1572:
	s_or_b64 exec, exec, s[4:5]
	v_lshrrev_b32_e32 v11, 24, v11
	s_movk_i32 s4, 0x80
	v_and_or_b32 v11, v11, s4, v12
	global_store_byte v[8:9], v11, off
.LBB206_1573:
	s_mov_b64 s[4:5], 0
	s_mov_b64 s[10:11], -1
.LBB206_1574:
	s_andn2_b64 vcc, exec, s[4:5]
	s_mov_b64 s[4:5], 0
	s_cbranch_vccnz .LBB206_1581
; %bb.1575:
	s_cmp_gt_i32 s3, 14
	s_mov_b64 s[12:13], -1
	s_cbranch_scc0 .LBB206_1579
; %bb.1576:
	s_cmp_eq_u32 s3, 15
	s_mov_b64 s[0:1], -1
	s_cbranch_scc0 .LBB206_1578
; %bb.1577:
	v_xor_b32_e32 v12, v0, v1
	v_ffbh_i32_e32 v11, v1
	v_ashrrev_i32_e32 v12, 31, v12
	v_add_u32_e32 v11, -1, v11
	v_add_u32_e32 v12, 32, v12
	v_min_u32_e32 v13, v11, v12
	v_lshlrev_b64 v[11:12], v13, v[0:1]
	s_movk_i32 s0, 0x7fff
	v_min_u32_e32 v11, 1, v11
	v_or_b32_e32 v11, v12, v11
	v_cvt_f32_i32_e32 v11, v11
	v_sub_u32_e32 v12, 32, v13
	s_mov_b64 s[10:11], -1
	v_ldexp_f32 v11, v11, v12
	v_bfe_u32 v12, v11, 16, 1
	v_add3_u32 v11, v11, v12, s0
	global_store_short_d16_hi v[8:9], v11, off
	s_mov_b64 s[0:1], 0
.LBB206_1578:
	s_mov_b64 s[12:13], 0
.LBB206_1579:
	s_and_b64 vcc, exec, s[12:13]
	s_cbranch_vccz .LBB206_1581
; %bb.1580:
	s_cmp_lg_u32 s3, 11
	s_mov_b64 s[4:5], -1
	s_cselect_b64 s[0:1], -1, 0
.LBB206_1581:
	s_and_b64 vcc, exec, s[0:1]
	s_cbranch_vccnz .LBB206_1989
; %bb.1582:
	s_andn2_b64 vcc, exec, s[4:5]
	s_cbranch_vccnz .LBB206_1584
.LBB206_1583:
	v_cmp_ne_u64_e32 vcc, 0, v[0:1]
	s_mov_b64 s[10:11], -1
	v_cndmask_b32_e64 v11, 0, 1, vcc
	global_store_byte v[8:9], v11, off
.LBB206_1584:
	s_mov_b64 s[0:1], 0
	s_branch .LBB206_1586
.LBB206_1585:
	s_mov_b64 s[0:1], -1
	s_mov_b64 s[10:11], 0
.LBB206_1586:
	s_and_b64 vcc, exec, s[0:1]
	s_cbranch_vccz .LBB206_1625
; %bb.1587:
	s_and_b32 s3, 0xffff, s20
	s_cmp_lt_i32 s3, 5
	s_mov_b64 s[0:1], -1
	s_cbranch_scc1 .LBB206_1608
; %bb.1588:
	s_cmp_lt_i32 s3, 8
	s_cbranch_scc1 .LBB206_1598
; %bb.1589:
	s_cmp_lt_i32 s3, 9
	s_cbranch_scc1 .LBB206_1595
; %bb.1590:
	s_cmp_gt_i32 s3, 9
	s_cbranch_scc0 .LBB206_1592
; %bb.1591:
	v_cvt_f64_i32_e32 v[11:12], v1
	v_cvt_f64_u32_e32 v[13:14], v0
	s_mov_b64 s[0:1], 0
	v_ldexp_f64 v[11:12], v[11:12], 32
	v_add_f64 v[11:12], v[11:12], v[13:14]
	v_mov_b32_e32 v13, 0
	v_mov_b32_e32 v14, v13
	global_store_dwordx4 v[8:9], v[11:14], off
.LBB206_1592:
	s_andn2_b64 vcc, exec, s[0:1]
	s_cbranch_vccnz .LBB206_1594
; %bb.1593:
	v_xor_b32_e32 v12, v0, v1
	v_ffbh_i32_e32 v11, v1
	v_ashrrev_i32_e32 v12, 31, v12
	v_add_u32_e32 v11, -1, v11
	v_add_u32_e32 v12, 32, v12
	v_min_u32_e32 v13, v11, v12
	v_lshlrev_b64 v[11:12], v13, v[0:1]
	v_min_u32_e32 v11, 1, v11
	v_or_b32_e32 v11, v12, v11
	v_cvt_f32_i32_e32 v11, v11
	v_sub_u32_e32 v12, 32, v13
	v_ldexp_f32 v11, v11, v12
	v_mov_b32_e32 v12, 0
	global_store_dwordx2 v[8:9], v[11:12], off
.LBB206_1594:
	s_mov_b64 s[0:1], 0
.LBB206_1595:
	s_andn2_b64 vcc, exec, s[0:1]
	s_cbranch_vccnz .LBB206_1597
; %bb.1596:
	v_xor_b32_e32 v12, v0, v1
	v_ffbh_i32_e32 v11, v1
	v_ashrrev_i32_e32 v12, 31, v12
	v_add_u32_e32 v11, -1, v11
	v_add_u32_e32 v12, 32, v12
	v_min_u32_e32 v13, v11, v12
	v_lshlrev_b64 v[11:12], v13, v[0:1]
	v_min_u32_e32 v11, 1, v11
	v_or_b32_e32 v11, v12, v11
	v_cvt_f32_i32_e32 v11, v11
	v_sub_u32_e32 v12, 32, v13
	v_ldexp_f32 v11, v11, v12
	v_cvt_f16_f32_e32 v11, v11
	global_store_dword v[8:9], v11, off
.LBB206_1597:
	s_mov_b64 s[0:1], 0
.LBB206_1598:
	s_andn2_b64 vcc, exec, s[0:1]
	s_cbranch_vccnz .LBB206_1607
; %bb.1599:
	s_cmp_lt_i32 s3, 6
	s_mov_b64 s[0:1], -1
	s_cbranch_scc1 .LBB206_1605
; %bb.1600:
	s_cmp_gt_i32 s3, 6
	s_cbranch_scc0 .LBB206_1602
; %bb.1601:
	v_cvt_f64_i32_e32 v[11:12], v1
	v_cvt_f64_u32_e32 v[13:14], v0
	s_mov_b64 s[0:1], 0
	v_ldexp_f64 v[11:12], v[11:12], 32
	v_add_f64 v[11:12], v[11:12], v[13:14]
	global_store_dwordx2 v[8:9], v[11:12], off
.LBB206_1602:
	s_andn2_b64 vcc, exec, s[0:1]
	s_cbranch_vccnz .LBB206_1604
; %bb.1603:
	v_xor_b32_e32 v12, v0, v1
	v_ffbh_i32_e32 v11, v1
	v_ashrrev_i32_e32 v12, 31, v12
	v_add_u32_e32 v11, -1, v11
	v_add_u32_e32 v12, 32, v12
	v_min_u32_e32 v13, v11, v12
	v_lshlrev_b64 v[11:12], v13, v[0:1]
	v_min_u32_e32 v11, 1, v11
	v_or_b32_e32 v11, v12, v11
	v_cvt_f32_i32_e32 v11, v11
	v_sub_u32_e32 v12, 32, v13
	v_ldexp_f32 v11, v11, v12
	global_store_dword v[8:9], v11, off
.LBB206_1604:
	s_mov_b64 s[0:1], 0
.LBB206_1605:
	s_andn2_b64 vcc, exec, s[0:1]
	s_cbranch_vccnz .LBB206_1607
; %bb.1606:
	v_xor_b32_e32 v12, v0, v1
	v_ffbh_i32_e32 v11, v1
	v_ashrrev_i32_e32 v12, 31, v12
	v_add_u32_e32 v11, -1, v11
	v_add_u32_e32 v12, 32, v12
	v_min_u32_e32 v13, v11, v12
	v_lshlrev_b64 v[11:12], v13, v[0:1]
	v_min_u32_e32 v11, 1, v11
	v_or_b32_e32 v11, v12, v11
	v_cvt_f32_i32_e32 v11, v11
	v_sub_u32_e32 v12, 32, v13
	v_ldexp_f32 v11, v11, v12
	v_cvt_f16_f32_e32 v11, v11
	global_store_short v[8:9], v11, off
.LBB206_1607:
	s_mov_b64 s[0:1], 0
.LBB206_1608:
	s_andn2_b64 vcc, exec, s[0:1]
	s_cbranch_vccnz .LBB206_1624
; %bb.1609:
	s_cmp_lt_i32 s3, 2
	s_mov_b64 s[0:1], -1
	s_cbranch_scc1 .LBB206_1619
; %bb.1610:
	s_cmp_lt_i32 s3, 3
	s_cbranch_scc1 .LBB206_1616
; %bb.1611:
	s_cmp_gt_i32 s3, 3
	s_cbranch_scc0 .LBB206_1613
; %bb.1612:
	global_store_dwordx2 v[8:9], v[0:1], off
	s_mov_b64 s[0:1], 0
.LBB206_1613:
	s_andn2_b64 vcc, exec, s[0:1]
	s_cbranch_vccnz .LBB206_1615
; %bb.1614:
	global_store_dword v[8:9], v0, off
.LBB206_1615:
	s_mov_b64 s[0:1], 0
.LBB206_1616:
	s_andn2_b64 vcc, exec, s[0:1]
	s_cbranch_vccnz .LBB206_1618
; %bb.1617:
	global_store_short v[8:9], v0, off
.LBB206_1618:
	s_mov_b64 s[0:1], 0
.LBB206_1619:
	s_andn2_b64 vcc, exec, s[0:1]
	s_cbranch_vccnz .LBB206_1624
; %bb.1620:
	s_cmp_gt_i32 s3, 0
	s_mov_b64 s[0:1], -1
	s_cbranch_scc0 .LBB206_1622
; %bb.1621:
	global_store_byte v[8:9], v0, off
	s_mov_b64 s[0:1], 0
.LBB206_1622:
	s_andn2_b64 vcc, exec, s[0:1]
	s_cbranch_vccnz .LBB206_1624
; %bb.1623:
	global_store_byte v[8:9], v0, off
.LBB206_1624:
	s_mov_b64 s[10:11], -1
.LBB206_1625:
	s_andn2_b64 vcc, exec, s[10:11]
	s_cbranch_vccnz .LBB206_1940
; %bb.1626:
	s_lshl_b32 s18, s2, 7
	v_add_u32_e32 v8, s18, v10
	v_ashrrev_i64 v[0:1], s21, v[2:3]
	v_ashrrev_i32_e32 v3, 31, v8
	v_mov_b32_e32 v9, s9
	v_add_co_u32_e32 v2, vcc, s8, v8
	s_cmp_lt_i32 s20, 11
	v_addc_co_u32_e32 v3, vcc, v9, v3, vcc
	s_cbranch_scc1 .LBB206_1704
; %bb.1627:
	s_and_b32 s19, 0xffff, s20
	s_mov_b64 s[10:11], -1
	s_mov_b64 s[2:3], 0
	s_cmp_gt_i32 s19, 25
	s_mov_b64 s[4:5], 0
	s_mov_b64 s[0:1], 0
	s_cbranch_scc0 .LBB206_1660
; %bb.1628:
	s_cmp_gt_i32 s19, 28
	s_cbranch_scc0 .LBB206_1643
; %bb.1629:
	s_cmp_gt_i32 s19, 43
	;; [unrolled: 3-line block ×3, first 2 shown]
	s_cbranch_scc0 .LBB206_1633
; %bb.1631:
	s_mov_b64 s[0:1], -1
	s_mov_b64 s[10:11], 0
	s_cmp_eq_u32 s19, 46
	s_cbranch_scc0 .LBB206_1633
; %bb.1632:
	v_xor_b32_e32 v10, v0, v1
	v_ffbh_i32_e32 v9, v1
	v_ashrrev_i32_e32 v10, 31, v10
	v_add_u32_e32 v9, -1, v9
	v_add_u32_e32 v10, 32, v10
	v_min_u32_e32 v11, v9, v10
	v_lshlrev_b64 v[9:10], v11, v[0:1]
	s_movk_i32 s0, 0x7fff
	v_min_u32_e32 v9, 1, v9
	v_or_b32_e32 v9, v10, v9
	v_cvt_f32_i32_e32 v9, v9
	v_sub_u32_e32 v10, 32, v11
	s_mov_b64 s[4:5], -1
	v_ldexp_f32 v9, v9, v10
	v_bfe_u32 v10, v9, 16, 1
	v_add3_u32 v9, v9, v10, s0
	v_lshrrev_b32_e32 v9, 16, v9
	global_store_dword v[2:3], v9, off
	s_mov_b64 s[0:1], 0
.LBB206_1633:
	s_and_b64 vcc, exec, s[10:11]
	s_cbranch_vccz .LBB206_1638
; %bb.1634:
	s_cmp_eq_u32 s19, 44
	s_mov_b64 s[0:1], -1
	s_cbranch_scc0 .LBB206_1638
; %bb.1635:
	v_xor_b32_e32 v10, v0, v1
	v_ffbh_i32_e32 v9, v1
	v_ashrrev_i32_e32 v10, 31, v10
	v_add_u32_e32 v9, -1, v9
	v_add_u32_e32 v10, 32, v10
	v_min_u32_e32 v11, v9, v10
	v_lshlrev_b64 v[9:10], v11, v[0:1]
	s_movk_i32 s0, 0xff
	v_min_u32_e32 v9, 1, v9
	v_or_b32_e32 v9, v10, v9
	v_cvt_f32_i32_e32 v9, v9
	v_sub_u32_e32 v10, 32, v11
	v_mov_b32_e32 v11, 0xff
	v_ldexp_f32 v9, v9, v10
	v_bfe_u32 v10, v9, 23, 8
	v_cmp_ne_u32_e32 vcc, s0, v10
	s_and_saveexec_b64 s[4:5], vcc
; %bb.1636:
	s_mov_b32 s0, 0x3fffff
	v_lshrrev_b32_e32 v11, 23, v9
	v_and_b32_e32 v12, 0x400000, v9
	v_and_or_b32 v9, v9, s0, v10
	v_cmp_ne_u32_e32 vcc, 0, v12
	v_cmp_ne_u32_e64 s[0:1], 0, v9
	s_and_b64 s[0:1], vcc, s[0:1]
	v_cndmask_b32_e64 v9, 0, 1, s[0:1]
	v_add_u32_e32 v11, v11, v9
; %bb.1637:
	s_or_b64 exec, exec, s[4:5]
	s_mov_b64 s[0:1], 0
	s_mov_b64 s[4:5], -1
	global_store_byte v[2:3], v11, off
.LBB206_1638:
	s_mov_b64 s[10:11], 0
.LBB206_1639:
	s_and_b64 vcc, exec, s[10:11]
	s_cbranch_vccz .LBB206_1642
; %bb.1640:
	s_cmp_eq_u32 s19, 29
	s_mov_b64 s[0:1], -1
	s_cbranch_scc0 .LBB206_1642
; %bb.1641:
	global_store_dwordx2 v[2:3], v[0:1], off
	s_mov_b64 s[0:1], 0
	s_mov_b64 s[4:5], -1
.LBB206_1642:
	s_mov_b64 s[10:11], 0
.LBB206_1643:
	s_and_b64 vcc, exec, s[10:11]
	s_cbranch_vccz .LBB206_1659
; %bb.1644:
	s_cmp_lt_i32 s19, 27
	s_mov_b64 s[4:5], -1
	s_cbranch_scc1 .LBB206_1650
; %bb.1645:
	s_cmp_gt_i32 s19, 27
	s_cbranch_scc0 .LBB206_1647
; %bb.1646:
	s_mov_b64 s[4:5], 0
	global_store_dword v[2:3], v0, off
.LBB206_1647:
	s_andn2_b64 vcc, exec, s[4:5]
	s_cbranch_vccnz .LBB206_1649
; %bb.1648:
	global_store_short v[2:3], v0, off
.LBB206_1649:
	s_mov_b64 s[4:5], 0
.LBB206_1650:
	s_andn2_b64 vcc, exec, s[4:5]
	s_cbranch_vccnz .LBB206_1658
; %bb.1651:
	v_xor_b32_e32 v10, v0, v1
	v_ffbh_i32_e32 v9, v1
	v_ashrrev_i32_e32 v10, 31, v10
	v_add_u32_e32 v9, -1, v9
	v_add_u32_e32 v10, 32, v10
	v_min_u32_e32 v11, v9, v10
	v_lshlrev_b64 v[9:10], v11, v[0:1]
	s_mov_b32 s4, 0x43800000
	v_min_u32_e32 v9, 1, v9
	v_or_b32_e32 v9, v10, v9
	v_cvt_f32_i32_e32 v9, v9
	v_sub_u32_e32 v10, 32, v11
	v_mov_b32_e32 v11, 0x80
	v_ldexp_f32 v9, v9, v10
	v_and_b32_e32 v10, 0x7fffffff, v9
	v_cmp_gt_u32_e32 vcc, s4, v10
	s_and_saveexec_b64 s[4:5], vcc
	s_cbranch_execz .LBB206_1657
; %bb.1652:
	s_mov_b32 s10, 0x3bffffff
	v_cmp_lt_u32_e32 vcc, s10, v10
	s_mov_b64 s[10:11], 0
                                        ; implicit-def: $vgpr10
	s_and_saveexec_b64 s[12:13], vcc
	s_xor_b64 s[12:13], exec, s[12:13]
	s_cbranch_execz .LBB206_1992
; %bb.1653:
	v_bfe_u32 v10, v9, 20, 1
	s_mov_b32 s22, 0x487ffff
	v_add3_u32 v10, v9, v10, s22
	s_mov_b64 s[10:11], exec
	v_lshrrev_b32_e32 v10, 20, v10
	s_andn2_saveexec_b64 s[12:13], s[12:13]
	s_cbranch_execnz .LBB206_1993
.LBB206_1654:
	s_or_b64 exec, exec, s[12:13]
	v_mov_b32_e32 v11, 0
	s_and_saveexec_b64 s[12:13], s[10:11]
.LBB206_1655:
	v_lshrrev_b32_e32 v9, 24, v9
	s_movk_i32 s10, 0x80
	v_and_or_b32 v11, v9, s10, v10
.LBB206_1656:
	s_or_b64 exec, exec, s[12:13]
.LBB206_1657:
	s_or_b64 exec, exec, s[4:5]
	global_store_byte v[2:3], v11, off
.LBB206_1658:
	s_mov_b64 s[4:5], -1
.LBB206_1659:
	s_mov_b64 s[10:11], 0
.LBB206_1660:
	s_and_b64 vcc, exec, s[10:11]
	s_cbranch_vccz .LBB206_1700
; %bb.1661:
	s_cmp_gt_i32 s19, 22
	s_mov_b64 s[2:3], -1
	s_cbranch_scc0 .LBB206_1693
; %bb.1662:
	s_cmp_lt_i32 s19, 24
	s_cbranch_scc1 .LBB206_1682
; %bb.1663:
	s_cmp_gt_i32 s19, 24
	s_cbranch_scc0 .LBB206_1671
; %bb.1664:
	v_xor_b32_e32 v10, v0, v1
	v_ffbh_i32_e32 v9, v1
	v_ashrrev_i32_e32 v10, 31, v10
	v_add_u32_e32 v9, -1, v9
	v_add_u32_e32 v10, 32, v10
	v_min_u32_e32 v11, v9, v10
	v_lshlrev_b64 v[9:10], v11, v[0:1]
	s_mov_b32 s2, 0x47800000
	v_min_u32_e32 v9, 1, v9
	v_or_b32_e32 v9, v10, v9
	v_cvt_f32_i32_e32 v9, v9
	v_sub_u32_e32 v10, 32, v11
	v_mov_b32_e32 v11, 0x80
	v_ldexp_f32 v9, v9, v10
	v_and_b32_e32 v10, 0x7fffffff, v9
	v_cmp_gt_u32_e32 vcc, s2, v10
	s_and_saveexec_b64 s[2:3], vcc
	s_cbranch_execz .LBB206_1670
; %bb.1665:
	s_mov_b32 s4, 0x37ffffff
	v_cmp_lt_u32_e32 vcc, s4, v10
	s_mov_b64 s[4:5], 0
                                        ; implicit-def: $vgpr10
	s_and_saveexec_b64 s[10:11], vcc
	s_xor_b64 s[10:11], exec, s[10:11]
	s_cbranch_execz .LBB206_1995
; %bb.1666:
	v_bfe_u32 v10, v9, 21, 1
	s_mov_b32 s12, 0x88fffff
	v_add3_u32 v10, v9, v10, s12
	s_mov_b64 s[4:5], exec
	v_lshrrev_b32_e32 v10, 21, v10
	s_andn2_saveexec_b64 s[10:11], s[10:11]
	s_cbranch_execnz .LBB206_1996
.LBB206_1667:
	s_or_b64 exec, exec, s[10:11]
	v_mov_b32_e32 v11, 0
	s_and_saveexec_b64 s[10:11], s[4:5]
.LBB206_1668:
	v_lshrrev_b32_e32 v9, 24, v9
	s_movk_i32 s4, 0x80
	v_and_or_b32 v11, v9, s4, v10
.LBB206_1669:
	s_or_b64 exec, exec, s[10:11]
.LBB206_1670:
	s_or_b64 exec, exec, s[2:3]
	s_mov_b64 s[2:3], 0
	global_store_byte v[2:3], v11, off
.LBB206_1671:
	s_and_b64 vcc, exec, s[2:3]
	s_cbranch_vccz .LBB206_1681
; %bb.1672:
	v_xor_b32_e32 v10, v0, v1
	v_ffbh_i32_e32 v9, v1
	v_ashrrev_i32_e32 v10, 31, v10
	v_add_u32_e32 v9, -1, v9
	v_add_u32_e32 v10, 32, v10
	v_min_u32_e32 v11, v9, v10
	v_lshlrev_b64 v[9:10], v11, v[0:1]
	s_mov_b32 s2, 0x43f00000
	v_min_u32_e32 v9, 1, v9
	v_or_b32_e32 v9, v10, v9
	v_cvt_f32_i32_e32 v9, v9
	v_sub_u32_e32 v10, 32, v11
	v_ldexp_f32 v9, v9, v10
	v_and_b32_e32 v11, 0x7fffffff, v9
	v_cmp_gt_u32_e32 vcc, s2, v11
                                        ; implicit-def: $vgpr10
	s_and_saveexec_b64 s[2:3], vcc
	s_xor_b64 s[2:3], exec, s[2:3]
	s_cbranch_execz .LBB206_1678
; %bb.1673:
	s_mov_b32 s4, 0x3c7fffff
	v_cmp_lt_u32_e32 vcc, s4, v11
                                        ; implicit-def: $vgpr10
	s_and_saveexec_b64 s[4:5], vcc
	s_xor_b64 s[4:5], exec, s[4:5]
; %bb.1674:
	v_bfe_u32 v10, v9, 20, 1
	s_mov_b32 s10, 0x407ffff
	v_add3_u32 v10, v9, v10, s10
	v_lshrrev_b32_e32 v11, 20, v10
	v_and_b32_e32 v10, 0xff00000, v10
	s_mov_b32 s10, 0x7f00000
	v_mov_b32_e32 v12, 0x7e
	v_cmp_ne_u32_e32 vcc, s10, v10
	v_cndmask_b32_e32 v10, v12, v11, vcc
; %bb.1675:
	s_andn2_saveexec_b64 s[4:5], s[4:5]
; %bb.1676:
	s_mov_b32 s10, 0x46800000
	v_add_f32_e64 v10, |v9|, s10
; %bb.1677:
	s_or_b64 exec, exec, s[4:5]
                                        ; implicit-def: $vgpr11
.LBB206_1678:
	s_andn2_saveexec_b64 s[2:3], s[2:3]
; %bb.1679:
	s_mov_b32 s4, 0x7f800000
	v_mov_b32_e32 v10, 0x7e
	v_mov_b32_e32 v12, 0x7f
	v_cmp_lt_u32_e32 vcc, s4, v11
	v_cndmask_b32_e32 v10, v10, v12, vcc
; %bb.1680:
	s_or_b64 exec, exec, s[2:3]
	v_lshrrev_b32_e32 v9, 24, v9
	s_movk_i32 s2, 0x80
	v_and_or_b32 v9, v9, s2, v10
	global_store_byte v[2:3], v9, off
.LBB206_1681:
	s_mov_b64 s[2:3], 0
.LBB206_1682:
	s_andn2_b64 vcc, exec, s[2:3]
	s_cbranch_vccnz .LBB206_1692
; %bb.1683:
	v_xor_b32_e32 v10, v0, v1
	v_ffbh_i32_e32 v9, v1
	v_ashrrev_i32_e32 v10, 31, v10
	v_add_u32_e32 v9, -1, v9
	v_add_u32_e32 v10, 32, v10
	v_min_u32_e32 v11, v9, v10
	v_lshlrev_b64 v[9:10], v11, v[0:1]
	s_mov_b32 s2, 0x47800000
	v_min_u32_e32 v9, 1, v9
	v_or_b32_e32 v9, v10, v9
	v_cvt_f32_i32_e32 v9, v9
	v_sub_u32_e32 v10, 32, v11
	v_ldexp_f32 v9, v9, v10
	v_and_b32_e32 v11, 0x7fffffff, v9
	v_cmp_gt_u32_e32 vcc, s2, v11
                                        ; implicit-def: $vgpr10
	s_and_saveexec_b64 s[2:3], vcc
	s_xor_b64 s[2:3], exec, s[2:3]
	s_cbranch_execz .LBB206_1689
; %bb.1684:
	s_mov_b32 s4, 0x387fffff
	v_cmp_lt_u32_e32 vcc, s4, v11
                                        ; implicit-def: $vgpr10
	s_and_saveexec_b64 s[4:5], vcc
	s_xor_b64 s[4:5], exec, s[4:5]
; %bb.1685:
	v_bfe_u32 v10, v9, 21, 1
	s_mov_b32 s10, 0x80fffff
	v_add3_u32 v10, v9, v10, s10
	v_lshrrev_b32_e32 v10, 21, v10
; %bb.1686:
	s_andn2_saveexec_b64 s[4:5], s[4:5]
; %bb.1687:
	s_mov_b32 s10, 0x43000000
	v_add_f32_e64 v10, |v9|, s10
; %bb.1688:
	s_or_b64 exec, exec, s[4:5]
                                        ; implicit-def: $vgpr11
.LBB206_1689:
	s_andn2_saveexec_b64 s[2:3], s[2:3]
; %bb.1690:
	s_mov_b32 s4, 0x7f800000
	v_mov_b32_e32 v10, 0x7c
	v_mov_b32_e32 v12, 0x7f
	v_cmp_lt_u32_e32 vcc, s4, v11
	v_cndmask_b32_e32 v10, v10, v12, vcc
; %bb.1691:
	s_or_b64 exec, exec, s[2:3]
	v_lshrrev_b32_e32 v9, 24, v9
	s_movk_i32 s2, 0x80
	v_and_or_b32 v9, v9, s2, v10
	global_store_byte v[2:3], v9, off
.LBB206_1692:
	s_mov_b64 s[2:3], 0
	s_mov_b64 s[4:5], -1
.LBB206_1693:
	s_andn2_b64 vcc, exec, s[2:3]
	s_mov_b64 s[2:3], 0
	s_cbranch_vccnz .LBB206_1700
; %bb.1694:
	s_cmp_gt_i32 s19, 14
	s_mov_b64 s[10:11], -1
	s_cbranch_scc0 .LBB206_1698
; %bb.1695:
	s_cmp_eq_u32 s19, 15
	s_mov_b64 s[0:1], -1
	s_cbranch_scc0 .LBB206_1697
; %bb.1696:
	v_xor_b32_e32 v10, v0, v1
	v_ffbh_i32_e32 v9, v1
	v_ashrrev_i32_e32 v10, 31, v10
	v_add_u32_e32 v9, -1, v9
	v_add_u32_e32 v10, 32, v10
	v_min_u32_e32 v11, v9, v10
	v_lshlrev_b64 v[9:10], v11, v[0:1]
	s_movk_i32 s0, 0x7fff
	v_min_u32_e32 v9, 1, v9
	v_or_b32_e32 v9, v10, v9
	v_cvt_f32_i32_e32 v9, v9
	v_sub_u32_e32 v10, 32, v11
	s_mov_b64 s[4:5], -1
	v_ldexp_f32 v9, v9, v10
	v_bfe_u32 v10, v9, 16, 1
	v_add3_u32 v9, v9, v10, s0
	global_store_short_d16_hi v[2:3], v9, off
	s_mov_b64 s[0:1], 0
.LBB206_1697:
	s_mov_b64 s[10:11], 0
.LBB206_1698:
	s_and_b64 vcc, exec, s[10:11]
	s_cbranch_vccz .LBB206_1700
; %bb.1699:
	s_cmp_lg_u32 s19, 11
	s_mov_b64 s[2:3], -1
	s_cselect_b64 s[0:1], -1, 0
.LBB206_1700:
	s_and_b64 vcc, exec, s[0:1]
	s_cbranch_vccnz .LBB206_1994
; %bb.1701:
	s_andn2_b64 vcc, exec, s[2:3]
	s_cbranch_vccnz .LBB206_1703
.LBB206_1702:
	v_cmp_ne_u64_e32 vcc, 0, v[0:1]
	s_mov_b64 s[4:5], -1
	v_cndmask_b32_e64 v9, 0, 1, vcc
	global_store_byte v[2:3], v9, off
.LBB206_1703:
	s_mov_b64 s[0:1], 0
	s_branch .LBB206_1705
.LBB206_1704:
	s_mov_b64 s[0:1], -1
	s_mov_b64 s[4:5], 0
.LBB206_1705:
	s_and_b64 vcc, exec, s[0:1]
	s_cbranch_vccz .LBB206_1744
; %bb.1706:
	s_and_b32 s2, 0xffff, s20
	s_cmp_lt_i32 s2, 5
	s_mov_b64 s[0:1], -1
	s_cbranch_scc1 .LBB206_1727
; %bb.1707:
	s_cmp_lt_i32 s2, 8
	s_cbranch_scc1 .LBB206_1717
; %bb.1708:
	s_cmp_lt_i32 s2, 9
	s_cbranch_scc1 .LBB206_1714
; %bb.1709:
	s_cmp_gt_i32 s2, 9
	s_cbranch_scc0 .LBB206_1711
; %bb.1710:
	v_cvt_f64_i32_e32 v[9:10], v1
	v_cvt_f64_u32_e32 v[11:12], v0
	s_mov_b64 s[0:1], 0
	v_ldexp_f64 v[9:10], v[9:10], 32
	v_add_f64 v[9:10], v[9:10], v[11:12]
	v_mov_b32_e32 v11, 0
	v_mov_b32_e32 v12, v11
	global_store_dwordx4 v[2:3], v[9:12], off
.LBB206_1711:
	s_andn2_b64 vcc, exec, s[0:1]
	s_cbranch_vccnz .LBB206_1713
; %bb.1712:
	v_xor_b32_e32 v10, v0, v1
	v_ffbh_i32_e32 v9, v1
	v_ashrrev_i32_e32 v10, 31, v10
	v_add_u32_e32 v9, -1, v9
	v_add_u32_e32 v10, 32, v10
	v_min_u32_e32 v11, v9, v10
	v_lshlrev_b64 v[9:10], v11, v[0:1]
	v_min_u32_e32 v9, 1, v9
	v_or_b32_e32 v9, v10, v9
	v_cvt_f32_i32_e32 v9, v9
	v_sub_u32_e32 v10, 32, v11
	v_ldexp_f32 v9, v9, v10
	v_mov_b32_e32 v10, 0
	global_store_dwordx2 v[2:3], v[9:10], off
.LBB206_1713:
	s_mov_b64 s[0:1], 0
.LBB206_1714:
	s_andn2_b64 vcc, exec, s[0:1]
	s_cbranch_vccnz .LBB206_1716
; %bb.1715:
	v_xor_b32_e32 v10, v0, v1
	v_ffbh_i32_e32 v9, v1
	v_ashrrev_i32_e32 v10, 31, v10
	v_add_u32_e32 v9, -1, v9
	v_add_u32_e32 v10, 32, v10
	v_min_u32_e32 v11, v9, v10
	v_lshlrev_b64 v[9:10], v11, v[0:1]
	v_min_u32_e32 v9, 1, v9
	v_or_b32_e32 v9, v10, v9
	v_cvt_f32_i32_e32 v9, v9
	v_sub_u32_e32 v10, 32, v11
	v_ldexp_f32 v9, v9, v10
	v_cvt_f16_f32_e32 v9, v9
	global_store_dword v[2:3], v9, off
.LBB206_1716:
	s_mov_b64 s[0:1], 0
.LBB206_1717:
	s_andn2_b64 vcc, exec, s[0:1]
	s_cbranch_vccnz .LBB206_1726
; %bb.1718:
	s_cmp_lt_i32 s2, 6
	s_mov_b64 s[0:1], -1
	s_cbranch_scc1 .LBB206_1724
; %bb.1719:
	s_cmp_gt_i32 s2, 6
	s_cbranch_scc0 .LBB206_1721
; %bb.1720:
	v_cvt_f64_i32_e32 v[9:10], v1
	v_cvt_f64_u32_e32 v[11:12], v0
	s_mov_b64 s[0:1], 0
	v_ldexp_f64 v[9:10], v[9:10], 32
	v_add_f64 v[9:10], v[9:10], v[11:12]
	global_store_dwordx2 v[2:3], v[9:10], off
.LBB206_1721:
	s_andn2_b64 vcc, exec, s[0:1]
	s_cbranch_vccnz .LBB206_1723
; %bb.1722:
	v_xor_b32_e32 v10, v0, v1
	v_ffbh_i32_e32 v9, v1
	v_ashrrev_i32_e32 v10, 31, v10
	v_add_u32_e32 v9, -1, v9
	v_add_u32_e32 v10, 32, v10
	v_min_u32_e32 v11, v9, v10
	v_lshlrev_b64 v[9:10], v11, v[0:1]
	v_min_u32_e32 v9, 1, v9
	v_or_b32_e32 v9, v10, v9
	v_cvt_f32_i32_e32 v9, v9
	v_sub_u32_e32 v10, 32, v11
	v_ldexp_f32 v9, v9, v10
	global_store_dword v[2:3], v9, off
.LBB206_1723:
	s_mov_b64 s[0:1], 0
.LBB206_1724:
	s_andn2_b64 vcc, exec, s[0:1]
	s_cbranch_vccnz .LBB206_1726
; %bb.1725:
	v_xor_b32_e32 v10, v0, v1
	v_ffbh_i32_e32 v9, v1
	v_ashrrev_i32_e32 v10, 31, v10
	v_add_u32_e32 v9, -1, v9
	v_add_u32_e32 v10, 32, v10
	v_min_u32_e32 v11, v9, v10
	v_lshlrev_b64 v[9:10], v11, v[0:1]
	v_min_u32_e32 v9, 1, v9
	v_or_b32_e32 v9, v10, v9
	v_cvt_f32_i32_e32 v9, v9
	v_sub_u32_e32 v10, 32, v11
	v_ldexp_f32 v9, v9, v10
	v_cvt_f16_f32_e32 v9, v9
	global_store_short v[2:3], v9, off
.LBB206_1726:
	s_mov_b64 s[0:1], 0
.LBB206_1727:
	s_andn2_b64 vcc, exec, s[0:1]
	s_cbranch_vccnz .LBB206_1743
; %bb.1728:
	s_cmp_lt_i32 s2, 2
	s_mov_b64 s[0:1], -1
	s_cbranch_scc1 .LBB206_1738
; %bb.1729:
	s_cmp_lt_i32 s2, 3
	s_cbranch_scc1 .LBB206_1735
; %bb.1730:
	s_cmp_gt_i32 s2, 3
	s_cbranch_scc0 .LBB206_1732
; %bb.1731:
	global_store_dwordx2 v[2:3], v[0:1], off
	s_mov_b64 s[0:1], 0
.LBB206_1732:
	s_andn2_b64 vcc, exec, s[0:1]
	s_cbranch_vccnz .LBB206_1734
; %bb.1733:
	global_store_dword v[2:3], v0, off
.LBB206_1734:
	s_mov_b64 s[0:1], 0
.LBB206_1735:
	s_andn2_b64 vcc, exec, s[0:1]
	s_cbranch_vccnz .LBB206_1737
; %bb.1736:
	global_store_short v[2:3], v0, off
.LBB206_1737:
	s_mov_b64 s[0:1], 0
.LBB206_1738:
	s_andn2_b64 vcc, exec, s[0:1]
	s_cbranch_vccnz .LBB206_1743
; %bb.1739:
	s_cmp_gt_i32 s2, 0
	s_mov_b64 s[0:1], -1
	s_cbranch_scc0 .LBB206_1741
; %bb.1740:
	global_store_byte v[2:3], v0, off
	s_mov_b64 s[0:1], 0
.LBB206_1741:
	s_andn2_b64 vcc, exec, s[0:1]
	s_cbranch_vccnz .LBB206_1743
; %bb.1742:
	global_store_byte v[2:3], v0, off
.LBB206_1743:
	s_mov_b64 s[4:5], -1
.LBB206_1744:
	s_andn2_b64 vcc, exec, s[4:5]
	s_cbranch_vccnz .LBB206_1940
; %bb.1745:
	v_ashrrev_i64 v[0:1], s21, v[4:5]
	v_add_u32_e32 v4, s18, v8
	v_ashrrev_i32_e32 v3, 31, v4
	v_mov_b32_e32 v5, s9
	v_add_co_u32_e32 v2, vcc, s8, v4
	s_cmp_lt_i32 s20, 11
	v_addc_co_u32_e32 v3, vcc, v5, v3, vcc
	s_cbranch_scc1 .LBB206_1823
; %bb.1746:
	s_and_b32 s19, 0xffff, s20
	s_mov_b64 s[10:11], -1
	s_mov_b64 s[2:3], 0
	s_cmp_gt_i32 s19, 25
	s_mov_b64 s[4:5], 0
	s_mov_b64 s[0:1], 0
	s_cbranch_scc0 .LBB206_1779
; %bb.1747:
	s_cmp_gt_i32 s19, 28
	s_cbranch_scc0 .LBB206_1762
; %bb.1748:
	s_cmp_gt_i32 s19, 43
	;; [unrolled: 3-line block ×3, first 2 shown]
	s_cbranch_scc0 .LBB206_1752
; %bb.1750:
	s_mov_b64 s[0:1], -1
	s_mov_b64 s[10:11], 0
	s_cmp_eq_u32 s19, 46
	s_cbranch_scc0 .LBB206_1752
; %bb.1751:
	v_xor_b32_e32 v8, v0, v1
	v_ffbh_i32_e32 v5, v1
	v_ashrrev_i32_e32 v8, 31, v8
	v_add_u32_e32 v5, -1, v5
	v_add_u32_e32 v8, 32, v8
	v_min_u32_e32 v5, v5, v8
	v_lshlrev_b64 v[8:9], v5, v[0:1]
	v_sub_u32_e32 v5, 32, v5
	v_min_u32_e32 v8, 1, v8
	v_or_b32_e32 v8, v9, v8
	v_cvt_f32_i32_e32 v8, v8
	s_movk_i32 s0, 0x7fff
	s_mov_b64 s[4:5], -1
	v_ldexp_f32 v5, v8, v5
	v_bfe_u32 v8, v5, 16, 1
	v_add3_u32 v5, v5, v8, s0
	v_lshrrev_b32_e32 v5, 16, v5
	global_store_dword v[2:3], v5, off
	s_mov_b64 s[0:1], 0
.LBB206_1752:
	s_and_b64 vcc, exec, s[10:11]
	s_cbranch_vccz .LBB206_1757
; %bb.1753:
	s_cmp_eq_u32 s19, 44
	s_mov_b64 s[0:1], -1
	s_cbranch_scc0 .LBB206_1757
; %bb.1754:
	v_xor_b32_e32 v8, v0, v1
	v_ffbh_i32_e32 v5, v1
	v_ashrrev_i32_e32 v8, 31, v8
	v_add_u32_e32 v5, -1, v5
	v_add_u32_e32 v8, 32, v8
	v_min_u32_e32 v5, v5, v8
	v_lshlrev_b64 v[8:9], v5, v[0:1]
	v_sub_u32_e32 v5, 32, v5
	v_min_u32_e32 v8, 1, v8
	v_or_b32_e32 v8, v9, v8
	v_cvt_f32_i32_e32 v8, v8
	s_movk_i32 s0, 0xff
	v_mov_b32_e32 v9, 0xff
	v_ldexp_f32 v5, v8, v5
	v_bfe_u32 v8, v5, 23, 8
	v_cmp_ne_u32_e32 vcc, s0, v8
	s_and_saveexec_b64 s[4:5], vcc
; %bb.1755:
	s_mov_b32 s0, 0x3fffff
	v_lshrrev_b32_e32 v9, 23, v5
	v_and_b32_e32 v10, 0x400000, v5
	v_and_or_b32 v5, v5, s0, v8
	v_cmp_ne_u32_e32 vcc, 0, v10
	v_cmp_ne_u32_e64 s[0:1], 0, v5
	s_and_b64 s[0:1], vcc, s[0:1]
	v_cndmask_b32_e64 v5, 0, 1, s[0:1]
	v_add_u32_e32 v9, v9, v5
; %bb.1756:
	s_or_b64 exec, exec, s[4:5]
	s_mov_b64 s[0:1], 0
	s_mov_b64 s[4:5], -1
	global_store_byte v[2:3], v9, off
.LBB206_1757:
	s_mov_b64 s[10:11], 0
.LBB206_1758:
	s_and_b64 vcc, exec, s[10:11]
	s_cbranch_vccz .LBB206_1761
; %bb.1759:
	s_cmp_eq_u32 s19, 29
	s_mov_b64 s[0:1], -1
	s_cbranch_scc0 .LBB206_1761
; %bb.1760:
	global_store_dwordx2 v[2:3], v[0:1], off
	s_mov_b64 s[0:1], 0
	s_mov_b64 s[4:5], -1
.LBB206_1761:
	s_mov_b64 s[10:11], 0
.LBB206_1762:
	s_and_b64 vcc, exec, s[10:11]
	s_cbranch_vccz .LBB206_1778
; %bb.1763:
	s_cmp_lt_i32 s19, 27
	s_mov_b64 s[4:5], -1
	s_cbranch_scc1 .LBB206_1769
; %bb.1764:
	s_cmp_gt_i32 s19, 27
	s_cbranch_scc0 .LBB206_1766
; %bb.1765:
	s_mov_b64 s[4:5], 0
	global_store_dword v[2:3], v0, off
.LBB206_1766:
	s_andn2_b64 vcc, exec, s[4:5]
	s_cbranch_vccnz .LBB206_1768
; %bb.1767:
	global_store_short v[2:3], v0, off
.LBB206_1768:
	s_mov_b64 s[4:5], 0
.LBB206_1769:
	s_andn2_b64 vcc, exec, s[4:5]
	s_cbranch_vccnz .LBB206_1777
; %bb.1770:
	v_xor_b32_e32 v8, v0, v1
	v_ffbh_i32_e32 v5, v1
	v_ashrrev_i32_e32 v8, 31, v8
	v_add_u32_e32 v5, -1, v5
	v_add_u32_e32 v8, 32, v8
	v_min_u32_e32 v5, v5, v8
	v_lshlrev_b64 v[8:9], v5, v[0:1]
	v_sub_u32_e32 v5, 32, v5
	v_min_u32_e32 v8, 1, v8
	v_or_b32_e32 v8, v9, v8
	v_cvt_f32_i32_e32 v8, v8
	s_mov_b32 s4, 0x43800000
	v_mov_b32_e32 v9, 0x80
	v_ldexp_f32 v5, v8, v5
	v_and_b32_e32 v8, 0x7fffffff, v5
	v_cmp_gt_u32_e32 vcc, s4, v8
	s_and_saveexec_b64 s[4:5], vcc
	s_cbranch_execz .LBB206_1776
; %bb.1771:
	s_mov_b32 s10, 0x3bffffff
	v_cmp_lt_u32_e32 vcc, s10, v8
	s_mov_b64 s[10:11], 0
                                        ; implicit-def: $vgpr8
	s_and_saveexec_b64 s[12:13], vcc
	s_xor_b64 s[12:13], exec, s[12:13]
	s_cbranch_execz .LBB206_1997
; %bb.1772:
	v_bfe_u32 v8, v5, 20, 1
	s_mov_b32 s22, 0x487ffff
	v_add3_u32 v8, v5, v8, s22
	s_mov_b64 s[10:11], exec
	v_lshrrev_b32_e32 v8, 20, v8
	s_andn2_saveexec_b64 s[12:13], s[12:13]
	s_cbranch_execnz .LBB206_1998
.LBB206_1773:
	s_or_b64 exec, exec, s[12:13]
	v_mov_b32_e32 v9, 0
	s_and_saveexec_b64 s[12:13], s[10:11]
.LBB206_1774:
	v_lshrrev_b32_e32 v5, 24, v5
	s_movk_i32 s10, 0x80
	v_and_or_b32 v9, v5, s10, v8
.LBB206_1775:
	s_or_b64 exec, exec, s[12:13]
.LBB206_1776:
	s_or_b64 exec, exec, s[4:5]
	global_store_byte v[2:3], v9, off
.LBB206_1777:
	s_mov_b64 s[4:5], -1
.LBB206_1778:
	s_mov_b64 s[10:11], 0
.LBB206_1779:
	s_and_b64 vcc, exec, s[10:11]
	s_cbranch_vccz .LBB206_1819
; %bb.1780:
	s_cmp_gt_i32 s19, 22
	s_mov_b64 s[2:3], -1
	s_cbranch_scc0 .LBB206_1812
; %bb.1781:
	s_cmp_lt_i32 s19, 24
	s_cbranch_scc1 .LBB206_1801
; %bb.1782:
	s_cmp_gt_i32 s19, 24
	s_cbranch_scc0 .LBB206_1790
; %bb.1783:
	v_xor_b32_e32 v8, v0, v1
	v_ffbh_i32_e32 v5, v1
	v_ashrrev_i32_e32 v8, 31, v8
	v_add_u32_e32 v5, -1, v5
	v_add_u32_e32 v8, 32, v8
	v_min_u32_e32 v5, v5, v8
	v_lshlrev_b64 v[8:9], v5, v[0:1]
	v_sub_u32_e32 v5, 32, v5
	v_min_u32_e32 v8, 1, v8
	v_or_b32_e32 v8, v9, v8
	v_cvt_f32_i32_e32 v8, v8
	s_mov_b32 s2, 0x47800000
	v_mov_b32_e32 v9, 0x80
	v_ldexp_f32 v5, v8, v5
	v_and_b32_e32 v8, 0x7fffffff, v5
	v_cmp_gt_u32_e32 vcc, s2, v8
	s_and_saveexec_b64 s[2:3], vcc
	s_cbranch_execz .LBB206_1789
; %bb.1784:
	s_mov_b32 s4, 0x37ffffff
	v_cmp_lt_u32_e32 vcc, s4, v8
	s_mov_b64 s[4:5], 0
                                        ; implicit-def: $vgpr8
	s_and_saveexec_b64 s[10:11], vcc
	s_xor_b64 s[10:11], exec, s[10:11]
	s_cbranch_execz .LBB206_2000
; %bb.1785:
	v_bfe_u32 v8, v5, 21, 1
	s_mov_b32 s12, 0x88fffff
	v_add3_u32 v8, v5, v8, s12
	s_mov_b64 s[4:5], exec
	v_lshrrev_b32_e32 v8, 21, v8
	s_andn2_saveexec_b64 s[10:11], s[10:11]
	s_cbranch_execnz .LBB206_2001
.LBB206_1786:
	s_or_b64 exec, exec, s[10:11]
	v_mov_b32_e32 v9, 0
	s_and_saveexec_b64 s[10:11], s[4:5]
.LBB206_1787:
	v_lshrrev_b32_e32 v5, 24, v5
	s_movk_i32 s4, 0x80
	v_and_or_b32 v9, v5, s4, v8
.LBB206_1788:
	s_or_b64 exec, exec, s[10:11]
.LBB206_1789:
	s_or_b64 exec, exec, s[2:3]
	s_mov_b64 s[2:3], 0
	global_store_byte v[2:3], v9, off
.LBB206_1790:
	s_and_b64 vcc, exec, s[2:3]
	s_cbranch_vccz .LBB206_1800
; %bb.1791:
	v_xor_b32_e32 v8, v0, v1
	v_ffbh_i32_e32 v5, v1
	v_ashrrev_i32_e32 v8, 31, v8
	v_add_u32_e32 v5, -1, v5
	v_add_u32_e32 v8, 32, v8
	v_min_u32_e32 v5, v5, v8
	v_lshlrev_b64 v[8:9], v5, v[0:1]
	v_sub_u32_e32 v5, 32, v5
	v_min_u32_e32 v8, 1, v8
	v_or_b32_e32 v8, v9, v8
	v_cvt_f32_i32_e32 v8, v8
	s_mov_b32 s2, 0x43f00000
	v_ldexp_f32 v5, v8, v5
	v_and_b32_e32 v9, 0x7fffffff, v5
	v_cmp_gt_u32_e32 vcc, s2, v9
                                        ; implicit-def: $vgpr8
	s_and_saveexec_b64 s[2:3], vcc
	s_xor_b64 s[2:3], exec, s[2:3]
	s_cbranch_execz .LBB206_1797
; %bb.1792:
	s_mov_b32 s4, 0x3c7fffff
	v_cmp_lt_u32_e32 vcc, s4, v9
                                        ; implicit-def: $vgpr8
	s_and_saveexec_b64 s[4:5], vcc
	s_xor_b64 s[4:5], exec, s[4:5]
; %bb.1793:
	v_bfe_u32 v8, v5, 20, 1
	s_mov_b32 s10, 0x407ffff
	v_add3_u32 v8, v5, v8, s10
	v_lshrrev_b32_e32 v9, 20, v8
	v_and_b32_e32 v8, 0xff00000, v8
	s_mov_b32 s10, 0x7f00000
	v_mov_b32_e32 v10, 0x7e
	v_cmp_ne_u32_e32 vcc, s10, v8
	v_cndmask_b32_e32 v8, v10, v9, vcc
; %bb.1794:
	s_andn2_saveexec_b64 s[4:5], s[4:5]
; %bb.1795:
	s_mov_b32 s10, 0x46800000
	v_add_f32_e64 v8, |v5|, s10
; %bb.1796:
	s_or_b64 exec, exec, s[4:5]
                                        ; implicit-def: $vgpr9
.LBB206_1797:
	s_andn2_saveexec_b64 s[2:3], s[2:3]
; %bb.1798:
	s_mov_b32 s4, 0x7f800000
	v_mov_b32_e32 v8, 0x7e
	v_mov_b32_e32 v10, 0x7f
	v_cmp_lt_u32_e32 vcc, s4, v9
	v_cndmask_b32_e32 v8, v8, v10, vcc
; %bb.1799:
	s_or_b64 exec, exec, s[2:3]
	v_lshrrev_b32_e32 v5, 24, v5
	s_movk_i32 s2, 0x80
	v_and_or_b32 v5, v5, s2, v8
	global_store_byte v[2:3], v5, off
.LBB206_1800:
	s_mov_b64 s[2:3], 0
.LBB206_1801:
	s_andn2_b64 vcc, exec, s[2:3]
	s_cbranch_vccnz .LBB206_1811
; %bb.1802:
	v_xor_b32_e32 v8, v0, v1
	v_ffbh_i32_e32 v5, v1
	v_ashrrev_i32_e32 v8, 31, v8
	v_add_u32_e32 v5, -1, v5
	v_add_u32_e32 v8, 32, v8
	v_min_u32_e32 v5, v5, v8
	v_lshlrev_b64 v[8:9], v5, v[0:1]
	v_sub_u32_e32 v5, 32, v5
	v_min_u32_e32 v8, 1, v8
	v_or_b32_e32 v8, v9, v8
	v_cvt_f32_i32_e32 v8, v8
	s_mov_b32 s2, 0x47800000
	v_ldexp_f32 v5, v8, v5
	v_and_b32_e32 v9, 0x7fffffff, v5
	v_cmp_gt_u32_e32 vcc, s2, v9
                                        ; implicit-def: $vgpr8
	s_and_saveexec_b64 s[2:3], vcc
	s_xor_b64 s[2:3], exec, s[2:3]
	s_cbranch_execz .LBB206_1808
; %bb.1803:
	s_mov_b32 s4, 0x387fffff
	v_cmp_lt_u32_e32 vcc, s4, v9
                                        ; implicit-def: $vgpr8
	s_and_saveexec_b64 s[4:5], vcc
	s_xor_b64 s[4:5], exec, s[4:5]
; %bb.1804:
	v_bfe_u32 v8, v5, 21, 1
	s_mov_b32 s10, 0x80fffff
	v_add3_u32 v8, v5, v8, s10
	v_lshrrev_b32_e32 v8, 21, v8
; %bb.1805:
	s_andn2_saveexec_b64 s[4:5], s[4:5]
; %bb.1806:
	s_mov_b32 s10, 0x43000000
	v_add_f32_e64 v8, |v5|, s10
; %bb.1807:
	s_or_b64 exec, exec, s[4:5]
                                        ; implicit-def: $vgpr9
.LBB206_1808:
	s_andn2_saveexec_b64 s[2:3], s[2:3]
; %bb.1809:
	s_mov_b32 s4, 0x7f800000
	v_mov_b32_e32 v8, 0x7c
	v_mov_b32_e32 v10, 0x7f
	v_cmp_lt_u32_e32 vcc, s4, v9
	v_cndmask_b32_e32 v8, v8, v10, vcc
; %bb.1810:
	s_or_b64 exec, exec, s[2:3]
	v_lshrrev_b32_e32 v5, 24, v5
	s_movk_i32 s2, 0x80
	v_and_or_b32 v5, v5, s2, v8
	global_store_byte v[2:3], v5, off
.LBB206_1811:
	s_mov_b64 s[2:3], 0
	s_mov_b64 s[4:5], -1
.LBB206_1812:
	s_andn2_b64 vcc, exec, s[2:3]
	s_mov_b64 s[2:3], 0
	s_cbranch_vccnz .LBB206_1819
; %bb.1813:
	s_cmp_gt_i32 s19, 14
	s_mov_b64 s[10:11], -1
	s_cbranch_scc0 .LBB206_1817
; %bb.1814:
	s_cmp_eq_u32 s19, 15
	s_mov_b64 s[0:1], -1
	s_cbranch_scc0 .LBB206_1816
; %bb.1815:
	v_xor_b32_e32 v8, v0, v1
	v_ffbh_i32_e32 v5, v1
	v_ashrrev_i32_e32 v8, 31, v8
	v_add_u32_e32 v5, -1, v5
	v_add_u32_e32 v8, 32, v8
	v_min_u32_e32 v5, v5, v8
	v_lshlrev_b64 v[8:9], v5, v[0:1]
	v_sub_u32_e32 v5, 32, v5
	v_min_u32_e32 v8, 1, v8
	v_or_b32_e32 v8, v9, v8
	v_cvt_f32_i32_e32 v8, v8
	s_movk_i32 s0, 0x7fff
	s_mov_b64 s[4:5], -1
	v_ldexp_f32 v5, v8, v5
	v_bfe_u32 v8, v5, 16, 1
	v_add3_u32 v5, v5, v8, s0
	global_store_short_d16_hi v[2:3], v5, off
	s_mov_b64 s[0:1], 0
.LBB206_1816:
	s_mov_b64 s[10:11], 0
.LBB206_1817:
	s_and_b64 vcc, exec, s[10:11]
	s_cbranch_vccz .LBB206_1819
; %bb.1818:
	s_cmp_lg_u32 s19, 11
	s_mov_b64 s[2:3], -1
	s_cselect_b64 s[0:1], -1, 0
.LBB206_1819:
	s_and_b64 vcc, exec, s[0:1]
	s_cbranch_vccnz .LBB206_1999
; %bb.1820:
	s_andn2_b64 vcc, exec, s[2:3]
	s_cbranch_vccnz .LBB206_1822
.LBB206_1821:
	v_cmp_ne_u64_e32 vcc, 0, v[0:1]
	s_mov_b64 s[4:5], -1
	v_cndmask_b32_e64 v5, 0, 1, vcc
	global_store_byte v[2:3], v5, off
.LBB206_1822:
	s_mov_b64 s[0:1], 0
	s_branch .LBB206_1824
.LBB206_1823:
	s_mov_b64 s[0:1], -1
	s_mov_b64 s[4:5], 0
.LBB206_1824:
	s_and_b64 vcc, exec, s[0:1]
	s_cbranch_vccz .LBB206_1863
; %bb.1825:
	s_and_b32 s2, 0xffff, s20
	s_cmp_lt_i32 s2, 5
	s_mov_b64 s[0:1], -1
	s_cbranch_scc1 .LBB206_1846
; %bb.1826:
	s_cmp_lt_i32 s2, 8
	s_cbranch_scc1 .LBB206_1836
; %bb.1827:
	s_cmp_lt_i32 s2, 9
	s_cbranch_scc1 .LBB206_1833
; %bb.1828:
	s_cmp_gt_i32 s2, 9
	s_cbranch_scc0 .LBB206_1830
; %bb.1829:
	v_cvt_f64_i32_e32 v[8:9], v1
	v_cvt_f64_u32_e32 v[10:11], v0
	s_mov_b64 s[0:1], 0
	v_ldexp_f64 v[8:9], v[8:9], 32
	v_add_f64 v[8:9], v[8:9], v[10:11]
	v_mov_b32_e32 v10, 0
	v_mov_b32_e32 v11, v10
	global_store_dwordx4 v[2:3], v[8:11], off
.LBB206_1830:
	s_andn2_b64 vcc, exec, s[0:1]
	s_cbranch_vccnz .LBB206_1832
; %bb.1831:
	v_xor_b32_e32 v8, v0, v1
	v_ffbh_i32_e32 v5, v1
	v_ashrrev_i32_e32 v8, 31, v8
	v_add_u32_e32 v5, -1, v5
	v_add_u32_e32 v8, 32, v8
	v_min_u32_e32 v5, v5, v8
	v_lshlrev_b64 v[8:9], v5, v[0:1]
	v_sub_u32_e32 v5, 32, v5
	v_min_u32_e32 v8, 1, v8
	v_or_b32_e32 v8, v9, v8
	v_cvt_f32_i32_e32 v8, v8
	v_mov_b32_e32 v9, 0
	v_ldexp_f32 v8, v8, v5
	global_store_dwordx2 v[2:3], v[8:9], off
.LBB206_1832:
	s_mov_b64 s[0:1], 0
.LBB206_1833:
	s_andn2_b64 vcc, exec, s[0:1]
	s_cbranch_vccnz .LBB206_1835
; %bb.1834:
	v_xor_b32_e32 v8, v0, v1
	v_ffbh_i32_e32 v5, v1
	v_ashrrev_i32_e32 v8, 31, v8
	v_add_u32_e32 v5, -1, v5
	v_add_u32_e32 v8, 32, v8
	v_min_u32_e32 v5, v5, v8
	v_lshlrev_b64 v[8:9], v5, v[0:1]
	v_sub_u32_e32 v5, 32, v5
	v_min_u32_e32 v8, 1, v8
	v_or_b32_e32 v8, v9, v8
	v_cvt_f32_i32_e32 v8, v8
	v_ldexp_f32 v5, v8, v5
	v_cvt_f16_f32_e32 v5, v5
	global_store_dword v[2:3], v5, off
.LBB206_1835:
	s_mov_b64 s[0:1], 0
.LBB206_1836:
	s_andn2_b64 vcc, exec, s[0:1]
	s_cbranch_vccnz .LBB206_1845
; %bb.1837:
	s_cmp_lt_i32 s2, 6
	s_mov_b64 s[0:1], -1
	s_cbranch_scc1 .LBB206_1843
; %bb.1838:
	s_cmp_gt_i32 s2, 6
	s_cbranch_scc0 .LBB206_1840
; %bb.1839:
	v_cvt_f64_i32_e32 v[8:9], v1
	v_cvt_f64_u32_e32 v[10:11], v0
	s_mov_b64 s[0:1], 0
	v_ldexp_f64 v[8:9], v[8:9], 32
	v_add_f64 v[8:9], v[8:9], v[10:11]
	global_store_dwordx2 v[2:3], v[8:9], off
.LBB206_1840:
	s_andn2_b64 vcc, exec, s[0:1]
	s_cbranch_vccnz .LBB206_1842
; %bb.1841:
	v_xor_b32_e32 v8, v0, v1
	v_ffbh_i32_e32 v5, v1
	v_ashrrev_i32_e32 v8, 31, v8
	v_add_u32_e32 v5, -1, v5
	v_add_u32_e32 v8, 32, v8
	v_min_u32_e32 v5, v5, v8
	v_lshlrev_b64 v[8:9], v5, v[0:1]
	v_sub_u32_e32 v5, 32, v5
	v_min_u32_e32 v8, 1, v8
	v_or_b32_e32 v8, v9, v8
	v_cvt_f32_i32_e32 v8, v8
	v_ldexp_f32 v5, v8, v5
	global_store_dword v[2:3], v5, off
.LBB206_1842:
	s_mov_b64 s[0:1], 0
.LBB206_1843:
	s_andn2_b64 vcc, exec, s[0:1]
	s_cbranch_vccnz .LBB206_1845
; %bb.1844:
	v_xor_b32_e32 v8, v0, v1
	v_ffbh_i32_e32 v5, v1
	v_ashrrev_i32_e32 v8, 31, v8
	v_add_u32_e32 v5, -1, v5
	v_add_u32_e32 v8, 32, v8
	v_min_u32_e32 v5, v5, v8
	v_lshlrev_b64 v[8:9], v5, v[0:1]
	v_sub_u32_e32 v5, 32, v5
	v_min_u32_e32 v8, 1, v8
	v_or_b32_e32 v8, v9, v8
	v_cvt_f32_i32_e32 v8, v8
	v_ldexp_f32 v5, v8, v5
	v_cvt_f16_f32_e32 v5, v5
	global_store_short v[2:3], v5, off
.LBB206_1845:
	s_mov_b64 s[0:1], 0
.LBB206_1846:
	s_andn2_b64 vcc, exec, s[0:1]
	s_cbranch_vccnz .LBB206_1862
; %bb.1847:
	s_cmp_lt_i32 s2, 2
	s_mov_b64 s[0:1], -1
	s_cbranch_scc1 .LBB206_1857
; %bb.1848:
	s_cmp_lt_i32 s2, 3
	s_cbranch_scc1 .LBB206_1854
; %bb.1849:
	s_cmp_gt_i32 s2, 3
	s_cbranch_scc0 .LBB206_1851
; %bb.1850:
	global_store_dwordx2 v[2:3], v[0:1], off
	s_mov_b64 s[0:1], 0
.LBB206_1851:
	s_andn2_b64 vcc, exec, s[0:1]
	s_cbranch_vccnz .LBB206_1853
; %bb.1852:
	global_store_dword v[2:3], v0, off
.LBB206_1853:
	s_mov_b64 s[0:1], 0
.LBB206_1854:
	s_andn2_b64 vcc, exec, s[0:1]
	s_cbranch_vccnz .LBB206_1856
; %bb.1855:
	global_store_short v[2:3], v0, off
.LBB206_1856:
	s_mov_b64 s[0:1], 0
.LBB206_1857:
	s_andn2_b64 vcc, exec, s[0:1]
	s_cbranch_vccnz .LBB206_1862
; %bb.1858:
	s_cmp_gt_i32 s2, 0
	s_mov_b64 s[0:1], -1
	s_cbranch_scc0 .LBB206_1860
; %bb.1859:
	global_store_byte v[2:3], v0, off
	s_mov_b64 s[0:1], 0
.LBB206_1860:
	s_andn2_b64 vcc, exec, s[0:1]
	s_cbranch_vccnz .LBB206_1862
; %bb.1861:
	global_store_byte v[2:3], v0, off
.LBB206_1862:
	s_mov_b64 s[4:5], -1
.LBB206_1863:
	s_andn2_b64 vcc, exec, s[4:5]
	s_cbranch_vccnz .LBB206_1940
; %bb.1864:
	v_add_u32_e32 v2, s18, v4
	v_ashrrev_i64 v[0:1], s21, v[6:7]
	v_ashrrev_i32_e32 v3, 31, v2
	v_mov_b32_e32 v4, s9
	v_add_co_u32_e32 v2, vcc, s8, v2
	s_cmp_lt_i32 s20, 11
	v_addc_co_u32_e32 v3, vcc, v4, v3, vcc
	s_cbranch_scc1 .LBB206_1985
; %bb.1865:
	s_and_b32 s12, 0xffff, s20
	s_mov_b64 s[4:5], -1
	s_mov_b64 s[2:3], 0
	s_cmp_gt_i32 s12, 25
	s_mov_b64 s[0:1], 0
	s_cbranch_scc0 .LBB206_1898
; %bb.1866:
	s_cmp_gt_i32 s12, 28
	s_cbranch_scc0 .LBB206_1882
; %bb.1867:
	s_cmp_gt_i32 s12, 43
	;; [unrolled: 3-line block ×3, first 2 shown]
	s_cbranch_scc0 .LBB206_1872
; %bb.1869:
	s_cmp_eq_u32 s12, 46
	s_mov_b64 s[0:1], -1
	s_cbranch_scc0 .LBB206_1871
; %bb.1870:
	v_xor_b32_e32 v5, v0, v1
	v_ffbh_i32_e32 v4, v1
	v_ashrrev_i32_e32 v5, 31, v5
	v_add_u32_e32 v4, -1, v4
	v_add_u32_e32 v5, 32, v5
	v_min_u32_e32 v6, v4, v5
	v_lshlrev_b64 v[4:5], v6, v[0:1]
	s_movk_i32 s0, 0x7fff
	v_min_u32_e32 v4, 1, v4
	v_or_b32_e32 v4, v5, v4
	v_cvt_f32_i32_e32 v4, v4
	v_sub_u32_e32 v5, 32, v6
	v_ldexp_f32 v4, v4, v5
	v_bfe_u32 v5, v4, 16, 1
	v_add3_u32 v4, v4, v5, s0
	v_lshrrev_b32_e32 v4, 16, v4
	global_store_dword v[2:3], v4, off
	s_mov_b64 s[0:1], 0
.LBB206_1871:
	s_mov_b64 s[4:5], 0
.LBB206_1872:
	s_and_b64 vcc, exec, s[4:5]
	s_cbranch_vccz .LBB206_1877
; %bb.1873:
	s_cmp_eq_u32 s12, 44
	s_mov_b64 s[0:1], -1
	s_cbranch_scc0 .LBB206_1877
; %bb.1874:
	v_xor_b32_e32 v5, v0, v1
	v_ffbh_i32_e32 v4, v1
	v_ashrrev_i32_e32 v5, 31, v5
	v_add_u32_e32 v4, -1, v4
	v_add_u32_e32 v5, 32, v5
	v_min_u32_e32 v6, v4, v5
	v_lshlrev_b64 v[4:5], v6, v[0:1]
	s_movk_i32 s0, 0xff
	v_min_u32_e32 v4, 1, v4
	v_or_b32_e32 v4, v5, v4
	v_cvt_f32_i32_e32 v4, v4
	v_sub_u32_e32 v5, 32, v6
	v_mov_b32_e32 v6, 0xff
	v_ldexp_f32 v4, v4, v5
	v_bfe_u32 v5, v4, 23, 8
	v_cmp_ne_u32_e32 vcc, s0, v5
	s_and_saveexec_b64 s[4:5], vcc
; %bb.1875:
	s_mov_b32 s0, 0x3fffff
	v_lshrrev_b32_e32 v6, 23, v4
	v_and_b32_e32 v7, 0x400000, v4
	v_and_or_b32 v4, v4, s0, v5
	v_cmp_ne_u32_e32 vcc, 0, v7
	v_cmp_ne_u32_e64 s[0:1], 0, v4
	s_and_b64 s[0:1], vcc, s[0:1]
	v_cndmask_b32_e64 v4, 0, 1, s[0:1]
	v_add_u32_e32 v6, v6, v4
; %bb.1876:
	s_or_b64 exec, exec, s[4:5]
	s_mov_b64 s[0:1], 0
	global_store_byte v[2:3], v6, off
.LBB206_1877:
	s_mov_b64 s[4:5], 0
.LBB206_1878:
	s_and_b64 vcc, exec, s[4:5]
	s_cbranch_vccz .LBB206_1881
; %bb.1879:
	s_cmp_eq_u32 s12, 29
	s_mov_b64 s[0:1], -1
	s_cbranch_scc0 .LBB206_1881
; %bb.1880:
	global_store_dwordx2 v[2:3], v[0:1], off
	s_mov_b64 s[0:1], 0
.LBB206_1881:
	s_mov_b64 s[4:5], 0
.LBB206_1882:
	s_and_b64 vcc, exec, s[4:5]
	s_cbranch_vccz .LBB206_1897
; %bb.1883:
	s_cmp_lt_i32 s12, 27
	s_mov_b64 s[4:5], -1
	s_cbranch_scc1 .LBB206_1889
; %bb.1884:
	s_cmp_gt_i32 s12, 27
	s_cbranch_scc0 .LBB206_1886
; %bb.1885:
	global_store_dword v[2:3], v0, off
	s_mov_b64 s[4:5], 0
.LBB206_1886:
	s_andn2_b64 vcc, exec, s[4:5]
	s_cbranch_vccnz .LBB206_1888
; %bb.1887:
	global_store_short v[2:3], v0, off
.LBB206_1888:
	s_mov_b64 s[4:5], 0
.LBB206_1889:
	s_andn2_b64 vcc, exec, s[4:5]
	s_cbranch_vccnz .LBB206_1897
; %bb.1890:
	v_xor_b32_e32 v5, v0, v1
	v_ffbh_i32_e32 v4, v1
	v_ashrrev_i32_e32 v5, 31, v5
	v_add_u32_e32 v4, -1, v4
	v_add_u32_e32 v5, 32, v5
	v_min_u32_e32 v6, v4, v5
	v_lshlrev_b64 v[4:5], v6, v[0:1]
	s_mov_b32 s4, 0x43800000
	v_min_u32_e32 v4, 1, v4
	v_or_b32_e32 v4, v5, v4
	v_cvt_f32_i32_e32 v4, v4
	v_sub_u32_e32 v5, 32, v6
	v_mov_b32_e32 v6, 0x80
	v_ldexp_f32 v4, v4, v5
	v_and_b32_e32 v5, 0x7fffffff, v4
	v_cmp_gt_u32_e32 vcc, s4, v5
	s_and_saveexec_b64 s[4:5], vcc
	s_cbranch_execz .LBB206_1896
; %bb.1891:
	s_mov_b32 s8, 0x3bffffff
	v_cmp_lt_u32_e32 vcc, s8, v5
	s_mov_b64 s[8:9], 0
                                        ; implicit-def: $vgpr5
	s_and_saveexec_b64 s[10:11], vcc
	s_xor_b64 s[10:11], exec, s[10:11]
	s_cbranch_execz .LBB206_2002
; %bb.1892:
	v_bfe_u32 v5, v4, 20, 1
	s_mov_b32 s13, 0x487ffff
	v_add3_u32 v5, v4, v5, s13
	s_mov_b64 s[8:9], exec
	v_lshrrev_b32_e32 v5, 20, v5
	s_andn2_saveexec_b64 s[10:11], s[10:11]
	s_cbranch_execnz .LBB206_2003
.LBB206_1893:
	s_or_b64 exec, exec, s[10:11]
	v_mov_b32_e32 v6, 0
	s_and_saveexec_b64 s[10:11], s[8:9]
.LBB206_1894:
	v_lshrrev_b32_e32 v4, 24, v4
	s_movk_i32 s8, 0x80
	v_and_or_b32 v6, v4, s8, v5
.LBB206_1895:
	s_or_b64 exec, exec, s[10:11]
.LBB206_1896:
	s_or_b64 exec, exec, s[4:5]
	global_store_byte v[2:3], v6, off
.LBB206_1897:
	s_mov_b64 s[4:5], 0
.LBB206_1898:
	s_and_b64 vcc, exec, s[4:5]
	s_cbranch_vccz .LBB206_1938
; %bb.1899:
	s_cmp_gt_i32 s12, 22
	s_mov_b64 s[2:3], -1
	s_cbranch_scc0 .LBB206_1931
; %bb.1900:
	s_cmp_lt_i32 s12, 24
	s_cbranch_scc1 .LBB206_1920
; %bb.1901:
	s_cmp_gt_i32 s12, 24
	s_cbranch_scc0 .LBB206_1909
; %bb.1902:
	v_xor_b32_e32 v5, v0, v1
	v_ffbh_i32_e32 v4, v1
	v_ashrrev_i32_e32 v5, 31, v5
	v_add_u32_e32 v4, -1, v4
	v_add_u32_e32 v5, 32, v5
	v_min_u32_e32 v6, v4, v5
	v_lshlrev_b64 v[4:5], v6, v[0:1]
	s_mov_b32 s2, 0x47800000
	v_min_u32_e32 v4, 1, v4
	v_or_b32_e32 v4, v5, v4
	v_cvt_f32_i32_e32 v4, v4
	v_sub_u32_e32 v5, 32, v6
	v_mov_b32_e32 v6, 0x80
	v_ldexp_f32 v4, v4, v5
	v_and_b32_e32 v5, 0x7fffffff, v4
	v_cmp_gt_u32_e32 vcc, s2, v5
	s_and_saveexec_b64 s[2:3], vcc
	s_cbranch_execz .LBB206_1908
; %bb.1903:
	s_mov_b32 s4, 0x37ffffff
	v_cmp_lt_u32_e32 vcc, s4, v5
	s_mov_b64 s[4:5], 0
                                        ; implicit-def: $vgpr5
	s_and_saveexec_b64 s[8:9], vcc
	s_xor_b64 s[8:9], exec, s[8:9]
	s_cbranch_execz .LBB206_2005
; %bb.1904:
	v_bfe_u32 v5, v4, 21, 1
	s_mov_b32 s10, 0x88fffff
	v_add3_u32 v5, v4, v5, s10
	s_mov_b64 s[4:5], exec
	v_lshrrev_b32_e32 v5, 21, v5
	s_andn2_saveexec_b64 s[8:9], s[8:9]
	s_cbranch_execnz .LBB206_2006
.LBB206_1905:
	s_or_b64 exec, exec, s[8:9]
	v_mov_b32_e32 v6, 0
	s_and_saveexec_b64 s[8:9], s[4:5]
.LBB206_1906:
	v_lshrrev_b32_e32 v4, 24, v4
	s_movk_i32 s4, 0x80
	v_and_or_b32 v6, v4, s4, v5
.LBB206_1907:
	s_or_b64 exec, exec, s[8:9]
.LBB206_1908:
	s_or_b64 exec, exec, s[2:3]
	s_mov_b64 s[2:3], 0
	global_store_byte v[2:3], v6, off
.LBB206_1909:
	s_and_b64 vcc, exec, s[2:3]
	s_cbranch_vccz .LBB206_1919
; %bb.1910:
	v_xor_b32_e32 v5, v0, v1
	v_ffbh_i32_e32 v4, v1
	v_ashrrev_i32_e32 v5, 31, v5
	v_add_u32_e32 v4, -1, v4
	v_add_u32_e32 v5, 32, v5
	v_min_u32_e32 v6, v4, v5
	v_lshlrev_b64 v[4:5], v6, v[0:1]
	s_mov_b32 s2, 0x43f00000
	v_min_u32_e32 v4, 1, v4
	v_or_b32_e32 v4, v5, v4
	v_cvt_f32_i32_e32 v4, v4
	v_sub_u32_e32 v5, 32, v6
	v_ldexp_f32 v4, v4, v5
	v_and_b32_e32 v6, 0x7fffffff, v4
	v_cmp_gt_u32_e32 vcc, s2, v6
                                        ; implicit-def: $vgpr5
	s_and_saveexec_b64 s[2:3], vcc
	s_xor_b64 s[2:3], exec, s[2:3]
	s_cbranch_execz .LBB206_1916
; %bb.1911:
	s_mov_b32 s4, 0x3c7fffff
	v_cmp_lt_u32_e32 vcc, s4, v6
                                        ; implicit-def: $vgpr5
	s_and_saveexec_b64 s[4:5], vcc
	s_xor_b64 s[4:5], exec, s[4:5]
; %bb.1912:
	v_bfe_u32 v5, v4, 20, 1
	s_mov_b32 s8, 0x407ffff
	v_add3_u32 v5, v4, v5, s8
	v_lshrrev_b32_e32 v6, 20, v5
	v_and_b32_e32 v5, 0xff00000, v5
	s_mov_b32 s8, 0x7f00000
	v_mov_b32_e32 v7, 0x7e
	v_cmp_ne_u32_e32 vcc, s8, v5
	v_cndmask_b32_e32 v5, v7, v6, vcc
; %bb.1913:
	s_andn2_saveexec_b64 s[4:5], s[4:5]
; %bb.1914:
	s_mov_b32 s8, 0x46800000
	v_add_f32_e64 v5, |v4|, s8
; %bb.1915:
	s_or_b64 exec, exec, s[4:5]
                                        ; implicit-def: $vgpr6
.LBB206_1916:
	s_andn2_saveexec_b64 s[2:3], s[2:3]
; %bb.1917:
	s_mov_b32 s4, 0x7f800000
	v_mov_b32_e32 v5, 0x7e
	v_mov_b32_e32 v7, 0x7f
	v_cmp_lt_u32_e32 vcc, s4, v6
	v_cndmask_b32_e32 v5, v5, v7, vcc
; %bb.1918:
	s_or_b64 exec, exec, s[2:3]
	v_lshrrev_b32_e32 v4, 24, v4
	s_movk_i32 s2, 0x80
	v_and_or_b32 v4, v4, s2, v5
	global_store_byte v[2:3], v4, off
.LBB206_1919:
	s_mov_b64 s[2:3], 0
.LBB206_1920:
	s_andn2_b64 vcc, exec, s[2:3]
	s_cbranch_vccnz .LBB206_1930
; %bb.1921:
	v_xor_b32_e32 v5, v0, v1
	v_ffbh_i32_e32 v4, v1
	v_ashrrev_i32_e32 v5, 31, v5
	v_add_u32_e32 v4, -1, v4
	v_add_u32_e32 v5, 32, v5
	v_min_u32_e32 v6, v4, v5
	v_lshlrev_b64 v[4:5], v6, v[0:1]
	s_mov_b32 s2, 0x47800000
	v_min_u32_e32 v4, 1, v4
	v_or_b32_e32 v4, v5, v4
	v_cvt_f32_i32_e32 v4, v4
	v_sub_u32_e32 v5, 32, v6
	v_ldexp_f32 v4, v4, v5
	v_and_b32_e32 v6, 0x7fffffff, v4
	v_cmp_gt_u32_e32 vcc, s2, v6
                                        ; implicit-def: $vgpr5
	s_and_saveexec_b64 s[2:3], vcc
	s_xor_b64 s[2:3], exec, s[2:3]
	s_cbranch_execz .LBB206_1927
; %bb.1922:
	s_mov_b32 s4, 0x387fffff
	v_cmp_lt_u32_e32 vcc, s4, v6
                                        ; implicit-def: $vgpr5
	s_and_saveexec_b64 s[4:5], vcc
	s_xor_b64 s[4:5], exec, s[4:5]
; %bb.1923:
	v_bfe_u32 v5, v4, 21, 1
	s_mov_b32 s8, 0x80fffff
	v_add3_u32 v5, v4, v5, s8
	v_lshrrev_b32_e32 v5, 21, v5
; %bb.1924:
	s_andn2_saveexec_b64 s[4:5], s[4:5]
; %bb.1925:
	s_mov_b32 s8, 0x43000000
	v_add_f32_e64 v5, |v4|, s8
; %bb.1926:
	s_or_b64 exec, exec, s[4:5]
                                        ; implicit-def: $vgpr6
.LBB206_1927:
	s_andn2_saveexec_b64 s[2:3], s[2:3]
; %bb.1928:
	s_mov_b32 s4, 0x7f800000
	v_mov_b32_e32 v5, 0x7c
	v_mov_b32_e32 v7, 0x7f
	v_cmp_lt_u32_e32 vcc, s4, v6
	v_cndmask_b32_e32 v5, v5, v7, vcc
; %bb.1929:
	s_or_b64 exec, exec, s[2:3]
	v_lshrrev_b32_e32 v4, 24, v4
	s_movk_i32 s2, 0x80
	v_and_or_b32 v4, v4, s2, v5
	global_store_byte v[2:3], v4, off
.LBB206_1930:
	s_mov_b64 s[2:3], 0
.LBB206_1931:
	s_andn2_b64 vcc, exec, s[2:3]
	s_mov_b64 s[2:3], 0
	s_cbranch_vccnz .LBB206_1938
; %bb.1932:
	s_cmp_gt_i32 s12, 14
	s_mov_b64 s[4:5], -1
	s_cbranch_scc0 .LBB206_1936
; %bb.1933:
	s_cmp_eq_u32 s12, 15
	s_mov_b64 s[0:1], -1
	s_cbranch_scc0 .LBB206_1935
; %bb.1934:
	v_xor_b32_e32 v5, v0, v1
	v_ffbh_i32_e32 v4, v1
	v_ashrrev_i32_e32 v5, 31, v5
	v_add_u32_e32 v4, -1, v4
	v_add_u32_e32 v5, 32, v5
	v_min_u32_e32 v6, v4, v5
	v_lshlrev_b64 v[4:5], v6, v[0:1]
	s_movk_i32 s0, 0x7fff
	v_min_u32_e32 v4, 1, v4
	v_or_b32_e32 v4, v5, v4
	v_cvt_f32_i32_e32 v4, v4
	v_sub_u32_e32 v5, 32, v6
	v_ldexp_f32 v4, v4, v5
	v_bfe_u32 v5, v4, 16, 1
	v_add3_u32 v4, v4, v5, s0
	global_store_short_d16_hi v[2:3], v4, off
	s_mov_b64 s[0:1], 0
.LBB206_1935:
	s_mov_b64 s[4:5], 0
.LBB206_1936:
	s_and_b64 vcc, exec, s[4:5]
	s_cbranch_vccz .LBB206_1938
; %bb.1937:
	s_cmp_lg_u32 s12, 11
	s_mov_b64 s[2:3], -1
	s_cselect_b64 s[0:1], -1, 0
.LBB206_1938:
	s_and_b64 vcc, exec, s[0:1]
	s_cbranch_vccnz .LBB206_2004
.LBB206_1939:
	s_mov_b64 s[0:1], 0
	s_branch .LBB206_1941
.LBB206_1940:
	s_mov_b64 s[0:1], 0
	s_mov_b64 s[2:3], 0
                                        ; implicit-def: $sgpr20
                                        ; implicit-def: $vgpr2_vgpr3
                                        ; implicit-def: $vgpr0_vgpr1
.LBB206_1941:
	s_and_b64 s[4:5], s[2:3], exec
	s_andn2_b64 s[2:3], s[14:15], exec
	s_and_b64 s[8:9], s[16:17], exec
	s_and_b64 s[0:1], s[0:1], exec
	s_or_b64 s[14:15], s[2:3], s[8:9]
.LBB206_1942:
	s_or_b64 exec, exec, s[6:7]
	s_and_saveexec_b64 s[2:3], s[14:15]
	s_cbranch_execz .LBB206_1945
; %bb.1943:
	; divergent unreachable
	s_or_b64 exec, exec, s[2:3]
	s_and_saveexec_b64 s[2:3], s[4:5]
	s_xor_b64 s[2:3], exec, s[2:3]
	s_cbranch_execnz .LBB206_1946
.LBB206_1944:
	s_or_b64 exec, exec, s[2:3]
	s_and_saveexec_b64 s[2:3], s[0:1]
	s_cbranch_execnz .LBB206_1947
	s_branch .LBB206_1984
.LBB206_1945:
	s_or_b64 exec, exec, s[2:3]
	s_and_saveexec_b64 s[2:3], s[4:5]
	s_xor_b64 s[2:3], exec, s[2:3]
	s_cbranch_execz .LBB206_1944
.LBB206_1946:
	s_waitcnt vmcnt(0)
	v_cmp_ne_u64_e32 vcc, 0, v[0:1]
	v_cndmask_b32_e64 v4, 0, 1, vcc
	global_store_byte v[2:3], v4, off
	s_or_b64 exec, exec, s[2:3]
	s_and_saveexec_b64 s[2:3], s[0:1]
	s_cbranch_execz .LBB206_1984
.LBB206_1947:
	s_sext_i32_i16 s2, s20
	s_cmp_lt_i32 s2, 5
	s_mov_b64 s[0:1], -1
	s_cbranch_scc1 .LBB206_1968
; %bb.1948:
	s_cmp_lt_i32 s2, 8
	s_cbranch_scc1 .LBB206_1958
; %bb.1949:
	s_cmp_lt_i32 s2, 9
	s_cbranch_scc1 .LBB206_1955
; %bb.1950:
	s_cmp_gt_i32 s2, 9
	s_cbranch_scc0 .LBB206_1952
; %bb.1951:
	s_waitcnt vmcnt(0)
	v_cvt_f64_i32_e32 v[4:5], v1
	v_cvt_f64_u32_e32 v[6:7], v0
	s_mov_b64 s[0:1], 0
	v_ldexp_f64 v[4:5], v[4:5], 32
	v_add_f64 v[4:5], v[4:5], v[6:7]
	v_mov_b32_e32 v6, 0
	v_mov_b32_e32 v7, v6
	global_store_dwordx4 v[2:3], v[4:7], off
.LBB206_1952:
	s_andn2_b64 vcc, exec, s[0:1]
	s_cbranch_vccnz .LBB206_1954
; %bb.1953:
	s_waitcnt vmcnt(0)
	v_xor_b32_e32 v5, v0, v1
	v_ffbh_i32_e32 v4, v1
	v_ashrrev_i32_e32 v5, 31, v5
	v_add_u32_e32 v4, -1, v4
	v_add_u32_e32 v5, 32, v5
	v_min_u32_e32 v6, v4, v5
	v_lshlrev_b64 v[4:5], v6, v[0:1]
	v_min_u32_e32 v4, 1, v4
	v_or_b32_e32 v4, v5, v4
	v_cvt_f32_i32_e32 v4, v4
	v_sub_u32_e32 v5, 32, v6
	v_ldexp_f32 v4, v4, v5
	v_mov_b32_e32 v5, 0
	global_store_dwordx2 v[2:3], v[4:5], off
.LBB206_1954:
	s_mov_b64 s[0:1], 0
.LBB206_1955:
	s_andn2_b64 vcc, exec, s[0:1]
	s_cbranch_vccnz .LBB206_1957
; %bb.1956:
	s_waitcnt vmcnt(0)
	v_xor_b32_e32 v5, v0, v1
	v_ffbh_i32_e32 v4, v1
	v_ashrrev_i32_e32 v5, 31, v5
	v_add_u32_e32 v4, -1, v4
	v_add_u32_e32 v5, 32, v5
	v_min_u32_e32 v6, v4, v5
	v_lshlrev_b64 v[4:5], v6, v[0:1]
	v_min_u32_e32 v4, 1, v4
	v_or_b32_e32 v4, v5, v4
	v_cvt_f32_i32_e32 v4, v4
	v_sub_u32_e32 v5, 32, v6
	v_ldexp_f32 v4, v4, v5
	v_cvt_f16_f32_e32 v4, v4
	global_store_dword v[2:3], v4, off
.LBB206_1957:
	s_mov_b64 s[0:1], 0
.LBB206_1958:
	s_andn2_b64 vcc, exec, s[0:1]
	s_cbranch_vccnz .LBB206_1967
; %bb.1959:
	s_sext_i32_i16 s2, s20
	s_cmp_lt_i32 s2, 6
	s_mov_b64 s[0:1], -1
	s_cbranch_scc1 .LBB206_1965
; %bb.1960:
	s_cmp_gt_i32 s2, 6
	s_cbranch_scc0 .LBB206_1962
; %bb.1961:
	s_waitcnt vmcnt(0)
	v_cvt_f64_i32_e32 v[4:5], v1
	v_cvt_f64_u32_e32 v[6:7], v0
	s_mov_b64 s[0:1], 0
	v_ldexp_f64 v[4:5], v[4:5], 32
	v_add_f64 v[4:5], v[4:5], v[6:7]
	global_store_dwordx2 v[2:3], v[4:5], off
.LBB206_1962:
	s_andn2_b64 vcc, exec, s[0:1]
	s_cbranch_vccnz .LBB206_1964
; %bb.1963:
	s_waitcnt vmcnt(0)
	v_xor_b32_e32 v5, v0, v1
	v_ffbh_i32_e32 v4, v1
	v_ashrrev_i32_e32 v5, 31, v5
	v_add_u32_e32 v4, -1, v4
	v_add_u32_e32 v5, 32, v5
	v_min_u32_e32 v6, v4, v5
	v_lshlrev_b64 v[4:5], v6, v[0:1]
	v_min_u32_e32 v4, 1, v4
	v_or_b32_e32 v4, v5, v4
	v_cvt_f32_i32_e32 v4, v4
	v_sub_u32_e32 v5, 32, v6
	v_ldexp_f32 v4, v4, v5
	global_store_dword v[2:3], v4, off
.LBB206_1964:
	s_mov_b64 s[0:1], 0
.LBB206_1965:
	s_andn2_b64 vcc, exec, s[0:1]
	s_cbranch_vccnz .LBB206_1967
; %bb.1966:
	s_waitcnt vmcnt(0)
	v_xor_b32_e32 v5, v0, v1
	v_ffbh_i32_e32 v4, v1
	v_ashrrev_i32_e32 v5, 31, v5
	v_add_u32_e32 v4, -1, v4
	v_add_u32_e32 v5, 32, v5
	v_min_u32_e32 v6, v4, v5
	v_lshlrev_b64 v[4:5], v6, v[0:1]
	v_min_u32_e32 v4, 1, v4
	v_or_b32_e32 v4, v5, v4
	v_cvt_f32_i32_e32 v4, v4
	v_sub_u32_e32 v5, 32, v6
	v_ldexp_f32 v4, v4, v5
	v_cvt_f16_f32_e32 v4, v4
	global_store_short v[2:3], v4, off
.LBB206_1967:
	s_mov_b64 s[0:1], 0
.LBB206_1968:
	s_andn2_b64 vcc, exec, s[0:1]
	s_cbranch_vccnz .LBB206_1984
; %bb.1969:
	s_sext_i32_i16 s2, s20
	s_cmp_lt_i32 s2, 2
	s_mov_b64 s[0:1], -1
	s_cbranch_scc1 .LBB206_1979
; %bb.1970:
	s_cmp_lt_i32 s2, 3
	s_cbranch_scc1 .LBB206_1976
; %bb.1971:
	s_cmp_gt_i32 s2, 3
	s_cbranch_scc0 .LBB206_1973
; %bb.1972:
	s_waitcnt vmcnt(0)
	global_store_dwordx2 v[2:3], v[0:1], off
	s_mov_b64 s[0:1], 0
.LBB206_1973:
	s_andn2_b64 vcc, exec, s[0:1]
	s_cbranch_vccnz .LBB206_1975
; %bb.1974:
	s_waitcnt vmcnt(0)
	global_store_dword v[2:3], v0, off
.LBB206_1975:
	s_mov_b64 s[0:1], 0
.LBB206_1976:
	s_andn2_b64 vcc, exec, s[0:1]
	s_cbranch_vccnz .LBB206_1978
; %bb.1977:
	s_waitcnt vmcnt(0)
	global_store_short v[2:3], v0, off
.LBB206_1978:
	s_mov_b64 s[0:1], 0
.LBB206_1979:
	s_andn2_b64 vcc, exec, s[0:1]
	s_cbranch_vccnz .LBB206_1984
; %bb.1980:
	s_sext_i32_i16 s0, s20
	s_cmp_gt_i32 s0, 0
	s_mov_b64 s[0:1], -1
	s_cbranch_scc0 .LBB206_1982
; %bb.1981:
	s_waitcnt vmcnt(0)
	global_store_byte v[2:3], v0, off
	s_mov_b64 s[0:1], 0
.LBB206_1982:
	s_andn2_b64 vcc, exec, s[0:1]
	s_cbranch_vccnz .LBB206_1984
; %bb.1983:
	s_waitcnt vmcnt(0)
	global_store_byte v[2:3], v0, off
	s_endpgm
.LBB206_1984:
	s_endpgm
.LBB206_1985:
	s_mov_b64 s[2:3], 0
	s_mov_b64 s[0:1], -1
	s_branch .LBB206_1941
.LBB206_1986:
	s_trap 2
	s_or_b64 s[16:17], s[16:17], exec
	s_cbranch_execz .LBB206_1455
	s_branch .LBB206_1456
.LBB206_1987:
	s_andn2_saveexec_b64 s[18:19], s[18:19]
	s_cbranch_execz .LBB206_1535
.LBB206_1988:
	s_mov_b32 s22, 0x46000000
	v_add_f32_e64 v12, |v11|, s22
	v_and_b32_e32 v12, 0xff, v12
	v_cmp_ne_u32_e32 vcc, 0, v12
	s_andn2_b64 s[12:13], s[12:13], exec
	s_and_b64 s[22:23], vcc, exec
	s_or_b64 s[12:13], s[12:13], s[22:23]
	s_or_b64 exec, exec, s[18:19]
	v_mov_b32_e32 v13, 0
	s_and_saveexec_b64 s[18:19], s[12:13]
	s_cbranch_execnz .LBB206_1536
	s_branch .LBB206_1537
.LBB206_1989:
	s_trap 2
	s_or_b64 s[16:17], s[16:17], exec
	s_cbranch_execz .LBB206_1583
	s_branch .LBB206_1584
.LBB206_1990:
	s_andn2_saveexec_b64 s[12:13], s[12:13]
	s_cbranch_execz .LBB206_1548
.LBB206_1991:
	s_mov_b32 s18, 0x42800000
	v_add_f32_e64 v12, |v11|, s18
	v_and_b32_e32 v12, 0xff, v12
	v_cmp_ne_u32_e32 vcc, 0, v12
	s_andn2_b64 s[10:11], s[10:11], exec
	s_and_b64 s[18:19], vcc, exec
	s_or_b64 s[10:11], s[10:11], s[18:19]
	s_or_b64 exec, exec, s[12:13]
	v_mov_b32_e32 v13, 0
	s_and_saveexec_b64 s[12:13], s[10:11]
	s_cbranch_execnz .LBB206_1549
	s_branch .LBB206_1550
.LBB206_1992:
	s_andn2_saveexec_b64 s[12:13], s[12:13]
	s_cbranch_execz .LBB206_1654
.LBB206_1993:
	s_mov_b32 s22, 0x46000000
	v_add_f32_e64 v10, |v9|, s22
	v_and_b32_e32 v10, 0xff, v10
	v_cmp_ne_u32_e32 vcc, 0, v10
	s_andn2_b64 s[10:11], s[10:11], exec
	s_and_b64 s[22:23], vcc, exec
	s_or_b64 s[10:11], s[10:11], s[22:23]
	s_or_b64 exec, exec, s[12:13]
	v_mov_b32_e32 v11, 0
	s_and_saveexec_b64 s[12:13], s[10:11]
	s_cbranch_execnz .LBB206_1655
	s_branch .LBB206_1656
.LBB206_1994:
	s_trap 2
	s_or_b64 s[16:17], s[16:17], exec
	s_cbranch_execz .LBB206_1702
	s_branch .LBB206_1703
.LBB206_1995:
	s_andn2_saveexec_b64 s[10:11], s[10:11]
	s_cbranch_execz .LBB206_1667
.LBB206_1996:
	s_mov_b32 s12, 0x42800000
	v_add_f32_e64 v10, |v9|, s12
	v_and_b32_e32 v10, 0xff, v10
	v_cmp_ne_u32_e32 vcc, 0, v10
	s_andn2_b64 s[4:5], s[4:5], exec
	s_and_b64 s[12:13], vcc, exec
	s_or_b64 s[4:5], s[4:5], s[12:13]
	s_or_b64 exec, exec, s[10:11]
	v_mov_b32_e32 v11, 0
	s_and_saveexec_b64 s[10:11], s[4:5]
	s_cbranch_execnz .LBB206_1668
	s_branch .LBB206_1669
.LBB206_1997:
	s_andn2_saveexec_b64 s[12:13], s[12:13]
	s_cbranch_execz .LBB206_1773
.LBB206_1998:
	s_mov_b32 s22, 0x46000000
	v_add_f32_e64 v8, |v5|, s22
	v_and_b32_e32 v8, 0xff, v8
	v_cmp_ne_u32_e32 vcc, 0, v8
	s_andn2_b64 s[10:11], s[10:11], exec
	s_and_b64 s[22:23], vcc, exec
	s_or_b64 s[10:11], s[10:11], s[22:23]
	s_or_b64 exec, exec, s[12:13]
	v_mov_b32_e32 v9, 0
	s_and_saveexec_b64 s[12:13], s[10:11]
	s_cbranch_execnz .LBB206_1774
	s_branch .LBB206_1775
.LBB206_1999:
	s_trap 2
	s_or_b64 s[16:17], s[16:17], exec
	s_cbranch_execz .LBB206_1821
	s_branch .LBB206_1822
.LBB206_2000:
	s_andn2_saveexec_b64 s[10:11], s[10:11]
	s_cbranch_execz .LBB206_1786
.LBB206_2001:
	s_mov_b32 s12, 0x42800000
	v_add_f32_e64 v8, |v5|, s12
	v_and_b32_e32 v8, 0xff, v8
	v_cmp_ne_u32_e32 vcc, 0, v8
	s_andn2_b64 s[4:5], s[4:5], exec
	s_and_b64 s[12:13], vcc, exec
	s_or_b64 s[4:5], s[4:5], s[12:13]
	s_or_b64 exec, exec, s[10:11]
	v_mov_b32_e32 v9, 0
	s_and_saveexec_b64 s[10:11], s[4:5]
	s_cbranch_execnz .LBB206_1787
	s_branch .LBB206_1788
.LBB206_2002:
	s_andn2_saveexec_b64 s[10:11], s[10:11]
	s_cbranch_execz .LBB206_1893
.LBB206_2003:
	s_mov_b32 s13, 0x46000000
	v_add_f32_e64 v5, |v4|, s13
	v_and_b32_e32 v5, 0xff, v5
	v_cmp_ne_u32_e32 vcc, 0, v5
	s_andn2_b64 s[8:9], s[8:9], exec
	s_and_b64 s[18:19], vcc, exec
	s_or_b64 s[8:9], s[8:9], s[18:19]
	s_or_b64 exec, exec, s[10:11]
	v_mov_b32_e32 v6, 0
	s_and_saveexec_b64 s[10:11], s[8:9]
	s_cbranch_execnz .LBB206_1894
	s_branch .LBB206_1895
.LBB206_2004:
	s_mov_b64 s[2:3], 0
	s_or_b64 s[16:17], s[16:17], exec
	s_trap 2
	s_branch .LBB206_1939
.LBB206_2005:
	s_andn2_saveexec_b64 s[8:9], s[8:9]
	s_cbranch_execz .LBB206_1905
.LBB206_2006:
	s_mov_b32 s10, 0x42800000
	v_add_f32_e64 v5, |v4|, s10
	v_and_b32_e32 v5, 0xff, v5
	v_cmp_ne_u32_e32 vcc, 0, v5
	s_andn2_b64 s[4:5], s[4:5], exec
	s_and_b64 s[10:11], vcc, exec
	s_or_b64 s[4:5], s[4:5], s[10:11]
	s_or_b64 exec, exec, s[8:9]
	v_mov_b32_e32 v6, 0
	s_and_saveexec_b64 s[8:9], s[4:5]
	s_cbranch_execnz .LBB206_1906
	s_branch .LBB206_1907
	.section	.rodata,"a",@progbits
	.p2align	6, 0x0
	.amdhsa_kernel _ZN2at6native32elementwise_kernel_manual_unrollILi128ELi4EZNS0_15gpu_kernel_implINS0_13BUnaryFunctorIlllZZZNS0_18rshift_kernel_cudaERNS_18TensorIteratorBaseEENKUlvE_clEvENKUlvE2_clEvEUlllE_EEEEvS5_RKT_EUlibE_EEviT1_
		.amdhsa_group_segment_fixed_size 0
		.amdhsa_private_segment_fixed_size 0
		.amdhsa_kernarg_size 56
		.amdhsa_user_sgpr_count 6
		.amdhsa_user_sgpr_private_segment_buffer 1
		.amdhsa_user_sgpr_dispatch_ptr 0
		.amdhsa_user_sgpr_queue_ptr 0
		.amdhsa_user_sgpr_kernarg_segment_ptr 1
		.amdhsa_user_sgpr_dispatch_id 0
		.amdhsa_user_sgpr_flat_scratch_init 0
		.amdhsa_user_sgpr_private_segment_size 0
		.amdhsa_uses_dynamic_stack 0
		.amdhsa_system_sgpr_private_segment_wavefront_offset 0
		.amdhsa_system_sgpr_workgroup_id_x 1
		.amdhsa_system_sgpr_workgroup_id_y 0
		.amdhsa_system_sgpr_workgroup_id_z 0
		.amdhsa_system_sgpr_workgroup_info 0
		.amdhsa_system_vgpr_workitem_id 0
		.amdhsa_next_free_vgpr 15
		.amdhsa_next_free_sgpr 48
		.amdhsa_reserve_vcc 1
		.amdhsa_reserve_flat_scratch 0
		.amdhsa_float_round_mode_32 0
		.amdhsa_float_round_mode_16_64 0
		.amdhsa_float_denorm_mode_32 3
		.amdhsa_float_denorm_mode_16_64 3
		.amdhsa_dx10_clamp 1
		.amdhsa_ieee_mode 1
		.amdhsa_fp16_overflow 0
		.amdhsa_exception_fp_ieee_invalid_op 0
		.amdhsa_exception_fp_denorm_src 0
		.amdhsa_exception_fp_ieee_div_zero 0
		.amdhsa_exception_fp_ieee_overflow 0
		.amdhsa_exception_fp_ieee_underflow 0
		.amdhsa_exception_fp_ieee_inexact 0
		.amdhsa_exception_int_div_zero 0
	.end_amdhsa_kernel
	.section	.text._ZN2at6native32elementwise_kernel_manual_unrollILi128ELi4EZNS0_15gpu_kernel_implINS0_13BUnaryFunctorIlllZZZNS0_18rshift_kernel_cudaERNS_18TensorIteratorBaseEENKUlvE_clEvENKUlvE2_clEvEUlllE_EEEEvS5_RKT_EUlibE_EEviT1_,"axG",@progbits,_ZN2at6native32elementwise_kernel_manual_unrollILi128ELi4EZNS0_15gpu_kernel_implINS0_13BUnaryFunctorIlllZZZNS0_18rshift_kernel_cudaERNS_18TensorIteratorBaseEENKUlvE_clEvENKUlvE2_clEvEUlllE_EEEEvS5_RKT_EUlibE_EEviT1_,comdat
.Lfunc_end206:
	.size	_ZN2at6native32elementwise_kernel_manual_unrollILi128ELi4EZNS0_15gpu_kernel_implINS0_13BUnaryFunctorIlllZZZNS0_18rshift_kernel_cudaERNS_18TensorIteratorBaseEENKUlvE_clEvENKUlvE2_clEvEUlllE_EEEEvS5_RKT_EUlibE_EEviT1_, .Lfunc_end206-_ZN2at6native32elementwise_kernel_manual_unrollILi128ELi4EZNS0_15gpu_kernel_implINS0_13BUnaryFunctorIlllZZZNS0_18rshift_kernel_cudaERNS_18TensorIteratorBaseEENKUlvE_clEvENKUlvE2_clEvEUlllE_EEEEvS5_RKT_EUlibE_EEviT1_
                                        ; -- End function
	.set _ZN2at6native32elementwise_kernel_manual_unrollILi128ELi4EZNS0_15gpu_kernel_implINS0_13BUnaryFunctorIlllZZZNS0_18rshift_kernel_cudaERNS_18TensorIteratorBaseEENKUlvE_clEvENKUlvE2_clEvEUlllE_EEEEvS5_RKT_EUlibE_EEviT1_.num_vgpr, 15
	.set _ZN2at6native32elementwise_kernel_manual_unrollILi128ELi4EZNS0_15gpu_kernel_implINS0_13BUnaryFunctorIlllZZZNS0_18rshift_kernel_cudaERNS_18TensorIteratorBaseEENKUlvE_clEvENKUlvE2_clEvEUlllE_EEEEvS5_RKT_EUlibE_EEviT1_.num_agpr, 0
	.set _ZN2at6native32elementwise_kernel_manual_unrollILi128ELi4EZNS0_15gpu_kernel_implINS0_13BUnaryFunctorIlllZZZNS0_18rshift_kernel_cudaERNS_18TensorIteratorBaseEENKUlvE_clEvENKUlvE2_clEvEUlllE_EEEEvS5_RKT_EUlibE_EEviT1_.numbered_sgpr, 48
	.set _ZN2at6native32elementwise_kernel_manual_unrollILi128ELi4EZNS0_15gpu_kernel_implINS0_13BUnaryFunctorIlllZZZNS0_18rshift_kernel_cudaERNS_18TensorIteratorBaseEENKUlvE_clEvENKUlvE2_clEvEUlllE_EEEEvS5_RKT_EUlibE_EEviT1_.num_named_barrier, 0
	.set _ZN2at6native32elementwise_kernel_manual_unrollILi128ELi4EZNS0_15gpu_kernel_implINS0_13BUnaryFunctorIlllZZZNS0_18rshift_kernel_cudaERNS_18TensorIteratorBaseEENKUlvE_clEvENKUlvE2_clEvEUlllE_EEEEvS5_RKT_EUlibE_EEviT1_.private_seg_size, 0
	.set _ZN2at6native32elementwise_kernel_manual_unrollILi128ELi4EZNS0_15gpu_kernel_implINS0_13BUnaryFunctorIlllZZZNS0_18rshift_kernel_cudaERNS_18TensorIteratorBaseEENKUlvE_clEvENKUlvE2_clEvEUlllE_EEEEvS5_RKT_EUlibE_EEviT1_.uses_vcc, 1
	.set _ZN2at6native32elementwise_kernel_manual_unrollILi128ELi4EZNS0_15gpu_kernel_implINS0_13BUnaryFunctorIlllZZZNS0_18rshift_kernel_cudaERNS_18TensorIteratorBaseEENKUlvE_clEvENKUlvE2_clEvEUlllE_EEEEvS5_RKT_EUlibE_EEviT1_.uses_flat_scratch, 0
	.set _ZN2at6native32elementwise_kernel_manual_unrollILi128ELi4EZNS0_15gpu_kernel_implINS0_13BUnaryFunctorIlllZZZNS0_18rshift_kernel_cudaERNS_18TensorIteratorBaseEENKUlvE_clEvENKUlvE2_clEvEUlllE_EEEEvS5_RKT_EUlibE_EEviT1_.has_dyn_sized_stack, 0
	.set _ZN2at6native32elementwise_kernel_manual_unrollILi128ELi4EZNS0_15gpu_kernel_implINS0_13BUnaryFunctorIlllZZZNS0_18rshift_kernel_cudaERNS_18TensorIteratorBaseEENKUlvE_clEvENKUlvE2_clEvEUlllE_EEEEvS5_RKT_EUlibE_EEviT1_.has_recursion, 0
	.set _ZN2at6native32elementwise_kernel_manual_unrollILi128ELi4EZNS0_15gpu_kernel_implINS0_13BUnaryFunctorIlllZZZNS0_18rshift_kernel_cudaERNS_18TensorIteratorBaseEENKUlvE_clEvENKUlvE2_clEvEUlllE_EEEEvS5_RKT_EUlibE_EEviT1_.has_indirect_call, 0
	.section	.AMDGPU.csdata,"",@progbits
; Kernel info:
; codeLenInByte = 39968
; TotalNumSgprs: 52
; NumVgprs: 15
; ScratchSize: 0
; MemoryBound: 1
; FloatMode: 240
; IeeeMode: 1
; LDSByteSize: 0 bytes/workgroup (compile time only)
; SGPRBlocks: 6
; VGPRBlocks: 3
; NumSGPRsForWavesPerEU: 52
; NumVGPRsForWavesPerEU: 15
; Occupancy: 10
; WaveLimiterHint : 0
; COMPUTE_PGM_RSRC2:SCRATCH_EN: 0
; COMPUTE_PGM_RSRC2:USER_SGPR: 6
; COMPUTE_PGM_RSRC2:TRAP_HANDLER: 0
; COMPUTE_PGM_RSRC2:TGID_X_EN: 1
; COMPUTE_PGM_RSRC2:TGID_Y_EN: 0
; COMPUTE_PGM_RSRC2:TGID_Z_EN: 0
; COMPUTE_PGM_RSRC2:TIDIG_COMP_CNT: 0
	.section	.text._ZN2at6native32elementwise_kernel_manual_unrollILi128ELi4EZNS0_15gpu_kernel_implINS0_13BUnaryFunctorIlllZZZNS0_18rshift_kernel_cudaERNS_18TensorIteratorBaseEENKUlvE_clEvENKUlvE2_clEvEUlllE_EEEEvS5_RKT_EUlibE0_EEviT1_,"axG",@progbits,_ZN2at6native32elementwise_kernel_manual_unrollILi128ELi4EZNS0_15gpu_kernel_implINS0_13BUnaryFunctorIlllZZZNS0_18rshift_kernel_cudaERNS_18TensorIteratorBaseEENKUlvE_clEvENKUlvE2_clEvEUlllE_EEEEvS5_RKT_EUlibE0_EEviT1_,comdat
	.globl	_ZN2at6native32elementwise_kernel_manual_unrollILi128ELi4EZNS0_15gpu_kernel_implINS0_13BUnaryFunctorIlllZZZNS0_18rshift_kernel_cudaERNS_18TensorIteratorBaseEENKUlvE_clEvENKUlvE2_clEvEUlllE_EEEEvS5_RKT_EUlibE0_EEviT1_ ; -- Begin function _ZN2at6native32elementwise_kernel_manual_unrollILi128ELi4EZNS0_15gpu_kernel_implINS0_13BUnaryFunctorIlllZZZNS0_18rshift_kernel_cudaERNS_18TensorIteratorBaseEENKUlvE_clEvENKUlvE2_clEvEUlllE_EEEEvS5_RKT_EUlibE0_EEviT1_
	.p2align	8
	.type	_ZN2at6native32elementwise_kernel_manual_unrollILi128ELi4EZNS0_15gpu_kernel_implINS0_13BUnaryFunctorIlllZZZNS0_18rshift_kernel_cudaERNS_18TensorIteratorBaseEENKUlvE_clEvENKUlvE2_clEvEUlllE_EEEEvS5_RKT_EUlibE0_EEviT1_,@function
_ZN2at6native32elementwise_kernel_manual_unrollILi128ELi4EZNS0_15gpu_kernel_implINS0_13BUnaryFunctorIlllZZZNS0_18rshift_kernel_cudaERNS_18TensorIteratorBaseEENKUlvE_clEvENKUlvE2_clEvEUlllE_EEEEvS5_RKT_EUlibE0_EEviT1_: ; @_ZN2at6native32elementwise_kernel_manual_unrollILi128ELi4EZNS0_15gpu_kernel_implINS0_13BUnaryFunctorIlllZZZNS0_18rshift_kernel_cudaERNS_18TensorIteratorBaseEENKUlvE_clEvENKUlvE2_clEvEUlllE_EEEEvS5_RKT_EUlibE0_EEviT1_
; %bb.0:
	s_load_dword s70, s[4:5], 0x0
	s_load_dword s33, s[4:5], 0x8
	s_add_u32 s34, s4, 8
	s_addc_u32 s35, s5, 0
	v_lshl_or_b32 v11, s6, 9, v0
	v_or_b32_e32 v15, 0x180, v11
	s_waitcnt lgkmcnt(0)
	s_add_i32 s72, s33, -1
	s_cmp_gt_u32 s72, 1
	v_cmp_le_i32_e32 vcc, s70, v15
	s_cselect_b64 s[40:41], -1, 0
	s_mov_b64 s[6:7], 0
	s_mov_b64 s[28:29], 0
	s_and_saveexec_b64 s[0:1], vcc
	s_xor_b64 s[42:43], exec, s[0:1]
	s_cbranch_execz .LBB207_1070
; %bb.1:
	s_load_dwordx4 s[28:31], s[34:35], 0x4
	s_load_dwordx2 s[44:45], s[34:35], 0x14
	s_load_dwordx2 s[0:1], s[34:35], 0x160
	s_load_dword s73, s[34:35], 0x168
	s_cmp_lg_u32 s33, 0
	s_cselect_b64 s[50:51], -1, 0
	s_add_u32 s48, s34, 0xc4
	s_addc_u32 s49, s35, 0
	s_min_u32 s76, s72, 15
	s_load_dwordx4 s[36:39], s[34:35], 0xc4
	s_load_dwordx4 s[24:27], s[34:35], 0x148
	s_cmp_gt_u32 s33, 1
	s_waitcnt lgkmcnt(0)
	v_cmp_lt_u64_e64 s[2:3], s[0:1], 63
	s_cselect_b64 s[46:47], -1, 0
	s_bfe_u32 s75, s73, 0x80008
	s_and_b64 s[2:3], s[2:3], exec
	s_cselect_b32 s74, s0, 63
	v_cmp_gt_i32_e32 vcc, s70, v11
	s_mov_b64 s[2:3], -1
	s_mov_b64 s[60:61], 0
	s_mov_b64 s[54:55], 0
	;; [unrolled: 1-line block ×3, first 2 shown]
	s_and_saveexec_b64 s[56:57], vcc
	s_cbranch_execz .LBB207_262
; %bb.2:
	s_andn2_b64 vcc, exec, s[40:41]
	s_cbranch_vccnz .LBB207_7
; %bb.3:
	s_andn2_b64 vcc, exec, s[50:51]
	s_cbranch_vccnz .LBB207_8
; %bb.4:
	s_add_i32 s59, s76, 1
	s_cmp_eq_u32 s72, 2
	s_cbranch_scc1 .LBB207_9
; %bb.5:
	s_and_b32 s58, s59, 28
	v_mov_b32_e32 v2, 0
	s_mov_b32 s62, 0
	s_mov_b64 s[52:53], s[34:35]
	s_mov_b64 s[54:55], s[48:49]
	v_mov_b32_e32 v0, 0
	v_mov_b32_e32 v1, v11
.LBB207_6:                              ; =>This Inner Loop Header: Depth=1
	s_load_dwordx8 s[16:23], s[52:53], 0x4
	s_load_dwordx4 s[0:3], s[52:53], 0x24
	s_load_dwordx8 s[8:15], s[54:55], 0x0
	s_add_u32 s52, s52, 48
	s_addc_u32 s53, s53, 0
	s_waitcnt lgkmcnt(0)
	v_mul_hi_u32 v3, s17, v1
	s_add_i32 s62, s62, 4
	s_add_u32 s54, s54, 32
	s_addc_u32 s55, s55, 0
	v_add_u32_e32 v3, v1, v3
	v_lshrrev_b32_e32 v3, s18, v3
	v_mul_lo_u32 v4, v3, s16
	v_mul_hi_u32 v5, s20, v3
	s_cmp_lg_u32 s58, s62
	v_sub_u32_e32 v1, v1, v4
	v_add_u32_e32 v4, v3, v5
	v_mul_lo_u32 v5, v1, s8
	v_mul_lo_u32 v6, v1, s9
	v_lshrrev_b32_e32 v1, s21, v4
	v_mul_lo_u32 v4, v1, s19
	v_mul_hi_u32 v7, s23, v1
	v_sub_u32_e32 v3, v3, v4
	v_add_u32_e32 v4, v1, v7
	v_lshrrev_b32_e32 v4, s0, v4
	v_mul_hi_u32 v8, s2, v4
	v_mul_lo_u32 v9, v4, s22
	v_mul_lo_u32 v7, v3, s10
	v_mul_lo_u32 v3, v3, s11
	v_sub_u32_e32 v9, v1, v9
	v_add_u32_e32 v1, v4, v8
	v_lshrrev_b32_e32 v1, s3, v1
	v_mul_lo_u32 v8, v1, s1
	v_mul_lo_u32 v10, v9, s12
	;; [unrolled: 1-line block ×3, first 2 shown]
	v_add3_u32 v0, v5, v0, v7
	v_sub_u32_e32 v4, v4, v8
	v_mul_lo_u32 v8, v4, s14
	v_mul_lo_u32 v4, v4, s15
	v_add3_u32 v2, v6, v2, v3
	v_add3_u32 v0, v10, v0, v8
	v_add3_u32 v2, v9, v2, v4
	s_cbranch_scc1 .LBB207_6
	s_branch .LBB207_10
.LBB207_7:
                                        ; implicit-def: $vgpr0
                                        ; implicit-def: $vgpr2
	s_branch .LBB207_14
.LBB207_8:
	v_mov_b32_e32 v0, 0
	v_mov_b32_e32 v2, 0
	s_branch .LBB207_13
.LBB207_9:
	s_mov_b32 s58, 0
	v_mov_b32_e32 v0, 0
	v_mov_b32_e32 v2, 0
	;; [unrolled: 1-line block ×3, first 2 shown]
.LBB207_10:
	s_and_b32 s8, s59, 3
	s_cmp_eq_u32 s8, 0
	s_cbranch_scc1 .LBB207_13
; %bb.11:
	s_lshl_b32 s0, s58, 3
	s_add_u32 s0, s34, s0
	s_addc_u32 s1, s35, 0
	s_add_u32 s0, s0, 0xc4
	s_addc_u32 s1, s1, 0
	s_mul_i32 s2, s58, 12
	s_add_u32 s2, s34, s2
	s_addc_u32 s3, s35, 0
.LBB207_12:                             ; =>This Inner Loop Header: Depth=1
	s_load_dwordx2 s[10:11], s[2:3], 0x4
	s_load_dword s9, s[2:3], 0xc
	s_load_dwordx2 s[12:13], s[0:1], 0x0
	s_add_u32 s2, s2, 12
	s_addc_u32 s3, s3, 0
	s_waitcnt lgkmcnt(0)
	v_mul_hi_u32 v3, s11, v1
	s_add_u32 s0, s0, 8
	s_addc_u32 s1, s1, 0
	s_add_i32 s8, s8, -1
	v_add_u32_e32 v3, v1, v3
	v_lshrrev_b32_e32 v4, s9, v3
	v_mul_lo_u32 v3, v4, s10
	s_cmp_lg_u32 s8, 0
	v_sub_u32_e32 v3, v1, v3
	v_mad_u64_u32 v[0:1], s[10:11], v3, s12, v[0:1]
	v_mad_u64_u32 v[2:3], s[10:11], v3, s13, v[2:3]
	v_mov_b32_e32 v1, v4
	s_cbranch_scc1 .LBB207_12
.LBB207_13:
	s_cbranch_execnz .LBB207_16
.LBB207_14:
	v_mul_hi_u32 v0, s29, v11
	s_andn2_b64 vcc, exec, s[46:47]
	v_add_u32_e32 v0, v11, v0
	v_lshrrev_b32_e32 v1, s30, v0
	v_mul_lo_u32 v0, v1, s28
	v_sub_u32_e32 v2, v11, v0
	v_mul_lo_u32 v0, v2, s36
	v_mul_lo_u32 v2, v2, s37
	s_cbranch_vccnz .LBB207_16
; %bb.15:
	v_mul_hi_u32 v3, s44, v1
	v_add_u32_e32 v3, v1, v3
	v_lshrrev_b32_e32 v3, s45, v3
	v_mul_lo_u32 v3, v3, s31
	v_sub_u32_e32 v3, v1, v3
	v_mad_u64_u32 v[0:1], s[0:1], v3, s38, v[0:1]
	v_mad_u64_u32 v[2:3], s[0:1], v3, s39, v[2:3]
.LBB207_16:
	v_mov_b32_e32 v3, s27
	s_and_b32 s10, 0xffff, s75
	v_add_co_u32_e32 v1, vcc, s26, v2
	s_cmp_lt_i32 s10, 11
	v_addc_co_u32_e32 v2, vcc, 0, v3, vcc
	s_cbranch_scc1 .LBB207_23
; %bb.17:
	s_cmp_gt_i32 s10, 25
	s_cbranch_scc0 .LBB207_32
; %bb.18:
	s_cmp_gt_i32 s10, 28
	s_cbranch_scc0 .LBB207_35
	;; [unrolled: 3-line block ×4, first 2 shown]
; %bb.21:
	s_cmp_eq_u32 s10, 46
	s_mov_b64 s[8:9], 0
	s_cbranch_scc0 .LBB207_41
; %bb.22:
	global_load_dword v3, v[1:2], off
	s_mov_b32 s0, 0x2f800000
	s_mov_b32 s1, 0xcf800000
	s_mov_b64 s[2:3], 0
	s_waitcnt vmcnt(0)
	v_lshlrev_b32_e32 v3, 16, v3
	v_trunc_f32_e32 v3, v3
	v_mul_f32_e64 v4, |v3|, s0
	v_floor_f32_e32 v4, v4
	v_fma_f32 v5, v4, s1, |v3|
	v_cvt_u32_f32_e32 v5, v5
	v_cvt_u32_f32_e32 v4, v4
	v_ashrrev_i32_e32 v6, 31, v3
	s_mov_b64 s[0:1], -1
	v_xor_b32_e32 v3, v5, v6
	v_xor_b32_e32 v4, v4, v6
	v_sub_co_u32_e32 v3, vcc, v3, v6
	v_subb_co_u32_e32 v4, vcc, v4, v6, vcc
	s_branch .LBB207_43
.LBB207_23:
	s_mov_b64 s[2:3], 0
                                        ; implicit-def: $vgpr3_vgpr4
	s_mov_b64 s[0:1], 0
	s_cbranch_execnz .LBB207_212
.LBB207_24:
	s_andn2_b64 vcc, exec, s[0:1]
	s_cbranch_vccnz .LBB207_259
.LBB207_25:
	s_waitcnt vmcnt(0)
	v_ashrrev_i64 v[1:2], s74, v[3:4]
	v_mov_b32_e32 v4, s25
	s_and_b32 s14, s73, 0xff
	v_add_co_u32_e32 v3, vcc, s24, v0
	s_cmp_lt_i32 s14, 11
	v_addc_co_u32_e32 v4, vcc, 0, v4, vcc
	s_cbranch_scc1 .LBB207_33
; %bb.26:
	s_and_b32 s15, 0xffff, s14
	s_cmp_gt_i32 s15, 25
	s_cbranch_scc0 .LBB207_36
; %bb.27:
	s_cmp_gt_i32 s15, 28
	s_cbranch_scc0 .LBB207_38
; %bb.28:
	;; [unrolled: 3-line block ×4, first 2 shown]
	s_mov_b64 s[10:11], 0
	s_mov_b64 s[0:1], -1
	s_cmp_eq_u32 s15, 46
	s_mov_b64 s[8:9], 0
	s_cbranch_scc0 .LBB207_47
; %bb.31:
	v_xor_b32_e32 v5, v1, v2
	v_ffbh_i32_e32 v0, v2
	v_ashrrev_i32_e32 v5, 31, v5
	v_add_u32_e32 v0, -1, v0
	v_add_u32_e32 v5, 32, v5
	v_min_u32_e32 v0, v0, v5
	v_lshlrev_b64 v[5:6], v0, v[1:2]
	v_sub_u32_e32 v0, 32, v0
	v_min_u32_e32 v5, 1, v5
	v_or_b32_e32 v5, v6, v5
	v_cvt_f32_i32_e32 v5, v5
	s_movk_i32 s0, 0x7fff
	s_mov_b64 s[8:9], -1
	v_ldexp_f32 v0, v5, v0
	v_bfe_u32 v5, v0, 16, 1
	v_add3_u32 v0, v0, v5, s0
	v_lshrrev_b32_e32 v0, 16, v0
	global_store_dword v[3:4], v0, off
	s_mov_b64 s[0:1], 0
	s_branch .LBB207_47
.LBB207_32:
	s_mov_b64 s[2:3], 0
	s_mov_b64 s[0:1], 0
                                        ; implicit-def: $vgpr3_vgpr4
	s_cbranch_execnz .LBB207_181
	s_branch .LBB207_211
.LBB207_33:
	s_mov_b64 s[0:1], 0
	s_mov_b64 s[8:9], 0
	s_cbranch_execnz .LBB207_116
.LBB207_34:
	s_andn2_b64 vcc, exec, s[8:9]
	s_cbranch_vccnz .LBB207_260
	s_branch .LBB207_154
.LBB207_35:
	s_mov_b64 s[8:9], -1
	s_mov_b64 s[2:3], 0
	s_mov_b64 s[0:1], 0
                                        ; implicit-def: $vgpr3_vgpr4
	s_branch .LBB207_162
.LBB207_36:
	s_mov_b64 s[10:11], -1
	s_mov_b64 s[0:1], 0
	s_mov_b64 s[8:9], 0
	s_branch .LBB207_74
.LBB207_37:
	s_mov_b64 s[8:9], -1
	s_mov_b64 s[2:3], 0
	s_mov_b64 s[0:1], 0
                                        ; implicit-def: $vgpr3_vgpr4
	s_branch .LBB207_157
.LBB207_38:
	s_mov_b64 s[10:11], -1
	s_mov_b64 s[0:1], 0
	s_mov_b64 s[8:9], 0
	s_branch .LBB207_57
.LBB207_39:
	s_mov_b64 s[8:9], -1
	s_mov_b64 s[2:3], 0
	s_branch .LBB207_42
.LBB207_40:
	s_mov_b64 s[10:11], -1
	s_mov_b64 s[0:1], 0
	s_mov_b64 s[8:9], 0
	s_branch .LBB207_53
.LBB207_41:
	s_mov_b64 s[2:3], -1
.LBB207_42:
	s_mov_b64 s[0:1], 0
                                        ; implicit-def: $vgpr3_vgpr4
.LBB207_43:
	s_and_b64 vcc, exec, s[8:9]
	s_cbranch_vccz .LBB207_156
; %bb.44:
	s_cmp_eq_u32 s10, 44
	s_cbranch_scc0 .LBB207_155
; %bb.45:
	global_load_ubyte v3, v[1:2], off
	s_mov_b32 s0, 0x2f800000
	s_mov_b32 s1, 0xcf800000
	s_mov_b64 s[2:3], 0
	s_waitcnt vmcnt(0)
	v_lshlrev_b32_e32 v4, 23, v3
	v_trunc_f32_e32 v4, v4
	v_mul_f32_e64 v5, |v4|, s0
	v_floor_f32_e32 v5, v5
	v_fma_f32 v6, v5, s1, |v4|
	v_cvt_u32_f32_e32 v6, v6
	v_cvt_u32_f32_e32 v5, v5
	v_ashrrev_i32_e32 v4, 31, v4
	s_mov_b64 s[0:1], -1
	v_xor_b32_e32 v6, v6, v4
	v_xor_b32_e32 v5, v5, v4
	v_sub_co_u32_e32 v6, vcc, v6, v4
	v_subb_co_u32_e32 v4, vcc, v5, v4, vcc
	v_cmp_ne_u32_e32 vcc, 0, v3
	v_cndmask_b32_e32 v4, 0, v4, vcc
	v_cndmask_b32_e32 v3, 0, v6, vcc
	s_branch .LBB207_156
.LBB207_46:
	s_mov_b64 s[10:11], -1
	s_mov_b64 s[0:1], 0
	s_mov_b64 s[8:9], 0
.LBB207_47:
	s_and_b64 vcc, exec, s[10:11]
	s_cbranch_vccz .LBB207_52
; %bb.48:
	s_cmp_eq_u32 s15, 44
	s_mov_b64 s[0:1], -1
	s_cbranch_scc0 .LBB207_52
; %bb.49:
	v_xor_b32_e32 v5, v1, v2
	v_ffbh_i32_e32 v0, v2
	v_ashrrev_i32_e32 v5, 31, v5
	v_add_u32_e32 v0, -1, v0
	v_add_u32_e32 v5, 32, v5
	v_min_u32_e32 v0, v0, v5
	v_lshlrev_b64 v[5:6], v0, v[1:2]
	v_sub_u32_e32 v0, 32, v0
	v_min_u32_e32 v5, 1, v5
	v_or_b32_e32 v5, v6, v5
	v_cvt_f32_i32_e32 v5, v5
	s_movk_i32 s0, 0xff
	v_mov_b32_e32 v6, 0xff
	v_ldexp_f32 v0, v5, v0
	v_bfe_u32 v5, v0, 23, 8
	v_cmp_ne_u32_e32 vcc, s0, v5
	s_and_saveexec_b64 s[8:9], vcc
; %bb.50:
	s_mov_b32 s0, 0x3fffff
	v_lshrrev_b32_e32 v6, 23, v0
	v_and_b32_e32 v7, 0x400000, v0
	v_and_or_b32 v0, v0, s0, v5
	v_cmp_ne_u32_e32 vcc, 0, v7
	v_cmp_ne_u32_e64 s[0:1], 0, v0
	s_and_b64 s[0:1], vcc, s[0:1]
	v_cndmask_b32_e64 v0, 0, 1, s[0:1]
	v_add_u32_e32 v6, v6, v0
; %bb.51:
	s_or_b64 exec, exec, s[8:9]
	s_mov_b64 s[8:9], -1
	s_mov_b64 s[0:1], 0
	global_store_byte v[3:4], v6, off
.LBB207_52:
	s_mov_b64 s[10:11], 0
.LBB207_53:
	s_and_b64 vcc, exec, s[10:11]
	s_cbranch_vccz .LBB207_56
; %bb.54:
	s_cmp_eq_u32 s15, 29
	s_mov_b64 s[0:1], -1
	s_cbranch_scc0 .LBB207_56
; %bb.55:
	global_store_dwordx2 v[3:4], v[1:2], off
	s_mov_b64 s[8:9], -1
	s_mov_b64 s[0:1], 0
.LBB207_56:
	s_mov_b64 s[10:11], 0
.LBB207_57:
	s_and_b64 vcc, exec, s[10:11]
	s_cbranch_vccz .LBB207_73
; %bb.58:
	s_cmp_lt_i32 s15, 27
	s_mov_b64 s[8:9], -1
	s_cbranch_scc1 .LBB207_64
; %bb.59:
	s_cmp_gt_i32 s15, 27
	s_cbranch_scc0 .LBB207_61
; %bb.60:
	s_mov_b64 s[8:9], 0
	global_store_dword v[3:4], v1, off
.LBB207_61:
	s_andn2_b64 vcc, exec, s[8:9]
	s_cbranch_vccnz .LBB207_63
; %bb.62:
	global_store_short v[3:4], v1, off
.LBB207_63:
	s_mov_b64 s[8:9], 0
.LBB207_64:
	s_andn2_b64 vcc, exec, s[8:9]
	s_cbranch_vccnz .LBB207_72
; %bb.65:
	v_xor_b32_e32 v5, v1, v2
	v_ffbh_i32_e32 v0, v2
	v_ashrrev_i32_e32 v5, 31, v5
	v_add_u32_e32 v0, -1, v0
	v_add_u32_e32 v5, 32, v5
	v_min_u32_e32 v0, v0, v5
	v_lshlrev_b64 v[5:6], v0, v[1:2]
	v_sub_u32_e32 v0, 32, v0
	v_min_u32_e32 v5, 1, v5
	v_or_b32_e32 v5, v6, v5
	v_cvt_f32_i32_e32 v5, v5
	s_mov_b32 s8, 0x43800000
	v_mov_b32_e32 v6, 0x80
	v_ldexp_f32 v0, v5, v0
	v_and_b32_e32 v5, 0x7fffffff, v0
	v_cmp_gt_u32_e32 vcc, s8, v5
	s_and_saveexec_b64 s[8:9], vcc
	s_cbranch_execz .LBB207_71
; %bb.66:
	s_mov_b32 s10, 0x3bffffff
	v_cmp_lt_u32_e32 vcc, s10, v5
	s_mov_b64 s[10:11], 0
                                        ; implicit-def: $vgpr5
	s_and_saveexec_b64 s[12:13], vcc
	s_xor_b64 s[12:13], exec, s[12:13]
	s_cbranch_execz .LBB207_303
; %bb.67:
	v_bfe_u32 v5, v0, 20, 1
	s_mov_b32 s16, 0x487ffff
	v_add3_u32 v5, v0, v5, s16
	s_mov_b64 s[10:11], exec
	v_lshrrev_b32_e32 v5, 20, v5
	s_andn2_saveexec_b64 s[12:13], s[12:13]
	s_cbranch_execnz .LBB207_304
.LBB207_68:
	s_or_b64 exec, exec, s[12:13]
	v_mov_b32_e32 v6, 0
	s_and_saveexec_b64 s[12:13], s[10:11]
.LBB207_69:
	v_lshrrev_b32_e32 v0, 24, v0
	s_movk_i32 s10, 0x80
	v_and_or_b32 v6, v0, s10, v5
.LBB207_70:
	s_or_b64 exec, exec, s[12:13]
.LBB207_71:
	s_or_b64 exec, exec, s[8:9]
	global_store_byte v[3:4], v6, off
.LBB207_72:
	s_mov_b64 s[8:9], -1
.LBB207_73:
	s_mov_b64 s[10:11], 0
.LBB207_74:
	s_and_b64 vcc, exec, s[10:11]
	s_cbranch_vccz .LBB207_115
; %bb.75:
	s_cmp_gt_i32 s15, 22
	s_mov_b64 s[10:11], -1
	s_cbranch_scc0 .LBB207_107
; %bb.76:
	s_cmp_lt_i32 s15, 24
	s_mov_b64 s[8:9], -1
	s_cbranch_scc1 .LBB207_96
; %bb.77:
	s_cmp_gt_i32 s15, 24
	s_cbranch_scc0 .LBB207_85
; %bb.78:
	v_xor_b32_e32 v5, v1, v2
	v_ffbh_i32_e32 v0, v2
	v_ashrrev_i32_e32 v5, 31, v5
	v_add_u32_e32 v0, -1, v0
	v_add_u32_e32 v5, 32, v5
	v_min_u32_e32 v0, v0, v5
	v_lshlrev_b64 v[5:6], v0, v[1:2]
	v_sub_u32_e32 v0, 32, v0
	v_min_u32_e32 v5, 1, v5
	v_or_b32_e32 v5, v6, v5
	v_cvt_f32_i32_e32 v5, v5
	s_mov_b32 s8, 0x47800000
	v_mov_b32_e32 v6, 0x80
	v_ldexp_f32 v0, v5, v0
	v_and_b32_e32 v5, 0x7fffffff, v0
	v_cmp_gt_u32_e32 vcc, s8, v5
	s_and_saveexec_b64 s[8:9], vcc
	s_cbranch_execz .LBB207_84
; %bb.79:
	s_mov_b32 s10, 0x37ffffff
	v_cmp_lt_u32_e32 vcc, s10, v5
	s_mov_b64 s[10:11], 0
                                        ; implicit-def: $vgpr5
	s_and_saveexec_b64 s[12:13], vcc
	s_xor_b64 s[12:13], exec, s[12:13]
	s_cbranch_execz .LBB207_307
; %bb.80:
	v_bfe_u32 v5, v0, 21, 1
	s_mov_b32 s16, 0x88fffff
	v_add3_u32 v5, v0, v5, s16
	s_mov_b64 s[10:11], exec
	v_lshrrev_b32_e32 v5, 21, v5
	s_andn2_saveexec_b64 s[12:13], s[12:13]
	s_cbranch_execnz .LBB207_308
.LBB207_81:
	s_or_b64 exec, exec, s[12:13]
	v_mov_b32_e32 v6, 0
	s_and_saveexec_b64 s[12:13], s[10:11]
.LBB207_82:
	v_lshrrev_b32_e32 v0, 24, v0
	s_movk_i32 s10, 0x80
	v_and_or_b32 v6, v0, s10, v5
.LBB207_83:
	s_or_b64 exec, exec, s[12:13]
.LBB207_84:
	s_or_b64 exec, exec, s[8:9]
	s_mov_b64 s[8:9], 0
	global_store_byte v[3:4], v6, off
.LBB207_85:
	s_and_b64 vcc, exec, s[8:9]
	s_cbranch_vccz .LBB207_95
; %bb.86:
	v_xor_b32_e32 v5, v1, v2
	v_ffbh_i32_e32 v0, v2
	v_ashrrev_i32_e32 v5, 31, v5
	v_add_u32_e32 v0, -1, v0
	v_add_u32_e32 v5, 32, v5
	v_min_u32_e32 v0, v0, v5
	v_lshlrev_b64 v[5:6], v0, v[1:2]
	v_sub_u32_e32 v0, 32, v0
	v_min_u32_e32 v5, 1, v5
	v_or_b32_e32 v5, v6, v5
	v_cvt_f32_i32_e32 v5, v5
	s_mov_b32 s8, 0x43f00000
	v_ldexp_f32 v0, v5, v0
	v_and_b32_e32 v6, 0x7fffffff, v0
	v_cmp_gt_u32_e32 vcc, s8, v6
                                        ; implicit-def: $vgpr5
	s_and_saveexec_b64 s[8:9], vcc
	s_xor_b64 s[8:9], exec, s[8:9]
	s_cbranch_execz .LBB207_92
; %bb.87:
	s_mov_b32 s10, 0x3c7fffff
	v_cmp_lt_u32_e32 vcc, s10, v6
                                        ; implicit-def: $vgpr5
	s_and_saveexec_b64 s[10:11], vcc
	s_xor_b64 s[10:11], exec, s[10:11]
; %bb.88:
	v_bfe_u32 v5, v0, 20, 1
	s_mov_b32 s12, 0x407ffff
	v_add3_u32 v5, v0, v5, s12
	v_lshrrev_b32_e32 v6, 20, v5
	v_and_b32_e32 v5, 0xff00000, v5
	s_mov_b32 s12, 0x7f00000
	v_mov_b32_e32 v7, 0x7e
	v_cmp_ne_u32_e32 vcc, s12, v5
	v_cndmask_b32_e32 v5, v7, v6, vcc
; %bb.89:
	s_andn2_saveexec_b64 s[10:11], s[10:11]
; %bb.90:
	s_mov_b32 s12, 0x46800000
	v_add_f32_e64 v5, |v0|, s12
; %bb.91:
	s_or_b64 exec, exec, s[10:11]
                                        ; implicit-def: $vgpr6
.LBB207_92:
	s_andn2_saveexec_b64 s[8:9], s[8:9]
; %bb.93:
	s_mov_b32 s10, 0x7f800000
	v_mov_b32_e32 v5, 0x7e
	v_mov_b32_e32 v7, 0x7f
	v_cmp_lt_u32_e32 vcc, s10, v6
	v_cndmask_b32_e32 v5, v5, v7, vcc
; %bb.94:
	s_or_b64 exec, exec, s[8:9]
	v_lshrrev_b32_e32 v0, 24, v0
	s_movk_i32 s8, 0x80
	v_and_or_b32 v0, v0, s8, v5
	global_store_byte v[3:4], v0, off
.LBB207_95:
	s_mov_b64 s[8:9], 0
.LBB207_96:
	s_andn2_b64 vcc, exec, s[8:9]
	s_cbranch_vccnz .LBB207_106
; %bb.97:
	v_xor_b32_e32 v5, v1, v2
	v_ffbh_i32_e32 v0, v2
	v_ashrrev_i32_e32 v5, 31, v5
	v_add_u32_e32 v0, -1, v0
	v_add_u32_e32 v5, 32, v5
	v_min_u32_e32 v0, v0, v5
	v_lshlrev_b64 v[5:6], v0, v[1:2]
	v_sub_u32_e32 v0, 32, v0
	v_min_u32_e32 v5, 1, v5
	v_or_b32_e32 v5, v6, v5
	v_cvt_f32_i32_e32 v5, v5
	s_mov_b32 s8, 0x47800000
	v_ldexp_f32 v0, v5, v0
	v_and_b32_e32 v6, 0x7fffffff, v0
	v_cmp_gt_u32_e32 vcc, s8, v6
                                        ; implicit-def: $vgpr5
	s_and_saveexec_b64 s[8:9], vcc
	s_xor_b64 s[8:9], exec, s[8:9]
	s_cbranch_execz .LBB207_103
; %bb.98:
	s_mov_b32 s10, 0x387fffff
	v_cmp_lt_u32_e32 vcc, s10, v6
                                        ; implicit-def: $vgpr5
	s_and_saveexec_b64 s[10:11], vcc
	s_xor_b64 s[10:11], exec, s[10:11]
; %bb.99:
	v_bfe_u32 v5, v0, 21, 1
	s_mov_b32 s12, 0x80fffff
	v_add3_u32 v5, v0, v5, s12
	v_lshrrev_b32_e32 v5, 21, v5
; %bb.100:
	s_andn2_saveexec_b64 s[10:11], s[10:11]
; %bb.101:
	s_mov_b32 s12, 0x43000000
	v_add_f32_e64 v5, |v0|, s12
; %bb.102:
	s_or_b64 exec, exec, s[10:11]
                                        ; implicit-def: $vgpr6
.LBB207_103:
	s_andn2_saveexec_b64 s[8:9], s[8:9]
; %bb.104:
	s_mov_b32 s10, 0x7f800000
	v_mov_b32_e32 v5, 0x7c
	v_mov_b32_e32 v7, 0x7f
	v_cmp_lt_u32_e32 vcc, s10, v6
	v_cndmask_b32_e32 v5, v5, v7, vcc
; %bb.105:
	s_or_b64 exec, exec, s[8:9]
	v_lshrrev_b32_e32 v0, 24, v0
	s_movk_i32 s8, 0x80
	v_and_or_b32 v0, v0, s8, v5
	global_store_byte v[3:4], v0, off
.LBB207_106:
	s_mov_b64 s[10:11], 0
	s_mov_b64 s[8:9], -1
.LBB207_107:
	s_andn2_b64 vcc, exec, s[10:11]
	s_cbranch_vccnz .LBB207_115
; %bb.108:
	s_cmp_gt_i32 s15, 14
	s_mov_b64 s[10:11], -1
	s_cbranch_scc0 .LBB207_112
; %bb.109:
	s_cmp_eq_u32 s15, 15
	s_mov_b64 s[0:1], -1
	s_cbranch_scc0 .LBB207_111
; %bb.110:
	v_xor_b32_e32 v5, v1, v2
	v_ffbh_i32_e32 v0, v2
	v_ashrrev_i32_e32 v5, 31, v5
	v_add_u32_e32 v0, -1, v0
	v_add_u32_e32 v5, 32, v5
	v_min_u32_e32 v0, v0, v5
	v_lshlrev_b64 v[5:6], v0, v[1:2]
	v_sub_u32_e32 v0, 32, v0
	v_min_u32_e32 v5, 1, v5
	v_or_b32_e32 v5, v6, v5
	v_cvt_f32_i32_e32 v5, v5
	s_movk_i32 s0, 0x7fff
	s_mov_b64 s[8:9], -1
	v_ldexp_f32 v0, v5, v0
	v_bfe_u32 v5, v0, 16, 1
	v_add3_u32 v0, v0, v5, s0
	global_store_short_d16_hi v[3:4], v0, off
	s_mov_b64 s[0:1], 0
.LBB207_111:
	s_mov_b64 s[10:11], 0
.LBB207_112:
	s_and_b64 vcc, exec, s[10:11]
	s_cbranch_vccz .LBB207_115
; %bb.113:
	s_cmp_eq_u32 s15, 11
	s_mov_b64 s[0:1], -1
	s_cbranch_scc0 .LBB207_115
; %bb.114:
	v_cmp_ne_u64_e32 vcc, 0, v[1:2]
	s_mov_b64 s[0:1], 0
	v_cndmask_b32_e64 v0, 0, 1, vcc
	s_mov_b64 s[8:9], -1
	global_store_byte v[3:4], v0, off
.LBB207_115:
	s_branch .LBB207_34
.LBB207_116:
	s_and_b32 s10, 0xffff, s14
	s_cmp_lt_i32 s10, 5
	s_mov_b64 s[8:9], -1
	s_cbranch_scc1 .LBB207_137
; %bb.117:
	s_cmp_lt_i32 s10, 8
	s_cbranch_scc1 .LBB207_127
; %bb.118:
	s_cmp_lt_i32 s10, 9
	s_cbranch_scc1 .LBB207_124
; %bb.119:
	s_cmp_gt_i32 s10, 9
	s_cbranch_scc0 .LBB207_121
; %bb.120:
	v_cvt_f64_i32_e32 v[5:6], v2
	v_cvt_f64_u32_e32 v[7:8], v1
	s_mov_b64 s[8:9], 0
	v_ldexp_f64 v[5:6], v[5:6], 32
	v_add_f64 v[5:6], v[5:6], v[7:8]
	v_mov_b32_e32 v7, 0
	v_mov_b32_e32 v8, v7
	global_store_dwordx4 v[3:4], v[5:8], off
.LBB207_121:
	s_andn2_b64 vcc, exec, s[8:9]
	s_cbranch_vccnz .LBB207_123
; %bb.122:
	v_xor_b32_e32 v5, v1, v2
	v_ffbh_i32_e32 v0, v2
	v_ashrrev_i32_e32 v5, 31, v5
	v_add_u32_e32 v0, -1, v0
	v_add_u32_e32 v5, 32, v5
	v_min_u32_e32 v0, v0, v5
	v_lshlrev_b64 v[5:6], v0, v[1:2]
	v_sub_u32_e32 v0, 32, v0
	v_min_u32_e32 v5, 1, v5
	v_or_b32_e32 v5, v6, v5
	v_cvt_f32_i32_e32 v5, v5
	v_mov_b32_e32 v6, 0
	v_ldexp_f32 v5, v5, v0
	global_store_dwordx2 v[3:4], v[5:6], off
.LBB207_123:
	s_mov_b64 s[8:9], 0
.LBB207_124:
	s_andn2_b64 vcc, exec, s[8:9]
	s_cbranch_vccnz .LBB207_126
; %bb.125:
	v_xor_b32_e32 v5, v1, v2
	v_ffbh_i32_e32 v0, v2
	v_ashrrev_i32_e32 v5, 31, v5
	v_add_u32_e32 v0, -1, v0
	v_add_u32_e32 v5, 32, v5
	v_min_u32_e32 v0, v0, v5
	v_lshlrev_b64 v[5:6], v0, v[1:2]
	v_sub_u32_e32 v0, 32, v0
	v_min_u32_e32 v5, 1, v5
	v_or_b32_e32 v5, v6, v5
	v_cvt_f32_i32_e32 v5, v5
	v_ldexp_f32 v0, v5, v0
	v_cvt_f16_f32_e32 v0, v0
	global_store_dword v[3:4], v0, off
.LBB207_126:
	s_mov_b64 s[8:9], 0
.LBB207_127:
	s_andn2_b64 vcc, exec, s[8:9]
	s_cbranch_vccnz .LBB207_136
; %bb.128:
	s_cmp_lt_i32 s10, 6
	s_mov_b64 s[8:9], -1
	s_cbranch_scc1 .LBB207_134
; %bb.129:
	s_cmp_gt_i32 s10, 6
	s_cbranch_scc0 .LBB207_131
; %bb.130:
	v_cvt_f64_i32_e32 v[5:6], v2
	v_cvt_f64_u32_e32 v[7:8], v1
	s_mov_b64 s[8:9], 0
	v_ldexp_f64 v[5:6], v[5:6], 32
	v_add_f64 v[5:6], v[5:6], v[7:8]
	global_store_dwordx2 v[3:4], v[5:6], off
.LBB207_131:
	s_andn2_b64 vcc, exec, s[8:9]
	s_cbranch_vccnz .LBB207_133
; %bb.132:
	v_xor_b32_e32 v5, v1, v2
	v_ffbh_i32_e32 v0, v2
	v_ashrrev_i32_e32 v5, 31, v5
	v_add_u32_e32 v0, -1, v0
	v_add_u32_e32 v5, 32, v5
	v_min_u32_e32 v0, v0, v5
	v_lshlrev_b64 v[5:6], v0, v[1:2]
	v_sub_u32_e32 v0, 32, v0
	v_min_u32_e32 v5, 1, v5
	v_or_b32_e32 v5, v6, v5
	v_cvt_f32_i32_e32 v5, v5
	v_ldexp_f32 v0, v5, v0
	global_store_dword v[3:4], v0, off
.LBB207_133:
	s_mov_b64 s[8:9], 0
.LBB207_134:
	s_andn2_b64 vcc, exec, s[8:9]
	s_cbranch_vccnz .LBB207_136
; %bb.135:
	v_xor_b32_e32 v5, v1, v2
	v_ffbh_i32_e32 v0, v2
	v_ashrrev_i32_e32 v5, 31, v5
	v_add_u32_e32 v0, -1, v0
	v_add_u32_e32 v5, 32, v5
	v_min_u32_e32 v0, v0, v5
	v_lshlrev_b64 v[5:6], v0, v[1:2]
	v_sub_u32_e32 v0, 32, v0
	v_min_u32_e32 v5, 1, v5
	v_or_b32_e32 v5, v6, v5
	v_cvt_f32_i32_e32 v5, v5
	v_ldexp_f32 v0, v5, v0
	v_cvt_f16_f32_e32 v0, v0
	global_store_short v[3:4], v0, off
.LBB207_136:
	s_mov_b64 s[8:9], 0
.LBB207_137:
	s_andn2_b64 vcc, exec, s[8:9]
	s_cbranch_vccnz .LBB207_153
; %bb.138:
	s_cmp_lt_i32 s10, 2
	s_mov_b64 s[8:9], -1
	s_cbranch_scc1 .LBB207_148
; %bb.139:
	s_cmp_lt_i32 s10, 3
	s_cbranch_scc1 .LBB207_145
; %bb.140:
	s_cmp_gt_i32 s10, 3
	s_cbranch_scc0 .LBB207_142
; %bb.141:
	global_store_dwordx2 v[3:4], v[1:2], off
	s_mov_b64 s[8:9], 0
.LBB207_142:
	s_andn2_b64 vcc, exec, s[8:9]
	s_cbranch_vccnz .LBB207_144
; %bb.143:
	global_store_dword v[3:4], v1, off
.LBB207_144:
	s_mov_b64 s[8:9], 0
.LBB207_145:
	s_andn2_b64 vcc, exec, s[8:9]
	s_cbranch_vccnz .LBB207_147
; %bb.146:
	global_store_short v[3:4], v1, off
.LBB207_147:
	s_mov_b64 s[8:9], 0
.LBB207_148:
	s_andn2_b64 vcc, exec, s[8:9]
	s_cbranch_vccnz .LBB207_153
; %bb.149:
	s_cmp_gt_i32 s10, 0
	s_mov_b64 s[8:9], -1
	s_cbranch_scc0 .LBB207_151
; %bb.150:
	global_store_byte v[3:4], v1, off
	s_mov_b64 s[8:9], 0
.LBB207_151:
	s_andn2_b64 vcc, exec, s[8:9]
	s_cbranch_vccnz .LBB207_153
; %bb.152:
	global_store_byte v[3:4], v1, off
.LBB207_153:
.LBB207_154:
	v_add_u32_e32 v11, 0x80, v11
	s_mov_b64 s[8:9], -1
	s_branch .LBB207_261
.LBB207_155:
	s_mov_b64 s[2:3], -1
                                        ; implicit-def: $vgpr3_vgpr4
.LBB207_156:
	s_mov_b64 s[8:9], 0
.LBB207_157:
	s_and_b64 vcc, exec, s[8:9]
	s_cbranch_vccz .LBB207_161
; %bb.158:
	s_cmp_eq_u32 s10, 29
	s_cbranch_scc0 .LBB207_160
; %bb.159:
	global_load_dwordx2 v[3:4], v[1:2], off
	s_mov_b64 s[0:1], -1
	s_mov_b64 s[2:3], 0
	s_branch .LBB207_161
.LBB207_160:
	s_mov_b64 s[2:3], -1
                                        ; implicit-def: $vgpr3_vgpr4
.LBB207_161:
	s_mov_b64 s[8:9], 0
.LBB207_162:
	s_and_b64 vcc, exec, s[8:9]
	s_cbranch_vccz .LBB207_180
; %bb.163:
	s_cmp_lt_i32 s10, 27
	s_cbranch_scc1 .LBB207_166
; %bb.164:
	s_cmp_gt_i32 s10, 27
	s_cbranch_scc0 .LBB207_167
; %bb.165:
	global_load_dword v3, v[1:2], off
	s_waitcnt vmcnt(1)
	v_mov_b32_e32 v4, 0
	s_mov_b64 s[0:1], 0
	s_branch .LBB207_168
.LBB207_166:
	s_mov_b64 s[0:1], -1
                                        ; implicit-def: $vgpr3_vgpr4
	s_branch .LBB207_171
.LBB207_167:
	s_mov_b64 s[0:1], -1
                                        ; implicit-def: $vgpr3_vgpr4
.LBB207_168:
	s_andn2_b64 vcc, exec, s[0:1]
	s_cbranch_vccnz .LBB207_170
; %bb.169:
	global_load_ushort v3, v[1:2], off
	s_mov_b32 s0, 0
	s_waitcnt vmcnt(1)
	v_mov_b32_e32 v4, s0
	s_waitcnt vmcnt(0)
	v_and_b32_e32 v3, 0xffff, v3
.LBB207_170:
	s_mov_b64 s[0:1], 0
.LBB207_171:
	s_andn2_b64 vcc, exec, s[0:1]
	s_cbranch_vccnz .LBB207_179
; %bb.172:
	global_load_ubyte v5, v[1:2], off
	s_movk_i32 s0, 0x7f
	s_mov_b64 s[8:9], 0
	s_waitcnt vmcnt(0)
	v_cmp_lt_i16_e32 vcc, s0, v5
	s_and_saveexec_b64 s[0:1], vcc
	s_xor_b64 s[0:1], exec, s[0:1]
; %bb.173:
	s_movk_i32 s8, 0x80
	v_cmp_ne_u16_e32 vcc, s8, v5
	s_and_b64 s[8:9], vcc, exec
; %bb.174:
	s_andn2_saveexec_b64 s[0:1], s[0:1]
; %bb.175:
	v_cmp_ne_u16_e32 vcc, 0, v5
	s_andn2_b64 s[8:9], s[8:9], exec
	s_and_b64 s[12:13], vcc, exec
	s_or_b64 s[8:9], s[8:9], s[12:13]
; %bb.176:
	s_or_b64 exec, exec, s[0:1]
	v_mov_b32_e32 v3, 0
	v_mov_b32_e32 v4, 0
	s_and_saveexec_b64 s[0:1], s[8:9]
	s_cbranch_execz .LBB207_178
; %bb.177:
	v_and_b32_e32 v4, 0xffff, v5
	v_lshlrev_b32_e32 v3, 24, v5
	v_and_b32_e32 v5, 7, v4
	v_ffbh_u32_e32 v7, v5
	v_min_u32_e32 v7, 32, v7
	v_subrev_u32_e32 v8, 28, v7
	v_bfe_u32 v6, v4, 3, 4
	v_lshlrev_b32_e32 v4, v8, v4
	v_sub_u32_e32 v7, 29, v7
	v_and_b32_e32 v4, 7, v4
	v_cmp_eq_u32_e32 vcc, 0, v6
	v_cndmask_b32_e32 v6, v6, v7, vcc
	v_cndmask_b32_e32 v4, v5, v4, vcc
	v_mov_b32_e32 v5, 0x3b800000
	v_lshlrev_b32_e32 v4, 20, v4
	v_and_b32_e32 v3, 0x80000000, v3
	v_lshl_add_u32 v5, v6, 23, v5
	v_or3_b32 v3, v3, v5, v4
	v_trunc_f32_e32 v3, v3
	s_mov_b32 s8, 0x2f800000
	v_mul_f32_e64 v4, |v3|, s8
	v_floor_f32_e32 v4, v4
	s_mov_b32 s8, 0xcf800000
	v_fma_f32 v5, v4, s8, |v3|
	v_cvt_u32_f32_e32 v5, v5
	v_cvt_u32_f32_e32 v4, v4
	v_ashrrev_i32_e32 v6, 31, v3
	v_xor_b32_e32 v3, v5, v6
	v_xor_b32_e32 v4, v4, v6
	v_sub_co_u32_e32 v3, vcc, v3, v6
	v_subb_co_u32_e32 v4, vcc, v4, v6, vcc
.LBB207_178:
	s_or_b64 exec, exec, s[0:1]
.LBB207_179:
	s_mov_b64 s[0:1], -1
.LBB207_180:
	s_branch .LBB207_211
.LBB207_181:
	s_cmp_gt_i32 s10, 22
	s_cbranch_scc0 .LBB207_191
; %bb.182:
	s_cmp_lt_i32 s10, 24
	s_cbranch_scc1 .LBB207_192
; %bb.183:
	s_cmp_gt_i32 s10, 24
	s_cbranch_scc0 .LBB207_193
; %bb.184:
	global_load_ubyte v5, v[1:2], off
	s_movk_i32 s0, 0x7f
	s_mov_b64 s[8:9], 0
	s_waitcnt vmcnt(0)
	v_cmp_lt_i16_e32 vcc, s0, v5
	s_and_saveexec_b64 s[0:1], vcc
	s_xor_b64 s[0:1], exec, s[0:1]
; %bb.185:
	s_movk_i32 s8, 0x80
	v_cmp_ne_u16_e32 vcc, s8, v5
	s_and_b64 s[8:9], vcc, exec
; %bb.186:
	s_andn2_saveexec_b64 s[0:1], s[0:1]
; %bb.187:
	v_cmp_ne_u16_e32 vcc, 0, v5
	s_andn2_b64 s[8:9], s[8:9], exec
	s_and_b64 s[12:13], vcc, exec
	s_or_b64 s[8:9], s[8:9], s[12:13]
; %bb.188:
	s_or_b64 exec, exec, s[0:1]
	v_mov_b32_e32 v3, 0
	v_mov_b32_e32 v4, 0
	s_and_saveexec_b64 s[0:1], s[8:9]
	s_cbranch_execz .LBB207_190
; %bb.189:
	v_and_b32_e32 v4, 0xffff, v5
	v_lshlrev_b32_e32 v3, 24, v5
	v_and_b32_e32 v5, 3, v4
	v_ffbh_u32_e32 v7, v5
	v_min_u32_e32 v7, 32, v7
	v_subrev_u32_e32 v8, 29, v7
	v_bfe_u32 v6, v4, 2, 5
	v_lshlrev_b32_e32 v4, v8, v4
	v_sub_u32_e32 v7, 30, v7
	v_and_b32_e32 v4, 3, v4
	v_cmp_eq_u32_e32 vcc, 0, v6
	v_cndmask_b32_e32 v6, v6, v7, vcc
	v_cndmask_b32_e32 v4, v5, v4, vcc
	v_mov_b32_e32 v5, 0x37800000
	v_lshlrev_b32_e32 v4, 21, v4
	v_and_b32_e32 v3, 0x80000000, v3
	v_lshl_add_u32 v5, v6, 23, v5
	v_or3_b32 v3, v3, v5, v4
	v_trunc_f32_e32 v3, v3
	s_mov_b32 s8, 0x2f800000
	v_mul_f32_e64 v4, |v3|, s8
	v_floor_f32_e32 v4, v4
	s_mov_b32 s8, 0xcf800000
	v_fma_f32 v5, v4, s8, |v3|
	v_cvt_u32_f32_e32 v5, v5
	v_cvt_u32_f32_e32 v4, v4
	v_ashrrev_i32_e32 v6, 31, v3
	v_xor_b32_e32 v3, v5, v6
	v_xor_b32_e32 v4, v4, v6
	v_sub_co_u32_e32 v3, vcc, v3, v6
	v_subb_co_u32_e32 v4, vcc, v4, v6, vcc
.LBB207_190:
	s_or_b64 exec, exec, s[0:1]
	s_mov_b64 s[0:1], 0
	s_branch .LBB207_194
.LBB207_191:
	s_mov_b64 s[8:9], -1
                                        ; implicit-def: $vgpr3_vgpr4
	s_branch .LBB207_200
.LBB207_192:
	s_mov_b64 s[0:1], -1
                                        ; implicit-def: $vgpr3_vgpr4
	s_branch .LBB207_197
.LBB207_193:
	s_mov_b64 s[0:1], -1
                                        ; implicit-def: $vgpr3_vgpr4
.LBB207_194:
	s_and_b64 vcc, exec, s[0:1]
	s_cbranch_vccz .LBB207_196
; %bb.195:
	global_load_ubyte v3, v[1:2], off
	s_mov_b32 s0, 0x7f800000
	s_brev_b32 s1, 1
	s_mov_b32 s8, 0x2f800000
	s_mov_b32 s9, 0xcf800000
	s_waitcnt vmcnt(0)
	v_lshlrev_b32_e32 v3, 24, v3
	v_and_b32_e32 v4, 0x7f000000, v3
	v_ffbh_u32_e32 v5, v4
	v_min_u32_e32 v5, 32, v5
	v_sub_u32_e64 v5, v5, 4 clamp
	v_lshlrev_b32_e32 v7, v5, v4
	v_lshlrev_b32_e32 v5, 23, v5
	v_lshrrev_b32_e32 v7, 4, v7
	v_add_u32_e32 v6, 0x1000000, v4
	v_sub_u32_e32 v5, v7, v5
	v_ashrrev_i32_e32 v6, 8, v6
	v_add_u32_e32 v5, 0x3c000000, v5
	v_and_or_b32 v5, v6, s0, v5
	v_cmp_ne_u32_e32 vcc, 0, v4
	v_cndmask_b32_e32 v4, 0, v5, vcc
	v_and_or_b32 v3, v3, s1, v4
	v_trunc_f32_e32 v3, v3
	v_mul_f32_e64 v4, |v3|, s8
	v_floor_f32_e32 v4, v4
	v_fma_f32 v5, v4, s9, |v3|
	v_cvt_u32_f32_e32 v5, v5
	v_cvt_u32_f32_e32 v4, v4
	v_ashrrev_i32_e32 v6, 31, v3
	v_xor_b32_e32 v3, v5, v6
	v_xor_b32_e32 v4, v4, v6
	v_sub_co_u32_e32 v3, vcc, v3, v6
	v_subb_co_u32_e32 v4, vcc, v4, v6, vcc
.LBB207_196:
	s_mov_b64 s[0:1], 0
.LBB207_197:
	s_andn2_b64 vcc, exec, s[0:1]
	s_cbranch_vccnz .LBB207_199
; %bb.198:
	global_load_ubyte v3, v[1:2], off
	s_movk_i32 s0, 0x7f00
	s_brev_b32 s1, 16
	s_brev_b32 s8, 1
	s_mov_b32 s9, 0x2f800000
	s_mov_b32 s11, 0xcf800000
	s_waitcnt vmcnt(0)
	v_lshlrev_b16_e32 v4, 8, v3
	v_lshlrev_b32_e32 v3, 25, v3
	v_lshrrev_b32_e32 v5, 4, v3
	v_and_or_b32 v6, v4, s0, 0.5
	v_or_b32_e32 v5, 0x70000000, v5
	v_add_f32_e32 v6, -0.5, v6
	v_mul_f32_e32 v5, 0x7800000, v5
	v_cmp_gt_u32_e32 vcc, s1, v3
	v_bfe_i32 v4, v4, 0, 16
	v_cndmask_b32_e32 v3, v5, v6, vcc
	v_and_or_b32 v3, v4, s8, v3
	v_trunc_f32_e32 v3, v3
	v_mul_f32_e64 v4, |v3|, s9
	v_floor_f32_e32 v4, v4
	v_fma_f32 v5, v4, s11, |v3|
	v_cvt_u32_f32_e32 v5, v5
	v_cvt_u32_f32_e32 v4, v4
	v_ashrrev_i32_e32 v6, 31, v3
	v_xor_b32_e32 v3, v5, v6
	v_xor_b32_e32 v4, v4, v6
	v_sub_co_u32_e32 v3, vcc, v3, v6
	v_subb_co_u32_e32 v4, vcc, v4, v6, vcc
.LBB207_199:
	s_mov_b64 s[8:9], 0
	s_mov_b64 s[0:1], -1
.LBB207_200:
	s_andn2_b64 vcc, exec, s[8:9]
	s_cbranch_vccnz .LBB207_211
; %bb.201:
	s_cmp_gt_i32 s10, 14
	s_cbranch_scc0 .LBB207_204
; %bb.202:
	s_cmp_eq_u32 s10, 15
	s_cbranch_scc0 .LBB207_205
; %bb.203:
	global_load_ushort v3, v[1:2], off
	s_mov_b32 s0, 0x2f800000
	s_mov_b32 s1, 0xcf800000
	s_mov_b64 s[2:3], 0
	s_waitcnt vmcnt(0)
	v_lshlrev_b32_e32 v3, 16, v3
	v_trunc_f32_e32 v3, v3
	v_mul_f32_e64 v4, |v3|, s0
	v_floor_f32_e32 v4, v4
	v_fma_f32 v5, v4, s1, |v3|
	v_cvt_u32_f32_e32 v5, v5
	v_cvt_u32_f32_e32 v4, v4
	v_ashrrev_i32_e32 v6, 31, v3
	s_mov_b64 s[0:1], -1
	v_xor_b32_e32 v3, v5, v6
	v_xor_b32_e32 v4, v4, v6
	v_sub_co_u32_e32 v3, vcc, v3, v6
	v_subb_co_u32_e32 v4, vcc, v4, v6, vcc
	s_branch .LBB207_206
.LBB207_204:
	s_mov_b64 s[8:9], -1
                                        ; implicit-def: $vgpr3_vgpr4
	s_branch .LBB207_207
.LBB207_205:
	s_mov_b64 s[2:3], -1
                                        ; implicit-def: $vgpr3_vgpr4
.LBB207_206:
	s_mov_b64 s[8:9], 0
.LBB207_207:
	s_and_b64 vcc, exec, s[8:9]
	s_cbranch_vccz .LBB207_211
; %bb.208:
	s_cmp_eq_u32 s10, 11
	s_cbranch_scc0 .LBB207_210
; %bb.209:
	global_load_ubyte v3, v[1:2], off
	s_mov_b32 s2, 0
	s_mov_b64 s[0:1], -1
	s_waitcnt vmcnt(1)
	v_mov_b32_e32 v4, s2
	s_mov_b64 s[2:3], 0
	s_waitcnt vmcnt(0)
	v_cmp_ne_u16_e32 vcc, 0, v3
	v_cndmask_b32_e64 v3, 0, 1, vcc
	s_branch .LBB207_211
.LBB207_210:
	s_mov_b64 s[2:3], -1
                                        ; implicit-def: $vgpr3_vgpr4
.LBB207_211:
	s_branch .LBB207_24
.LBB207_212:
	s_cmp_lt_i32 s10, 5
	s_cbranch_scc1 .LBB207_217
; %bb.213:
	s_cmp_lt_i32 s10, 8
	s_cbranch_scc1 .LBB207_218
; %bb.214:
	;; [unrolled: 3-line block ×3, first 2 shown]
	s_cmp_gt_i32 s10, 9
	s_cbranch_scc0 .LBB207_220
; %bb.216:
	global_load_dwordx2 v[3:4], v[1:2], off
	s_movk_i32 s0, 0xffe0
	s_waitcnt vmcnt(0)
	v_trunc_f64_e32 v[3:4], v[3:4]
	v_ldexp_f64 v[5:6], v[3:4], s0
	s_mov_b32 s0, 0
	s_mov_b32 s1, 0xc1f00000
	v_floor_f64_e32 v[5:6], v[5:6]
	v_fma_f64 v[7:8], v[5:6], s[0:1], v[3:4]
	v_cvt_i32_f64_e32 v4, v[5:6]
	s_mov_b64 s[0:1], 0
	v_cvt_u32_f64_e32 v3, v[7:8]
	s_branch .LBB207_221
.LBB207_217:
                                        ; implicit-def: $vgpr3_vgpr4
	s_branch .LBB207_239
.LBB207_218:
	s_mov_b64 s[0:1], -1
                                        ; implicit-def: $vgpr3_vgpr4
	s_branch .LBB207_227
.LBB207_219:
	s_mov_b64 s[0:1], -1
                                        ; implicit-def: $vgpr3_vgpr4
	s_branch .LBB207_224
.LBB207_220:
	s_mov_b64 s[0:1], -1
                                        ; implicit-def: $vgpr3_vgpr4
.LBB207_221:
	s_andn2_b64 vcc, exec, s[0:1]
	s_cbranch_vccnz .LBB207_223
; %bb.222:
	global_load_dword v3, v[1:2], off
	s_mov_b32 s0, 0x2f800000
	s_mov_b32 s1, 0xcf800000
	s_waitcnt vmcnt(0)
	v_trunc_f32_e32 v3, v3
	v_mul_f32_e64 v4, |v3|, s0
	v_floor_f32_e32 v4, v4
	v_cvt_u32_f32_e32 v5, v4
	v_fma_f32 v4, v4, s1, |v3|
	v_cvt_u32_f32_e32 v4, v4
	v_ashrrev_i32_e32 v6, 31, v3
	v_xor_b32_e32 v5, v5, v6
	v_xor_b32_e32 v3, v4, v6
	v_sub_co_u32_e32 v3, vcc, v3, v6
	v_subb_co_u32_e32 v4, vcc, v5, v6, vcc
.LBB207_223:
	s_mov_b64 s[0:1], 0
.LBB207_224:
	s_andn2_b64 vcc, exec, s[0:1]
	s_cbranch_vccnz .LBB207_226
; %bb.225:
	global_load_dword v3, v[1:2], off
	s_waitcnt vmcnt(0)
	v_cvt_f32_f16_e32 v3, v3
	v_cvt_i32_f32_e32 v3, v3
	v_ashrrev_i32_e32 v4, 31, v3
.LBB207_226:
	s_mov_b64 s[0:1], 0
.LBB207_227:
	s_andn2_b64 vcc, exec, s[0:1]
	s_cbranch_vccnz .LBB207_238
; %bb.228:
	s_cmp_lt_i32 s10, 6
	s_cbranch_scc1 .LBB207_231
; %bb.229:
	s_cmp_gt_i32 s10, 6
	s_cbranch_scc0 .LBB207_232
; %bb.230:
	global_load_dwordx2 v[3:4], v[1:2], off
	s_movk_i32 s0, 0xffe0
	s_waitcnt vmcnt(0)
	v_trunc_f64_e32 v[3:4], v[3:4]
	v_ldexp_f64 v[5:6], v[3:4], s0
	s_mov_b32 s0, 0
	s_mov_b32 s1, 0xc1f00000
	v_floor_f64_e32 v[5:6], v[5:6]
	v_fma_f64 v[7:8], v[5:6], s[0:1], v[3:4]
	v_cvt_i32_f64_e32 v4, v[5:6]
	s_mov_b64 s[0:1], 0
	v_cvt_u32_f64_e32 v3, v[7:8]
	s_branch .LBB207_233
.LBB207_231:
	s_mov_b64 s[0:1], -1
                                        ; implicit-def: $vgpr3_vgpr4
	s_branch .LBB207_236
.LBB207_232:
	s_mov_b64 s[0:1], -1
                                        ; implicit-def: $vgpr3_vgpr4
.LBB207_233:
	s_andn2_b64 vcc, exec, s[0:1]
	s_cbranch_vccnz .LBB207_235
; %bb.234:
	global_load_dword v3, v[1:2], off
	s_mov_b32 s0, 0x2f800000
	s_mov_b32 s1, 0xcf800000
	s_waitcnt vmcnt(0)
	v_trunc_f32_e32 v3, v3
	v_mul_f32_e64 v4, |v3|, s0
	v_floor_f32_e32 v4, v4
	v_cvt_u32_f32_e32 v5, v4
	v_fma_f32 v4, v4, s1, |v3|
	v_cvt_u32_f32_e32 v4, v4
	v_ashrrev_i32_e32 v6, 31, v3
	v_xor_b32_e32 v5, v5, v6
	v_xor_b32_e32 v3, v4, v6
	v_sub_co_u32_e32 v3, vcc, v3, v6
	v_subb_co_u32_e32 v4, vcc, v5, v6, vcc
.LBB207_235:
	s_mov_b64 s[0:1], 0
.LBB207_236:
	s_andn2_b64 vcc, exec, s[0:1]
	s_cbranch_vccnz .LBB207_238
; %bb.237:
	global_load_ushort v3, v[1:2], off
	s_waitcnt vmcnt(0)
	v_cvt_f32_f16_e32 v3, v3
	v_cvt_i32_f32_e32 v3, v3
	v_ashrrev_i32_e32 v4, 31, v3
.LBB207_238:
	s_cbranch_execnz .LBB207_258
.LBB207_239:
	s_cmp_lt_i32 s10, 2
	s_cbranch_scc1 .LBB207_243
; %bb.240:
	s_cmp_lt_i32 s10, 3
	s_cbranch_scc1 .LBB207_244
; %bb.241:
	s_cmp_gt_i32 s10, 3
	s_cbranch_scc0 .LBB207_245
; %bb.242:
	global_load_dwordx2 v[3:4], v[1:2], off
	s_mov_b64 s[0:1], 0
	s_branch .LBB207_246
.LBB207_243:
	s_mov_b64 s[0:1], -1
                                        ; implicit-def: $vgpr3_vgpr4
	s_branch .LBB207_252
.LBB207_244:
	s_mov_b64 s[0:1], -1
                                        ; implicit-def: $vgpr3_vgpr4
	s_branch .LBB207_249
.LBB207_245:
	s_mov_b64 s[0:1], -1
                                        ; implicit-def: $vgpr3_vgpr4
.LBB207_246:
	s_andn2_b64 vcc, exec, s[0:1]
	s_cbranch_vccnz .LBB207_248
; %bb.247:
	global_load_dword v3, v[1:2], off
	s_waitcnt vmcnt(0)
	v_ashrrev_i32_e32 v4, 31, v3
.LBB207_248:
	s_mov_b64 s[0:1], 0
.LBB207_249:
	s_andn2_b64 vcc, exec, s[0:1]
	s_cbranch_vccnz .LBB207_251
; %bb.250:
	global_load_ushort v3, v[1:2], off
	s_waitcnt vmcnt(0)
	v_bfe_i32 v3, v3, 0, 16
	v_ashrrev_i32_e32 v4, 31, v3
.LBB207_251:
	s_mov_b64 s[0:1], 0
.LBB207_252:
	s_andn2_b64 vcc, exec, s[0:1]
	s_cbranch_vccnz .LBB207_258
; %bb.253:
	s_cmp_gt_i32 s10, 0
	s_cbranch_scc0 .LBB207_255
; %bb.254:
	global_load_sbyte v3, v[1:2], off
	s_mov_b64 s[0:1], 0
	s_waitcnt vmcnt(0)
	v_bfe_i32 v3, v3, 0, 16
	v_ashrrev_i32_e32 v4, 31, v3
	s_branch .LBB207_256
.LBB207_255:
	s_mov_b64 s[0:1], -1
                                        ; implicit-def: $vgpr3_vgpr4
.LBB207_256:
	s_andn2_b64 vcc, exec, s[0:1]
	s_cbranch_vccnz .LBB207_258
; %bb.257:
	global_load_ubyte v1, v[1:2], off
	s_mov_b32 s0, 0
	s_waitcnt vmcnt(1)
	v_mov_b32_e32 v4, s0
	s_waitcnt vmcnt(0)
	v_and_b32_e32 v3, 0xffff, v1
.LBB207_258:
	s_branch .LBB207_25
.LBB207_259:
	s_mov_b64 s[0:1], 0
.LBB207_260:
	s_mov_b64 s[8:9], 0
                                        ; implicit-def: $vgpr11
.LBB207_261:
	s_and_b64 s[52:53], s[0:1], exec
	s_and_b64 s[54:55], s[2:3], exec
	s_orn2_b64 s[2:3], s[8:9], exec
.LBB207_262:
	s_or_b64 exec, exec, s[56:57]
	s_mov_b64 s[10:11], 0
	s_mov_b64 s[0:1], 0
                                        ; implicit-def: $vgpr1_vgpr2
                                        ; implicit-def: $vgpr0
                                        ; implicit-def: $vgpr5_vgpr6
	s_and_saveexec_b64 s[56:57], s[2:3]
	s_cbranch_execz .LBB207_269
; %bb.263:
	v_cmp_gt_i32_e32 vcc, s70, v11
	s_mov_b64 s[0:1], -1
	s_mov_b64 s[58:59], s[54:55]
	s_mov_b64 s[60:61], s[52:53]
	s_and_saveexec_b64 s[62:63], vcc
	s_cbranch_execz .LBB207_534
; %bb.264:
	s_andn2_b64 vcc, exec, s[40:41]
	s_cbranch_vccnz .LBB207_272
; %bb.265:
	s_andn2_b64 vcc, exec, s[50:51]
	s_cbranch_vccnz .LBB207_273
; %bb.266:
	s_add_i32 s65, s76, 1
	s_cmp_eq_u32 s72, 2
	s_cbranch_scc1 .LBB207_274
; %bb.267:
	s_and_b32 s64, s65, 28
	v_mov_b32_e32 v2, 0
	s_mov_b32 s66, 0
	s_mov_b64 s[58:59], s[34:35]
	s_mov_b64 s[60:61], s[48:49]
	v_mov_b32_e32 v0, 0
	v_mov_b32_e32 v1, v11
.LBB207_268:                            ; =>This Inner Loop Header: Depth=1
	s_load_dwordx8 s[16:23], s[58:59], 0x4
	s_load_dwordx4 s[0:3], s[58:59], 0x24
	s_load_dwordx8 s[8:15], s[60:61], 0x0
	s_add_u32 s58, s58, 48
	s_addc_u32 s59, s59, 0
	s_waitcnt vmcnt(0) lgkmcnt(0)
	v_mul_hi_u32 v3, s17, v1
	s_add_i32 s66, s66, 4
	s_add_u32 s60, s60, 32
	s_addc_u32 s61, s61, 0
	v_add_u32_e32 v3, v1, v3
	v_lshrrev_b32_e32 v3, s18, v3
	v_mul_lo_u32 v4, v3, s16
	v_mul_hi_u32 v5, s20, v3
	s_cmp_eq_u32 s64, s66
	v_sub_u32_e32 v1, v1, v4
	v_add_u32_e32 v4, v3, v5
	v_mul_lo_u32 v5, v1, s8
	v_mul_lo_u32 v6, v1, s9
	v_lshrrev_b32_e32 v1, s21, v4
	v_mul_lo_u32 v4, v1, s19
	v_mul_hi_u32 v7, s23, v1
	v_sub_u32_e32 v3, v3, v4
	v_add_u32_e32 v4, v1, v7
	v_lshrrev_b32_e32 v4, s0, v4
	v_mul_hi_u32 v8, s2, v4
	v_mul_lo_u32 v9, v4, s22
	v_mul_lo_u32 v7, v3, s10
	;; [unrolled: 1-line block ×3, first 2 shown]
	v_sub_u32_e32 v9, v1, v9
	v_add_u32_e32 v1, v4, v8
	v_lshrrev_b32_e32 v1, s3, v1
	v_mul_lo_u32 v8, v1, s1
	v_mul_lo_u32 v10, v9, s12
	;; [unrolled: 1-line block ×3, first 2 shown]
	v_add3_u32 v0, v5, v0, v7
	v_sub_u32_e32 v4, v4, v8
	v_mul_lo_u32 v8, v4, s14
	v_mul_lo_u32 v4, v4, s15
	v_add3_u32 v2, v6, v2, v3
	v_add3_u32 v0, v10, v0, v8
	;; [unrolled: 1-line block ×3, first 2 shown]
	s_cbranch_scc0 .LBB207_268
	s_branch .LBB207_275
.LBB207_269:
	s_or_b64 exec, exec, s[56:57]
	s_mov_b64 s[2:3], 0
	s_and_saveexec_b64 s[8:9], s[54:55]
	s_cbranch_execnz .LBB207_902
.LBB207_270:
	s_or_b64 exec, exec, s[8:9]
	s_and_saveexec_b64 s[8:9], s[60:61]
	s_xor_b64 s[8:9], exec, s[8:9]
	s_cbranch_execz .LBB207_903
.LBB207_271:
	global_load_ubyte v3, v[1:2], off
	s_mov_b32 s12, 0
	s_waitcnt vmcnt(1)
	v_mov_b32_e32 v6, s12
	s_or_b64 s[0:1], s[0:1], exec
	s_waitcnt vmcnt(0)
	v_cmp_ne_u16_e32 vcc, 0, v3
	v_cndmask_b32_e64 v5, 0, 1, vcc
	s_or_b64 exec, exec, s[8:9]
	s_and_saveexec_b64 s[8:9], s[10:11]
	s_cbranch_execz .LBB207_949
	s_branch .LBB207_904
.LBB207_272:
                                        ; implicit-def: $vgpr0
                                        ; implicit-def: $vgpr2
	s_andn2_b64 vcc, exec, s[0:1]
	s_cbranch_vccz .LBB207_279
	s_branch .LBB207_281
.LBB207_273:
	v_mov_b32_e32 v0, 0
	v_mov_b32_e32 v2, 0
	s_branch .LBB207_278
.LBB207_274:
	s_mov_b32 s64, 0
	v_mov_b32_e32 v0, 0
	v_mov_b32_e32 v2, 0
	;; [unrolled: 1-line block ×3, first 2 shown]
.LBB207_275:
	s_and_b32 s8, s65, 3
	s_cmp_eq_u32 s8, 0
	s_cbranch_scc1 .LBB207_278
; %bb.276:
	s_lshl_b32 s0, s64, 3
	s_add_u32 s0, s34, s0
	s_addc_u32 s1, s35, 0
	s_add_u32 s0, s0, 0xc4
	s_addc_u32 s1, s1, 0
	s_mul_i32 s2, s64, 12
	s_add_u32 s2, s34, s2
	s_addc_u32 s3, s35, 0
.LBB207_277:                            ; =>This Inner Loop Header: Depth=1
	s_load_dwordx2 s[10:11], s[2:3], 0x4
	s_load_dword s9, s[2:3], 0xc
	s_load_dwordx2 s[12:13], s[0:1], 0x0
	s_add_u32 s2, s2, 12
	s_addc_u32 s3, s3, 0
	s_waitcnt vmcnt(0) lgkmcnt(0)
	v_mul_hi_u32 v3, s11, v1
	s_add_u32 s0, s0, 8
	s_addc_u32 s1, s1, 0
	s_add_i32 s8, s8, -1
	v_add_u32_e32 v3, v1, v3
	v_lshrrev_b32_e32 v4, s9, v3
	v_mul_lo_u32 v3, v4, s10
	s_cmp_lg_u32 s8, 0
	v_sub_u32_e32 v3, v1, v3
	v_mad_u64_u32 v[0:1], s[10:11], v3, s12, v[0:1]
	v_mad_u64_u32 v[2:3], s[10:11], v3, s13, v[2:3]
	v_mov_b32_e32 v1, v4
	s_cbranch_scc1 .LBB207_277
.LBB207_278:
	s_cbranch_execnz .LBB207_281
.LBB207_279:
	v_mul_hi_u32 v0, s29, v11
	s_andn2_b64 vcc, exec, s[46:47]
	v_add_u32_e32 v0, v11, v0
	v_lshrrev_b32_e32 v1, s30, v0
	v_mul_lo_u32 v0, v1, s28
	v_sub_u32_e32 v2, v11, v0
	v_mul_lo_u32 v0, v2, s36
	v_mul_lo_u32 v2, v2, s37
	s_cbranch_vccnz .LBB207_281
; %bb.280:
	s_waitcnt vmcnt(0)
	v_mul_hi_u32 v3, s44, v1
	v_add_u32_e32 v3, v1, v3
	v_lshrrev_b32_e32 v3, s45, v3
	v_mul_lo_u32 v3, v3, s31
	v_sub_u32_e32 v3, v1, v3
	v_mad_u64_u32 v[0:1], s[0:1], v3, s38, v[0:1]
	v_mad_u64_u32 v[2:3], s[0:1], v3, s39, v[2:3]
.LBB207_281:
	s_waitcnt vmcnt(0)
	v_mov_b32_e32 v3, s27
	s_and_b32 s10, 0xffff, s75
	v_add_co_u32_e32 v1, vcc, s26, v2
	s_cmp_lt_i32 s10, 11
	v_addc_co_u32_e32 v2, vcc, 0, v3, vcc
	s_cbranch_scc1 .LBB207_288
; %bb.282:
	s_cmp_gt_i32 s10, 25
	s_cbranch_scc0 .LBB207_297
; %bb.283:
	s_cmp_gt_i32 s10, 28
	s_cbranch_scc0 .LBB207_299
	;; [unrolled: 3-line block ×4, first 2 shown]
; %bb.286:
	s_cmp_eq_u32 s10, 46
	s_mov_b64 s[8:9], 0
	s_cbranch_scc0 .LBB207_309
; %bb.287:
	global_load_dword v3, v[1:2], off
	s_mov_b32 s0, 0x2f800000
	s_mov_b32 s1, 0xcf800000
	s_mov_b64 s[2:3], 0
	s_waitcnt vmcnt(0)
	v_lshlrev_b32_e32 v3, 16, v3
	v_trunc_f32_e32 v3, v3
	v_mul_f32_e64 v4, |v3|, s0
	v_floor_f32_e32 v4, v4
	v_fma_f32 v5, v4, s1, |v3|
	v_cvt_u32_f32_e32 v5, v5
	v_cvt_u32_f32_e32 v4, v4
	v_ashrrev_i32_e32 v6, 31, v3
	s_mov_b64 s[0:1], -1
	v_xor_b32_e32 v3, v5, v6
	v_xor_b32_e32 v4, v4, v6
	v_sub_co_u32_e32 v3, vcc, v3, v6
	v_subb_co_u32_e32 v4, vcc, v4, v6, vcc
	s_branch .LBB207_310
.LBB207_288:
	s_mov_b64 s[0:1], 0
                                        ; implicit-def: $vgpr3_vgpr4
	s_mov_b64 s[2:3], s[54:55]
	s_cbranch_execnz .LBB207_483
.LBB207_289:
	s_andn2_b64 vcc, exec, s[0:1]
	s_cbranch_vccnz .LBB207_531
.LBB207_290:
	s_waitcnt vmcnt(0)
	v_ashrrev_i64 v[1:2], s74, v[3:4]
	v_mov_b32_e32 v4, s25
	s_and_b32 s14, s73, 0xff
	v_add_co_u32_e32 v3, vcc, s24, v0
	s_cmp_lt_i32 s14, 11
	v_addc_co_u32_e32 v4, vcc, 0, v4, vcc
	s_cbranch_scc1 .LBB207_298
; %bb.291:
	s_and_b32 s15, 0xffff, s14
	s_cmp_gt_i32 s15, 25
	s_cbranch_scc0 .LBB207_300
; %bb.292:
	s_cmp_gt_i32 s15, 28
	s_cbranch_scc0 .LBB207_302
; %bb.293:
	;; [unrolled: 3-line block ×4, first 2 shown]
	s_mov_b64 s[10:11], 0
	s_mov_b64 s[0:1], -1
	s_cmp_eq_u32 s15, 46
	s_mov_b64 s[8:9], 0
	s_cbranch_scc0 .LBB207_314
; %bb.296:
	v_xor_b32_e32 v5, v1, v2
	v_ffbh_i32_e32 v0, v2
	v_ashrrev_i32_e32 v5, 31, v5
	v_add_u32_e32 v0, -1, v0
	v_add_u32_e32 v5, 32, v5
	v_min_u32_e32 v0, v0, v5
	v_lshlrev_b64 v[5:6], v0, v[1:2]
	v_sub_u32_e32 v0, 32, v0
	v_min_u32_e32 v5, 1, v5
	v_or_b32_e32 v5, v6, v5
	v_cvt_f32_i32_e32 v5, v5
	s_movk_i32 s0, 0x7fff
	s_mov_b64 s[8:9], -1
	v_ldexp_f32 v0, v5, v0
	v_bfe_u32 v5, v0, 16, 1
	v_add3_u32 v0, v0, v5, s0
	v_lshrrev_b32_e32 v0, 16, v0
	global_store_dword v[3:4], v0, off
	s_mov_b64 s[0:1], 0
	s_branch .LBB207_314
.LBB207_297:
	s_mov_b64 s[8:9], -1
	s_mov_b64 s[0:1], 0
	s_mov_b64 s[2:3], s[54:55]
                                        ; implicit-def: $vgpr3_vgpr4
	s_branch .LBB207_451
.LBB207_298:
	s_mov_b64 s[10:11], -1
	s_mov_b64 s[8:9], 0
	s_mov_b64 s[0:1], s[52:53]
	s_branch .LBB207_383
.LBB207_299:
	s_mov_b64 s[8:9], -1
	s_mov_b64 s[0:1], 0
	s_mov_b64 s[2:3], s[54:55]
                                        ; implicit-def: $vgpr3_vgpr4
	s_branch .LBB207_432
.LBB207_300:
	s_mov_b64 s[10:11], -1
	s_mov_b64 s[8:9], 0
	s_mov_b64 s[0:1], s[52:53]
	s_branch .LBB207_341
.LBB207_301:
	s_mov_b64 s[8:9], -1
	s_mov_b64 s[0:1], 0
	s_mov_b64 s[2:3], s[54:55]
                                        ; implicit-def: $vgpr3_vgpr4
	s_branch .LBB207_427
.LBB207_302:
	s_mov_b64 s[10:11], -1
	s_mov_b64 s[8:9], 0
	s_mov_b64 s[0:1], s[52:53]
	s_branch .LBB207_324
.LBB207_303:
	s_andn2_saveexec_b64 s[12:13], s[12:13]
	s_cbranch_execz .LBB207_68
.LBB207_304:
	s_mov_b32 s16, 0x46000000
	v_add_f32_e64 v5, |v0|, s16
	v_and_b32_e32 v5, 0xff, v5
	v_cmp_ne_u32_e32 vcc, 0, v5
	s_andn2_b64 s[10:11], s[10:11], exec
	s_and_b64 s[16:17], vcc, exec
	s_or_b64 s[10:11], s[10:11], s[16:17]
	s_or_b64 exec, exec, s[12:13]
	v_mov_b32_e32 v6, 0
	s_and_saveexec_b64 s[12:13], s[10:11]
	s_cbranch_execnz .LBB207_69
	s_branch .LBB207_70
.LBB207_305:
	s_mov_b64 s[8:9], -1
	s_mov_b64 s[0:1], 0
	s_mov_b64 s[2:3], s[54:55]
                                        ; implicit-def: $vgpr3_vgpr4
	s_branch .LBB207_310
.LBB207_306:
	s_mov_b64 s[10:11], -1
	s_mov_b64 s[8:9], 0
	s_mov_b64 s[0:1], s[52:53]
	s_branch .LBB207_320
.LBB207_307:
	s_andn2_saveexec_b64 s[12:13], s[12:13]
	s_cbranch_execz .LBB207_81
.LBB207_308:
	s_mov_b32 s16, 0x42800000
	v_add_f32_e64 v5, |v0|, s16
	v_and_b32_e32 v5, 0xff, v5
	v_cmp_ne_u32_e32 vcc, 0, v5
	s_andn2_b64 s[10:11], s[10:11], exec
	s_and_b64 s[16:17], vcc, exec
	s_or_b64 s[10:11], s[10:11], s[16:17]
	s_or_b64 exec, exec, s[12:13]
	v_mov_b32_e32 v6, 0
	s_and_saveexec_b64 s[12:13], s[10:11]
	s_cbranch_execnz .LBB207_82
	s_branch .LBB207_83
.LBB207_309:
	s_mov_b64 s[2:3], -1
                                        ; implicit-def: $vgpr3_vgpr4
	s_mov_b64 s[0:1], 0
.LBB207_310:
	s_and_b64 vcc, exec, s[8:9]
	s_cbranch_vccz .LBB207_426
; %bb.311:
	s_cmp_eq_u32 s10, 44
	s_cbranch_scc0 .LBB207_425
; %bb.312:
	global_load_ubyte v3, v[1:2], off
	s_mov_b32 s0, 0x2f800000
	s_mov_b32 s1, 0xcf800000
	s_mov_b64 s[2:3], 0
	s_waitcnt vmcnt(0)
	v_lshlrev_b32_e32 v4, 23, v3
	v_trunc_f32_e32 v4, v4
	v_mul_f32_e64 v5, |v4|, s0
	v_floor_f32_e32 v5, v5
	v_fma_f32 v6, v5, s1, |v4|
	v_cvt_u32_f32_e32 v6, v6
	v_cvt_u32_f32_e32 v5, v5
	v_ashrrev_i32_e32 v4, 31, v4
	s_mov_b64 s[0:1], -1
	v_xor_b32_e32 v6, v6, v4
	v_xor_b32_e32 v5, v5, v4
	v_sub_co_u32_e32 v6, vcc, v6, v4
	v_subb_co_u32_e32 v4, vcc, v5, v4, vcc
	v_cmp_ne_u32_e32 vcc, 0, v3
	v_cndmask_b32_e32 v4, 0, v4, vcc
	v_cndmask_b32_e32 v3, 0, v6, vcc
	s_branch .LBB207_426
.LBB207_313:
	s_mov_b64 s[10:11], -1
	s_mov_b64 s[8:9], 0
	s_mov_b64 s[0:1], s[52:53]
.LBB207_314:
	s_and_b64 vcc, exec, s[10:11]
	s_cbranch_vccz .LBB207_319
; %bb.315:
	s_cmp_eq_u32 s15, 44
	s_mov_b64 s[0:1], -1
	s_cbranch_scc0 .LBB207_319
; %bb.316:
	v_xor_b32_e32 v5, v1, v2
	v_ffbh_i32_e32 v0, v2
	v_ashrrev_i32_e32 v5, 31, v5
	v_add_u32_e32 v0, -1, v0
	v_add_u32_e32 v5, 32, v5
	v_min_u32_e32 v0, v0, v5
	v_lshlrev_b64 v[5:6], v0, v[1:2]
	v_sub_u32_e32 v0, 32, v0
	v_min_u32_e32 v5, 1, v5
	v_or_b32_e32 v5, v6, v5
	v_cvt_f32_i32_e32 v5, v5
	s_movk_i32 s0, 0xff
	v_mov_b32_e32 v6, 0xff
	v_ldexp_f32 v0, v5, v0
	v_bfe_u32 v5, v0, 23, 8
	v_cmp_ne_u32_e32 vcc, s0, v5
	s_and_saveexec_b64 s[8:9], vcc
; %bb.317:
	s_mov_b32 s0, 0x3fffff
	v_lshrrev_b32_e32 v6, 23, v0
	v_and_b32_e32 v7, 0x400000, v0
	v_and_or_b32 v0, v0, s0, v5
	v_cmp_ne_u32_e32 vcc, 0, v7
	v_cmp_ne_u32_e64 s[0:1], 0, v0
	s_and_b64 s[0:1], vcc, s[0:1]
	v_cndmask_b32_e64 v0, 0, 1, s[0:1]
	v_add_u32_e32 v6, v6, v0
; %bb.318:
	s_or_b64 exec, exec, s[8:9]
	s_mov_b64 s[8:9], -1
	s_mov_b64 s[0:1], 0
	global_store_byte v[3:4], v6, off
.LBB207_319:
	s_mov_b64 s[10:11], 0
.LBB207_320:
	s_and_b64 vcc, exec, s[10:11]
	s_cbranch_vccz .LBB207_323
; %bb.321:
	s_cmp_eq_u32 s15, 29
	s_mov_b64 s[0:1], -1
	s_cbranch_scc0 .LBB207_323
; %bb.322:
	global_store_dwordx2 v[3:4], v[1:2], off
	s_mov_b64 s[8:9], -1
	s_mov_b64 s[0:1], 0
.LBB207_323:
	s_mov_b64 s[10:11], 0
.LBB207_324:
	s_and_b64 vcc, exec, s[10:11]
	s_cbranch_vccz .LBB207_340
; %bb.325:
	s_cmp_lt_i32 s15, 27
	s_mov_b64 s[8:9], -1
	s_cbranch_scc1 .LBB207_331
; %bb.326:
	s_cmp_gt_i32 s15, 27
	s_cbranch_scc0 .LBB207_328
; %bb.327:
	s_mov_b64 s[8:9], 0
	global_store_dword v[3:4], v1, off
.LBB207_328:
	s_andn2_b64 vcc, exec, s[8:9]
	s_cbranch_vccnz .LBB207_330
; %bb.329:
	global_store_short v[3:4], v1, off
.LBB207_330:
	s_mov_b64 s[8:9], 0
.LBB207_331:
	s_andn2_b64 vcc, exec, s[8:9]
	s_cbranch_vccnz .LBB207_339
; %bb.332:
	v_xor_b32_e32 v5, v1, v2
	v_ffbh_i32_e32 v0, v2
	v_ashrrev_i32_e32 v5, 31, v5
	v_add_u32_e32 v0, -1, v0
	v_add_u32_e32 v5, 32, v5
	v_min_u32_e32 v0, v0, v5
	v_lshlrev_b64 v[5:6], v0, v[1:2]
	v_sub_u32_e32 v0, 32, v0
	v_min_u32_e32 v5, 1, v5
	v_or_b32_e32 v5, v6, v5
	v_cvt_f32_i32_e32 v5, v5
	s_mov_b32 s8, 0x43800000
	v_mov_b32_e32 v6, 0x80
	v_ldexp_f32 v0, v5, v0
	v_and_b32_e32 v5, 0x7fffffff, v0
	v_cmp_gt_u32_e32 vcc, s8, v5
	s_and_saveexec_b64 s[8:9], vcc
	s_cbranch_execz .LBB207_338
; %bb.333:
	s_mov_b32 s10, 0x3bffffff
	v_cmp_lt_u32_e32 vcc, s10, v5
	s_mov_b64 s[10:11], 0
                                        ; implicit-def: $vgpr5
	s_and_saveexec_b64 s[12:13], vcc
	s_xor_b64 s[12:13], exec, s[12:13]
	s_cbranch_execz .LBB207_562
; %bb.334:
	v_bfe_u32 v5, v0, 20, 1
	s_mov_b32 s16, 0x487ffff
	v_add3_u32 v5, v0, v5, s16
	s_mov_b64 s[10:11], exec
	v_lshrrev_b32_e32 v5, 20, v5
	s_andn2_saveexec_b64 s[12:13], s[12:13]
	s_cbranch_execnz .LBB207_563
.LBB207_335:
	s_or_b64 exec, exec, s[12:13]
	v_mov_b32_e32 v6, 0
	s_and_saveexec_b64 s[12:13], s[10:11]
.LBB207_336:
	v_lshrrev_b32_e32 v0, 24, v0
	s_movk_i32 s10, 0x80
	v_and_or_b32 v6, v0, s10, v5
.LBB207_337:
	s_or_b64 exec, exec, s[12:13]
.LBB207_338:
	s_or_b64 exec, exec, s[8:9]
	global_store_byte v[3:4], v6, off
.LBB207_339:
	s_mov_b64 s[8:9], -1
.LBB207_340:
	s_mov_b64 s[10:11], 0
.LBB207_341:
	s_and_b64 vcc, exec, s[10:11]
	s_cbranch_vccz .LBB207_382
; %bb.342:
	s_cmp_gt_i32 s15, 22
	s_mov_b64 s[10:11], -1
	s_cbranch_scc0 .LBB207_374
; %bb.343:
	s_cmp_lt_i32 s15, 24
	s_mov_b64 s[8:9], -1
	s_cbranch_scc1 .LBB207_363
; %bb.344:
	s_cmp_gt_i32 s15, 24
	s_cbranch_scc0 .LBB207_352
; %bb.345:
	v_xor_b32_e32 v5, v1, v2
	v_ffbh_i32_e32 v0, v2
	v_ashrrev_i32_e32 v5, 31, v5
	v_add_u32_e32 v0, -1, v0
	v_add_u32_e32 v5, 32, v5
	v_min_u32_e32 v0, v0, v5
	v_lshlrev_b64 v[5:6], v0, v[1:2]
	v_sub_u32_e32 v0, 32, v0
	v_min_u32_e32 v5, 1, v5
	v_or_b32_e32 v5, v6, v5
	v_cvt_f32_i32_e32 v5, v5
	s_mov_b32 s8, 0x47800000
	v_mov_b32_e32 v6, 0x80
	v_ldexp_f32 v0, v5, v0
	v_and_b32_e32 v5, 0x7fffffff, v0
	v_cmp_gt_u32_e32 vcc, s8, v5
	s_and_saveexec_b64 s[8:9], vcc
	s_cbranch_execz .LBB207_351
; %bb.346:
	s_mov_b32 s10, 0x37ffffff
	v_cmp_lt_u32_e32 vcc, s10, v5
	s_mov_b64 s[10:11], 0
                                        ; implicit-def: $vgpr5
	s_and_saveexec_b64 s[12:13], vcc
	s_xor_b64 s[12:13], exec, s[12:13]
	s_cbranch_execz .LBB207_565
; %bb.347:
	v_bfe_u32 v5, v0, 21, 1
	s_mov_b32 s16, 0x88fffff
	v_add3_u32 v5, v0, v5, s16
	s_mov_b64 s[10:11], exec
	v_lshrrev_b32_e32 v5, 21, v5
	s_andn2_saveexec_b64 s[12:13], s[12:13]
	s_cbranch_execnz .LBB207_566
.LBB207_348:
	s_or_b64 exec, exec, s[12:13]
	v_mov_b32_e32 v6, 0
	s_and_saveexec_b64 s[12:13], s[10:11]
.LBB207_349:
	v_lshrrev_b32_e32 v0, 24, v0
	s_movk_i32 s10, 0x80
	v_and_or_b32 v6, v0, s10, v5
.LBB207_350:
	s_or_b64 exec, exec, s[12:13]
.LBB207_351:
	s_or_b64 exec, exec, s[8:9]
	s_mov_b64 s[8:9], 0
	global_store_byte v[3:4], v6, off
.LBB207_352:
	s_and_b64 vcc, exec, s[8:9]
	s_cbranch_vccz .LBB207_362
; %bb.353:
	v_xor_b32_e32 v5, v1, v2
	v_ffbh_i32_e32 v0, v2
	v_ashrrev_i32_e32 v5, 31, v5
	v_add_u32_e32 v0, -1, v0
	v_add_u32_e32 v5, 32, v5
	v_min_u32_e32 v0, v0, v5
	v_lshlrev_b64 v[5:6], v0, v[1:2]
	v_sub_u32_e32 v0, 32, v0
	v_min_u32_e32 v5, 1, v5
	v_or_b32_e32 v5, v6, v5
	v_cvt_f32_i32_e32 v5, v5
	s_mov_b32 s8, 0x43f00000
	v_ldexp_f32 v0, v5, v0
	v_and_b32_e32 v6, 0x7fffffff, v0
	v_cmp_gt_u32_e32 vcc, s8, v6
                                        ; implicit-def: $vgpr5
	s_and_saveexec_b64 s[8:9], vcc
	s_xor_b64 s[8:9], exec, s[8:9]
	s_cbranch_execz .LBB207_359
; %bb.354:
	s_mov_b32 s10, 0x3c7fffff
	v_cmp_lt_u32_e32 vcc, s10, v6
                                        ; implicit-def: $vgpr5
	s_and_saveexec_b64 s[10:11], vcc
	s_xor_b64 s[10:11], exec, s[10:11]
; %bb.355:
	v_bfe_u32 v5, v0, 20, 1
	s_mov_b32 s12, 0x407ffff
	v_add3_u32 v5, v0, v5, s12
	v_lshrrev_b32_e32 v6, 20, v5
	v_and_b32_e32 v5, 0xff00000, v5
	s_mov_b32 s12, 0x7f00000
	v_mov_b32_e32 v7, 0x7e
	v_cmp_ne_u32_e32 vcc, s12, v5
	v_cndmask_b32_e32 v5, v7, v6, vcc
; %bb.356:
	s_andn2_saveexec_b64 s[10:11], s[10:11]
; %bb.357:
	s_mov_b32 s12, 0x46800000
	v_add_f32_e64 v5, |v0|, s12
; %bb.358:
	s_or_b64 exec, exec, s[10:11]
                                        ; implicit-def: $vgpr6
.LBB207_359:
	s_andn2_saveexec_b64 s[8:9], s[8:9]
; %bb.360:
	s_mov_b32 s10, 0x7f800000
	v_mov_b32_e32 v5, 0x7e
	v_mov_b32_e32 v7, 0x7f
	v_cmp_lt_u32_e32 vcc, s10, v6
	v_cndmask_b32_e32 v5, v5, v7, vcc
; %bb.361:
	s_or_b64 exec, exec, s[8:9]
	v_lshrrev_b32_e32 v0, 24, v0
	s_movk_i32 s8, 0x80
	v_and_or_b32 v0, v0, s8, v5
	global_store_byte v[3:4], v0, off
.LBB207_362:
	s_mov_b64 s[8:9], 0
.LBB207_363:
	s_andn2_b64 vcc, exec, s[8:9]
	s_cbranch_vccnz .LBB207_373
; %bb.364:
	v_xor_b32_e32 v5, v1, v2
	v_ffbh_i32_e32 v0, v2
	v_ashrrev_i32_e32 v5, 31, v5
	v_add_u32_e32 v0, -1, v0
	v_add_u32_e32 v5, 32, v5
	v_min_u32_e32 v0, v0, v5
	v_lshlrev_b64 v[5:6], v0, v[1:2]
	v_sub_u32_e32 v0, 32, v0
	v_min_u32_e32 v5, 1, v5
	v_or_b32_e32 v5, v6, v5
	v_cvt_f32_i32_e32 v5, v5
	s_mov_b32 s8, 0x47800000
	v_ldexp_f32 v0, v5, v0
	v_and_b32_e32 v6, 0x7fffffff, v0
	v_cmp_gt_u32_e32 vcc, s8, v6
                                        ; implicit-def: $vgpr5
	s_and_saveexec_b64 s[8:9], vcc
	s_xor_b64 s[8:9], exec, s[8:9]
	s_cbranch_execz .LBB207_370
; %bb.365:
	s_mov_b32 s10, 0x387fffff
	v_cmp_lt_u32_e32 vcc, s10, v6
                                        ; implicit-def: $vgpr5
	s_and_saveexec_b64 s[10:11], vcc
	s_xor_b64 s[10:11], exec, s[10:11]
; %bb.366:
	v_bfe_u32 v5, v0, 21, 1
	s_mov_b32 s12, 0x80fffff
	v_add3_u32 v5, v0, v5, s12
	v_lshrrev_b32_e32 v5, 21, v5
; %bb.367:
	s_andn2_saveexec_b64 s[10:11], s[10:11]
; %bb.368:
	s_mov_b32 s12, 0x43000000
	v_add_f32_e64 v5, |v0|, s12
; %bb.369:
	s_or_b64 exec, exec, s[10:11]
                                        ; implicit-def: $vgpr6
.LBB207_370:
	s_andn2_saveexec_b64 s[8:9], s[8:9]
; %bb.371:
	s_mov_b32 s10, 0x7f800000
	v_mov_b32_e32 v5, 0x7c
	v_mov_b32_e32 v7, 0x7f
	v_cmp_lt_u32_e32 vcc, s10, v6
	v_cndmask_b32_e32 v5, v5, v7, vcc
; %bb.372:
	s_or_b64 exec, exec, s[8:9]
	v_lshrrev_b32_e32 v0, 24, v0
	s_movk_i32 s8, 0x80
	v_and_or_b32 v0, v0, s8, v5
	global_store_byte v[3:4], v0, off
.LBB207_373:
	s_mov_b64 s[10:11], 0
	s_mov_b64 s[8:9], -1
.LBB207_374:
	s_andn2_b64 vcc, exec, s[10:11]
	s_cbranch_vccnz .LBB207_382
; %bb.375:
	s_cmp_gt_i32 s15, 14
	s_mov_b64 s[10:11], -1
	s_cbranch_scc0 .LBB207_379
; %bb.376:
	s_cmp_eq_u32 s15, 15
	s_mov_b64 s[0:1], -1
	s_cbranch_scc0 .LBB207_378
; %bb.377:
	v_xor_b32_e32 v5, v1, v2
	v_ffbh_i32_e32 v0, v2
	v_ashrrev_i32_e32 v5, 31, v5
	v_add_u32_e32 v0, -1, v0
	v_add_u32_e32 v5, 32, v5
	v_min_u32_e32 v0, v0, v5
	v_lshlrev_b64 v[5:6], v0, v[1:2]
	v_sub_u32_e32 v0, 32, v0
	v_min_u32_e32 v5, 1, v5
	v_or_b32_e32 v5, v6, v5
	v_cvt_f32_i32_e32 v5, v5
	s_movk_i32 s0, 0x7fff
	s_mov_b64 s[8:9], -1
	v_ldexp_f32 v0, v5, v0
	v_bfe_u32 v5, v0, 16, 1
	v_add3_u32 v0, v0, v5, s0
	global_store_short_d16_hi v[3:4], v0, off
	s_mov_b64 s[0:1], 0
.LBB207_378:
	s_mov_b64 s[10:11], 0
.LBB207_379:
	s_and_b64 vcc, exec, s[10:11]
	s_cbranch_vccz .LBB207_382
; %bb.380:
	s_cmp_eq_u32 s15, 11
	s_mov_b64 s[0:1], -1
	s_cbranch_scc0 .LBB207_382
; %bb.381:
	v_cmp_ne_u64_e32 vcc, 0, v[1:2]
	s_mov_b64 s[0:1], 0
	v_cndmask_b32_e64 v0, 0, 1, vcc
	s_mov_b64 s[8:9], -1
	global_store_byte v[3:4], v0, off
.LBB207_382:
	s_mov_b64 s[10:11], 0
.LBB207_383:
	s_and_b64 vcc, exec, s[10:11]
	s_cbranch_vccz .LBB207_422
; %bb.384:
	s_and_b32 s10, 0xffff, s14
	s_cmp_lt_i32 s10, 5
	s_mov_b64 s[8:9], -1
	s_cbranch_scc1 .LBB207_405
; %bb.385:
	s_cmp_lt_i32 s10, 8
	s_cbranch_scc1 .LBB207_395
; %bb.386:
	s_cmp_lt_i32 s10, 9
	s_cbranch_scc1 .LBB207_392
; %bb.387:
	s_cmp_gt_i32 s10, 9
	s_cbranch_scc0 .LBB207_389
; %bb.388:
	v_cvt_f64_i32_e32 v[5:6], v2
	v_cvt_f64_u32_e32 v[7:8], v1
	s_mov_b64 s[8:9], 0
	v_ldexp_f64 v[5:6], v[5:6], 32
	v_add_f64 v[5:6], v[5:6], v[7:8]
	v_mov_b32_e32 v7, 0
	v_mov_b32_e32 v8, v7
	global_store_dwordx4 v[3:4], v[5:8], off
.LBB207_389:
	s_andn2_b64 vcc, exec, s[8:9]
	s_cbranch_vccnz .LBB207_391
; %bb.390:
	v_xor_b32_e32 v5, v1, v2
	v_ffbh_i32_e32 v0, v2
	v_ashrrev_i32_e32 v5, 31, v5
	v_add_u32_e32 v0, -1, v0
	v_add_u32_e32 v5, 32, v5
	v_min_u32_e32 v0, v0, v5
	v_lshlrev_b64 v[5:6], v0, v[1:2]
	v_sub_u32_e32 v0, 32, v0
	v_min_u32_e32 v5, 1, v5
	v_or_b32_e32 v5, v6, v5
	v_cvt_f32_i32_e32 v5, v5
	v_mov_b32_e32 v6, 0
	v_ldexp_f32 v5, v5, v0
	global_store_dwordx2 v[3:4], v[5:6], off
.LBB207_391:
	s_mov_b64 s[8:9], 0
.LBB207_392:
	s_andn2_b64 vcc, exec, s[8:9]
	s_cbranch_vccnz .LBB207_394
; %bb.393:
	v_xor_b32_e32 v5, v1, v2
	v_ffbh_i32_e32 v0, v2
	v_ashrrev_i32_e32 v5, 31, v5
	v_add_u32_e32 v0, -1, v0
	v_add_u32_e32 v5, 32, v5
	v_min_u32_e32 v0, v0, v5
	v_lshlrev_b64 v[5:6], v0, v[1:2]
	v_sub_u32_e32 v0, 32, v0
	v_min_u32_e32 v5, 1, v5
	v_or_b32_e32 v5, v6, v5
	v_cvt_f32_i32_e32 v5, v5
	v_ldexp_f32 v0, v5, v0
	v_cvt_f16_f32_e32 v0, v0
	global_store_dword v[3:4], v0, off
.LBB207_394:
	s_mov_b64 s[8:9], 0
.LBB207_395:
	s_andn2_b64 vcc, exec, s[8:9]
	s_cbranch_vccnz .LBB207_404
; %bb.396:
	s_cmp_lt_i32 s10, 6
	s_mov_b64 s[8:9], -1
	s_cbranch_scc1 .LBB207_402
; %bb.397:
	s_cmp_gt_i32 s10, 6
	s_cbranch_scc0 .LBB207_399
; %bb.398:
	v_cvt_f64_i32_e32 v[5:6], v2
	v_cvt_f64_u32_e32 v[7:8], v1
	s_mov_b64 s[8:9], 0
	v_ldexp_f64 v[5:6], v[5:6], 32
	v_add_f64 v[5:6], v[5:6], v[7:8]
	global_store_dwordx2 v[3:4], v[5:6], off
.LBB207_399:
	s_andn2_b64 vcc, exec, s[8:9]
	s_cbranch_vccnz .LBB207_401
; %bb.400:
	v_xor_b32_e32 v5, v1, v2
	v_ffbh_i32_e32 v0, v2
	v_ashrrev_i32_e32 v5, 31, v5
	v_add_u32_e32 v0, -1, v0
	v_add_u32_e32 v5, 32, v5
	v_min_u32_e32 v0, v0, v5
	v_lshlrev_b64 v[5:6], v0, v[1:2]
	v_sub_u32_e32 v0, 32, v0
	v_min_u32_e32 v5, 1, v5
	v_or_b32_e32 v5, v6, v5
	v_cvt_f32_i32_e32 v5, v5
	v_ldexp_f32 v0, v5, v0
	global_store_dword v[3:4], v0, off
.LBB207_401:
	s_mov_b64 s[8:9], 0
.LBB207_402:
	s_andn2_b64 vcc, exec, s[8:9]
	s_cbranch_vccnz .LBB207_404
; %bb.403:
	v_xor_b32_e32 v5, v1, v2
	v_ffbh_i32_e32 v0, v2
	v_ashrrev_i32_e32 v5, 31, v5
	v_add_u32_e32 v0, -1, v0
	v_add_u32_e32 v5, 32, v5
	v_min_u32_e32 v0, v0, v5
	v_lshlrev_b64 v[5:6], v0, v[1:2]
	v_sub_u32_e32 v0, 32, v0
	v_min_u32_e32 v5, 1, v5
	v_or_b32_e32 v5, v6, v5
	v_cvt_f32_i32_e32 v5, v5
	v_ldexp_f32 v0, v5, v0
	v_cvt_f16_f32_e32 v0, v0
	global_store_short v[3:4], v0, off
.LBB207_404:
	s_mov_b64 s[8:9], 0
.LBB207_405:
	s_andn2_b64 vcc, exec, s[8:9]
	s_cbranch_vccnz .LBB207_421
; %bb.406:
	s_cmp_lt_i32 s10, 2
	s_mov_b64 s[8:9], -1
	s_cbranch_scc1 .LBB207_416
; %bb.407:
	s_cmp_lt_i32 s10, 3
	s_cbranch_scc1 .LBB207_413
; %bb.408:
	s_cmp_gt_i32 s10, 3
	s_cbranch_scc0 .LBB207_410
; %bb.409:
	s_mov_b64 s[8:9], 0
	global_store_dwordx2 v[3:4], v[1:2], off
.LBB207_410:
	s_andn2_b64 vcc, exec, s[8:9]
	s_cbranch_vccnz .LBB207_412
; %bb.411:
	global_store_dword v[3:4], v1, off
.LBB207_412:
	s_mov_b64 s[8:9], 0
.LBB207_413:
	s_andn2_b64 vcc, exec, s[8:9]
	s_cbranch_vccnz .LBB207_415
; %bb.414:
	global_store_short v[3:4], v1, off
.LBB207_415:
	s_mov_b64 s[8:9], 0
.LBB207_416:
	s_andn2_b64 vcc, exec, s[8:9]
	s_cbranch_vccnz .LBB207_421
; %bb.417:
	s_cmp_gt_i32 s10, 0
	s_mov_b64 s[8:9], -1
	s_cbranch_scc0 .LBB207_419
; %bb.418:
	s_mov_b64 s[8:9], 0
	global_store_byte v[3:4], v1, off
.LBB207_419:
	s_andn2_b64 vcc, exec, s[8:9]
	s_cbranch_vccnz .LBB207_421
; %bb.420:
	global_store_byte v[3:4], v1, off
.LBB207_421:
	s_mov_b64 s[8:9], -1
.LBB207_422:
	s_andn2_b64 vcc, exec, s[8:9]
	s_cbranch_vccnz .LBB207_424
; %bb.423:
	v_add_u32_e32 v11, 0x80, v11
	s_mov_b64 s[8:9], -1
	s_branch .LBB207_533
.LBB207_424:
	s_mov_b64 s[8:9], 0
	s_branch .LBB207_532
.LBB207_425:
	s_mov_b64 s[2:3], -1
                                        ; implicit-def: $vgpr3_vgpr4
.LBB207_426:
	s_mov_b64 s[8:9], 0
.LBB207_427:
	s_and_b64 vcc, exec, s[8:9]
	s_cbranch_vccz .LBB207_431
; %bb.428:
	s_cmp_eq_u32 s10, 29
	s_cbranch_scc0 .LBB207_430
; %bb.429:
	global_load_dwordx2 v[3:4], v[1:2], off
	s_mov_b64 s[0:1], -1
	s_mov_b64 s[2:3], 0
	s_branch .LBB207_431
.LBB207_430:
	s_mov_b64 s[2:3], -1
                                        ; implicit-def: $vgpr3_vgpr4
.LBB207_431:
	s_mov_b64 s[8:9], 0
.LBB207_432:
	s_and_b64 vcc, exec, s[8:9]
	s_cbranch_vccz .LBB207_450
; %bb.433:
	s_cmp_lt_i32 s10, 27
	s_cbranch_scc1 .LBB207_436
; %bb.434:
	s_cmp_gt_i32 s10, 27
	s_cbranch_scc0 .LBB207_437
; %bb.435:
	global_load_dword v3, v[1:2], off
	s_waitcnt vmcnt(1)
	v_mov_b32_e32 v4, 0
	s_mov_b64 s[0:1], 0
	s_branch .LBB207_438
.LBB207_436:
	s_mov_b64 s[0:1], -1
                                        ; implicit-def: $vgpr3_vgpr4
	s_branch .LBB207_441
.LBB207_437:
	s_mov_b64 s[0:1], -1
                                        ; implicit-def: $vgpr3_vgpr4
.LBB207_438:
	s_andn2_b64 vcc, exec, s[0:1]
	s_cbranch_vccnz .LBB207_440
; %bb.439:
	global_load_ushort v3, v[1:2], off
	s_mov_b32 s0, 0
	s_waitcnt vmcnt(1)
	v_mov_b32_e32 v4, s0
	s_waitcnt vmcnt(0)
	v_and_b32_e32 v3, 0xffff, v3
.LBB207_440:
	s_mov_b64 s[0:1], 0
.LBB207_441:
	s_andn2_b64 vcc, exec, s[0:1]
	s_cbranch_vccnz .LBB207_449
; %bb.442:
	global_load_ubyte v5, v[1:2], off
	s_movk_i32 s0, 0x7f
	s_mov_b64 s[8:9], 0
	s_waitcnt vmcnt(0)
	v_cmp_lt_i16_e32 vcc, s0, v5
	s_and_saveexec_b64 s[0:1], vcc
	s_xor_b64 s[0:1], exec, s[0:1]
; %bb.443:
	s_movk_i32 s8, 0x80
	v_cmp_ne_u16_e32 vcc, s8, v5
	s_and_b64 s[8:9], vcc, exec
; %bb.444:
	s_andn2_saveexec_b64 s[0:1], s[0:1]
; %bb.445:
	v_cmp_ne_u16_e32 vcc, 0, v5
	s_andn2_b64 s[8:9], s[8:9], exec
	s_and_b64 s[12:13], vcc, exec
	s_or_b64 s[8:9], s[8:9], s[12:13]
; %bb.446:
	s_or_b64 exec, exec, s[0:1]
	v_mov_b32_e32 v3, 0
	v_mov_b32_e32 v4, 0
	s_and_saveexec_b64 s[0:1], s[8:9]
	s_cbranch_execz .LBB207_448
; %bb.447:
	v_and_b32_e32 v4, 0xffff, v5
	v_lshlrev_b32_e32 v3, 24, v5
	v_and_b32_e32 v5, 7, v4
	v_ffbh_u32_e32 v7, v5
	v_min_u32_e32 v7, 32, v7
	v_subrev_u32_e32 v8, 28, v7
	v_bfe_u32 v6, v4, 3, 4
	v_lshlrev_b32_e32 v4, v8, v4
	v_sub_u32_e32 v7, 29, v7
	v_and_b32_e32 v4, 7, v4
	v_cmp_eq_u32_e32 vcc, 0, v6
	v_cndmask_b32_e32 v6, v6, v7, vcc
	v_cndmask_b32_e32 v4, v5, v4, vcc
	v_mov_b32_e32 v5, 0x3b800000
	v_lshlrev_b32_e32 v4, 20, v4
	v_and_b32_e32 v3, 0x80000000, v3
	v_lshl_add_u32 v5, v6, 23, v5
	v_or3_b32 v3, v3, v5, v4
	v_trunc_f32_e32 v3, v3
	s_mov_b32 s8, 0x2f800000
	v_mul_f32_e64 v4, |v3|, s8
	v_floor_f32_e32 v4, v4
	s_mov_b32 s8, 0xcf800000
	v_fma_f32 v5, v4, s8, |v3|
	v_cvt_u32_f32_e32 v5, v5
	v_cvt_u32_f32_e32 v4, v4
	v_ashrrev_i32_e32 v6, 31, v3
	v_xor_b32_e32 v3, v5, v6
	v_xor_b32_e32 v4, v4, v6
	v_sub_co_u32_e32 v3, vcc, v3, v6
	v_subb_co_u32_e32 v4, vcc, v4, v6, vcc
.LBB207_448:
	s_or_b64 exec, exec, s[0:1]
.LBB207_449:
	s_mov_b64 s[0:1], -1
.LBB207_450:
	s_mov_b64 s[8:9], 0
.LBB207_451:
	s_and_b64 vcc, exec, s[8:9]
	s_cbranch_vccz .LBB207_482
; %bb.452:
	s_cmp_gt_i32 s10, 22
	s_cbranch_scc0 .LBB207_462
; %bb.453:
	s_cmp_lt_i32 s10, 24
	s_cbranch_scc1 .LBB207_463
; %bb.454:
	s_cmp_gt_i32 s10, 24
	s_cbranch_scc0 .LBB207_464
; %bb.455:
	global_load_ubyte v5, v[1:2], off
	s_movk_i32 s0, 0x7f
	s_mov_b64 s[8:9], 0
	s_waitcnt vmcnt(0)
	v_cmp_lt_i16_e32 vcc, s0, v5
	s_and_saveexec_b64 s[0:1], vcc
	s_xor_b64 s[0:1], exec, s[0:1]
; %bb.456:
	s_movk_i32 s8, 0x80
	v_cmp_ne_u16_e32 vcc, s8, v5
	s_and_b64 s[8:9], vcc, exec
; %bb.457:
	s_andn2_saveexec_b64 s[0:1], s[0:1]
; %bb.458:
	v_cmp_ne_u16_e32 vcc, 0, v5
	s_andn2_b64 s[8:9], s[8:9], exec
	s_and_b64 s[12:13], vcc, exec
	s_or_b64 s[8:9], s[8:9], s[12:13]
; %bb.459:
	s_or_b64 exec, exec, s[0:1]
	v_mov_b32_e32 v3, 0
	v_mov_b32_e32 v4, 0
	s_and_saveexec_b64 s[0:1], s[8:9]
	s_cbranch_execz .LBB207_461
; %bb.460:
	v_and_b32_e32 v4, 0xffff, v5
	v_lshlrev_b32_e32 v3, 24, v5
	v_and_b32_e32 v5, 3, v4
	v_ffbh_u32_e32 v7, v5
	v_min_u32_e32 v7, 32, v7
	v_subrev_u32_e32 v8, 29, v7
	v_bfe_u32 v6, v4, 2, 5
	v_lshlrev_b32_e32 v4, v8, v4
	v_sub_u32_e32 v7, 30, v7
	v_and_b32_e32 v4, 3, v4
	v_cmp_eq_u32_e32 vcc, 0, v6
	v_cndmask_b32_e32 v6, v6, v7, vcc
	v_cndmask_b32_e32 v4, v5, v4, vcc
	v_mov_b32_e32 v5, 0x37800000
	v_lshlrev_b32_e32 v4, 21, v4
	v_and_b32_e32 v3, 0x80000000, v3
	v_lshl_add_u32 v5, v6, 23, v5
	v_or3_b32 v3, v3, v5, v4
	v_trunc_f32_e32 v3, v3
	s_mov_b32 s8, 0x2f800000
	v_mul_f32_e64 v4, |v3|, s8
	v_floor_f32_e32 v4, v4
	s_mov_b32 s8, 0xcf800000
	v_fma_f32 v5, v4, s8, |v3|
	v_cvt_u32_f32_e32 v5, v5
	v_cvt_u32_f32_e32 v4, v4
	v_ashrrev_i32_e32 v6, 31, v3
	v_xor_b32_e32 v3, v5, v6
	v_xor_b32_e32 v4, v4, v6
	v_sub_co_u32_e32 v3, vcc, v3, v6
	v_subb_co_u32_e32 v4, vcc, v4, v6, vcc
.LBB207_461:
	s_or_b64 exec, exec, s[0:1]
	s_mov_b64 s[0:1], 0
	s_branch .LBB207_465
.LBB207_462:
	s_mov_b64 s[8:9], -1
                                        ; implicit-def: $vgpr3_vgpr4
	s_branch .LBB207_471
.LBB207_463:
	s_mov_b64 s[0:1], -1
                                        ; implicit-def: $vgpr3_vgpr4
	s_branch .LBB207_468
.LBB207_464:
	s_mov_b64 s[0:1], -1
                                        ; implicit-def: $vgpr3_vgpr4
.LBB207_465:
	s_and_b64 vcc, exec, s[0:1]
	s_cbranch_vccz .LBB207_467
; %bb.466:
	global_load_ubyte v3, v[1:2], off
	s_mov_b32 s0, 0x7f800000
	s_brev_b32 s1, 1
	s_mov_b32 s8, 0x2f800000
	s_mov_b32 s9, 0xcf800000
	s_waitcnt vmcnt(0)
	v_lshlrev_b32_e32 v3, 24, v3
	v_and_b32_e32 v4, 0x7f000000, v3
	v_ffbh_u32_e32 v5, v4
	v_min_u32_e32 v5, 32, v5
	v_sub_u32_e64 v5, v5, 4 clamp
	v_lshlrev_b32_e32 v7, v5, v4
	v_lshlrev_b32_e32 v5, 23, v5
	v_lshrrev_b32_e32 v7, 4, v7
	v_add_u32_e32 v6, 0x1000000, v4
	v_sub_u32_e32 v5, v7, v5
	v_ashrrev_i32_e32 v6, 8, v6
	v_add_u32_e32 v5, 0x3c000000, v5
	v_and_or_b32 v5, v6, s0, v5
	v_cmp_ne_u32_e32 vcc, 0, v4
	v_cndmask_b32_e32 v4, 0, v5, vcc
	v_and_or_b32 v3, v3, s1, v4
	v_trunc_f32_e32 v3, v3
	v_mul_f32_e64 v4, |v3|, s8
	v_floor_f32_e32 v4, v4
	v_fma_f32 v5, v4, s9, |v3|
	v_cvt_u32_f32_e32 v5, v5
	v_cvt_u32_f32_e32 v4, v4
	v_ashrrev_i32_e32 v6, 31, v3
	v_xor_b32_e32 v3, v5, v6
	v_xor_b32_e32 v4, v4, v6
	v_sub_co_u32_e32 v3, vcc, v3, v6
	v_subb_co_u32_e32 v4, vcc, v4, v6, vcc
.LBB207_467:
	s_mov_b64 s[0:1], 0
.LBB207_468:
	s_andn2_b64 vcc, exec, s[0:1]
	s_cbranch_vccnz .LBB207_470
; %bb.469:
	global_load_ubyte v3, v[1:2], off
	s_movk_i32 s0, 0x7f00
	s_brev_b32 s1, 16
	s_brev_b32 s8, 1
	s_mov_b32 s9, 0x2f800000
	s_mov_b32 s11, 0xcf800000
	s_waitcnt vmcnt(0)
	v_lshlrev_b16_e32 v4, 8, v3
	v_lshlrev_b32_e32 v3, 25, v3
	v_lshrrev_b32_e32 v5, 4, v3
	v_and_or_b32 v6, v4, s0, 0.5
	v_or_b32_e32 v5, 0x70000000, v5
	v_add_f32_e32 v6, -0.5, v6
	v_mul_f32_e32 v5, 0x7800000, v5
	v_cmp_gt_u32_e32 vcc, s1, v3
	v_bfe_i32 v4, v4, 0, 16
	v_cndmask_b32_e32 v3, v5, v6, vcc
	v_and_or_b32 v3, v4, s8, v3
	v_trunc_f32_e32 v3, v3
	v_mul_f32_e64 v4, |v3|, s9
	v_floor_f32_e32 v4, v4
	v_fma_f32 v5, v4, s11, |v3|
	v_cvt_u32_f32_e32 v5, v5
	v_cvt_u32_f32_e32 v4, v4
	v_ashrrev_i32_e32 v6, 31, v3
	v_xor_b32_e32 v3, v5, v6
	v_xor_b32_e32 v4, v4, v6
	v_sub_co_u32_e32 v3, vcc, v3, v6
	v_subb_co_u32_e32 v4, vcc, v4, v6, vcc
.LBB207_470:
	s_mov_b64 s[8:9], 0
	s_mov_b64 s[0:1], -1
.LBB207_471:
	s_andn2_b64 vcc, exec, s[8:9]
	s_cbranch_vccnz .LBB207_482
; %bb.472:
	s_cmp_gt_i32 s10, 14
	s_cbranch_scc0 .LBB207_475
; %bb.473:
	s_cmp_eq_u32 s10, 15
	s_cbranch_scc0 .LBB207_476
; %bb.474:
	global_load_ushort v3, v[1:2], off
	s_mov_b32 s0, 0x2f800000
	s_mov_b32 s1, 0xcf800000
	s_mov_b64 s[2:3], 0
	s_waitcnt vmcnt(0)
	v_lshlrev_b32_e32 v3, 16, v3
	v_trunc_f32_e32 v3, v3
	v_mul_f32_e64 v4, |v3|, s0
	v_floor_f32_e32 v4, v4
	v_fma_f32 v5, v4, s1, |v3|
	v_cvt_u32_f32_e32 v5, v5
	v_cvt_u32_f32_e32 v4, v4
	v_ashrrev_i32_e32 v6, 31, v3
	s_mov_b64 s[0:1], -1
	v_xor_b32_e32 v3, v5, v6
	v_xor_b32_e32 v4, v4, v6
	v_sub_co_u32_e32 v3, vcc, v3, v6
	v_subb_co_u32_e32 v4, vcc, v4, v6, vcc
	s_branch .LBB207_477
.LBB207_475:
	s_mov_b64 s[8:9], -1
                                        ; implicit-def: $vgpr3_vgpr4
	s_branch .LBB207_478
.LBB207_476:
	s_mov_b64 s[2:3], -1
                                        ; implicit-def: $vgpr3_vgpr4
.LBB207_477:
	s_mov_b64 s[8:9], 0
.LBB207_478:
	s_and_b64 vcc, exec, s[8:9]
	s_cbranch_vccz .LBB207_482
; %bb.479:
	s_cmp_eq_u32 s10, 11
	s_cbranch_scc0 .LBB207_481
; %bb.480:
	global_load_ubyte v3, v[1:2], off
	s_mov_b32 s2, 0
	s_mov_b64 s[0:1], -1
	s_waitcnt vmcnt(1)
	v_mov_b32_e32 v4, s2
	s_mov_b64 s[2:3], 0
	s_waitcnt vmcnt(0)
	v_cmp_ne_u16_e32 vcc, 0, v3
	v_cndmask_b32_e64 v3, 0, 1, vcc
	s_branch .LBB207_482
.LBB207_481:
	s_mov_b64 s[2:3], -1
                                        ; implicit-def: $vgpr3_vgpr4
.LBB207_482:
	s_branch .LBB207_289
.LBB207_483:
	s_cmp_lt_i32 s10, 5
	s_cbranch_scc1 .LBB207_488
; %bb.484:
	s_cmp_lt_i32 s10, 8
	s_cbranch_scc1 .LBB207_489
; %bb.485:
	s_cmp_lt_i32 s10, 9
	s_cbranch_scc1 .LBB207_490
; %bb.486:
	s_cmp_gt_i32 s10, 9
	s_cbranch_scc0 .LBB207_491
; %bb.487:
	global_load_dwordx2 v[3:4], v[1:2], off
	s_movk_i32 s0, 0xffe0
	s_waitcnt vmcnt(0)
	v_trunc_f64_e32 v[3:4], v[3:4]
	v_ldexp_f64 v[5:6], v[3:4], s0
	s_mov_b32 s0, 0
	s_mov_b32 s1, 0xc1f00000
	v_floor_f64_e32 v[5:6], v[5:6]
	v_fma_f64 v[7:8], v[5:6], s[0:1], v[3:4]
	v_cvt_i32_f64_e32 v4, v[5:6]
	s_mov_b64 s[0:1], 0
	v_cvt_u32_f64_e32 v3, v[7:8]
	s_branch .LBB207_492
.LBB207_488:
	s_mov_b64 s[0:1], -1
                                        ; implicit-def: $vgpr3_vgpr4
	s_branch .LBB207_510
.LBB207_489:
	s_mov_b64 s[0:1], -1
                                        ; implicit-def: $vgpr3_vgpr4
	s_branch .LBB207_498
.LBB207_490:
	s_mov_b64 s[0:1], -1
                                        ; implicit-def: $vgpr3_vgpr4
	s_branch .LBB207_495
.LBB207_491:
	s_mov_b64 s[0:1], -1
                                        ; implicit-def: $vgpr3_vgpr4
.LBB207_492:
	s_andn2_b64 vcc, exec, s[0:1]
	s_cbranch_vccnz .LBB207_494
; %bb.493:
	global_load_dword v3, v[1:2], off
	s_mov_b32 s0, 0x2f800000
	s_mov_b32 s1, 0xcf800000
	s_waitcnt vmcnt(0)
	v_trunc_f32_e32 v3, v3
	v_mul_f32_e64 v4, |v3|, s0
	v_floor_f32_e32 v4, v4
	v_cvt_u32_f32_e32 v5, v4
	v_fma_f32 v4, v4, s1, |v3|
	v_cvt_u32_f32_e32 v4, v4
	v_ashrrev_i32_e32 v6, 31, v3
	v_xor_b32_e32 v5, v5, v6
	v_xor_b32_e32 v3, v4, v6
	v_sub_co_u32_e32 v3, vcc, v3, v6
	v_subb_co_u32_e32 v4, vcc, v5, v6, vcc
.LBB207_494:
	s_mov_b64 s[0:1], 0
.LBB207_495:
	s_andn2_b64 vcc, exec, s[0:1]
	s_cbranch_vccnz .LBB207_497
; %bb.496:
	global_load_dword v3, v[1:2], off
	s_waitcnt vmcnt(0)
	v_cvt_f32_f16_e32 v3, v3
	v_cvt_i32_f32_e32 v3, v3
	v_ashrrev_i32_e32 v4, 31, v3
.LBB207_497:
	s_mov_b64 s[0:1], 0
.LBB207_498:
	s_andn2_b64 vcc, exec, s[0:1]
	s_cbranch_vccnz .LBB207_509
; %bb.499:
	s_cmp_lt_i32 s10, 6
	s_cbranch_scc1 .LBB207_502
; %bb.500:
	s_cmp_gt_i32 s10, 6
	s_cbranch_scc0 .LBB207_503
; %bb.501:
	global_load_dwordx2 v[3:4], v[1:2], off
	s_movk_i32 s0, 0xffe0
	s_waitcnt vmcnt(0)
	v_trunc_f64_e32 v[3:4], v[3:4]
	v_ldexp_f64 v[5:6], v[3:4], s0
	s_mov_b32 s0, 0
	s_mov_b32 s1, 0xc1f00000
	v_floor_f64_e32 v[5:6], v[5:6]
	v_fma_f64 v[7:8], v[5:6], s[0:1], v[3:4]
	v_cvt_i32_f64_e32 v4, v[5:6]
	s_mov_b64 s[0:1], 0
	v_cvt_u32_f64_e32 v3, v[7:8]
	s_branch .LBB207_504
.LBB207_502:
	s_mov_b64 s[0:1], -1
                                        ; implicit-def: $vgpr3_vgpr4
	s_branch .LBB207_507
.LBB207_503:
	s_mov_b64 s[0:1], -1
                                        ; implicit-def: $vgpr3_vgpr4
.LBB207_504:
	s_andn2_b64 vcc, exec, s[0:1]
	s_cbranch_vccnz .LBB207_506
; %bb.505:
	global_load_dword v3, v[1:2], off
	s_mov_b32 s0, 0x2f800000
	s_mov_b32 s1, 0xcf800000
	s_waitcnt vmcnt(0)
	v_trunc_f32_e32 v3, v3
	v_mul_f32_e64 v4, |v3|, s0
	v_floor_f32_e32 v4, v4
	v_cvt_u32_f32_e32 v5, v4
	v_fma_f32 v4, v4, s1, |v3|
	v_cvt_u32_f32_e32 v4, v4
	v_ashrrev_i32_e32 v6, 31, v3
	v_xor_b32_e32 v5, v5, v6
	v_xor_b32_e32 v3, v4, v6
	v_sub_co_u32_e32 v3, vcc, v3, v6
	v_subb_co_u32_e32 v4, vcc, v5, v6, vcc
.LBB207_506:
	s_mov_b64 s[0:1], 0
.LBB207_507:
	s_andn2_b64 vcc, exec, s[0:1]
	s_cbranch_vccnz .LBB207_509
; %bb.508:
	global_load_ushort v3, v[1:2], off
	s_waitcnt vmcnt(0)
	v_cvt_f32_f16_e32 v3, v3
	v_cvt_i32_f32_e32 v3, v3
	v_ashrrev_i32_e32 v4, 31, v3
.LBB207_509:
	s_mov_b64 s[0:1], 0
.LBB207_510:
	s_andn2_b64 vcc, exec, s[0:1]
	s_cbranch_vccnz .LBB207_530
; %bb.511:
	s_cmp_lt_i32 s10, 2
	s_cbranch_scc1 .LBB207_515
; %bb.512:
	s_cmp_lt_i32 s10, 3
	s_cbranch_scc1 .LBB207_516
; %bb.513:
	s_cmp_gt_i32 s10, 3
	s_cbranch_scc0 .LBB207_517
; %bb.514:
	global_load_dwordx2 v[3:4], v[1:2], off
	s_mov_b64 s[0:1], 0
	s_branch .LBB207_518
.LBB207_515:
	s_mov_b64 s[0:1], -1
                                        ; implicit-def: $vgpr3_vgpr4
	s_branch .LBB207_524
.LBB207_516:
	s_mov_b64 s[0:1], -1
                                        ; implicit-def: $vgpr3_vgpr4
	s_branch .LBB207_521
.LBB207_517:
	s_mov_b64 s[0:1], -1
                                        ; implicit-def: $vgpr3_vgpr4
.LBB207_518:
	s_andn2_b64 vcc, exec, s[0:1]
	s_cbranch_vccnz .LBB207_520
; %bb.519:
	global_load_dword v3, v[1:2], off
	s_waitcnt vmcnt(0)
	v_ashrrev_i32_e32 v4, 31, v3
.LBB207_520:
	s_mov_b64 s[0:1], 0
.LBB207_521:
	s_andn2_b64 vcc, exec, s[0:1]
	s_cbranch_vccnz .LBB207_523
; %bb.522:
	global_load_ushort v3, v[1:2], off
	s_waitcnt vmcnt(0)
	v_bfe_i32 v3, v3, 0, 16
	v_ashrrev_i32_e32 v4, 31, v3
.LBB207_523:
	s_mov_b64 s[0:1], 0
.LBB207_524:
	s_andn2_b64 vcc, exec, s[0:1]
	s_cbranch_vccnz .LBB207_530
; %bb.525:
	s_cmp_gt_i32 s10, 0
	s_cbranch_scc0 .LBB207_527
; %bb.526:
	global_load_sbyte v3, v[1:2], off
	s_mov_b64 s[0:1], 0
	s_waitcnt vmcnt(0)
	v_bfe_i32 v3, v3, 0, 16
	v_ashrrev_i32_e32 v4, 31, v3
	s_branch .LBB207_528
.LBB207_527:
	s_mov_b64 s[0:1], -1
                                        ; implicit-def: $vgpr3_vgpr4
.LBB207_528:
	s_andn2_b64 vcc, exec, s[0:1]
	s_cbranch_vccnz .LBB207_530
; %bb.529:
	global_load_ubyte v1, v[1:2], off
	s_mov_b32 s0, 0
	s_waitcnt vmcnt(1)
	v_mov_b32_e32 v4, s0
	s_waitcnt vmcnt(0)
	v_and_b32_e32 v3, 0xffff, v1
.LBB207_530:
	s_branch .LBB207_290
.LBB207_531:
	s_mov_b64 s[8:9], 0
	s_mov_b64 s[0:1], s[52:53]
.LBB207_532:
                                        ; implicit-def: $vgpr11
.LBB207_533:
	s_andn2_b64 s[10:11], s[52:53], exec
	s_and_b64 s[0:1], s[0:1], exec
	s_or_b64 s[60:61], s[10:11], s[0:1]
	s_andn2_b64 s[0:1], s[54:55], exec
	s_and_b64 s[2:3], s[2:3], exec
	s_or_b64 s[58:59], s[0:1], s[2:3]
	s_orn2_b64 s[0:1], s[8:9], exec
.LBB207_534:
	s_or_b64 exec, exec, s[62:63]
	s_mov_b64 s[2:3], 0
	s_mov_b64 s[8:9], 0
	s_mov_b64 s[10:11], 0
                                        ; implicit-def: $vgpr1_vgpr2
                                        ; implicit-def: $vgpr0
                                        ; implicit-def: $vgpr5_vgpr6
	s_and_saveexec_b64 s[62:63], s[0:1]
	s_cbranch_execz .LBB207_901
; %bb.535:
	v_cmp_gt_i32_e32 vcc, s70, v11
	s_mov_b64 s[2:3], -1
	s_mov_b64 s[66:67], s[58:59]
	s_mov_b64 s[68:69], s[60:61]
	s_and_saveexec_b64 s[64:65], vcc
	s_cbranch_execz .LBB207_805
; %bb.536:
	s_andn2_b64 vcc, exec, s[40:41]
	s_cbranch_vccnz .LBB207_541
; %bb.537:
	s_andn2_b64 vcc, exec, s[50:51]
	s_cbranch_vccnz .LBB207_542
; %bb.538:
	s_add_i32 s77, s76, 1
	s_cmp_eq_u32 s72, 2
	s_cbranch_scc1 .LBB207_543
; %bb.539:
	s_and_b32 s71, s77, 28
	v_mov_b32_e32 v2, 0
	s_mov_b32 s78, 0
	s_mov_b64 s[66:67], s[34:35]
	s_mov_b64 s[68:69], s[48:49]
	v_mov_b32_e32 v0, 0
	v_mov_b32_e32 v1, v11
.LBB207_540:                            ; =>This Inner Loop Header: Depth=1
	s_load_dwordx8 s[16:23], s[66:67], 0x4
	s_load_dwordx4 s[0:3], s[66:67], 0x24
	s_load_dwordx8 s[8:15], s[68:69], 0x0
	s_add_u32 s66, s66, 48
	s_addc_u32 s67, s67, 0
	s_waitcnt vmcnt(0) lgkmcnt(0)
	v_mul_hi_u32 v3, s17, v1
	s_add_i32 s78, s78, 4
	s_add_u32 s68, s68, 32
	s_addc_u32 s69, s69, 0
	v_add_u32_e32 v3, v1, v3
	v_lshrrev_b32_e32 v3, s18, v3
	v_mul_lo_u32 v4, v3, s16
	v_mul_hi_u32 v5, s20, v3
	s_cmp_eq_u32 s71, s78
	v_sub_u32_e32 v1, v1, v4
	v_add_u32_e32 v4, v3, v5
	v_mul_lo_u32 v5, v1, s8
	v_mul_lo_u32 v6, v1, s9
	v_lshrrev_b32_e32 v1, s21, v4
	v_mul_lo_u32 v4, v1, s19
	v_mul_hi_u32 v7, s23, v1
	v_sub_u32_e32 v3, v3, v4
	v_add_u32_e32 v4, v1, v7
	v_lshrrev_b32_e32 v4, s0, v4
	v_mul_hi_u32 v8, s2, v4
	v_mul_lo_u32 v9, v4, s22
	v_mul_lo_u32 v7, v3, s10
	;; [unrolled: 1-line block ×3, first 2 shown]
	v_sub_u32_e32 v9, v1, v9
	v_add_u32_e32 v1, v4, v8
	v_lshrrev_b32_e32 v1, s3, v1
	v_mul_lo_u32 v8, v1, s1
	v_mul_lo_u32 v10, v9, s12
	;; [unrolled: 1-line block ×3, first 2 shown]
	v_add3_u32 v0, v5, v0, v7
	v_sub_u32_e32 v4, v4, v8
	v_mul_lo_u32 v8, v4, s14
	v_mul_lo_u32 v4, v4, s15
	v_add3_u32 v2, v6, v2, v3
	v_add3_u32 v0, v10, v0, v8
	;; [unrolled: 1-line block ×3, first 2 shown]
	s_cbranch_scc0 .LBB207_540
	s_branch .LBB207_544
.LBB207_541:
	s_mov_b64 s[0:1], -1
                                        ; implicit-def: $vgpr0
                                        ; implicit-def: $vgpr2
	s_branch .LBB207_548
.LBB207_542:
	v_mov_b32_e32 v0, 0
	v_mov_b32_e32 v2, 0
	s_branch .LBB207_547
.LBB207_543:
	s_mov_b32 s71, 0
	v_mov_b32_e32 v0, 0
	v_mov_b32_e32 v2, 0
	;; [unrolled: 1-line block ×3, first 2 shown]
.LBB207_544:
	s_and_b32 s8, s77, 3
	s_cmp_eq_u32 s8, 0
	s_cbranch_scc1 .LBB207_547
; %bb.545:
	s_lshl_b32 s0, s71, 3
	s_add_u32 s0, s34, s0
	s_addc_u32 s1, s35, 0
	s_add_u32 s0, s0, 0xc4
	s_addc_u32 s1, s1, 0
	s_mul_i32 s2, s71, 12
	s_add_u32 s2, s34, s2
	s_addc_u32 s3, s35, 0
.LBB207_546:                            ; =>This Inner Loop Header: Depth=1
	s_load_dwordx2 s[10:11], s[2:3], 0x4
	s_load_dword s9, s[2:3], 0xc
	s_load_dwordx2 s[12:13], s[0:1], 0x0
	s_add_u32 s2, s2, 12
	s_addc_u32 s3, s3, 0
	s_waitcnt vmcnt(0) lgkmcnt(0)
	v_mul_hi_u32 v3, s11, v1
	s_add_u32 s0, s0, 8
	s_addc_u32 s1, s1, 0
	s_add_i32 s8, s8, -1
	v_add_u32_e32 v3, v1, v3
	v_lshrrev_b32_e32 v4, s9, v3
	v_mul_lo_u32 v3, v4, s10
	s_cmp_lg_u32 s8, 0
	v_sub_u32_e32 v3, v1, v3
	v_mad_u64_u32 v[0:1], s[10:11], v3, s12, v[0:1]
	v_mad_u64_u32 v[2:3], s[10:11], v3, s13, v[2:3]
	v_mov_b32_e32 v1, v4
	s_cbranch_scc1 .LBB207_546
.LBB207_547:
	s_mov_b64 s[0:1], 0
.LBB207_548:
	s_andn2_b64 vcc, exec, s[0:1]
	s_cbranch_vccnz .LBB207_551
; %bb.549:
	v_mul_hi_u32 v0, s29, v11
	s_andn2_b64 vcc, exec, s[46:47]
	v_add_u32_e32 v0, v11, v0
	v_lshrrev_b32_e32 v1, s30, v0
	v_mul_lo_u32 v0, v1, s28
	v_sub_u32_e32 v2, v11, v0
	v_mul_lo_u32 v0, v2, s36
	v_mul_lo_u32 v2, v2, s37
	s_cbranch_vccnz .LBB207_551
; %bb.550:
	s_waitcnt vmcnt(0)
	v_mul_hi_u32 v3, s44, v1
	v_add_u32_e32 v3, v1, v3
	v_lshrrev_b32_e32 v3, s45, v3
	v_mul_lo_u32 v3, v3, s31
	v_sub_u32_e32 v3, v1, v3
	v_mad_u64_u32 v[0:1], s[0:1], v3, s38, v[0:1]
	v_mad_u64_u32 v[2:3], s[0:1], v3, s39, v[2:3]
.LBB207_551:
	s_waitcnt vmcnt(0)
	v_mov_b32_e32 v3, s27
	s_and_b32 s10, 0xffff, s75
	v_add_co_u32_e32 v1, vcc, s26, v2
	s_cmp_lt_i32 s10, 11
	v_addc_co_u32_e32 v2, vcc, 0, v3, vcc
	s_cbranch_scc1 .LBB207_558
; %bb.552:
	s_cmp_gt_i32 s10, 25
	s_cbranch_scc0 .LBB207_559
; %bb.553:
	s_cmp_gt_i32 s10, 28
	s_cbranch_scc0 .LBB207_560
	;; [unrolled: 3-line block ×4, first 2 shown]
; %bb.556:
	s_cmp_eq_u32 s10, 46
	s_mov_b64 s[8:9], 0
	s_cbranch_scc0 .LBB207_567
; %bb.557:
	global_load_dword v3, v[1:2], off
	s_mov_b32 s0, 0x2f800000
	s_mov_b32 s1, 0xcf800000
	s_mov_b64 s[2:3], 0
	s_waitcnt vmcnt(0)
	v_lshlrev_b32_e32 v3, 16, v3
	v_trunc_f32_e32 v3, v3
	v_mul_f32_e64 v4, |v3|, s0
	v_floor_f32_e32 v4, v4
	v_fma_f32 v5, v4, s1, |v3|
	v_cvt_u32_f32_e32 v5, v5
	v_cvt_u32_f32_e32 v4, v4
	v_ashrrev_i32_e32 v6, 31, v3
	s_mov_b64 s[0:1], -1
	v_xor_b32_e32 v3, v5, v6
	v_xor_b32_e32 v4, v4, v6
	v_sub_co_u32_e32 v3, vcc, v3, v6
	v_subb_co_u32_e32 v4, vcc, v4, v6, vcc
	s_branch .LBB207_568
.LBB207_558:
	s_mov_b64 s[8:9], -1
	s_mov_b64 s[0:1], 0
                                        ; implicit-def: $vgpr3_vgpr4
	s_mov_b64 s[2:3], s[58:59]
	s_branch .LBB207_629
.LBB207_559:
	s_mov_b64 s[8:9], -1
	s_mov_b64 s[0:1], 0
	s_mov_b64 s[2:3], s[58:59]
                                        ; implicit-def: $vgpr3_vgpr4
	s_branch .LBB207_597
.LBB207_560:
	s_mov_b64 s[8:9], -1
	s_mov_b64 s[0:1], 0
	s_mov_b64 s[2:3], s[58:59]
                                        ; implicit-def: $vgpr3_vgpr4
	s_branch .LBB207_578
.LBB207_561:
	s_mov_b64 s[8:9], -1
	s_mov_b64 s[0:1], 0
	s_mov_b64 s[2:3], s[58:59]
                                        ; implicit-def: $vgpr3_vgpr4
	s_branch .LBB207_573
.LBB207_562:
	s_andn2_saveexec_b64 s[12:13], s[12:13]
	s_cbranch_execz .LBB207_335
.LBB207_563:
	s_mov_b32 s16, 0x46000000
	v_add_f32_e64 v5, |v0|, s16
	v_and_b32_e32 v5, 0xff, v5
	v_cmp_ne_u32_e32 vcc, 0, v5
	s_andn2_b64 s[10:11], s[10:11], exec
	s_and_b64 s[16:17], vcc, exec
	s_or_b64 s[10:11], s[10:11], s[16:17]
	s_or_b64 exec, exec, s[12:13]
	v_mov_b32_e32 v6, 0
	s_and_saveexec_b64 s[12:13], s[10:11]
	s_cbranch_execnz .LBB207_336
	s_branch .LBB207_337
.LBB207_564:
	s_mov_b64 s[8:9], -1
	s_mov_b64 s[0:1], 0
	s_mov_b64 s[2:3], s[58:59]
                                        ; implicit-def: $vgpr3_vgpr4
	s_branch .LBB207_568
.LBB207_565:
	s_andn2_saveexec_b64 s[12:13], s[12:13]
	s_cbranch_execz .LBB207_348
.LBB207_566:
	s_mov_b32 s16, 0x42800000
	v_add_f32_e64 v5, |v0|, s16
	v_and_b32_e32 v5, 0xff, v5
	v_cmp_ne_u32_e32 vcc, 0, v5
	s_andn2_b64 s[10:11], s[10:11], exec
	s_and_b64 s[16:17], vcc, exec
	s_or_b64 s[10:11], s[10:11], s[16:17]
	s_or_b64 exec, exec, s[12:13]
	v_mov_b32_e32 v6, 0
	s_and_saveexec_b64 s[12:13], s[10:11]
	s_cbranch_execnz .LBB207_349
	s_branch .LBB207_350
.LBB207_567:
	s_mov_b64 s[2:3], -1
                                        ; implicit-def: $vgpr3_vgpr4
	s_mov_b64 s[0:1], 0
.LBB207_568:
	s_and_b64 vcc, exec, s[8:9]
	s_cbranch_vccz .LBB207_572
; %bb.569:
	s_cmp_eq_u32 s10, 44
	s_cbranch_scc0 .LBB207_571
; %bb.570:
	global_load_ubyte v3, v[1:2], off
	s_mov_b32 s0, 0x2f800000
	s_mov_b32 s1, 0xcf800000
	s_mov_b64 s[2:3], 0
	s_waitcnt vmcnt(0)
	v_lshlrev_b32_e32 v4, 23, v3
	v_trunc_f32_e32 v4, v4
	v_mul_f32_e64 v5, |v4|, s0
	v_floor_f32_e32 v5, v5
	v_fma_f32 v6, v5, s1, |v4|
	v_cvt_u32_f32_e32 v6, v6
	v_cvt_u32_f32_e32 v5, v5
	v_ashrrev_i32_e32 v4, 31, v4
	s_mov_b64 s[0:1], -1
	v_xor_b32_e32 v6, v6, v4
	v_xor_b32_e32 v5, v5, v4
	v_sub_co_u32_e32 v6, vcc, v6, v4
	v_subb_co_u32_e32 v4, vcc, v5, v4, vcc
	v_cmp_ne_u32_e32 vcc, 0, v3
	v_cndmask_b32_e32 v4, 0, v4, vcc
	v_cndmask_b32_e32 v3, 0, v6, vcc
	s_branch .LBB207_572
.LBB207_571:
	s_mov_b64 s[2:3], -1
                                        ; implicit-def: $vgpr3_vgpr4
.LBB207_572:
	s_mov_b64 s[8:9], 0
.LBB207_573:
	s_and_b64 vcc, exec, s[8:9]
	s_cbranch_vccz .LBB207_577
; %bb.574:
	s_cmp_eq_u32 s10, 29
	s_cbranch_scc0 .LBB207_576
; %bb.575:
	global_load_dwordx2 v[3:4], v[1:2], off
	s_mov_b64 s[0:1], -1
	s_mov_b64 s[2:3], 0
	s_branch .LBB207_577
.LBB207_576:
	s_mov_b64 s[2:3], -1
                                        ; implicit-def: $vgpr3_vgpr4
.LBB207_577:
	s_mov_b64 s[8:9], 0
.LBB207_578:
	s_and_b64 vcc, exec, s[8:9]
	s_cbranch_vccz .LBB207_596
; %bb.579:
	s_cmp_lt_i32 s10, 27
	s_cbranch_scc1 .LBB207_582
; %bb.580:
	s_cmp_gt_i32 s10, 27
	s_cbranch_scc0 .LBB207_583
; %bb.581:
	global_load_dword v3, v[1:2], off
	s_waitcnt vmcnt(1)
	v_mov_b32_e32 v4, 0
	s_mov_b64 s[0:1], 0
	s_branch .LBB207_584
.LBB207_582:
	s_mov_b64 s[0:1], -1
                                        ; implicit-def: $vgpr3_vgpr4
	s_branch .LBB207_587
.LBB207_583:
	s_mov_b64 s[0:1], -1
                                        ; implicit-def: $vgpr3_vgpr4
.LBB207_584:
	s_andn2_b64 vcc, exec, s[0:1]
	s_cbranch_vccnz .LBB207_586
; %bb.585:
	global_load_ushort v3, v[1:2], off
	s_mov_b32 s0, 0
	s_waitcnt vmcnt(1)
	v_mov_b32_e32 v4, s0
	s_waitcnt vmcnt(0)
	v_and_b32_e32 v3, 0xffff, v3
.LBB207_586:
	s_mov_b64 s[0:1], 0
.LBB207_587:
	s_andn2_b64 vcc, exec, s[0:1]
	s_cbranch_vccnz .LBB207_595
; %bb.588:
	global_load_ubyte v5, v[1:2], off
	s_movk_i32 s0, 0x7f
	s_mov_b64 s[8:9], 0
	s_waitcnt vmcnt(0)
	v_cmp_lt_i16_e32 vcc, s0, v5
	s_and_saveexec_b64 s[0:1], vcc
	s_xor_b64 s[0:1], exec, s[0:1]
; %bb.589:
	s_movk_i32 s8, 0x80
	v_cmp_ne_u16_e32 vcc, s8, v5
	s_and_b64 s[8:9], vcc, exec
; %bb.590:
	s_andn2_saveexec_b64 s[0:1], s[0:1]
; %bb.591:
	v_cmp_ne_u16_e32 vcc, 0, v5
	s_andn2_b64 s[8:9], s[8:9], exec
	s_and_b64 s[12:13], vcc, exec
	s_or_b64 s[8:9], s[8:9], s[12:13]
; %bb.592:
	s_or_b64 exec, exec, s[0:1]
	v_mov_b32_e32 v3, 0
	v_mov_b32_e32 v4, 0
	s_and_saveexec_b64 s[0:1], s[8:9]
	s_cbranch_execz .LBB207_594
; %bb.593:
	v_and_b32_e32 v4, 0xffff, v5
	v_lshlrev_b32_e32 v3, 24, v5
	v_and_b32_e32 v5, 7, v4
	v_ffbh_u32_e32 v7, v5
	v_min_u32_e32 v7, 32, v7
	v_subrev_u32_e32 v8, 28, v7
	v_bfe_u32 v6, v4, 3, 4
	v_lshlrev_b32_e32 v4, v8, v4
	v_sub_u32_e32 v7, 29, v7
	v_and_b32_e32 v4, 7, v4
	v_cmp_eq_u32_e32 vcc, 0, v6
	v_cndmask_b32_e32 v6, v6, v7, vcc
	v_cndmask_b32_e32 v4, v5, v4, vcc
	v_mov_b32_e32 v5, 0x3b800000
	v_lshlrev_b32_e32 v4, 20, v4
	v_and_b32_e32 v3, 0x80000000, v3
	v_lshl_add_u32 v5, v6, 23, v5
	v_or3_b32 v3, v3, v5, v4
	v_trunc_f32_e32 v3, v3
	s_mov_b32 s8, 0x2f800000
	v_mul_f32_e64 v4, |v3|, s8
	v_floor_f32_e32 v4, v4
	s_mov_b32 s8, 0xcf800000
	v_fma_f32 v5, v4, s8, |v3|
	v_cvt_u32_f32_e32 v5, v5
	v_cvt_u32_f32_e32 v4, v4
	v_ashrrev_i32_e32 v6, 31, v3
	v_xor_b32_e32 v3, v5, v6
	v_xor_b32_e32 v4, v4, v6
	v_sub_co_u32_e32 v3, vcc, v3, v6
	v_subb_co_u32_e32 v4, vcc, v4, v6, vcc
.LBB207_594:
	s_or_b64 exec, exec, s[0:1]
.LBB207_595:
	s_mov_b64 s[0:1], -1
.LBB207_596:
	s_mov_b64 s[8:9], 0
.LBB207_597:
	s_and_b64 vcc, exec, s[8:9]
	s_cbranch_vccz .LBB207_628
; %bb.598:
	s_cmp_gt_i32 s10, 22
	s_cbranch_scc0 .LBB207_608
; %bb.599:
	s_cmp_lt_i32 s10, 24
	s_cbranch_scc1 .LBB207_609
; %bb.600:
	s_cmp_gt_i32 s10, 24
	s_cbranch_scc0 .LBB207_610
; %bb.601:
	global_load_ubyte v5, v[1:2], off
	s_movk_i32 s0, 0x7f
	s_mov_b64 s[8:9], 0
	s_waitcnt vmcnt(0)
	v_cmp_lt_i16_e32 vcc, s0, v5
	s_and_saveexec_b64 s[0:1], vcc
	s_xor_b64 s[0:1], exec, s[0:1]
; %bb.602:
	s_movk_i32 s8, 0x80
	v_cmp_ne_u16_e32 vcc, s8, v5
	s_and_b64 s[8:9], vcc, exec
; %bb.603:
	s_andn2_saveexec_b64 s[0:1], s[0:1]
; %bb.604:
	v_cmp_ne_u16_e32 vcc, 0, v5
	s_andn2_b64 s[8:9], s[8:9], exec
	s_and_b64 s[12:13], vcc, exec
	s_or_b64 s[8:9], s[8:9], s[12:13]
; %bb.605:
	s_or_b64 exec, exec, s[0:1]
	v_mov_b32_e32 v3, 0
	v_mov_b32_e32 v4, 0
	s_and_saveexec_b64 s[0:1], s[8:9]
	s_cbranch_execz .LBB207_607
; %bb.606:
	v_and_b32_e32 v4, 0xffff, v5
	v_lshlrev_b32_e32 v3, 24, v5
	v_and_b32_e32 v5, 3, v4
	v_ffbh_u32_e32 v7, v5
	v_min_u32_e32 v7, 32, v7
	v_subrev_u32_e32 v8, 29, v7
	v_bfe_u32 v6, v4, 2, 5
	v_lshlrev_b32_e32 v4, v8, v4
	v_sub_u32_e32 v7, 30, v7
	v_and_b32_e32 v4, 3, v4
	v_cmp_eq_u32_e32 vcc, 0, v6
	v_cndmask_b32_e32 v6, v6, v7, vcc
	v_cndmask_b32_e32 v4, v5, v4, vcc
	v_mov_b32_e32 v5, 0x37800000
	v_lshlrev_b32_e32 v4, 21, v4
	v_and_b32_e32 v3, 0x80000000, v3
	v_lshl_add_u32 v5, v6, 23, v5
	v_or3_b32 v3, v3, v5, v4
	v_trunc_f32_e32 v3, v3
	s_mov_b32 s8, 0x2f800000
	v_mul_f32_e64 v4, |v3|, s8
	v_floor_f32_e32 v4, v4
	s_mov_b32 s8, 0xcf800000
	v_fma_f32 v5, v4, s8, |v3|
	v_cvt_u32_f32_e32 v5, v5
	v_cvt_u32_f32_e32 v4, v4
	v_ashrrev_i32_e32 v6, 31, v3
	v_xor_b32_e32 v3, v5, v6
	v_xor_b32_e32 v4, v4, v6
	v_sub_co_u32_e32 v3, vcc, v3, v6
	v_subb_co_u32_e32 v4, vcc, v4, v6, vcc
.LBB207_607:
	s_or_b64 exec, exec, s[0:1]
	s_mov_b64 s[0:1], 0
	s_branch .LBB207_611
.LBB207_608:
	s_mov_b64 s[8:9], -1
                                        ; implicit-def: $vgpr3_vgpr4
	s_branch .LBB207_617
.LBB207_609:
	s_mov_b64 s[0:1], -1
                                        ; implicit-def: $vgpr3_vgpr4
	s_branch .LBB207_614
.LBB207_610:
	s_mov_b64 s[0:1], -1
                                        ; implicit-def: $vgpr3_vgpr4
.LBB207_611:
	s_and_b64 vcc, exec, s[0:1]
	s_cbranch_vccz .LBB207_613
; %bb.612:
	global_load_ubyte v3, v[1:2], off
	s_mov_b32 s0, 0x7f800000
	s_brev_b32 s1, 1
	s_mov_b32 s8, 0x2f800000
	s_mov_b32 s9, 0xcf800000
	s_waitcnt vmcnt(0)
	v_lshlrev_b32_e32 v3, 24, v3
	v_and_b32_e32 v4, 0x7f000000, v3
	v_ffbh_u32_e32 v5, v4
	v_min_u32_e32 v5, 32, v5
	v_sub_u32_e64 v5, v5, 4 clamp
	v_lshlrev_b32_e32 v7, v5, v4
	v_lshlrev_b32_e32 v5, 23, v5
	v_lshrrev_b32_e32 v7, 4, v7
	v_add_u32_e32 v6, 0x1000000, v4
	v_sub_u32_e32 v5, v7, v5
	v_ashrrev_i32_e32 v6, 8, v6
	v_add_u32_e32 v5, 0x3c000000, v5
	v_and_or_b32 v5, v6, s0, v5
	v_cmp_ne_u32_e32 vcc, 0, v4
	v_cndmask_b32_e32 v4, 0, v5, vcc
	v_and_or_b32 v3, v3, s1, v4
	v_trunc_f32_e32 v3, v3
	v_mul_f32_e64 v4, |v3|, s8
	v_floor_f32_e32 v4, v4
	v_fma_f32 v5, v4, s9, |v3|
	v_cvt_u32_f32_e32 v5, v5
	v_cvt_u32_f32_e32 v4, v4
	v_ashrrev_i32_e32 v6, 31, v3
	v_xor_b32_e32 v3, v5, v6
	v_xor_b32_e32 v4, v4, v6
	v_sub_co_u32_e32 v3, vcc, v3, v6
	v_subb_co_u32_e32 v4, vcc, v4, v6, vcc
.LBB207_613:
	s_mov_b64 s[0:1], 0
.LBB207_614:
	s_andn2_b64 vcc, exec, s[0:1]
	s_cbranch_vccnz .LBB207_616
; %bb.615:
	global_load_ubyte v3, v[1:2], off
	s_movk_i32 s0, 0x7f00
	s_brev_b32 s1, 16
	s_brev_b32 s8, 1
	s_mov_b32 s9, 0x2f800000
	s_mov_b32 s11, 0xcf800000
	s_waitcnt vmcnt(0)
	v_lshlrev_b16_e32 v4, 8, v3
	v_lshlrev_b32_e32 v3, 25, v3
	v_lshrrev_b32_e32 v5, 4, v3
	v_and_or_b32 v6, v4, s0, 0.5
	v_or_b32_e32 v5, 0x70000000, v5
	v_add_f32_e32 v6, -0.5, v6
	v_mul_f32_e32 v5, 0x7800000, v5
	v_cmp_gt_u32_e32 vcc, s1, v3
	v_bfe_i32 v4, v4, 0, 16
	v_cndmask_b32_e32 v3, v5, v6, vcc
	v_and_or_b32 v3, v4, s8, v3
	v_trunc_f32_e32 v3, v3
	v_mul_f32_e64 v4, |v3|, s9
	v_floor_f32_e32 v4, v4
	v_fma_f32 v5, v4, s11, |v3|
	v_cvt_u32_f32_e32 v5, v5
	v_cvt_u32_f32_e32 v4, v4
	v_ashrrev_i32_e32 v6, 31, v3
	v_xor_b32_e32 v3, v5, v6
	v_xor_b32_e32 v4, v4, v6
	v_sub_co_u32_e32 v3, vcc, v3, v6
	v_subb_co_u32_e32 v4, vcc, v4, v6, vcc
.LBB207_616:
	s_mov_b64 s[8:9], 0
	s_mov_b64 s[0:1], -1
.LBB207_617:
	s_andn2_b64 vcc, exec, s[8:9]
	s_cbranch_vccnz .LBB207_628
; %bb.618:
	s_cmp_gt_i32 s10, 14
	s_cbranch_scc0 .LBB207_621
; %bb.619:
	s_cmp_eq_u32 s10, 15
	s_cbranch_scc0 .LBB207_622
; %bb.620:
	global_load_ushort v3, v[1:2], off
	s_mov_b32 s0, 0x2f800000
	s_mov_b32 s1, 0xcf800000
	s_mov_b64 s[2:3], 0
	s_waitcnt vmcnt(0)
	v_lshlrev_b32_e32 v3, 16, v3
	v_trunc_f32_e32 v3, v3
	v_mul_f32_e64 v4, |v3|, s0
	v_floor_f32_e32 v4, v4
	v_fma_f32 v5, v4, s1, |v3|
	v_cvt_u32_f32_e32 v5, v5
	v_cvt_u32_f32_e32 v4, v4
	v_ashrrev_i32_e32 v6, 31, v3
	s_mov_b64 s[0:1], -1
	v_xor_b32_e32 v3, v5, v6
	v_xor_b32_e32 v4, v4, v6
	v_sub_co_u32_e32 v3, vcc, v3, v6
	v_subb_co_u32_e32 v4, vcc, v4, v6, vcc
	s_branch .LBB207_623
.LBB207_621:
	s_mov_b64 s[8:9], -1
                                        ; implicit-def: $vgpr3_vgpr4
	s_branch .LBB207_624
.LBB207_622:
	s_mov_b64 s[2:3], -1
                                        ; implicit-def: $vgpr3_vgpr4
.LBB207_623:
	s_mov_b64 s[8:9], 0
.LBB207_624:
	s_and_b64 vcc, exec, s[8:9]
	s_cbranch_vccz .LBB207_628
; %bb.625:
	s_cmp_eq_u32 s10, 11
	s_cbranch_scc0 .LBB207_627
; %bb.626:
	global_load_ubyte v3, v[1:2], off
	s_mov_b32 s2, 0
	s_mov_b64 s[0:1], -1
	s_waitcnt vmcnt(1)
	v_mov_b32_e32 v4, s2
	s_mov_b64 s[2:3], 0
	s_waitcnt vmcnt(0)
	v_cmp_ne_u16_e32 vcc, 0, v3
	v_cndmask_b32_e64 v3, 0, 1, vcc
	s_branch .LBB207_628
.LBB207_627:
	s_mov_b64 s[2:3], -1
                                        ; implicit-def: $vgpr3_vgpr4
.LBB207_628:
	s_mov_b64 s[8:9], 0
.LBB207_629:
	s_and_b64 vcc, exec, s[8:9]
	s_cbranch_vccz .LBB207_678
; %bb.630:
	s_cmp_lt_i32 s10, 5
	s_cbranch_scc1 .LBB207_635
; %bb.631:
	s_cmp_lt_i32 s10, 8
	s_cbranch_scc1 .LBB207_636
	;; [unrolled: 3-line block ×3, first 2 shown]
; %bb.633:
	s_cmp_gt_i32 s10, 9
	s_cbranch_scc0 .LBB207_638
; %bb.634:
	global_load_dwordx2 v[3:4], v[1:2], off
	s_movk_i32 s0, 0xffe0
	s_waitcnt vmcnt(0)
	v_trunc_f64_e32 v[3:4], v[3:4]
	v_ldexp_f64 v[5:6], v[3:4], s0
	s_mov_b32 s0, 0
	s_mov_b32 s1, 0xc1f00000
	v_floor_f64_e32 v[5:6], v[5:6]
	v_fma_f64 v[7:8], v[5:6], s[0:1], v[3:4]
	v_cvt_i32_f64_e32 v4, v[5:6]
	s_mov_b64 s[0:1], 0
	v_cvt_u32_f64_e32 v3, v[7:8]
	s_branch .LBB207_639
.LBB207_635:
	s_mov_b64 s[0:1], -1
                                        ; implicit-def: $vgpr3_vgpr4
	s_branch .LBB207_657
.LBB207_636:
	s_mov_b64 s[0:1], -1
                                        ; implicit-def: $vgpr3_vgpr4
	s_branch .LBB207_645
.LBB207_637:
	s_mov_b64 s[0:1], -1
                                        ; implicit-def: $vgpr3_vgpr4
	s_branch .LBB207_642
.LBB207_638:
	s_mov_b64 s[0:1], -1
                                        ; implicit-def: $vgpr3_vgpr4
.LBB207_639:
	s_andn2_b64 vcc, exec, s[0:1]
	s_cbranch_vccnz .LBB207_641
; %bb.640:
	global_load_dword v3, v[1:2], off
	s_mov_b32 s0, 0x2f800000
	s_mov_b32 s1, 0xcf800000
	s_waitcnt vmcnt(0)
	v_trunc_f32_e32 v3, v3
	v_mul_f32_e64 v4, |v3|, s0
	v_floor_f32_e32 v4, v4
	v_cvt_u32_f32_e32 v5, v4
	v_fma_f32 v4, v4, s1, |v3|
	v_cvt_u32_f32_e32 v4, v4
	v_ashrrev_i32_e32 v6, 31, v3
	v_xor_b32_e32 v5, v5, v6
	v_xor_b32_e32 v3, v4, v6
	v_sub_co_u32_e32 v3, vcc, v3, v6
	v_subb_co_u32_e32 v4, vcc, v5, v6, vcc
.LBB207_641:
	s_mov_b64 s[0:1], 0
.LBB207_642:
	s_andn2_b64 vcc, exec, s[0:1]
	s_cbranch_vccnz .LBB207_644
; %bb.643:
	global_load_dword v3, v[1:2], off
	s_waitcnt vmcnt(0)
	v_cvt_f32_f16_e32 v3, v3
	v_cvt_i32_f32_e32 v3, v3
	v_ashrrev_i32_e32 v4, 31, v3
.LBB207_644:
	s_mov_b64 s[0:1], 0
.LBB207_645:
	s_andn2_b64 vcc, exec, s[0:1]
	s_cbranch_vccnz .LBB207_656
; %bb.646:
	s_cmp_lt_i32 s10, 6
	s_cbranch_scc1 .LBB207_649
; %bb.647:
	s_cmp_gt_i32 s10, 6
	s_cbranch_scc0 .LBB207_650
; %bb.648:
	global_load_dwordx2 v[3:4], v[1:2], off
	s_movk_i32 s0, 0xffe0
	s_waitcnt vmcnt(0)
	v_trunc_f64_e32 v[3:4], v[3:4]
	v_ldexp_f64 v[5:6], v[3:4], s0
	s_mov_b32 s0, 0
	s_mov_b32 s1, 0xc1f00000
	v_floor_f64_e32 v[5:6], v[5:6]
	v_fma_f64 v[7:8], v[5:6], s[0:1], v[3:4]
	v_cvt_i32_f64_e32 v4, v[5:6]
	s_mov_b64 s[0:1], 0
	v_cvt_u32_f64_e32 v3, v[7:8]
	s_branch .LBB207_651
.LBB207_649:
	s_mov_b64 s[0:1], -1
                                        ; implicit-def: $vgpr3_vgpr4
	s_branch .LBB207_654
.LBB207_650:
	s_mov_b64 s[0:1], -1
                                        ; implicit-def: $vgpr3_vgpr4
.LBB207_651:
	s_andn2_b64 vcc, exec, s[0:1]
	s_cbranch_vccnz .LBB207_653
; %bb.652:
	global_load_dword v3, v[1:2], off
	s_mov_b32 s0, 0x2f800000
	s_mov_b32 s1, 0xcf800000
	s_waitcnt vmcnt(0)
	v_trunc_f32_e32 v3, v3
	v_mul_f32_e64 v4, |v3|, s0
	v_floor_f32_e32 v4, v4
	v_cvt_u32_f32_e32 v5, v4
	v_fma_f32 v4, v4, s1, |v3|
	v_cvt_u32_f32_e32 v4, v4
	v_ashrrev_i32_e32 v6, 31, v3
	v_xor_b32_e32 v5, v5, v6
	v_xor_b32_e32 v3, v4, v6
	v_sub_co_u32_e32 v3, vcc, v3, v6
	v_subb_co_u32_e32 v4, vcc, v5, v6, vcc
.LBB207_653:
	s_mov_b64 s[0:1], 0
.LBB207_654:
	s_andn2_b64 vcc, exec, s[0:1]
	s_cbranch_vccnz .LBB207_656
; %bb.655:
	global_load_ushort v3, v[1:2], off
	s_waitcnt vmcnt(0)
	v_cvt_f32_f16_e32 v3, v3
	v_cvt_i32_f32_e32 v3, v3
	v_ashrrev_i32_e32 v4, 31, v3
.LBB207_656:
	s_mov_b64 s[0:1], 0
.LBB207_657:
	s_andn2_b64 vcc, exec, s[0:1]
	s_cbranch_vccnz .LBB207_677
; %bb.658:
	s_cmp_lt_i32 s10, 2
	s_cbranch_scc1 .LBB207_662
; %bb.659:
	s_cmp_lt_i32 s10, 3
	s_cbranch_scc1 .LBB207_663
; %bb.660:
	s_cmp_gt_i32 s10, 3
	s_cbranch_scc0 .LBB207_664
; %bb.661:
	global_load_dwordx2 v[3:4], v[1:2], off
	s_mov_b64 s[0:1], 0
	s_branch .LBB207_665
.LBB207_662:
	s_mov_b64 s[0:1], -1
                                        ; implicit-def: $vgpr3_vgpr4
	s_branch .LBB207_671
.LBB207_663:
	s_mov_b64 s[0:1], -1
                                        ; implicit-def: $vgpr3_vgpr4
	s_branch .LBB207_668
.LBB207_664:
	s_mov_b64 s[0:1], -1
                                        ; implicit-def: $vgpr3_vgpr4
.LBB207_665:
	s_andn2_b64 vcc, exec, s[0:1]
	s_cbranch_vccnz .LBB207_667
; %bb.666:
	global_load_dword v3, v[1:2], off
	s_waitcnt vmcnt(0)
	v_ashrrev_i32_e32 v4, 31, v3
.LBB207_667:
	s_mov_b64 s[0:1], 0
.LBB207_668:
	s_andn2_b64 vcc, exec, s[0:1]
	s_cbranch_vccnz .LBB207_670
; %bb.669:
	global_load_ushort v3, v[1:2], off
	s_waitcnt vmcnt(0)
	v_bfe_i32 v3, v3, 0, 16
	v_ashrrev_i32_e32 v4, 31, v3
.LBB207_670:
	s_mov_b64 s[0:1], 0
.LBB207_671:
	s_andn2_b64 vcc, exec, s[0:1]
	s_cbranch_vccnz .LBB207_677
; %bb.672:
	s_cmp_gt_i32 s10, 0
	s_cbranch_scc0 .LBB207_674
; %bb.673:
	global_load_sbyte v3, v[1:2], off
	s_mov_b64 s[0:1], 0
	s_waitcnt vmcnt(0)
	v_bfe_i32 v3, v3, 0, 16
	v_ashrrev_i32_e32 v4, 31, v3
	s_branch .LBB207_675
.LBB207_674:
	s_mov_b64 s[0:1], -1
                                        ; implicit-def: $vgpr3_vgpr4
.LBB207_675:
	s_andn2_b64 vcc, exec, s[0:1]
	s_cbranch_vccnz .LBB207_677
; %bb.676:
	global_load_ubyte v1, v[1:2], off
	s_mov_b32 s0, 0
	s_waitcnt vmcnt(1)
	v_mov_b32_e32 v4, s0
	s_waitcnt vmcnt(0)
	v_and_b32_e32 v3, 0xffff, v1
.LBB207_677:
	s_mov_b64 s[0:1], -1
.LBB207_678:
	s_andn2_b64 vcc, exec, s[0:1]
	s_cbranch_vccnz .LBB207_686
; %bb.679:
	s_waitcnt vmcnt(0)
	v_ashrrev_i64 v[1:2], s74, v[3:4]
	v_mov_b32_e32 v4, s25
	s_and_b32 s14, s73, 0xff
	v_add_co_u32_e32 v3, vcc, s24, v0
	s_cmp_lt_i32 s14, 11
	v_addc_co_u32_e32 v4, vcc, 0, v4, vcc
	s_cbranch_scc1 .LBB207_687
; %bb.680:
	s_and_b32 s15, 0xffff, s14
	s_cmp_gt_i32 s15, 25
	s_cbranch_scc0 .LBB207_688
; %bb.681:
	s_cmp_gt_i32 s15, 28
	s_cbranch_scc0 .LBB207_689
; %bb.682:
	;; [unrolled: 3-line block ×4, first 2 shown]
	s_mov_b64 s[10:11], 0
	s_mov_b64 s[0:1], -1
	s_cmp_eq_u32 s15, 46
	s_mov_b64 s[8:9], 0
	s_cbranch_scc0 .LBB207_692
; %bb.685:
	v_xor_b32_e32 v5, v1, v2
	v_ffbh_i32_e32 v0, v2
	v_ashrrev_i32_e32 v5, 31, v5
	v_add_u32_e32 v0, -1, v0
	v_add_u32_e32 v5, 32, v5
	v_min_u32_e32 v0, v0, v5
	v_lshlrev_b64 v[5:6], v0, v[1:2]
	v_sub_u32_e32 v0, 32, v0
	v_min_u32_e32 v5, 1, v5
	v_or_b32_e32 v5, v6, v5
	v_cvt_f32_i32_e32 v5, v5
	s_movk_i32 s0, 0x7fff
	s_mov_b64 s[8:9], -1
	v_ldexp_f32 v0, v5, v0
	v_bfe_u32 v5, v0, 16, 1
	v_add3_u32 v0, v0, v5, s0
	v_lshrrev_b32_e32 v0, 16, v0
	global_store_dword v[3:4], v0, off
	s_mov_b64 s[0:1], 0
	s_branch .LBB207_692
.LBB207_686:
	s_mov_b64 s[8:9], 0
	s_mov_b64 s[0:1], s[60:61]
	s_branch .LBB207_803
.LBB207_687:
	s_mov_b64 s[10:11], -1
	s_mov_b64 s[8:9], 0
	s_mov_b64 s[0:1], s[60:61]
	s_branch .LBB207_761
.LBB207_688:
	s_mov_b64 s[10:11], -1
	s_mov_b64 s[8:9], 0
	s_mov_b64 s[0:1], s[60:61]
	s_branch .LBB207_719
.LBB207_689:
	s_mov_b64 s[10:11], -1
	s_mov_b64 s[8:9], 0
	s_mov_b64 s[0:1], s[60:61]
	s_branch .LBB207_702
.LBB207_690:
	s_mov_b64 s[10:11], -1
	s_mov_b64 s[8:9], 0
	s_mov_b64 s[0:1], s[60:61]
	s_branch .LBB207_698
.LBB207_691:
	s_mov_b64 s[10:11], -1
	s_mov_b64 s[8:9], 0
	s_mov_b64 s[0:1], s[60:61]
.LBB207_692:
	s_and_b64 vcc, exec, s[10:11]
	s_cbranch_vccz .LBB207_697
; %bb.693:
	s_cmp_eq_u32 s15, 44
	s_mov_b64 s[0:1], -1
	s_cbranch_scc0 .LBB207_697
; %bb.694:
	v_xor_b32_e32 v5, v1, v2
	v_ffbh_i32_e32 v0, v2
	v_ashrrev_i32_e32 v5, 31, v5
	v_add_u32_e32 v0, -1, v0
	v_add_u32_e32 v5, 32, v5
	v_min_u32_e32 v0, v0, v5
	v_lshlrev_b64 v[5:6], v0, v[1:2]
	v_sub_u32_e32 v0, 32, v0
	v_min_u32_e32 v5, 1, v5
	v_or_b32_e32 v5, v6, v5
	v_cvt_f32_i32_e32 v5, v5
	s_movk_i32 s0, 0xff
	v_mov_b32_e32 v6, 0xff
	v_ldexp_f32 v0, v5, v0
	v_bfe_u32 v5, v0, 23, 8
	v_cmp_ne_u32_e32 vcc, s0, v5
	s_and_saveexec_b64 s[8:9], vcc
; %bb.695:
	s_mov_b32 s0, 0x3fffff
	v_lshrrev_b32_e32 v6, 23, v0
	v_and_b32_e32 v7, 0x400000, v0
	v_and_or_b32 v0, v0, s0, v5
	v_cmp_ne_u32_e32 vcc, 0, v7
	v_cmp_ne_u32_e64 s[0:1], 0, v0
	s_and_b64 s[0:1], vcc, s[0:1]
	v_cndmask_b32_e64 v0, 0, 1, s[0:1]
	v_add_u32_e32 v6, v6, v0
; %bb.696:
	s_or_b64 exec, exec, s[8:9]
	s_mov_b64 s[8:9], -1
	s_mov_b64 s[0:1], 0
	global_store_byte v[3:4], v6, off
.LBB207_697:
	s_mov_b64 s[10:11], 0
.LBB207_698:
	s_and_b64 vcc, exec, s[10:11]
	s_cbranch_vccz .LBB207_701
; %bb.699:
	s_cmp_eq_u32 s15, 29
	s_mov_b64 s[0:1], -1
	s_cbranch_scc0 .LBB207_701
; %bb.700:
	global_store_dwordx2 v[3:4], v[1:2], off
	s_mov_b64 s[8:9], -1
	s_mov_b64 s[0:1], 0
.LBB207_701:
	s_mov_b64 s[10:11], 0
.LBB207_702:
	s_and_b64 vcc, exec, s[10:11]
	s_cbranch_vccz .LBB207_718
; %bb.703:
	s_cmp_lt_i32 s15, 27
	s_mov_b64 s[8:9], -1
	s_cbranch_scc1 .LBB207_709
; %bb.704:
	s_cmp_gt_i32 s15, 27
	s_cbranch_scc0 .LBB207_706
; %bb.705:
	s_mov_b64 s[8:9], 0
	global_store_dword v[3:4], v1, off
.LBB207_706:
	s_andn2_b64 vcc, exec, s[8:9]
	s_cbranch_vccnz .LBB207_708
; %bb.707:
	global_store_short v[3:4], v1, off
.LBB207_708:
	s_mov_b64 s[8:9], 0
.LBB207_709:
	s_andn2_b64 vcc, exec, s[8:9]
	s_cbranch_vccnz .LBB207_717
; %bb.710:
	v_xor_b32_e32 v5, v1, v2
	v_ffbh_i32_e32 v0, v2
	v_ashrrev_i32_e32 v5, 31, v5
	v_add_u32_e32 v0, -1, v0
	v_add_u32_e32 v5, 32, v5
	v_min_u32_e32 v0, v0, v5
	v_lshlrev_b64 v[5:6], v0, v[1:2]
	v_sub_u32_e32 v0, 32, v0
	v_min_u32_e32 v5, 1, v5
	v_or_b32_e32 v5, v6, v5
	v_cvt_f32_i32_e32 v5, v5
	s_mov_b32 s8, 0x43800000
	v_mov_b32_e32 v6, 0x80
	v_ldexp_f32 v0, v5, v0
	v_and_b32_e32 v5, 0x7fffffff, v0
	v_cmp_gt_u32_e32 vcc, s8, v5
	s_and_saveexec_b64 s[8:9], vcc
	s_cbranch_execz .LBB207_716
; %bb.711:
	s_mov_b32 s10, 0x3bffffff
	v_cmp_lt_u32_e32 vcc, s10, v5
	s_mov_b64 s[10:11], 0
                                        ; implicit-def: $vgpr5
	s_and_saveexec_b64 s[12:13], vcc
	s_xor_b64 s[12:13], exec, s[12:13]
	s_cbranch_execz .LBB207_833
; %bb.712:
	v_bfe_u32 v5, v0, 20, 1
	s_mov_b32 s16, 0x487ffff
	v_add3_u32 v5, v0, v5, s16
	s_mov_b64 s[10:11], exec
	v_lshrrev_b32_e32 v5, 20, v5
	s_andn2_saveexec_b64 s[12:13], s[12:13]
	s_cbranch_execnz .LBB207_834
.LBB207_713:
	s_or_b64 exec, exec, s[12:13]
	v_mov_b32_e32 v6, 0
	s_and_saveexec_b64 s[12:13], s[10:11]
.LBB207_714:
	v_lshrrev_b32_e32 v0, 24, v0
	s_movk_i32 s10, 0x80
	v_and_or_b32 v6, v0, s10, v5
.LBB207_715:
	s_or_b64 exec, exec, s[12:13]
.LBB207_716:
	s_or_b64 exec, exec, s[8:9]
	global_store_byte v[3:4], v6, off
.LBB207_717:
	s_mov_b64 s[8:9], -1
.LBB207_718:
	s_mov_b64 s[10:11], 0
.LBB207_719:
	s_and_b64 vcc, exec, s[10:11]
	s_cbranch_vccz .LBB207_760
; %bb.720:
	s_cmp_gt_i32 s15, 22
	s_mov_b64 s[10:11], -1
	s_cbranch_scc0 .LBB207_752
; %bb.721:
	s_cmp_lt_i32 s15, 24
	s_mov_b64 s[8:9], -1
	s_cbranch_scc1 .LBB207_741
; %bb.722:
	s_cmp_gt_i32 s15, 24
	s_cbranch_scc0 .LBB207_730
; %bb.723:
	v_xor_b32_e32 v5, v1, v2
	v_ffbh_i32_e32 v0, v2
	v_ashrrev_i32_e32 v5, 31, v5
	v_add_u32_e32 v0, -1, v0
	v_add_u32_e32 v5, 32, v5
	v_min_u32_e32 v0, v0, v5
	v_lshlrev_b64 v[5:6], v0, v[1:2]
	v_sub_u32_e32 v0, 32, v0
	v_min_u32_e32 v5, 1, v5
	v_or_b32_e32 v5, v6, v5
	v_cvt_f32_i32_e32 v5, v5
	s_mov_b32 s8, 0x47800000
	v_mov_b32_e32 v6, 0x80
	v_ldexp_f32 v0, v5, v0
	v_and_b32_e32 v5, 0x7fffffff, v0
	v_cmp_gt_u32_e32 vcc, s8, v5
	s_and_saveexec_b64 s[8:9], vcc
	s_cbranch_execz .LBB207_729
; %bb.724:
	s_mov_b32 s10, 0x37ffffff
	v_cmp_lt_u32_e32 vcc, s10, v5
	s_mov_b64 s[10:11], 0
                                        ; implicit-def: $vgpr5
	s_and_saveexec_b64 s[12:13], vcc
	s_xor_b64 s[12:13], exec, s[12:13]
	s_cbranch_execz .LBB207_836
; %bb.725:
	v_bfe_u32 v5, v0, 21, 1
	s_mov_b32 s16, 0x88fffff
	v_add3_u32 v5, v0, v5, s16
	s_mov_b64 s[10:11], exec
	v_lshrrev_b32_e32 v5, 21, v5
	s_andn2_saveexec_b64 s[12:13], s[12:13]
	s_cbranch_execnz .LBB207_837
.LBB207_726:
	s_or_b64 exec, exec, s[12:13]
	v_mov_b32_e32 v6, 0
	s_and_saveexec_b64 s[12:13], s[10:11]
.LBB207_727:
	v_lshrrev_b32_e32 v0, 24, v0
	s_movk_i32 s10, 0x80
	v_and_or_b32 v6, v0, s10, v5
.LBB207_728:
	s_or_b64 exec, exec, s[12:13]
.LBB207_729:
	s_or_b64 exec, exec, s[8:9]
	s_mov_b64 s[8:9], 0
	global_store_byte v[3:4], v6, off
.LBB207_730:
	s_and_b64 vcc, exec, s[8:9]
	s_cbranch_vccz .LBB207_740
; %bb.731:
	v_xor_b32_e32 v5, v1, v2
	v_ffbh_i32_e32 v0, v2
	v_ashrrev_i32_e32 v5, 31, v5
	v_add_u32_e32 v0, -1, v0
	v_add_u32_e32 v5, 32, v5
	v_min_u32_e32 v0, v0, v5
	v_lshlrev_b64 v[5:6], v0, v[1:2]
	v_sub_u32_e32 v0, 32, v0
	v_min_u32_e32 v5, 1, v5
	v_or_b32_e32 v5, v6, v5
	v_cvt_f32_i32_e32 v5, v5
	s_mov_b32 s8, 0x43f00000
	v_ldexp_f32 v0, v5, v0
	v_and_b32_e32 v6, 0x7fffffff, v0
	v_cmp_gt_u32_e32 vcc, s8, v6
                                        ; implicit-def: $vgpr5
	s_and_saveexec_b64 s[8:9], vcc
	s_xor_b64 s[8:9], exec, s[8:9]
	s_cbranch_execz .LBB207_737
; %bb.732:
	s_mov_b32 s10, 0x3c7fffff
	v_cmp_lt_u32_e32 vcc, s10, v6
                                        ; implicit-def: $vgpr5
	s_and_saveexec_b64 s[10:11], vcc
	s_xor_b64 s[10:11], exec, s[10:11]
; %bb.733:
	v_bfe_u32 v5, v0, 20, 1
	s_mov_b32 s12, 0x407ffff
	v_add3_u32 v5, v0, v5, s12
	v_lshrrev_b32_e32 v6, 20, v5
	v_and_b32_e32 v5, 0xff00000, v5
	s_mov_b32 s12, 0x7f00000
	v_mov_b32_e32 v7, 0x7e
	v_cmp_ne_u32_e32 vcc, s12, v5
	v_cndmask_b32_e32 v5, v7, v6, vcc
; %bb.734:
	s_andn2_saveexec_b64 s[10:11], s[10:11]
; %bb.735:
	s_mov_b32 s12, 0x46800000
	v_add_f32_e64 v5, |v0|, s12
; %bb.736:
	s_or_b64 exec, exec, s[10:11]
                                        ; implicit-def: $vgpr6
.LBB207_737:
	s_andn2_saveexec_b64 s[8:9], s[8:9]
; %bb.738:
	s_mov_b32 s10, 0x7f800000
	v_mov_b32_e32 v5, 0x7e
	v_mov_b32_e32 v7, 0x7f
	v_cmp_lt_u32_e32 vcc, s10, v6
	v_cndmask_b32_e32 v5, v5, v7, vcc
; %bb.739:
	s_or_b64 exec, exec, s[8:9]
	v_lshrrev_b32_e32 v0, 24, v0
	s_movk_i32 s8, 0x80
	v_and_or_b32 v0, v0, s8, v5
	global_store_byte v[3:4], v0, off
.LBB207_740:
	s_mov_b64 s[8:9], 0
.LBB207_741:
	s_andn2_b64 vcc, exec, s[8:9]
	s_cbranch_vccnz .LBB207_751
; %bb.742:
	v_xor_b32_e32 v5, v1, v2
	v_ffbh_i32_e32 v0, v2
	v_ashrrev_i32_e32 v5, 31, v5
	v_add_u32_e32 v0, -1, v0
	v_add_u32_e32 v5, 32, v5
	v_min_u32_e32 v0, v0, v5
	v_lshlrev_b64 v[5:6], v0, v[1:2]
	v_sub_u32_e32 v0, 32, v0
	v_min_u32_e32 v5, 1, v5
	v_or_b32_e32 v5, v6, v5
	v_cvt_f32_i32_e32 v5, v5
	s_mov_b32 s8, 0x47800000
	v_ldexp_f32 v0, v5, v0
	v_and_b32_e32 v6, 0x7fffffff, v0
	v_cmp_gt_u32_e32 vcc, s8, v6
                                        ; implicit-def: $vgpr5
	s_and_saveexec_b64 s[8:9], vcc
	s_xor_b64 s[8:9], exec, s[8:9]
	s_cbranch_execz .LBB207_748
; %bb.743:
	s_mov_b32 s10, 0x387fffff
	v_cmp_lt_u32_e32 vcc, s10, v6
                                        ; implicit-def: $vgpr5
	s_and_saveexec_b64 s[10:11], vcc
	s_xor_b64 s[10:11], exec, s[10:11]
; %bb.744:
	v_bfe_u32 v5, v0, 21, 1
	s_mov_b32 s12, 0x80fffff
	v_add3_u32 v5, v0, v5, s12
	v_lshrrev_b32_e32 v5, 21, v5
; %bb.745:
	s_andn2_saveexec_b64 s[10:11], s[10:11]
; %bb.746:
	s_mov_b32 s12, 0x43000000
	v_add_f32_e64 v5, |v0|, s12
; %bb.747:
	s_or_b64 exec, exec, s[10:11]
                                        ; implicit-def: $vgpr6
.LBB207_748:
	s_andn2_saveexec_b64 s[8:9], s[8:9]
; %bb.749:
	s_mov_b32 s10, 0x7f800000
	v_mov_b32_e32 v5, 0x7c
	v_mov_b32_e32 v7, 0x7f
	v_cmp_lt_u32_e32 vcc, s10, v6
	v_cndmask_b32_e32 v5, v5, v7, vcc
; %bb.750:
	s_or_b64 exec, exec, s[8:9]
	v_lshrrev_b32_e32 v0, 24, v0
	s_movk_i32 s8, 0x80
	v_and_or_b32 v0, v0, s8, v5
	global_store_byte v[3:4], v0, off
.LBB207_751:
	s_mov_b64 s[10:11], 0
	s_mov_b64 s[8:9], -1
.LBB207_752:
	s_andn2_b64 vcc, exec, s[10:11]
	s_cbranch_vccnz .LBB207_760
; %bb.753:
	s_cmp_gt_i32 s15, 14
	s_mov_b64 s[10:11], -1
	s_cbranch_scc0 .LBB207_757
; %bb.754:
	s_cmp_eq_u32 s15, 15
	s_mov_b64 s[0:1], -1
	s_cbranch_scc0 .LBB207_756
; %bb.755:
	v_xor_b32_e32 v5, v1, v2
	v_ffbh_i32_e32 v0, v2
	v_ashrrev_i32_e32 v5, 31, v5
	v_add_u32_e32 v0, -1, v0
	v_add_u32_e32 v5, 32, v5
	v_min_u32_e32 v0, v0, v5
	v_lshlrev_b64 v[5:6], v0, v[1:2]
	v_sub_u32_e32 v0, 32, v0
	v_min_u32_e32 v5, 1, v5
	v_or_b32_e32 v5, v6, v5
	v_cvt_f32_i32_e32 v5, v5
	s_movk_i32 s0, 0x7fff
	s_mov_b64 s[8:9], -1
	v_ldexp_f32 v0, v5, v0
	v_bfe_u32 v5, v0, 16, 1
	v_add3_u32 v0, v0, v5, s0
	global_store_short_d16_hi v[3:4], v0, off
	s_mov_b64 s[0:1], 0
.LBB207_756:
	s_mov_b64 s[10:11], 0
.LBB207_757:
	s_and_b64 vcc, exec, s[10:11]
	s_cbranch_vccz .LBB207_760
; %bb.758:
	s_cmp_eq_u32 s15, 11
	s_mov_b64 s[0:1], -1
	s_cbranch_scc0 .LBB207_760
; %bb.759:
	v_cmp_ne_u64_e32 vcc, 0, v[1:2]
	s_mov_b64 s[0:1], 0
	v_cndmask_b32_e64 v0, 0, 1, vcc
	s_mov_b64 s[8:9], -1
	global_store_byte v[3:4], v0, off
.LBB207_760:
	s_mov_b64 s[10:11], 0
.LBB207_761:
	s_and_b64 vcc, exec, s[10:11]
	s_cbranch_vccz .LBB207_800
; %bb.762:
	s_and_b32 s10, 0xffff, s14
	s_cmp_lt_i32 s10, 5
	s_mov_b64 s[8:9], -1
	s_cbranch_scc1 .LBB207_783
; %bb.763:
	s_cmp_lt_i32 s10, 8
	s_cbranch_scc1 .LBB207_773
; %bb.764:
	s_cmp_lt_i32 s10, 9
	s_cbranch_scc1 .LBB207_770
; %bb.765:
	s_cmp_gt_i32 s10, 9
	s_cbranch_scc0 .LBB207_767
; %bb.766:
	v_cvt_f64_i32_e32 v[5:6], v2
	v_cvt_f64_u32_e32 v[7:8], v1
	s_mov_b64 s[8:9], 0
	v_ldexp_f64 v[5:6], v[5:6], 32
	v_add_f64 v[5:6], v[5:6], v[7:8]
	v_mov_b32_e32 v7, 0
	v_mov_b32_e32 v8, v7
	global_store_dwordx4 v[3:4], v[5:8], off
.LBB207_767:
	s_andn2_b64 vcc, exec, s[8:9]
	s_cbranch_vccnz .LBB207_769
; %bb.768:
	v_xor_b32_e32 v5, v1, v2
	v_ffbh_i32_e32 v0, v2
	v_ashrrev_i32_e32 v5, 31, v5
	v_add_u32_e32 v0, -1, v0
	v_add_u32_e32 v5, 32, v5
	v_min_u32_e32 v0, v0, v5
	v_lshlrev_b64 v[5:6], v0, v[1:2]
	v_sub_u32_e32 v0, 32, v0
	v_min_u32_e32 v5, 1, v5
	v_or_b32_e32 v5, v6, v5
	v_cvt_f32_i32_e32 v5, v5
	v_mov_b32_e32 v6, 0
	v_ldexp_f32 v5, v5, v0
	global_store_dwordx2 v[3:4], v[5:6], off
.LBB207_769:
	s_mov_b64 s[8:9], 0
.LBB207_770:
	s_andn2_b64 vcc, exec, s[8:9]
	s_cbranch_vccnz .LBB207_772
; %bb.771:
	v_xor_b32_e32 v5, v1, v2
	v_ffbh_i32_e32 v0, v2
	v_ashrrev_i32_e32 v5, 31, v5
	v_add_u32_e32 v0, -1, v0
	v_add_u32_e32 v5, 32, v5
	v_min_u32_e32 v0, v0, v5
	v_lshlrev_b64 v[5:6], v0, v[1:2]
	v_sub_u32_e32 v0, 32, v0
	v_min_u32_e32 v5, 1, v5
	v_or_b32_e32 v5, v6, v5
	v_cvt_f32_i32_e32 v5, v5
	v_ldexp_f32 v0, v5, v0
	v_cvt_f16_f32_e32 v0, v0
	global_store_dword v[3:4], v0, off
.LBB207_772:
	s_mov_b64 s[8:9], 0
.LBB207_773:
	s_andn2_b64 vcc, exec, s[8:9]
	s_cbranch_vccnz .LBB207_782
; %bb.774:
	s_cmp_lt_i32 s10, 6
	s_mov_b64 s[8:9], -1
	s_cbranch_scc1 .LBB207_780
; %bb.775:
	s_cmp_gt_i32 s10, 6
	s_cbranch_scc0 .LBB207_777
; %bb.776:
	v_cvt_f64_i32_e32 v[5:6], v2
	v_cvt_f64_u32_e32 v[7:8], v1
	s_mov_b64 s[8:9], 0
	v_ldexp_f64 v[5:6], v[5:6], 32
	v_add_f64 v[5:6], v[5:6], v[7:8]
	global_store_dwordx2 v[3:4], v[5:6], off
.LBB207_777:
	s_andn2_b64 vcc, exec, s[8:9]
	s_cbranch_vccnz .LBB207_779
; %bb.778:
	v_xor_b32_e32 v5, v1, v2
	v_ffbh_i32_e32 v0, v2
	v_ashrrev_i32_e32 v5, 31, v5
	v_add_u32_e32 v0, -1, v0
	v_add_u32_e32 v5, 32, v5
	v_min_u32_e32 v0, v0, v5
	v_lshlrev_b64 v[5:6], v0, v[1:2]
	v_sub_u32_e32 v0, 32, v0
	v_min_u32_e32 v5, 1, v5
	v_or_b32_e32 v5, v6, v5
	v_cvt_f32_i32_e32 v5, v5
	v_ldexp_f32 v0, v5, v0
	global_store_dword v[3:4], v0, off
.LBB207_779:
	s_mov_b64 s[8:9], 0
.LBB207_780:
	s_andn2_b64 vcc, exec, s[8:9]
	s_cbranch_vccnz .LBB207_782
; %bb.781:
	v_xor_b32_e32 v5, v1, v2
	v_ffbh_i32_e32 v0, v2
	v_ashrrev_i32_e32 v5, 31, v5
	v_add_u32_e32 v0, -1, v0
	v_add_u32_e32 v5, 32, v5
	v_min_u32_e32 v0, v0, v5
	v_lshlrev_b64 v[5:6], v0, v[1:2]
	v_sub_u32_e32 v0, 32, v0
	v_min_u32_e32 v5, 1, v5
	v_or_b32_e32 v5, v6, v5
	v_cvt_f32_i32_e32 v5, v5
	v_ldexp_f32 v0, v5, v0
	v_cvt_f16_f32_e32 v0, v0
	global_store_short v[3:4], v0, off
.LBB207_782:
	s_mov_b64 s[8:9], 0
.LBB207_783:
	s_andn2_b64 vcc, exec, s[8:9]
	s_cbranch_vccnz .LBB207_799
; %bb.784:
	s_cmp_lt_i32 s10, 2
	s_mov_b64 s[8:9], -1
	s_cbranch_scc1 .LBB207_794
; %bb.785:
	s_cmp_lt_i32 s10, 3
	s_cbranch_scc1 .LBB207_791
; %bb.786:
	s_cmp_gt_i32 s10, 3
	s_cbranch_scc0 .LBB207_788
; %bb.787:
	s_mov_b64 s[8:9], 0
	global_store_dwordx2 v[3:4], v[1:2], off
.LBB207_788:
	s_andn2_b64 vcc, exec, s[8:9]
	s_cbranch_vccnz .LBB207_790
; %bb.789:
	global_store_dword v[3:4], v1, off
.LBB207_790:
	s_mov_b64 s[8:9], 0
.LBB207_791:
	s_andn2_b64 vcc, exec, s[8:9]
	s_cbranch_vccnz .LBB207_793
; %bb.792:
	global_store_short v[3:4], v1, off
.LBB207_793:
	s_mov_b64 s[8:9], 0
.LBB207_794:
	s_andn2_b64 vcc, exec, s[8:9]
	s_cbranch_vccnz .LBB207_799
; %bb.795:
	s_cmp_gt_i32 s10, 0
	s_mov_b64 s[8:9], -1
	s_cbranch_scc0 .LBB207_797
; %bb.796:
	s_mov_b64 s[8:9], 0
	global_store_byte v[3:4], v1, off
.LBB207_797:
	s_andn2_b64 vcc, exec, s[8:9]
	s_cbranch_vccnz .LBB207_799
; %bb.798:
	global_store_byte v[3:4], v1, off
.LBB207_799:
	s_mov_b64 s[8:9], -1
.LBB207_800:
	s_andn2_b64 vcc, exec, s[8:9]
	s_cbranch_vccnz .LBB207_802
; %bb.801:
	v_add_u32_e32 v11, 0x80, v11
	s_mov_b64 s[8:9], -1
	s_branch .LBB207_804
.LBB207_802:
	s_mov_b64 s[8:9], 0
.LBB207_803:
                                        ; implicit-def: $vgpr11
.LBB207_804:
	s_andn2_b64 s[10:11], s[60:61], exec
	s_and_b64 s[0:1], s[0:1], exec
	s_or_b64 s[68:69], s[10:11], s[0:1]
	s_andn2_b64 s[0:1], s[58:59], exec
	s_and_b64 s[2:3], s[2:3], exec
	s_or_b64 s[66:67], s[0:1], s[2:3]
	s_orn2_b64 s[2:3], s[8:9], exec
.LBB207_805:
	s_or_b64 exec, exec, s[64:65]
	s_mov_b64 s[0:1], 0
	s_mov_b64 s[8:9], 0
	;; [unrolled: 1-line block ×3, first 2 shown]
                                        ; implicit-def: $vgpr1_vgpr2
                                        ; implicit-def: $vgpr0
                                        ; implicit-def: $vgpr5_vgpr6
	s_and_saveexec_b64 s[64:65], s[2:3]
	s_cbranch_execz .LBB207_900
; %bb.806:
	v_cmp_gt_i32_e32 vcc, s70, v11
	s_mov_b64 s[2:3], 0
	s_mov_b64 s[12:13], s[66:67]
                                        ; implicit-def: $vgpr1_vgpr2
                                        ; implicit-def: $vgpr0
                                        ; implicit-def: $vgpr5_vgpr6
	s_and_saveexec_b64 s[70:71], vcc
	s_cbranch_execz .LBB207_899
; %bb.807:
	s_andn2_b64 vcc, exec, s[40:41]
	s_cbranch_vccnz .LBB207_812
; %bb.808:
	s_andn2_b64 vcc, exec, s[50:51]
	s_cbranch_vccnz .LBB207_813
; %bb.809:
	s_add_i32 s77, s76, 1
	s_cmp_eq_u32 s72, 2
	s_cbranch_scc1 .LBB207_814
; %bb.810:
	s_and_b32 s76, s77, 28
	v_mov_b32_e32 v2, 0
	s_mov_b32 s78, 0
	s_mov_b64 s[50:51], s[34:35]
	v_mov_b32_e32 v0, 0
	v_mov_b32_e32 v1, v11
.LBB207_811:                            ; =>This Inner Loop Header: Depth=1
	s_load_dwordx8 s[16:23], s[50:51], 0x4
	s_load_dwordx4 s[0:3], s[50:51], 0x24
	s_load_dwordx8 s[8:15], s[48:49], 0x0
	s_add_u32 s50, s50, 48
	s_addc_u32 s51, s51, 0
	s_waitcnt vmcnt(0) lgkmcnt(0)
	v_mul_hi_u32 v3, s17, v1
	s_add_i32 s78, s78, 4
	s_add_u32 s48, s48, 32
	s_addc_u32 s49, s49, 0
	v_add_u32_e32 v3, v1, v3
	v_lshrrev_b32_e32 v3, s18, v3
	v_mul_lo_u32 v4, v3, s16
	v_mul_hi_u32 v5, s20, v3
	s_cmp_eq_u32 s76, s78
	v_sub_u32_e32 v1, v1, v4
	v_add_u32_e32 v4, v3, v5
	v_mul_lo_u32 v5, v1, s8
	v_mul_lo_u32 v6, v1, s9
	v_lshrrev_b32_e32 v1, s21, v4
	v_mul_lo_u32 v4, v1, s19
	v_mul_hi_u32 v7, s23, v1
	v_sub_u32_e32 v3, v3, v4
	v_add_u32_e32 v4, v1, v7
	v_lshrrev_b32_e32 v4, s0, v4
	v_mul_hi_u32 v8, s2, v4
	v_mul_lo_u32 v9, v4, s22
	v_mul_lo_u32 v7, v3, s10
	;; [unrolled: 1-line block ×3, first 2 shown]
	v_sub_u32_e32 v9, v1, v9
	v_add_u32_e32 v1, v4, v8
	v_lshrrev_b32_e32 v1, s3, v1
	v_mul_lo_u32 v8, v1, s1
	v_mul_lo_u32 v10, v9, s12
	v_mul_lo_u32 v9, v9, s13
	v_add3_u32 v0, v5, v0, v7
	v_sub_u32_e32 v4, v4, v8
	v_mul_lo_u32 v8, v4, s14
	v_mul_lo_u32 v4, v4, s15
	v_add3_u32 v2, v6, v2, v3
	v_add3_u32 v0, v10, v0, v8
	;; [unrolled: 1-line block ×3, first 2 shown]
	s_cbranch_scc0 .LBB207_811
	s_branch .LBB207_815
.LBB207_812:
	s_mov_b64 s[0:1], -1
                                        ; implicit-def: $vgpr0
                                        ; implicit-def: $vgpr2
	s_branch .LBB207_819
.LBB207_813:
	v_mov_b32_e32 v0, 0
	v_mov_b32_e32 v2, 0
	s_branch .LBB207_818
.LBB207_814:
	s_mov_b32 s76, 0
	v_mov_b32_e32 v0, 0
	v_mov_b32_e32 v2, 0
	;; [unrolled: 1-line block ×3, first 2 shown]
.LBB207_815:
	s_and_b32 s8, s77, 3
	s_cmp_eq_u32 s8, 0
	s_cbranch_scc1 .LBB207_818
; %bb.816:
	s_lshl_b32 s0, s76, 3
	s_add_u32 s0, s34, s0
	s_addc_u32 s1, s35, 0
	s_add_u32 s0, s0, 0xc4
	s_addc_u32 s1, s1, 0
	s_mul_i32 s2, s76, 12
	s_add_u32 s2, s34, s2
	s_addc_u32 s3, s35, 0
.LBB207_817:                            ; =>This Inner Loop Header: Depth=1
	s_load_dwordx2 s[10:11], s[2:3], 0x4
	s_load_dword s9, s[2:3], 0xc
	s_load_dwordx2 s[12:13], s[0:1], 0x0
	s_add_u32 s2, s2, 12
	s_addc_u32 s3, s3, 0
	s_waitcnt vmcnt(0) lgkmcnt(0)
	v_mul_hi_u32 v3, s11, v1
	s_add_u32 s0, s0, 8
	s_addc_u32 s1, s1, 0
	s_add_i32 s8, s8, -1
	v_add_u32_e32 v3, v1, v3
	v_lshrrev_b32_e32 v4, s9, v3
	v_mul_lo_u32 v3, v4, s10
	s_cmp_lg_u32 s8, 0
	v_sub_u32_e32 v3, v1, v3
	v_mad_u64_u32 v[0:1], s[10:11], v3, s12, v[0:1]
	v_mad_u64_u32 v[2:3], s[10:11], v3, s13, v[2:3]
	v_mov_b32_e32 v1, v4
	s_cbranch_scc1 .LBB207_817
.LBB207_818:
	s_mov_b64 s[0:1], 0
.LBB207_819:
	s_andn2_b64 vcc, exec, s[0:1]
	s_cbranch_vccnz .LBB207_822
; %bb.820:
	v_mul_hi_u32 v0, s29, v11
	s_andn2_b64 vcc, exec, s[46:47]
	v_add_u32_e32 v0, v11, v0
	v_lshrrev_b32_e32 v1, s30, v0
	v_mul_lo_u32 v0, v1, s28
	v_sub_u32_e32 v2, v11, v0
	v_mul_lo_u32 v0, v2, s36
	v_mul_lo_u32 v2, v2, s37
	s_cbranch_vccnz .LBB207_822
; %bb.821:
	s_waitcnt vmcnt(0)
	v_mul_hi_u32 v3, s44, v1
	v_add_u32_e32 v3, v1, v3
	v_lshrrev_b32_e32 v3, s45, v3
	v_mul_lo_u32 v3, v3, s31
	v_sub_u32_e32 v3, v1, v3
	v_mad_u64_u32 v[0:1], s[0:1], v3, s38, v[0:1]
	v_mad_u64_u32 v[2:3], s[0:1], v3, s39, v[2:3]
.LBB207_822:
	s_waitcnt vmcnt(0)
	v_mov_b32_e32 v3, s27
	s_and_b32 s12, 0xffff, s75
	v_add_co_u32_e32 v1, vcc, s26, v2
	s_cmp_lt_i32 s12, 11
	v_addc_co_u32_e32 v2, vcc, 0, v3, vcc
	s_cbranch_scc1 .LBB207_829
; %bb.823:
	s_cmp_gt_i32 s12, 25
	s_mov_b64 s[2:3], 0
	s_cbranch_scc0 .LBB207_830
; %bb.824:
	s_cmp_gt_i32 s12, 28
	s_cbranch_scc0 .LBB207_831
; %bb.825:
	s_cmp_gt_i32 s12, 43
	;; [unrolled: 3-line block ×3, first 2 shown]
	s_cbranch_scc0 .LBB207_835
; %bb.827:
	s_cmp_eq_u32 s12, 46
	s_mov_b64 s[10:11], 0
	s_cbranch_scc0 .LBB207_838
; %bb.828:
	global_load_dword v3, v[1:2], off
	s_mov_b32 s0, 0x2f800000
	s_mov_b32 s1, 0xcf800000
	s_mov_b64 s[8:9], -1
	s_waitcnt vmcnt(0)
	v_lshlrev_b32_e32 v3, 16, v3
	v_trunc_f32_e32 v3, v3
	v_mul_f32_e64 v4, |v3|, s0
	v_floor_f32_e32 v4, v4
	v_fma_f32 v5, v4, s1, |v3|
	v_cvt_u32_f32_e32 v5, v5
	v_cvt_u32_f32_e32 v4, v4
	v_ashrrev_i32_e32 v3, 31, v3
	s_mov_b64 s[0:1], 0
	v_xor_b32_e32 v5, v5, v3
	v_xor_b32_e32 v4, v4, v3
	v_sub_co_u32_e32 v5, vcc, v5, v3
	v_subb_co_u32_e32 v6, vcc, v4, v3, vcc
	s_branch .LBB207_839
.LBB207_829:
	s_mov_b64 s[12:13], -1
	s_mov_b64 s[8:9], 0
	s_mov_b64 s[2:3], 0
	s_mov_b64 s[0:1], s[66:67]
                                        ; implicit-def: $vgpr5_vgpr6
	s_branch .LBB207_898
.LBB207_830:
	s_mov_b64 s[10:11], -1
	s_mov_b64 s[8:9], 0
	s_mov_b64 s[0:1], s[66:67]
                                        ; implicit-def: $vgpr5_vgpr6
	s_branch .LBB207_868
.LBB207_831:
	s_mov_b64 s[10:11], -1
	s_mov_b64 s[8:9], 0
	s_mov_b64 s[0:1], s[66:67]
                                        ; implicit-def: $vgpr5_vgpr6
	s_branch .LBB207_849
.LBB207_832:
	s_mov_b64 s[10:11], -1
	s_mov_b64 s[8:9], 0
	s_mov_b64 s[0:1], s[66:67]
                                        ; implicit-def: $vgpr5_vgpr6
	s_branch .LBB207_844
.LBB207_833:
	s_andn2_saveexec_b64 s[12:13], s[12:13]
	s_cbranch_execz .LBB207_713
.LBB207_834:
	s_mov_b32 s16, 0x46000000
	v_add_f32_e64 v5, |v0|, s16
	v_and_b32_e32 v5, 0xff, v5
	v_cmp_ne_u32_e32 vcc, 0, v5
	s_andn2_b64 s[10:11], s[10:11], exec
	s_and_b64 s[16:17], vcc, exec
	s_or_b64 s[10:11], s[10:11], s[16:17]
	s_or_b64 exec, exec, s[12:13]
	v_mov_b32_e32 v6, 0
	s_and_saveexec_b64 s[12:13], s[10:11]
	s_cbranch_execnz .LBB207_714
	s_branch .LBB207_715
.LBB207_835:
	s_mov_b64 s[10:11], -1
	s_mov_b64 s[8:9], 0
	s_mov_b64 s[0:1], s[66:67]
                                        ; implicit-def: $vgpr5_vgpr6
	s_branch .LBB207_839
.LBB207_836:
	s_andn2_saveexec_b64 s[12:13], s[12:13]
	s_cbranch_execz .LBB207_726
.LBB207_837:
	s_mov_b32 s16, 0x42800000
	v_add_f32_e64 v5, |v0|, s16
	v_and_b32_e32 v5, 0xff, v5
	v_cmp_ne_u32_e32 vcc, 0, v5
	s_andn2_b64 s[10:11], s[10:11], exec
	s_and_b64 s[16:17], vcc, exec
	s_or_b64 s[10:11], s[10:11], s[16:17]
	s_or_b64 exec, exec, s[12:13]
	v_mov_b32_e32 v6, 0
	s_and_saveexec_b64 s[12:13], s[10:11]
	s_cbranch_execnz .LBB207_727
	s_branch .LBB207_728
.LBB207_838:
	s_mov_b64 s[0:1], -1
                                        ; implicit-def: $vgpr5_vgpr6
	s_mov_b64 s[8:9], 0
.LBB207_839:
	s_and_b64 vcc, exec, s[10:11]
	s_cbranch_vccz .LBB207_843
; %bb.840:
	s_cmp_eq_u32 s12, 44
	s_cbranch_scc0 .LBB207_842
; %bb.841:
	global_load_ubyte v3, v[1:2], off
	s_mov_b32 s0, 0x2f800000
	s_mov_b32 s1, 0xcf800000
	s_mov_b64 s[8:9], -1
	s_waitcnt vmcnt(0)
	v_lshlrev_b32_e32 v4, 23, v3
	v_trunc_f32_e32 v4, v4
	v_mul_f32_e64 v5, |v4|, s0
	v_floor_f32_e32 v5, v5
	v_fma_f32 v6, v5, s1, |v4|
	v_cvt_u32_f32_e32 v6, v6
	v_cvt_u32_f32_e32 v5, v5
	v_ashrrev_i32_e32 v4, 31, v4
	s_mov_b64 s[0:1], 0
	v_xor_b32_e32 v6, v6, v4
	v_xor_b32_e32 v5, v5, v4
	v_sub_co_u32_e32 v7, vcc, v6, v4
	v_subb_co_u32_e32 v4, vcc, v5, v4, vcc
	v_cmp_ne_u32_e32 vcc, 0, v3
	v_cndmask_b32_e32 v6, 0, v4, vcc
	v_cndmask_b32_e32 v5, 0, v7, vcc
	s_branch .LBB207_843
.LBB207_842:
	s_mov_b64 s[0:1], -1
                                        ; implicit-def: $vgpr5_vgpr6
.LBB207_843:
	s_mov_b64 s[10:11], 0
.LBB207_844:
	s_and_b64 vcc, exec, s[10:11]
	s_cbranch_vccz .LBB207_848
; %bb.845:
	s_cmp_eq_u32 s12, 29
	s_cbranch_scc0 .LBB207_847
; %bb.846:
	global_load_dwordx2 v[5:6], v[1:2], off
	s_mov_b64 s[0:1], 0
	s_mov_b64 s[8:9], -1
	s_branch .LBB207_848
.LBB207_847:
	s_mov_b64 s[0:1], -1
                                        ; implicit-def: $vgpr5_vgpr6
.LBB207_848:
	s_mov_b64 s[10:11], 0
.LBB207_849:
	s_and_b64 vcc, exec, s[10:11]
	s_cbranch_vccz .LBB207_867
; %bb.850:
	s_cmp_lt_i32 s12, 27
	s_cbranch_scc1 .LBB207_853
; %bb.851:
	s_cmp_gt_i32 s12, 27
	s_cbranch_scc0 .LBB207_854
; %bb.852:
	global_load_dword v5, v[1:2], off
	s_waitcnt vmcnt(1)
	v_mov_b32_e32 v6, 0
	s_mov_b64 s[8:9], 0
	s_branch .LBB207_855
.LBB207_853:
	s_mov_b64 s[8:9], -1
                                        ; implicit-def: $vgpr5_vgpr6
	s_branch .LBB207_858
.LBB207_854:
	s_mov_b64 s[8:9], -1
                                        ; implicit-def: $vgpr5_vgpr6
.LBB207_855:
	s_andn2_b64 vcc, exec, s[8:9]
	s_cbranch_vccnz .LBB207_857
; %bb.856:
	global_load_ushort v3, v[1:2], off
	s_mov_b32 s8, 0
	s_waitcnt vmcnt(1)
	v_mov_b32_e32 v6, s8
	s_waitcnt vmcnt(0)
	v_and_b32_e32 v5, 0xffff, v3
.LBB207_857:
	s_mov_b64 s[8:9], 0
.LBB207_858:
	s_andn2_b64 vcc, exec, s[8:9]
	s_cbranch_vccnz .LBB207_866
; %bb.859:
	global_load_ubyte v3, v[1:2], off
	s_movk_i32 s8, 0x7f
	s_mov_b64 s[10:11], 0
	s_waitcnt vmcnt(0)
	v_cmp_lt_i16_e32 vcc, s8, v3
	s_and_saveexec_b64 s[8:9], vcc
	s_xor_b64 s[8:9], exec, s[8:9]
; %bb.860:
	s_movk_i32 s10, 0x80
	v_cmp_ne_u16_e32 vcc, s10, v3
	s_and_b64 s[10:11], vcc, exec
; %bb.861:
	s_andn2_saveexec_b64 s[8:9], s[8:9]
; %bb.862:
	v_cmp_ne_u16_e32 vcc, 0, v3
	s_andn2_b64 s[10:11], s[10:11], exec
	s_and_b64 s[14:15], vcc, exec
	s_or_b64 s[10:11], s[10:11], s[14:15]
; %bb.863:
	s_or_b64 exec, exec, s[8:9]
	v_mov_b32_e32 v5, 0
	v_mov_b32_e32 v6, 0
	s_and_saveexec_b64 s[8:9], s[10:11]
	s_cbranch_execz .LBB207_865
; %bb.864:
	v_lshlrev_b32_e32 v4, 24, v3
	v_and_b32_e32 v3, 0xffff, v3
	v_and_b32_e32 v5, 7, v3
	v_ffbh_u32_e32 v7, v5
	v_min_u32_e32 v7, 32, v7
	v_subrev_u32_e32 v8, 28, v7
	v_bfe_u32 v6, v3, 3, 4
	v_lshlrev_b32_e32 v3, v8, v3
	v_sub_u32_e32 v7, 29, v7
	v_and_b32_e32 v3, 7, v3
	v_cmp_eq_u32_e32 vcc, 0, v6
	v_cndmask_b32_e32 v6, v6, v7, vcc
	v_cndmask_b32_e32 v3, v5, v3, vcc
	v_mov_b32_e32 v5, 0x3b800000
	v_lshlrev_b32_e32 v3, 20, v3
	v_and_b32_e32 v4, 0x80000000, v4
	v_lshl_add_u32 v5, v6, 23, v5
	v_or3_b32 v3, v4, v5, v3
	v_trunc_f32_e32 v3, v3
	s_mov_b32 s10, 0x2f800000
	v_mul_f32_e64 v4, |v3|, s10
	v_floor_f32_e32 v4, v4
	s_mov_b32 s10, 0xcf800000
	v_fma_f32 v5, v4, s10, |v3|
	v_cvt_u32_f32_e32 v5, v5
	v_cvt_u32_f32_e32 v4, v4
	v_ashrrev_i32_e32 v3, 31, v3
	v_xor_b32_e32 v5, v5, v3
	v_xor_b32_e32 v4, v4, v3
	v_sub_co_u32_e32 v5, vcc, v5, v3
	v_subb_co_u32_e32 v6, vcc, v4, v3, vcc
.LBB207_865:
	s_or_b64 exec, exec, s[8:9]
.LBB207_866:
	s_mov_b64 s[8:9], -1
.LBB207_867:
	s_mov_b64 s[10:11], 0
.LBB207_868:
	s_and_b64 vcc, exec, s[10:11]
	s_cbranch_vccz .LBB207_897
; %bb.869:
	s_cmp_gt_i32 s12, 22
	s_cbranch_scc0 .LBB207_879
; %bb.870:
	s_cmp_lt_i32 s12, 24
	s_cbranch_scc1 .LBB207_880
; %bb.871:
	s_cmp_gt_i32 s12, 24
	s_cbranch_scc0 .LBB207_881
; %bb.872:
	global_load_ubyte v3, v[1:2], off
	s_movk_i32 s2, 0x7f
	s_mov_b64 s[8:9], 0
	s_waitcnt vmcnt(0)
	v_cmp_lt_i16_e32 vcc, s2, v3
	s_and_saveexec_b64 s[2:3], vcc
	s_xor_b64 s[2:3], exec, s[2:3]
; %bb.873:
	s_movk_i32 s8, 0x80
	v_cmp_ne_u16_e32 vcc, s8, v3
	s_and_b64 s[8:9], vcc, exec
; %bb.874:
	s_andn2_saveexec_b64 s[2:3], s[2:3]
; %bb.875:
	v_cmp_ne_u16_e32 vcc, 0, v3
	s_andn2_b64 s[8:9], s[8:9], exec
	s_and_b64 s[10:11], vcc, exec
	s_or_b64 s[8:9], s[8:9], s[10:11]
; %bb.876:
	s_or_b64 exec, exec, s[2:3]
	v_mov_b32_e32 v5, 0
	v_mov_b32_e32 v6, 0
	s_and_saveexec_b64 s[2:3], s[8:9]
	s_cbranch_execz .LBB207_878
; %bb.877:
	v_lshlrev_b32_e32 v4, 24, v3
	v_and_b32_e32 v3, 0xffff, v3
	v_and_b32_e32 v5, 3, v3
	v_ffbh_u32_e32 v7, v5
	v_min_u32_e32 v7, 32, v7
	v_subrev_u32_e32 v8, 29, v7
	v_bfe_u32 v6, v3, 2, 5
	v_lshlrev_b32_e32 v3, v8, v3
	v_sub_u32_e32 v7, 30, v7
	v_and_b32_e32 v3, 3, v3
	v_cmp_eq_u32_e32 vcc, 0, v6
	v_cndmask_b32_e32 v6, v6, v7, vcc
	v_cndmask_b32_e32 v3, v5, v3, vcc
	v_mov_b32_e32 v5, 0x37800000
	v_lshlrev_b32_e32 v3, 21, v3
	v_and_b32_e32 v4, 0x80000000, v4
	v_lshl_add_u32 v5, v6, 23, v5
	v_or3_b32 v3, v4, v5, v3
	v_trunc_f32_e32 v3, v3
	s_mov_b32 s8, 0x2f800000
	v_mul_f32_e64 v4, |v3|, s8
	v_floor_f32_e32 v4, v4
	s_mov_b32 s8, 0xcf800000
	v_fma_f32 v5, v4, s8, |v3|
	v_cvt_u32_f32_e32 v5, v5
	v_cvt_u32_f32_e32 v4, v4
	v_ashrrev_i32_e32 v3, 31, v3
	v_xor_b32_e32 v5, v5, v3
	v_xor_b32_e32 v4, v4, v3
	v_sub_co_u32_e32 v5, vcc, v5, v3
	v_subb_co_u32_e32 v6, vcc, v4, v3, vcc
.LBB207_878:
	s_or_b64 exec, exec, s[2:3]
	s_mov_b64 s[2:3], 0
	s_branch .LBB207_882
.LBB207_879:
	s_mov_b64 s[2:3], -1
                                        ; implicit-def: $vgpr5_vgpr6
	s_branch .LBB207_888
.LBB207_880:
	s_mov_b64 s[2:3], -1
                                        ; implicit-def: $vgpr5_vgpr6
	s_branch .LBB207_885
.LBB207_881:
	s_mov_b64 s[2:3], -1
                                        ; implicit-def: $vgpr5_vgpr6
.LBB207_882:
	s_and_b64 vcc, exec, s[2:3]
	s_cbranch_vccz .LBB207_884
; %bb.883:
	global_load_ubyte v3, v[1:2], off
	s_mov_b32 s2, 0x7f800000
	s_brev_b32 s3, 1
	s_mov_b32 s8, 0x2f800000
	s_mov_b32 s9, 0xcf800000
	s_waitcnt vmcnt(0)
	v_lshlrev_b32_e32 v3, 24, v3
	v_and_b32_e32 v4, 0x7f000000, v3
	v_ffbh_u32_e32 v5, v4
	v_min_u32_e32 v5, 32, v5
	v_sub_u32_e64 v5, v5, 4 clamp
	v_lshlrev_b32_e32 v7, v5, v4
	v_lshlrev_b32_e32 v5, 23, v5
	v_lshrrev_b32_e32 v7, 4, v7
	v_add_u32_e32 v6, 0x1000000, v4
	v_sub_u32_e32 v5, v7, v5
	v_ashrrev_i32_e32 v6, 8, v6
	v_add_u32_e32 v5, 0x3c000000, v5
	v_and_or_b32 v5, v6, s2, v5
	v_cmp_ne_u32_e32 vcc, 0, v4
	v_cndmask_b32_e32 v4, 0, v5, vcc
	v_and_or_b32 v3, v3, s3, v4
	v_trunc_f32_e32 v3, v3
	v_mul_f32_e64 v4, |v3|, s8
	v_floor_f32_e32 v4, v4
	v_fma_f32 v5, v4, s9, |v3|
	v_cvt_u32_f32_e32 v5, v5
	v_cvt_u32_f32_e32 v4, v4
	v_ashrrev_i32_e32 v3, 31, v3
	v_xor_b32_e32 v5, v5, v3
	v_xor_b32_e32 v4, v4, v3
	v_sub_co_u32_e32 v5, vcc, v5, v3
	v_subb_co_u32_e32 v6, vcc, v4, v3, vcc
.LBB207_884:
	s_mov_b64 s[2:3], 0
.LBB207_885:
	s_andn2_b64 vcc, exec, s[2:3]
	s_cbranch_vccnz .LBB207_887
; %bb.886:
	global_load_ubyte v3, v[1:2], off
	s_movk_i32 s2, 0x7f00
	s_brev_b32 s3, 16
	s_brev_b32 s8, 1
	s_mov_b32 s9, 0x2f800000
	s_mov_b32 s10, 0xcf800000
	s_waitcnt vmcnt(0)
	v_lshlrev_b16_e32 v4, 8, v3
	v_lshlrev_b32_e32 v3, 25, v3
	v_lshrrev_b32_e32 v5, 4, v3
	v_and_or_b32 v6, v4, s2, 0.5
	v_or_b32_e32 v5, 0x70000000, v5
	v_add_f32_e32 v6, -0.5, v6
	v_mul_f32_e32 v5, 0x7800000, v5
	v_cmp_gt_u32_e32 vcc, s3, v3
	v_bfe_i32 v4, v4, 0, 16
	v_cndmask_b32_e32 v3, v5, v6, vcc
	v_and_or_b32 v3, v4, s8, v3
	v_trunc_f32_e32 v3, v3
	v_mul_f32_e64 v4, |v3|, s9
	v_floor_f32_e32 v4, v4
	v_fma_f32 v5, v4, s10, |v3|
	v_cvt_u32_f32_e32 v5, v5
	v_cvt_u32_f32_e32 v4, v4
	v_ashrrev_i32_e32 v3, 31, v3
	v_xor_b32_e32 v5, v5, v3
	v_xor_b32_e32 v4, v4, v3
	v_sub_co_u32_e32 v5, vcc, v5, v3
	v_subb_co_u32_e32 v6, vcc, v4, v3, vcc
.LBB207_887:
	s_mov_b64 s[2:3], 0
	s_mov_b64 s[8:9], -1
.LBB207_888:
	s_andn2_b64 vcc, exec, s[2:3]
	s_mov_b64 s[2:3], 0
	s_cbranch_vccnz .LBB207_897
; %bb.889:
	s_cmp_gt_i32 s12, 14
	s_cbranch_scc0 .LBB207_892
; %bb.890:
	s_cmp_eq_u32 s12, 15
	s_cbranch_scc0 .LBB207_893
; %bb.891:
	global_load_ushort v3, v[1:2], off
	s_mov_b32 s0, 0x2f800000
	s_mov_b32 s1, 0xcf800000
	s_mov_b64 s[8:9], -1
	s_waitcnt vmcnt(0)
	v_lshlrev_b32_e32 v3, 16, v3
	v_trunc_f32_e32 v3, v3
	v_mul_f32_e64 v4, |v3|, s0
	v_floor_f32_e32 v4, v4
	v_fma_f32 v5, v4, s1, |v3|
	v_cvt_u32_f32_e32 v5, v5
	v_cvt_u32_f32_e32 v4, v4
	v_ashrrev_i32_e32 v3, 31, v3
	s_mov_b64 s[0:1], 0
	v_xor_b32_e32 v5, v5, v3
	v_xor_b32_e32 v4, v4, v3
	v_sub_co_u32_e32 v5, vcc, v5, v3
	v_subb_co_u32_e32 v6, vcc, v4, v3, vcc
	s_branch .LBB207_894
.LBB207_892:
	s_mov_b64 s[10:11], -1
                                        ; implicit-def: $vgpr5_vgpr6
	s_branch .LBB207_895
.LBB207_893:
	s_mov_b64 s[0:1], -1
                                        ; implicit-def: $vgpr5_vgpr6
.LBB207_894:
	s_mov_b64 s[10:11], 0
.LBB207_895:
	s_and_b64 vcc, exec, s[10:11]
	s_cbranch_vccz .LBB207_897
; %bb.896:
	s_cmp_lg_u32 s12, 11
	s_cselect_b64 s[10:11], -1, 0
	s_andn2_b64 s[0:1], s[0:1], exec
	s_and_b64 s[10:11], s[10:11], exec
	s_mov_b64 s[2:3], -1
	s_or_b64 s[0:1], s[0:1], s[10:11]
.LBB207_897:
	s_mov_b64 s[12:13], 0
.LBB207_898:
	s_and_b64 s[10:11], s[8:9], exec
	s_and_b64 s[8:9], s[12:13], exec
	s_andn2_b64 s[12:13], s[66:67], exec
	s_and_b64 s[0:1], s[0:1], exec
	s_and_b64 s[2:3], s[2:3], exec
	s_or_b64 s[12:13], s[12:13], s[0:1]
.LBB207_899:
	s_or_b64 exec, exec, s[70:71]
	s_and_b64 s[0:1], s[2:3], exec
	s_andn2_b64 s[2:3], s[66:67], exec
	s_and_b64 s[12:13], s[12:13], exec
	s_and_b64 s[10:11], s[10:11], exec
	s_and_b64 s[8:9], s[8:9], exec
	s_or_b64 s[66:67], s[2:3], s[12:13]
.LBB207_900:
	s_or_b64 exec, exec, s[64:65]
	s_andn2_b64 s[2:3], s[60:61], exec
	s_and_b64 s[12:13], s[68:69], exec
	s_or_b64 s[60:61], s[2:3], s[12:13]
	s_and_b64 s[2:3], s[0:1], exec
	s_andn2_b64 s[0:1], s[58:59], exec
	s_and_b64 s[12:13], s[66:67], exec
	s_and_b64 s[10:11], s[10:11], exec
	;; [unrolled: 1-line block ×3, first 2 shown]
	s_or_b64 s[58:59], s[0:1], s[12:13]
.LBB207_901:
	s_or_b64 exec, exec, s[62:63]
	s_andn2_b64 s[0:1], s[52:53], exec
	s_and_b64 s[12:13], s[60:61], exec
	s_or_b64 s[52:53], s[0:1], s[12:13]
	s_and_b64 s[0:1], s[10:11], exec
	s_and_b64 s[10:11], s[8:9], exec
	;; [unrolled: 1-line block ×3, first 2 shown]
	s_andn2_b64 s[2:3], s[54:55], exec
	s_and_b64 s[8:9], s[58:59], exec
	s_or_b64 s[54:55], s[2:3], s[8:9]
	s_or_b64 exec, exec, s[56:57]
	s_mov_b64 s[2:3], 0
	s_and_saveexec_b64 s[8:9], s[54:55]
	s_cbranch_execz .LBB207_270
.LBB207_902:
	s_mov_b64 s[2:3], exec
	s_andn2_b64 s[60:61], s[60:61], exec
	s_trap 2
	s_or_b64 exec, exec, s[8:9]
	s_and_saveexec_b64 s[8:9], s[60:61]
	s_xor_b64 s[8:9], exec, s[8:9]
	s_cbranch_execnz .LBB207_271
.LBB207_903:
	s_or_b64 exec, exec, s[8:9]
	s_and_saveexec_b64 s[8:9], s[10:11]
	s_cbranch_execz .LBB207_949
.LBB207_904:
	s_sext_i32_i16 s10, s75
	s_cmp_lt_i32 s10, 5
	s_cbranch_scc1 .LBB207_909
; %bb.905:
	s_cmp_lt_i32 s10, 8
	s_cbranch_scc1 .LBB207_910
; %bb.906:
	;; [unrolled: 3-line block ×3, first 2 shown]
	s_cmp_gt_i32 s10, 9
	s_cbranch_scc0 .LBB207_912
; %bb.908:
	global_load_dwordx2 v[3:4], v[1:2], off
	s_movk_i32 s10, 0xffe0
	s_waitcnt vmcnt(0)
	v_trunc_f64_e32 v[3:4], v[3:4]
	v_ldexp_f64 v[5:6], v[3:4], s10
	s_mov_b32 s10, 0
	s_mov_b32 s11, 0xc1f00000
	v_floor_f64_e32 v[5:6], v[5:6]
	v_fma_f64 v[3:4], v[5:6], s[10:11], v[3:4]
	v_cvt_i32_f64_e32 v6, v[5:6]
	s_mov_b64 s[10:11], 0
	v_cvt_u32_f64_e32 v5, v[3:4]
	s_branch .LBB207_913
.LBB207_909:
                                        ; implicit-def: $vgpr5_vgpr6
	s_branch .LBB207_930
.LBB207_910:
                                        ; implicit-def: $vgpr5_vgpr6
	s_branch .LBB207_919
.LBB207_911:
	s_mov_b64 s[10:11], -1
                                        ; implicit-def: $vgpr5_vgpr6
	s_branch .LBB207_916
.LBB207_912:
	s_mov_b64 s[10:11], -1
                                        ; implicit-def: $vgpr5_vgpr6
.LBB207_913:
	s_andn2_b64 vcc, exec, s[10:11]
	s_cbranch_vccnz .LBB207_915
; %bb.914:
	global_load_dword v3, v[1:2], off
	s_mov_b32 s10, 0x2f800000
	s_mov_b32 s11, 0xcf800000
	s_waitcnt vmcnt(0)
	v_trunc_f32_e32 v3, v3
	v_mul_f32_e64 v4, |v3|, s10
	v_floor_f32_e32 v4, v4
	v_cvt_u32_f32_e32 v5, v4
	v_fma_f32 v4, v4, s11, |v3|
	v_cvt_u32_f32_e32 v4, v4
	v_ashrrev_i32_e32 v3, 31, v3
	v_xor_b32_e32 v6, v5, v3
	v_xor_b32_e32 v4, v4, v3
	v_sub_co_u32_e32 v5, vcc, v4, v3
	v_subb_co_u32_e32 v6, vcc, v6, v3, vcc
.LBB207_915:
	s_mov_b64 s[10:11], 0
.LBB207_916:
	s_andn2_b64 vcc, exec, s[10:11]
	s_cbranch_vccnz .LBB207_918
; %bb.917:
	global_load_dword v3, v[1:2], off
	s_waitcnt vmcnt(0)
	v_cvt_f32_f16_e32 v3, v3
	v_cvt_i32_f32_e32 v5, v3
	v_ashrrev_i32_e32 v6, 31, v5
.LBB207_918:
	s_cbranch_execnz .LBB207_929
.LBB207_919:
	s_sext_i32_i16 s10, s75
	s_cmp_lt_i32 s10, 6
	s_cbranch_scc1 .LBB207_922
; %bb.920:
	s_cmp_gt_i32 s10, 6
	s_cbranch_scc0 .LBB207_923
; %bb.921:
	global_load_dwordx2 v[3:4], v[1:2], off
	s_movk_i32 s10, 0xffe0
	s_waitcnt vmcnt(0)
	v_trunc_f64_e32 v[3:4], v[3:4]
	v_ldexp_f64 v[5:6], v[3:4], s10
	s_mov_b32 s10, 0
	s_mov_b32 s11, 0xc1f00000
	v_floor_f64_e32 v[5:6], v[5:6]
	v_fma_f64 v[3:4], v[5:6], s[10:11], v[3:4]
	v_cvt_i32_f64_e32 v6, v[5:6]
	s_mov_b64 s[10:11], 0
	v_cvt_u32_f64_e32 v5, v[3:4]
	s_branch .LBB207_924
.LBB207_922:
	s_mov_b64 s[10:11], -1
                                        ; implicit-def: $vgpr5_vgpr6
	s_branch .LBB207_927
.LBB207_923:
	s_mov_b64 s[10:11], -1
                                        ; implicit-def: $vgpr5_vgpr6
.LBB207_924:
	s_andn2_b64 vcc, exec, s[10:11]
	s_cbranch_vccnz .LBB207_926
; %bb.925:
	global_load_dword v3, v[1:2], off
	s_mov_b32 s10, 0x2f800000
	s_mov_b32 s11, 0xcf800000
	s_waitcnt vmcnt(0)
	v_trunc_f32_e32 v3, v3
	v_mul_f32_e64 v4, |v3|, s10
	v_floor_f32_e32 v4, v4
	v_cvt_u32_f32_e32 v5, v4
	v_fma_f32 v4, v4, s11, |v3|
	v_cvt_u32_f32_e32 v4, v4
	v_ashrrev_i32_e32 v3, 31, v3
	v_xor_b32_e32 v6, v5, v3
	v_xor_b32_e32 v4, v4, v3
	v_sub_co_u32_e32 v5, vcc, v4, v3
	v_subb_co_u32_e32 v6, vcc, v6, v3, vcc
.LBB207_926:
	s_mov_b64 s[10:11], 0
.LBB207_927:
	s_andn2_b64 vcc, exec, s[10:11]
	s_cbranch_vccnz .LBB207_929
; %bb.928:
	global_load_ushort v3, v[1:2], off
	s_waitcnt vmcnt(0)
	v_cvt_f32_f16_e32 v3, v3
	v_cvt_i32_f32_e32 v5, v3
	v_ashrrev_i32_e32 v6, 31, v5
.LBB207_929:
	s_cbranch_execnz .LBB207_948
.LBB207_930:
	s_sext_i32_i16 s10, s75
	s_cmp_lt_i32 s10, 2
	s_cbranch_scc1 .LBB207_934
; %bb.931:
	s_cmp_lt_i32 s10, 3
	s_cbranch_scc1 .LBB207_935
; %bb.932:
	s_cmp_gt_i32 s10, 3
	s_cbranch_scc0 .LBB207_936
; %bb.933:
	global_load_dwordx2 v[5:6], v[1:2], off
	s_mov_b64 s[10:11], 0
	s_branch .LBB207_937
.LBB207_934:
                                        ; implicit-def: $vgpr5_vgpr6
	s_branch .LBB207_943
.LBB207_935:
	s_mov_b64 s[10:11], -1
                                        ; implicit-def: $vgpr5_vgpr6
	s_branch .LBB207_940
.LBB207_936:
	s_mov_b64 s[10:11], -1
                                        ; implicit-def: $vgpr5_vgpr6
.LBB207_937:
	s_andn2_b64 vcc, exec, s[10:11]
	s_cbranch_vccnz .LBB207_939
; %bb.938:
	global_load_dword v5, v[1:2], off
	s_waitcnt vmcnt(0)
	v_ashrrev_i32_e32 v6, 31, v5
.LBB207_939:
	s_mov_b64 s[10:11], 0
.LBB207_940:
	s_andn2_b64 vcc, exec, s[10:11]
	s_cbranch_vccnz .LBB207_942
; %bb.941:
	global_load_ushort v3, v[1:2], off
	s_waitcnt vmcnt(0)
	v_bfe_i32 v5, v3, 0, 16
	v_ashrrev_i32_e32 v6, 31, v5
.LBB207_942:
	s_cbranch_execnz .LBB207_948
.LBB207_943:
	s_sext_i32_i16 s10, s75
	s_cmp_gt_i32 s10, 0
	s_cbranch_scc0 .LBB207_945
; %bb.944:
	global_load_sbyte v3, v[1:2], off
	s_mov_b64 s[10:11], 0
	s_waitcnt vmcnt(0)
	v_bfe_i32 v5, v3, 0, 16
	v_ashrrev_i32_e32 v6, 31, v5
	s_branch .LBB207_946
.LBB207_945:
	s_mov_b64 s[10:11], -1
                                        ; implicit-def: $vgpr5_vgpr6
.LBB207_946:
	s_andn2_b64 vcc, exec, s[10:11]
	s_cbranch_vccnz .LBB207_948
; %bb.947:
	global_load_ubyte v1, v[1:2], off
	s_mov_b32 s10, 0
	s_waitcnt vmcnt(1)
	v_mov_b32_e32 v6, s10
	s_waitcnt vmcnt(0)
	v_and_b32_e32 v5, 0xffff, v1
.LBB207_948:
	s_or_b64 s[0:1], s[0:1], exec
.LBB207_949:
	s_or_b64 exec, exec, s[8:9]
	s_mov_b64 s[12:13], 0
	s_mov_b64 s[10:11], 0
                                        ; implicit-def: $sgpr18
                                        ; implicit-def: $vgpr3_vgpr4
                                        ; implicit-def: $vgpr1_vgpr2
	s_and_saveexec_b64 s[8:9], s[0:1]
	s_cbranch_execz .LBB207_957
; %bb.950:
	s_waitcnt vmcnt(0)
	v_ashrrev_i64 v[1:2], s74, v[5:6]
	v_mov_b32_e32 v4, s25
	s_and_b32 s18, s73, 0xff
	v_add_co_u32_e32 v3, vcc, s24, v0
	s_cmp_lt_i32 s18, 11
	v_addc_co_u32_e32 v4, vcc, 0, v4, vcc
	s_cbranch_scc1 .LBB207_960
; %bb.951:
	s_and_b32 s19, 0xffff, s18
	s_mov_b64 s[12:13], -1
	s_cmp_gt_i32 s19, 25
	s_mov_b64 s[0:1], s[52:53]
	s_cbranch_scc0 .LBB207_988
; %bb.952:
	s_mov_b64 s[10:11], -1
	s_cmp_gt_i32 s19, 28
	s_mov_b64 s[0:1], s[52:53]
	s_cbranch_scc0 .LBB207_972
; %bb.953:
	s_cmp_gt_i32 s19, 43
	s_mov_b64 s[0:1], s[52:53]
	s_cbranch_scc0 .LBB207_968
; %bb.954:
	;; [unrolled: 4-line block ×3, first 2 shown]
	s_cmp_eq_u32 s19, 46
	s_mov_b64 s[0:1], -1
	s_cbranch_scc0 .LBB207_961
; %bb.956:
	v_xor_b32_e32 v5, v1, v2
	v_ffbh_i32_e32 v0, v2
	v_ashrrev_i32_e32 v5, 31, v5
	v_add_u32_e32 v0, -1, v0
	v_add_u32_e32 v5, 32, v5
	v_min_u32_e32 v0, v0, v5
	v_lshlrev_b64 v[5:6], v0, v[1:2]
	v_sub_u32_e32 v0, 32, v0
	v_min_u32_e32 v5, 1, v5
	v_or_b32_e32 v5, v6, v5
	v_cvt_f32_i32_e32 v5, v5
	s_movk_i32 s0, 0x7fff
	s_mov_b64 s[10:11], 0
	v_ldexp_f32 v0, v5, v0
	v_bfe_u32 v5, v0, 16, 1
	v_add3_u32 v0, v0, v5, s0
	v_lshrrev_b32_e32 v0, 16, v0
	global_store_dword v[3:4], v0, off
	s_mov_b64 s[0:1], 0
	s_branch .LBB207_962
.LBB207_957:
	s_or_b64 exec, exec, s[8:9]
	s_and_saveexec_b64 s[0:1], s[52:53]
	s_cbranch_execnz .LBB207_1030
.LBB207_958:
	s_or_b64 exec, exec, s[0:1]
	s_and_saveexec_b64 s[0:1], s[12:13]
	s_xor_b64 s[0:1], exec, s[0:1]
	s_cbranch_execz .LBB207_1031
.LBB207_959:
	v_cmp_ne_u64_e32 vcc, 0, v[1:2]
	v_cndmask_b32_e64 v0, 0, 1, vcc
	s_waitcnt vmcnt(0)
	global_store_byte v[3:4], v0, off
	s_or_b64 exec, exec, s[0:1]
	s_and_saveexec_b64 s[0:1], s[10:11]
	s_xor_b64 s[0:1], exec, s[0:1]
	s_cbranch_execz .LBB207_1069
	s_branch .LBB207_1032
.LBB207_960:
	s_mov_b64 s[10:11], -1
	s_mov_b64 s[0:1], s[52:53]
	s_branch .LBB207_1029
.LBB207_961:
	s_mov_b64 s[10:11], 0
.LBB207_962:
	s_and_b64 vcc, exec, s[10:11]
	s_cbranch_vccz .LBB207_967
; %bb.963:
	s_cmp_eq_u32 s19, 44
	s_mov_b64 s[0:1], -1
	s_cbranch_scc0 .LBB207_967
; %bb.964:
	v_xor_b32_e32 v5, v1, v2
	v_ffbh_i32_e32 v0, v2
	v_ashrrev_i32_e32 v5, 31, v5
	v_add_u32_e32 v0, -1, v0
	v_add_u32_e32 v5, 32, v5
	v_min_u32_e32 v0, v0, v5
	v_lshlrev_b64 v[5:6], v0, v[1:2]
	v_sub_u32_e32 v0, 32, v0
	v_min_u32_e32 v5, 1, v5
	v_or_b32_e32 v5, v6, v5
	v_cvt_f32_i32_e32 v5, v5
	s_movk_i32 s0, 0xff
	v_mov_b32_e32 v6, 0xff
	v_ldexp_f32 v0, v5, v0
	v_bfe_u32 v5, v0, 23, 8
	v_cmp_ne_u32_e32 vcc, s0, v5
	s_and_saveexec_b64 s[10:11], vcc
; %bb.965:
	s_mov_b32 s0, 0x3fffff
	v_lshrrev_b32_e32 v6, 23, v0
	v_and_b32_e32 v7, 0x400000, v0
	v_and_or_b32 v0, v0, s0, v5
	v_cmp_ne_u32_e32 vcc, 0, v7
	v_cmp_ne_u32_e64 s[0:1], 0, v0
	s_and_b64 s[0:1], vcc, s[0:1]
	v_cndmask_b32_e64 v0, 0, 1, s[0:1]
	v_add_u32_e32 v6, v6, v0
; %bb.966:
	s_or_b64 exec, exec, s[10:11]
	s_mov_b64 s[0:1], 0
	global_store_byte v[3:4], v6, off
.LBB207_967:
	s_mov_b64 s[10:11], 0
.LBB207_968:
	s_and_b64 vcc, exec, s[10:11]
	s_cbranch_vccz .LBB207_971
; %bb.969:
	s_cmp_eq_u32 s19, 29
	s_mov_b64 s[0:1], -1
	s_cbranch_scc0 .LBB207_971
; %bb.970:
	global_store_dwordx2 v[3:4], v[1:2], off
	s_mov_b64 s[0:1], 0
.LBB207_971:
	s_mov_b64 s[10:11], 0
.LBB207_972:
	s_and_b64 vcc, exec, s[10:11]
	s_cbranch_vccz .LBB207_987
; %bb.973:
	s_cmp_lt_i32 s19, 27
	s_mov_b64 s[10:11], -1
	s_cbranch_scc1 .LBB207_979
; %bb.974:
	s_cmp_gt_i32 s19, 27
	s_cbranch_scc0 .LBB207_976
; %bb.975:
	s_mov_b64 s[10:11], 0
	global_store_dword v[3:4], v1, off
.LBB207_976:
	s_andn2_b64 vcc, exec, s[10:11]
	s_cbranch_vccnz .LBB207_978
; %bb.977:
	global_store_short v[3:4], v1, off
.LBB207_978:
	s_mov_b64 s[10:11], 0
.LBB207_979:
	s_andn2_b64 vcc, exec, s[10:11]
	s_cbranch_vccnz .LBB207_987
; %bb.980:
	v_xor_b32_e32 v5, v1, v2
	v_ffbh_i32_e32 v0, v2
	v_ashrrev_i32_e32 v5, 31, v5
	v_add_u32_e32 v0, -1, v0
	v_add_u32_e32 v5, 32, v5
	v_min_u32_e32 v0, v0, v5
	v_lshlrev_b64 v[5:6], v0, v[1:2]
	v_sub_u32_e32 v0, 32, v0
	v_min_u32_e32 v5, 1, v5
	v_or_b32_e32 v5, v6, v5
	v_cvt_f32_i32_e32 v5, v5
	s_mov_b32 s10, 0x43800000
	v_mov_b32_e32 v6, 0x80
	v_ldexp_f32 v0, v5, v0
	v_and_b32_e32 v5, 0x7fffffff, v0
	v_cmp_gt_u32_e32 vcc, s10, v5
	s_and_saveexec_b64 s[10:11], vcc
	s_cbranch_execz .LBB207_986
; %bb.981:
	s_mov_b32 s12, 0x3bffffff
	v_cmp_lt_u32_e32 vcc, s12, v5
	s_mov_b64 s[12:13], 0
                                        ; implicit-def: $vgpr5
	s_and_saveexec_b64 s[14:15], vcc
	s_xor_b64 s[14:15], exec, s[14:15]
	s_cbranch_execz .LBB207_1140
; %bb.982:
	v_bfe_u32 v5, v0, 20, 1
	s_mov_b32 s16, 0x487ffff
	v_add3_u32 v5, v0, v5, s16
	s_mov_b64 s[12:13], exec
	v_lshrrev_b32_e32 v5, 20, v5
	s_andn2_saveexec_b64 s[14:15], s[14:15]
	s_cbranch_execnz .LBB207_1141
.LBB207_983:
	s_or_b64 exec, exec, s[14:15]
	v_mov_b32_e32 v6, 0
	s_and_saveexec_b64 s[14:15], s[12:13]
.LBB207_984:
	v_lshrrev_b32_e32 v0, 24, v0
	s_movk_i32 s12, 0x80
	v_and_or_b32 v6, v0, s12, v5
.LBB207_985:
	s_or_b64 exec, exec, s[14:15]
.LBB207_986:
	s_or_b64 exec, exec, s[10:11]
	global_store_byte v[3:4], v6, off
.LBB207_987:
	s_mov_b64 s[12:13], 0
.LBB207_988:
	s_mov_b64 s[10:11], 0
	s_and_b64 vcc, exec, s[12:13]
	s_cbranch_vccz .LBB207_1028
; %bb.989:
	s_cmp_gt_i32 s19, 22
	s_mov_b64 s[12:13], -1
	s_cbranch_scc0 .LBB207_1021
; %bb.990:
	s_cmp_lt_i32 s19, 24
	s_cbranch_scc1 .LBB207_1010
; %bb.991:
	s_cmp_gt_i32 s19, 24
	s_cbranch_scc0 .LBB207_999
; %bb.992:
	v_xor_b32_e32 v5, v1, v2
	v_ffbh_i32_e32 v0, v2
	v_ashrrev_i32_e32 v5, 31, v5
	v_add_u32_e32 v0, -1, v0
	v_add_u32_e32 v5, 32, v5
	v_min_u32_e32 v0, v0, v5
	v_lshlrev_b64 v[5:6], v0, v[1:2]
	v_sub_u32_e32 v0, 32, v0
	v_min_u32_e32 v5, 1, v5
	v_or_b32_e32 v5, v6, v5
	v_cvt_f32_i32_e32 v5, v5
	s_mov_b32 s12, 0x47800000
	v_mov_b32_e32 v6, 0x80
	v_ldexp_f32 v0, v5, v0
	v_and_b32_e32 v5, 0x7fffffff, v0
	v_cmp_gt_u32_e32 vcc, s12, v5
	s_and_saveexec_b64 s[12:13], vcc
	s_cbranch_execz .LBB207_998
; %bb.993:
	s_mov_b32 s14, 0x37ffffff
	v_cmp_lt_u32_e32 vcc, s14, v5
	s_mov_b64 s[14:15], 0
                                        ; implicit-def: $vgpr5
	s_and_saveexec_b64 s[16:17], vcc
	s_xor_b64 s[16:17], exec, s[16:17]
	s_cbranch_execz .LBB207_1260
; %bb.994:
	v_bfe_u32 v5, v0, 21, 1
	s_mov_b32 s20, 0x88fffff
	v_add3_u32 v5, v0, v5, s20
	s_mov_b64 s[14:15], exec
	v_lshrrev_b32_e32 v5, 21, v5
	s_andn2_saveexec_b64 s[16:17], s[16:17]
	s_cbranch_execnz .LBB207_1261
.LBB207_995:
	s_or_b64 exec, exec, s[16:17]
	v_mov_b32_e32 v6, 0
	s_and_saveexec_b64 s[16:17], s[14:15]
.LBB207_996:
	v_lshrrev_b32_e32 v0, 24, v0
	s_movk_i32 s14, 0x80
	v_and_or_b32 v6, v0, s14, v5
.LBB207_997:
	s_or_b64 exec, exec, s[16:17]
.LBB207_998:
	s_or_b64 exec, exec, s[12:13]
	s_mov_b64 s[12:13], 0
	global_store_byte v[3:4], v6, off
.LBB207_999:
	s_and_b64 vcc, exec, s[12:13]
	s_cbranch_vccz .LBB207_1009
; %bb.1000:
	v_xor_b32_e32 v5, v1, v2
	v_ffbh_i32_e32 v0, v2
	v_ashrrev_i32_e32 v5, 31, v5
	v_add_u32_e32 v0, -1, v0
	v_add_u32_e32 v5, 32, v5
	v_min_u32_e32 v0, v0, v5
	v_lshlrev_b64 v[5:6], v0, v[1:2]
	v_sub_u32_e32 v0, 32, v0
	v_min_u32_e32 v5, 1, v5
	v_or_b32_e32 v5, v6, v5
	v_cvt_f32_i32_e32 v5, v5
	s_mov_b32 s12, 0x43f00000
	v_ldexp_f32 v0, v5, v0
	v_and_b32_e32 v6, 0x7fffffff, v0
	v_cmp_gt_u32_e32 vcc, s12, v6
                                        ; implicit-def: $vgpr5
	s_and_saveexec_b64 s[12:13], vcc
	s_xor_b64 s[12:13], exec, s[12:13]
	s_cbranch_execz .LBB207_1006
; %bb.1001:
	s_mov_b32 s14, 0x3c7fffff
	v_cmp_lt_u32_e32 vcc, s14, v6
                                        ; implicit-def: $vgpr5
	s_and_saveexec_b64 s[14:15], vcc
	s_xor_b64 s[14:15], exec, s[14:15]
; %bb.1002:
	v_bfe_u32 v5, v0, 20, 1
	s_mov_b32 s16, 0x407ffff
	v_add3_u32 v5, v0, v5, s16
	v_lshrrev_b32_e32 v6, 20, v5
	v_and_b32_e32 v5, 0xff00000, v5
	s_mov_b32 s16, 0x7f00000
	v_mov_b32_e32 v7, 0x7e
	v_cmp_ne_u32_e32 vcc, s16, v5
	v_cndmask_b32_e32 v5, v7, v6, vcc
; %bb.1003:
	s_andn2_saveexec_b64 s[14:15], s[14:15]
; %bb.1004:
	s_mov_b32 s16, 0x46800000
	v_add_f32_e64 v5, |v0|, s16
; %bb.1005:
	s_or_b64 exec, exec, s[14:15]
                                        ; implicit-def: $vgpr6
.LBB207_1006:
	s_andn2_saveexec_b64 s[12:13], s[12:13]
; %bb.1007:
	s_mov_b32 s14, 0x7f800000
	v_mov_b32_e32 v5, 0x7e
	v_mov_b32_e32 v7, 0x7f
	v_cmp_lt_u32_e32 vcc, s14, v6
	v_cndmask_b32_e32 v5, v5, v7, vcc
; %bb.1008:
	s_or_b64 exec, exec, s[12:13]
	v_lshrrev_b32_e32 v0, 24, v0
	s_movk_i32 s12, 0x80
	v_and_or_b32 v0, v0, s12, v5
	global_store_byte v[3:4], v0, off
.LBB207_1009:
	s_mov_b64 s[12:13], 0
.LBB207_1010:
	s_andn2_b64 vcc, exec, s[12:13]
	s_cbranch_vccnz .LBB207_1020
; %bb.1011:
	v_xor_b32_e32 v5, v1, v2
	v_ffbh_i32_e32 v0, v2
	v_ashrrev_i32_e32 v5, 31, v5
	v_add_u32_e32 v0, -1, v0
	v_add_u32_e32 v5, 32, v5
	v_min_u32_e32 v0, v0, v5
	v_lshlrev_b64 v[5:6], v0, v[1:2]
	v_sub_u32_e32 v0, 32, v0
	v_min_u32_e32 v5, 1, v5
	v_or_b32_e32 v5, v6, v5
	v_cvt_f32_i32_e32 v5, v5
	s_mov_b32 s12, 0x47800000
	v_ldexp_f32 v0, v5, v0
	v_and_b32_e32 v6, 0x7fffffff, v0
	v_cmp_gt_u32_e32 vcc, s12, v6
                                        ; implicit-def: $vgpr5
	s_and_saveexec_b64 s[12:13], vcc
	s_xor_b64 s[12:13], exec, s[12:13]
	s_cbranch_execz .LBB207_1017
; %bb.1012:
	s_mov_b32 s14, 0x387fffff
	v_cmp_lt_u32_e32 vcc, s14, v6
                                        ; implicit-def: $vgpr5
	s_and_saveexec_b64 s[14:15], vcc
	s_xor_b64 s[14:15], exec, s[14:15]
; %bb.1013:
	v_bfe_u32 v5, v0, 21, 1
	s_mov_b32 s16, 0x80fffff
	v_add3_u32 v5, v0, v5, s16
	v_lshrrev_b32_e32 v5, 21, v5
; %bb.1014:
	s_andn2_saveexec_b64 s[14:15], s[14:15]
; %bb.1015:
	s_mov_b32 s16, 0x43000000
	v_add_f32_e64 v5, |v0|, s16
; %bb.1016:
	s_or_b64 exec, exec, s[14:15]
                                        ; implicit-def: $vgpr6
.LBB207_1017:
	s_andn2_saveexec_b64 s[12:13], s[12:13]
; %bb.1018:
	s_mov_b32 s14, 0x7f800000
	v_mov_b32_e32 v5, 0x7c
	v_mov_b32_e32 v7, 0x7f
	v_cmp_lt_u32_e32 vcc, s14, v6
	v_cndmask_b32_e32 v5, v5, v7, vcc
; %bb.1019:
	s_or_b64 exec, exec, s[12:13]
	v_lshrrev_b32_e32 v0, 24, v0
	s_movk_i32 s12, 0x80
	v_and_or_b32 v0, v0, s12, v5
	global_store_byte v[3:4], v0, off
.LBB207_1020:
	s_mov_b64 s[12:13], 0
.LBB207_1021:
	s_andn2_b64 vcc, exec, s[12:13]
	s_mov_b64 s[12:13], 0
	s_cbranch_vccnz .LBB207_1029
; %bb.1022:
	s_cmp_gt_i32 s19, 14
	s_mov_b64 s[14:15], -1
	s_cbranch_scc0 .LBB207_1026
; %bb.1023:
	s_cmp_eq_u32 s19, 15
	s_mov_b64 s[0:1], -1
	s_cbranch_scc0 .LBB207_1025
; %bb.1024:
	v_xor_b32_e32 v5, v1, v2
	v_ffbh_i32_e32 v0, v2
	v_ashrrev_i32_e32 v5, 31, v5
	v_add_u32_e32 v0, -1, v0
	v_add_u32_e32 v5, 32, v5
	v_min_u32_e32 v0, v0, v5
	v_lshlrev_b64 v[5:6], v0, v[1:2]
	v_sub_u32_e32 v0, 32, v0
	v_min_u32_e32 v5, 1, v5
	v_or_b32_e32 v5, v6, v5
	v_cvt_f32_i32_e32 v5, v5
	s_movk_i32 s0, 0x7fff
	v_ldexp_f32 v0, v5, v0
	v_bfe_u32 v5, v0, 16, 1
	v_add3_u32 v0, v0, v5, s0
	global_store_short_d16_hi v[3:4], v0, off
	s_mov_b64 s[0:1], 0
.LBB207_1025:
	s_mov_b64 s[14:15], 0
.LBB207_1026:
	s_and_b64 vcc, exec, s[14:15]
	s_cbranch_vccz .LBB207_1029
; %bb.1027:
	s_cmp_lg_u32 s19, 11
	s_cselect_b64 s[14:15], -1, 0
	s_andn2_b64 s[0:1], s[0:1], exec
	s_and_b64 s[14:15], s[14:15], exec
	s_mov_b64 s[12:13], -1
	s_or_b64 s[0:1], s[0:1], s[14:15]
	s_branch .LBB207_1029
.LBB207_1028:
	s_mov_b64 s[12:13], 0
.LBB207_1029:
	s_andn2_b64 s[14:15], s[52:53], exec
	s_and_b64 s[0:1], s[0:1], exec
	s_and_b64 s[10:11], s[10:11], exec
	;; [unrolled: 1-line block ×3, first 2 shown]
	s_or_b64 s[52:53], s[14:15], s[0:1]
	s_or_b64 exec, exec, s[8:9]
	s_and_saveexec_b64 s[0:1], s[52:53]
	s_cbranch_execz .LBB207_958
.LBB207_1030:
	s_or_b64 s[2:3], s[2:3], exec
	s_andn2_b64 s[12:13], s[12:13], exec
	s_trap 2
	s_or_b64 exec, exec, s[0:1]
	s_and_saveexec_b64 s[0:1], s[12:13]
	s_xor_b64 s[0:1], exec, s[0:1]
	s_cbranch_execnz .LBB207_959
.LBB207_1031:
	s_or_b64 exec, exec, s[0:1]
	s_and_saveexec_b64 s[0:1], s[10:11]
	s_xor_b64 s[0:1], exec, s[0:1]
	s_cbranch_execz .LBB207_1069
.LBB207_1032:
	s_sext_i32_i16 s10, s18
	s_cmp_lt_i32 s10, 5
	s_mov_b64 s[8:9], -1
	s_cbranch_scc1 .LBB207_1053
; %bb.1033:
	s_cmp_lt_i32 s10, 8
	s_cbranch_scc1 .LBB207_1043
; %bb.1034:
	s_cmp_lt_i32 s10, 9
	s_cbranch_scc1 .LBB207_1040
; %bb.1035:
	s_cmp_gt_i32 s10, 9
	s_cbranch_scc0 .LBB207_1037
; %bb.1036:
	s_waitcnt vmcnt(0)
	v_cvt_f64_i32_e32 v[5:6], v2
	v_cvt_f64_u32_e32 v[7:8], v1
	s_mov_b64 s[8:9], 0
	v_ldexp_f64 v[5:6], v[5:6], 32
	v_add_f64 v[5:6], v[5:6], v[7:8]
	v_mov_b32_e32 v7, 0
	v_mov_b32_e32 v8, v7
	global_store_dwordx4 v[3:4], v[5:8], off
.LBB207_1037:
	s_andn2_b64 vcc, exec, s[8:9]
	s_cbranch_vccnz .LBB207_1039
; %bb.1038:
	s_waitcnt vmcnt(0)
	v_xor_b32_e32 v5, v1, v2
	v_ffbh_i32_e32 v0, v2
	v_ashrrev_i32_e32 v5, 31, v5
	v_add_u32_e32 v0, -1, v0
	v_add_u32_e32 v5, 32, v5
	v_min_u32_e32 v0, v0, v5
	v_lshlrev_b64 v[5:6], v0, v[1:2]
	v_sub_u32_e32 v0, 32, v0
	v_min_u32_e32 v5, 1, v5
	v_or_b32_e32 v5, v6, v5
	v_cvt_f32_i32_e32 v5, v5
	v_mov_b32_e32 v6, 0
	v_ldexp_f32 v5, v5, v0
	global_store_dwordx2 v[3:4], v[5:6], off
.LBB207_1039:
	s_mov_b64 s[8:9], 0
.LBB207_1040:
	s_andn2_b64 vcc, exec, s[8:9]
	s_cbranch_vccnz .LBB207_1042
; %bb.1041:
	s_waitcnt vmcnt(0)
	v_xor_b32_e32 v5, v1, v2
	v_ffbh_i32_e32 v0, v2
	v_ashrrev_i32_e32 v5, 31, v5
	v_add_u32_e32 v0, -1, v0
	v_add_u32_e32 v5, 32, v5
	v_min_u32_e32 v0, v0, v5
	v_lshlrev_b64 v[5:6], v0, v[1:2]
	v_sub_u32_e32 v0, 32, v0
	v_min_u32_e32 v5, 1, v5
	v_or_b32_e32 v5, v6, v5
	v_cvt_f32_i32_e32 v5, v5
	v_ldexp_f32 v0, v5, v0
	v_cvt_f16_f32_e32 v0, v0
	global_store_dword v[3:4], v0, off
.LBB207_1042:
	s_mov_b64 s[8:9], 0
.LBB207_1043:
	s_andn2_b64 vcc, exec, s[8:9]
	s_cbranch_vccnz .LBB207_1052
; %bb.1044:
	s_sext_i32_i16 s10, s18
	s_cmp_lt_i32 s10, 6
	s_mov_b64 s[8:9], -1
	s_cbranch_scc1 .LBB207_1050
; %bb.1045:
	s_cmp_gt_i32 s10, 6
	s_cbranch_scc0 .LBB207_1047
; %bb.1046:
	s_waitcnt vmcnt(0)
	v_cvt_f64_i32_e32 v[5:6], v2
	v_cvt_f64_u32_e32 v[7:8], v1
	s_mov_b64 s[8:9], 0
	v_ldexp_f64 v[5:6], v[5:6], 32
	v_add_f64 v[5:6], v[5:6], v[7:8]
	global_store_dwordx2 v[3:4], v[5:6], off
.LBB207_1047:
	s_andn2_b64 vcc, exec, s[8:9]
	s_cbranch_vccnz .LBB207_1049
; %bb.1048:
	s_waitcnt vmcnt(0)
	v_xor_b32_e32 v5, v1, v2
	v_ffbh_i32_e32 v0, v2
	v_ashrrev_i32_e32 v5, 31, v5
	v_add_u32_e32 v0, -1, v0
	v_add_u32_e32 v5, 32, v5
	v_min_u32_e32 v0, v0, v5
	v_lshlrev_b64 v[5:6], v0, v[1:2]
	v_sub_u32_e32 v0, 32, v0
	v_min_u32_e32 v5, 1, v5
	v_or_b32_e32 v5, v6, v5
	v_cvt_f32_i32_e32 v5, v5
	v_ldexp_f32 v0, v5, v0
	global_store_dword v[3:4], v0, off
.LBB207_1049:
	s_mov_b64 s[8:9], 0
.LBB207_1050:
	s_andn2_b64 vcc, exec, s[8:9]
	s_cbranch_vccnz .LBB207_1052
; %bb.1051:
	s_waitcnt vmcnt(0)
	v_xor_b32_e32 v5, v1, v2
	v_ffbh_i32_e32 v0, v2
	v_ashrrev_i32_e32 v5, 31, v5
	v_add_u32_e32 v0, -1, v0
	v_add_u32_e32 v5, 32, v5
	v_min_u32_e32 v0, v0, v5
	v_lshlrev_b64 v[5:6], v0, v[1:2]
	v_sub_u32_e32 v0, 32, v0
	v_min_u32_e32 v5, 1, v5
	v_or_b32_e32 v5, v6, v5
	v_cvt_f32_i32_e32 v5, v5
	v_ldexp_f32 v0, v5, v0
	v_cvt_f16_f32_e32 v0, v0
	global_store_short v[3:4], v0, off
.LBB207_1052:
	s_mov_b64 s[8:9], 0
.LBB207_1053:
	s_andn2_b64 vcc, exec, s[8:9]
	s_cbranch_vccnz .LBB207_1069
; %bb.1054:
	s_sext_i32_i16 s10, s18
	s_cmp_lt_i32 s10, 2
	s_mov_b64 s[8:9], -1
	s_cbranch_scc1 .LBB207_1064
; %bb.1055:
	s_cmp_lt_i32 s10, 3
	s_cbranch_scc1 .LBB207_1061
; %bb.1056:
	s_cmp_gt_i32 s10, 3
	s_cbranch_scc0 .LBB207_1058
; %bb.1057:
	s_mov_b64 s[8:9], 0
	s_waitcnt vmcnt(0)
	global_store_dwordx2 v[3:4], v[1:2], off
.LBB207_1058:
	s_andn2_b64 vcc, exec, s[8:9]
	s_cbranch_vccnz .LBB207_1060
; %bb.1059:
	s_waitcnt vmcnt(0)
	global_store_dword v[3:4], v1, off
.LBB207_1060:
	s_mov_b64 s[8:9], 0
.LBB207_1061:
	s_andn2_b64 vcc, exec, s[8:9]
	s_cbranch_vccnz .LBB207_1063
; %bb.1062:
	s_waitcnt vmcnt(0)
	global_store_short v[3:4], v1, off
.LBB207_1063:
	s_mov_b64 s[8:9], 0
.LBB207_1064:
	s_andn2_b64 vcc, exec, s[8:9]
	s_cbranch_vccnz .LBB207_1069
; %bb.1065:
	s_sext_i32_i16 s8, s18
	s_cmp_gt_i32 s8, 0
	s_mov_b64 s[8:9], -1
	s_cbranch_scc0 .LBB207_1067
; %bb.1066:
	s_mov_b64 s[8:9], 0
	s_waitcnt vmcnt(0)
	global_store_byte v[3:4], v1, off
.LBB207_1067:
	s_andn2_b64 vcc, exec, s[8:9]
	s_cbranch_vccnz .LBB207_1069
; %bb.1068:
	s_waitcnt vmcnt(0)
	global_store_byte v[3:4], v1, off
.LBB207_1069:
	s_or_b64 exec, exec, s[0:1]
	s_and_b64 s[28:29], s[2:3], exec
                                        ; implicit-def: $vgpr15
                                        ; implicit-def: $vgpr11
.LBB207_1070:
	s_or_saveexec_b64 s[30:31], s[42:43]
	s_mov_b64 s[0:1], 0
                                        ; implicit-def: $vgpr0_vgpr1
                                        ; implicit-def: $sgpr14
                                        ; implicit-def: $vgpr2_vgpr3
	s_xor_b64 exec, exec, s[30:31]
	s_cbranch_execz .LBB207_2057
; %bb.1071:
	v_cndmask_b32_e64 v0, 0, 1, s[40:41]
	v_cmp_ne_u32_e64 s[0:1], 1, v0
	s_andn2_b64 vcc, exec, s[40:41]
	s_cbranch_vccnz .LBB207_1077
; %bb.1072:
	s_cmp_lg_u32 s33, 0
	s_mov_b32 s36, 0
	s_cbranch_scc0 .LBB207_1078
; %bb.1073:
	s_min_u32 s37, s72, 15
	s_add_i32 s37, s37, 1
	s_cmp_eq_u32 s72, 2
	s_cbranch_scc1 .LBB207_1079
; %bb.1074:
	s_and_b32 s36, s37, 28
	s_add_u32 s2, s34, 0xc4
	s_addc_u32 s3, s35, 0
	v_mov_b32_e32 v8, 0
	s_mov_b32 s38, 0
	s_mov_b64 s[6:7], s[34:35]
	s_waitcnt vmcnt(0)
	v_mov_b32_e32 v6, 0
	v_mov_b32_e32 v0, v11
.LBB207_1075:                           ; =>This Inner Loop Header: Depth=1
	s_load_dwordx8 s[16:23], s[6:7], 0x4
	s_load_dwordx4 s[24:27], s[6:7], 0x24
	s_load_dwordx8 s[8:15], s[2:3], 0x0
	s_add_u32 s6, s6, 48
	s_addc_u32 s7, s7, 0
	s_waitcnt lgkmcnt(0)
	v_mul_hi_u32 v1, s17, v0
	s_add_i32 s38, s38, 4
	s_add_u32 s2, s2, 32
	s_addc_u32 s3, s3, 0
	v_add_u32_e32 v1, v0, v1
	v_lshrrev_b32_e32 v1, s18, v1
	v_mul_lo_u32 v2, v1, s16
	v_mul_hi_u32 v3, s20, v1
	s_cmp_lg_u32 s36, s38
	v_sub_u32_e32 v0, v0, v2
	v_add_u32_e32 v2, v1, v3
	v_mul_lo_u32 v3, v0, s8
	v_mul_lo_u32 v4, v0, s9
	v_lshrrev_b32_e32 v0, s21, v2
	v_mul_lo_u32 v2, v0, s19
	v_mul_hi_u32 v5, s23, v0
	v_sub_u32_e32 v1, v1, v2
	v_add_u32_e32 v2, v0, v5
	v_lshrrev_b32_e32 v2, s24, v2
	v_mul_hi_u32 v7, s26, v2
	v_mul_lo_u32 v9, v2, s22
	v_mul_lo_u32 v5, v1, s10
	;; [unrolled: 1-line block ×3, first 2 shown]
	v_sub_u32_e32 v9, v0, v9
	v_add_u32_e32 v0, v2, v7
	v_lshrrev_b32_e32 v0, s27, v0
	v_mul_lo_u32 v7, v0, s25
	v_mul_lo_u32 v10, v9, s12
	;; [unrolled: 1-line block ×3, first 2 shown]
	v_add3_u32 v3, v3, v6, v5
	v_sub_u32_e32 v2, v2, v7
	v_mul_lo_u32 v7, v2, s14
	v_mul_lo_u32 v2, v2, s15
	v_add3_u32 v1, v4, v8, v1
	v_add3_u32 v6, v10, v3, v7
	;; [unrolled: 1-line block ×3, first 2 shown]
	s_cbranch_scc1 .LBB207_1075
; %bb.1076:
	s_and_b32 s8, s37, 3
	s_cmp_eq_u32 s8, 0
	s_cbranch_scc0 .LBB207_1080
	s_branch .LBB207_1082
.LBB207_1077:
                                        ; implicit-def: $vgpr6
                                        ; implicit-def: $vgpr8
	s_branch .LBB207_1083
.LBB207_1078:
	s_waitcnt vmcnt(0)
	v_mov_b32_e32 v6, 0
	v_mov_b32_e32 v8, 0
	s_branch .LBB207_1082
.LBB207_1079:
	s_waitcnt vmcnt(0)
	v_mov_b32_e32 v6, 0
	v_mov_b32_e32 v8, 0
	;; [unrolled: 1-line block ×3, first 2 shown]
	s_and_b32 s8, s37, 3
	s_cmp_eq_u32 s8, 0
	s_cbranch_scc1 .LBB207_1082
.LBB207_1080:
	s_lshl_b32 s2, s36, 3
	s_add_u32 s2, s34, s2
	s_addc_u32 s3, s35, 0
	s_add_u32 s2, s2, 0xc4
	s_addc_u32 s3, s3, 0
	s_mul_i32 s6, s36, 12
	s_add_u32 s6, s34, s6
	s_addc_u32 s7, s35, 0
.LBB207_1081:                           ; =>This Inner Loop Header: Depth=1
	s_load_dwordx2 s[10:11], s[6:7], 0x4
	s_load_dword s9, s[6:7], 0xc
	s_load_dwordx2 s[12:13], s[2:3], 0x0
	s_add_u32 s6, s6, 12
	s_addc_u32 s7, s7, 0
	s_waitcnt lgkmcnt(0)
	v_mul_hi_u32 v1, s11, v0
	s_add_u32 s2, s2, 8
	s_addc_u32 s3, s3, 0
	s_add_i32 s8, s8, -1
	v_add_u32_e32 v1, v0, v1
	v_lshrrev_b32_e32 v1, s9, v1
	v_mul_lo_u32 v2, v1, s10
	s_cmp_lg_u32 s8, 0
	v_sub_u32_e32 v0, v0, v2
	v_mad_u64_u32 v[6:7], s[10:11], v0, s12, v[6:7]
	v_mad_u64_u32 v[8:9], s[10:11], v0, s13, v[8:9]
	v_mov_b32_e32 v0, v1
	s_cbranch_scc1 .LBB207_1081
.LBB207_1082:
	s_cbranch_execnz .LBB207_1085
.LBB207_1083:
	s_load_dwordx4 s[8:11], s[34:35], 0x4
	s_load_dwordx2 s[2:3], s[34:35], 0xc4
	s_cmp_lt_u32 s33, 2
	s_waitcnt lgkmcnt(0)
	v_mul_hi_u32 v0, s9, v11
	v_add_u32_e32 v0, v11, v0
	v_lshrrev_b32_e32 v0, s10, v0
	v_mul_lo_u32 v1, v0, s8
	v_sub_u32_e32 v1, v11, v1
	s_waitcnt vmcnt(0)
	v_mul_lo_u32 v6, v1, s2
	v_mul_lo_u32 v8, v1, s3
	s_cbranch_scc1 .LBB207_1085
; %bb.1084:
	s_load_dwordx4 s[8:11], s[34:35], 0x10
	s_load_dwordx2 s[2:3], s[34:35], 0xcc
	s_waitcnt lgkmcnt(0)
	v_mul_hi_u32 v1, s9, v0
	v_add_u32_e32 v1, v0, v1
	v_lshrrev_b32_e32 v1, s10, v1
	v_mul_lo_u32 v1, v1, s8
	v_sub_u32_e32 v0, v0, v1
	v_mad_u64_u32 v[6:7], s[6:7], v0, s2, v[6:7]
	v_mad_u64_u32 v[8:9], s[2:3], v0, s3, v[8:9]
.LBB207_1085:
	s_and_b64 vcc, exec, s[0:1]
	v_add_u32_e32 v0, 0x80, v11
	s_cbranch_vccnz .LBB207_1091
; %bb.1086:
	s_cmp_lg_u32 s33, 0
	s_mov_b32 s36, 0
	s_cbranch_scc0 .LBB207_1092
; %bb.1087:
	s_min_u32 s37, s72, 15
	s_add_i32 s37, s37, 1
	s_cmp_eq_u32 s72, 2
	s_cbranch_scc1 .LBB207_1093
; %bb.1088:
	s_and_b32 s36, s37, 28
	s_add_u32 s2, s34, 0xc4
	s_addc_u32 s3, s35, 0
	v_mov_b32_e32 v9, 0
	s_mov_b32 s38, 0
	s_mov_b64 s[6:7], s[34:35]
	s_waitcnt vmcnt(0)
	v_mov_b32_e32 v4, 0
	v_mov_b32_e32 v1, v0
.LBB207_1089:                           ; =>This Inner Loop Header: Depth=1
	s_load_dwordx8 s[16:23], s[6:7], 0x4
	s_load_dwordx4 s[24:27], s[6:7], 0x24
	s_load_dwordx8 s[8:15], s[2:3], 0x0
	s_add_u32 s6, s6, 48
	s_addc_u32 s7, s7, 0
	s_waitcnt lgkmcnt(0)
	v_mul_hi_u32 v2, s17, v1
	s_add_i32 s38, s38, 4
	s_add_u32 s2, s2, 32
	s_addc_u32 s3, s3, 0
	v_add_u32_e32 v2, v1, v2
	v_lshrrev_b32_e32 v2, s18, v2
	v_mul_lo_u32 v3, v2, s16
	v_mul_hi_u32 v5, s20, v2
	s_cmp_lg_u32 s36, s38
	v_sub_u32_e32 v1, v1, v3
	v_add_u32_e32 v3, v2, v5
	v_mul_lo_u32 v5, v1, s8
	v_mul_lo_u32 v7, v1, s9
	v_lshrrev_b32_e32 v1, s21, v3
	v_mul_lo_u32 v3, v1, s19
	v_mul_hi_u32 v10, s23, v1
	v_sub_u32_e32 v2, v2, v3
	v_add_u32_e32 v3, v1, v10
	v_lshrrev_b32_e32 v3, s24, v3
	v_mul_hi_u32 v12, s26, v3
	v_mul_lo_u32 v13, v3, s22
	v_mul_lo_u32 v10, v2, s10
	;; [unrolled: 1-line block ×3, first 2 shown]
	v_sub_u32_e32 v13, v1, v13
	v_add_u32_e32 v1, v3, v12
	v_lshrrev_b32_e32 v1, s27, v1
	v_mul_lo_u32 v12, v1, s25
	v_mul_lo_u32 v14, v13, s12
	v_mul_lo_u32 v13, v13, s13
	v_add3_u32 v4, v5, v4, v10
	v_sub_u32_e32 v3, v3, v12
	v_mul_lo_u32 v12, v3, s14
	v_mul_lo_u32 v3, v3, s15
	v_add3_u32 v2, v7, v9, v2
	v_add3_u32 v4, v14, v4, v12
	;; [unrolled: 1-line block ×3, first 2 shown]
	s_cbranch_scc1 .LBB207_1089
; %bb.1090:
	s_and_b32 s8, s37, 3
	s_cmp_eq_u32 s8, 0
	s_cbranch_scc0 .LBB207_1094
	s_branch .LBB207_1096
.LBB207_1091:
                                        ; implicit-def: $vgpr4
                                        ; implicit-def: $vgpr9
	s_branch .LBB207_1097
.LBB207_1092:
	s_waitcnt vmcnt(0)
	v_mov_b32_e32 v4, 0
	v_mov_b32_e32 v9, 0
	s_branch .LBB207_1096
.LBB207_1093:
	s_waitcnt vmcnt(0)
	v_mov_b32_e32 v4, 0
	v_mov_b32_e32 v9, 0
	;; [unrolled: 1-line block ×3, first 2 shown]
	s_and_b32 s8, s37, 3
	s_cmp_eq_u32 s8, 0
	s_cbranch_scc1 .LBB207_1096
.LBB207_1094:
	s_lshl_b32 s2, s36, 3
	s_add_u32 s2, s34, s2
	s_addc_u32 s3, s35, 0
	s_add_u32 s2, s2, 0xc4
	s_addc_u32 s3, s3, 0
	s_mul_i32 s6, s36, 12
	s_add_u32 s6, s34, s6
	s_addc_u32 s7, s35, 0
.LBB207_1095:                           ; =>This Inner Loop Header: Depth=1
	s_load_dwordx2 s[10:11], s[6:7], 0x4
	s_load_dword s9, s[6:7], 0xc
	s_load_dwordx2 s[12:13], s[2:3], 0x0
	s_add_u32 s6, s6, 12
	s_addc_u32 s7, s7, 0
	s_waitcnt lgkmcnt(0)
	v_mul_hi_u32 v2, s11, v1
	s_add_u32 s2, s2, 8
	s_addc_u32 s3, s3, 0
	s_add_i32 s8, s8, -1
	v_add_u32_e32 v2, v1, v2
	v_lshrrev_b32_e32 v2, s9, v2
	v_mul_lo_u32 v3, v2, s10
	s_cmp_lg_u32 s8, 0
	v_sub_u32_e32 v1, v1, v3
	v_mad_u64_u32 v[4:5], s[10:11], v1, s12, v[4:5]
	v_mad_u64_u32 v[9:10], s[10:11], v1, s13, v[9:10]
	v_mov_b32_e32 v1, v2
	s_cbranch_scc1 .LBB207_1095
.LBB207_1096:
	s_cbranch_execnz .LBB207_1099
.LBB207_1097:
	s_load_dwordx4 s[8:11], s[34:35], 0x4
	s_load_dwordx2 s[2:3], s[34:35], 0xc4
	s_cmp_lt_u32 s33, 2
	s_waitcnt lgkmcnt(0)
	v_mul_hi_u32 v1, s9, v0
	v_add_u32_e32 v1, v0, v1
	v_lshrrev_b32_e32 v1, s10, v1
	v_mul_lo_u32 v2, v1, s8
	v_sub_u32_e32 v0, v0, v2
	s_waitcnt vmcnt(0)
	v_mul_lo_u32 v4, v0, s2
	v_mul_lo_u32 v9, v0, s3
	s_cbranch_scc1 .LBB207_1099
; %bb.1098:
	s_load_dwordx4 s[8:11], s[34:35], 0x10
	s_load_dwordx2 s[2:3], s[34:35], 0xcc
	s_waitcnt lgkmcnt(0)
	v_mul_hi_u32 v0, s9, v1
	v_add_u32_e32 v0, v1, v0
	v_lshrrev_b32_e32 v0, s10, v0
	v_mul_lo_u32 v0, v0, s8
	v_sub_u32_e32 v0, v1, v0
	v_mad_u64_u32 v[4:5], s[6:7], v0, s2, v[4:5]
	v_mad_u64_u32 v[9:10], s[2:3], v0, s3, v[9:10]
.LBB207_1099:
	s_and_b64 vcc, exec, s[0:1]
	v_add_u32_e32 v0, 0x100, v11
	s_cbranch_vccnz .LBB207_1105
; %bb.1100:
	s_cmp_lg_u32 s33, 0
	s_mov_b32 s36, 0
	s_cbranch_scc0 .LBB207_1106
; %bb.1101:
	s_min_u32 s37, s72, 15
	s_add_i32 s37, s37, 1
	s_cmp_eq_u32 s72, 2
	s_cbranch_scc1 .LBB207_1107
; %bb.1102:
	s_and_b32 s36, s37, 28
	s_add_u32 s2, s34, 0xc4
	s_addc_u32 s3, s35, 0
	v_mov_b32_e32 v11, 0
	s_mov_b32 s38, 0
	s_mov_b64 s[6:7], s[34:35]
	v_mov_b32_e32 v2, 0
	v_mov_b32_e32 v1, v0
.LBB207_1103:                           ; =>This Inner Loop Header: Depth=1
	s_load_dwordx8 s[16:23], s[6:7], 0x4
	s_load_dwordx4 s[24:27], s[6:7], 0x24
	s_load_dwordx8 s[8:15], s[2:3], 0x0
	s_add_u32 s6, s6, 48
	s_addc_u32 s7, s7, 0
	s_waitcnt vmcnt(0) lgkmcnt(0)
	v_mul_hi_u32 v3, s17, v1
	s_add_i32 s38, s38, 4
	s_add_u32 s2, s2, 32
	s_addc_u32 s3, s3, 0
	v_add_u32_e32 v3, v1, v3
	v_lshrrev_b32_e32 v3, s18, v3
	v_mul_lo_u32 v5, v3, s16
	v_mul_hi_u32 v7, s20, v3
	s_cmp_lg_u32 s36, s38
	v_sub_u32_e32 v1, v1, v5
	v_add_u32_e32 v5, v3, v7
	v_mul_lo_u32 v7, v1, s8
	v_mul_lo_u32 v10, v1, s9
	v_lshrrev_b32_e32 v1, s21, v5
	v_mul_lo_u32 v5, v1, s19
	v_mul_hi_u32 v12, s23, v1
	v_sub_u32_e32 v3, v3, v5
	v_add_u32_e32 v5, v1, v12
	v_lshrrev_b32_e32 v5, s24, v5
	v_mul_hi_u32 v13, s26, v5
	v_mul_lo_u32 v14, v5, s22
	v_mul_lo_u32 v12, v3, s10
	;; [unrolled: 1-line block ×3, first 2 shown]
	v_sub_u32_e32 v14, v1, v14
	v_add_u32_e32 v1, v5, v13
	v_lshrrev_b32_e32 v1, s27, v1
	v_mul_lo_u32 v13, v1, s25
	v_mul_lo_u32 v16, v14, s12
	;; [unrolled: 1-line block ×3, first 2 shown]
	v_add3_u32 v2, v7, v2, v12
	v_sub_u32_e32 v5, v5, v13
	v_mul_lo_u32 v13, v5, s14
	v_mul_lo_u32 v5, v5, s15
	v_add3_u32 v3, v10, v11, v3
	v_add3_u32 v2, v16, v2, v13
	v_add3_u32 v11, v14, v3, v5
	s_cbranch_scc1 .LBB207_1103
; %bb.1104:
	s_and_b32 s8, s37, 3
	s_cmp_eq_u32 s8, 0
	s_cbranch_scc0 .LBB207_1108
	s_branch .LBB207_1110
.LBB207_1105:
                                        ; implicit-def: $vgpr2
                                        ; implicit-def: $vgpr11
	s_branch .LBB207_1111
.LBB207_1106:
	v_mov_b32_e32 v2, 0
	v_mov_b32_e32 v11, 0
	s_branch .LBB207_1110
.LBB207_1107:
	v_mov_b32_e32 v2, 0
	v_mov_b32_e32 v11, 0
	;; [unrolled: 1-line block ×3, first 2 shown]
	s_and_b32 s8, s37, 3
	s_cmp_eq_u32 s8, 0
	s_cbranch_scc1 .LBB207_1110
.LBB207_1108:
	s_lshl_b32 s2, s36, 3
	s_add_u32 s2, s34, s2
	s_addc_u32 s3, s35, 0
	s_add_u32 s2, s2, 0xc4
	s_addc_u32 s3, s3, 0
	s_mul_i32 s6, s36, 12
	s_add_u32 s6, s34, s6
	s_addc_u32 s7, s35, 0
.LBB207_1109:                           ; =>This Inner Loop Header: Depth=1
	s_load_dwordx2 s[10:11], s[6:7], 0x4
	s_load_dword s9, s[6:7], 0xc
	s_load_dwordx2 s[12:13], s[2:3], 0x0
	s_add_u32 s6, s6, 12
	s_addc_u32 s7, s7, 0
	s_waitcnt vmcnt(0) lgkmcnt(0)
	v_mul_hi_u32 v3, s11, v1
	s_add_u32 s2, s2, 8
	s_addc_u32 s3, s3, 0
	s_add_i32 s8, s8, -1
	v_add_u32_e32 v3, v1, v3
	v_lshrrev_b32_e32 v5, s9, v3
	v_mul_lo_u32 v3, v5, s10
	s_cmp_lg_u32 s8, 0
	v_sub_u32_e32 v1, v1, v3
	v_mad_u64_u32 v[2:3], s[10:11], v1, s12, v[2:3]
	v_mad_u64_u32 v[11:12], s[10:11], v1, s13, v[11:12]
	v_mov_b32_e32 v1, v5
	s_cbranch_scc1 .LBB207_1109
.LBB207_1110:
	s_cbranch_execnz .LBB207_1113
.LBB207_1111:
	s_load_dwordx4 s[8:11], s[34:35], 0x4
	s_load_dwordx2 s[2:3], s[34:35], 0xc4
	s_cmp_lt_u32 s33, 2
	s_waitcnt lgkmcnt(0)
	v_mul_hi_u32 v1, s9, v0
	v_add_u32_e32 v1, v0, v1
	v_lshrrev_b32_e32 v1, s10, v1
	v_mul_lo_u32 v2, v1, s8
	v_sub_u32_e32 v0, v0, v2
	v_mul_lo_u32 v2, v0, s2
	v_mul_lo_u32 v11, v0, s3
	s_cbranch_scc1 .LBB207_1113
; %bb.1112:
	s_load_dwordx4 s[8:11], s[34:35], 0x10
	s_load_dwordx2 s[2:3], s[34:35], 0xcc
	s_waitcnt lgkmcnt(0)
	v_mul_hi_u32 v0, s9, v1
	v_add_u32_e32 v0, v1, v0
	v_lshrrev_b32_e32 v0, s10, v0
	v_mul_lo_u32 v0, v0, s8
	v_sub_u32_e32 v0, v1, v0
	s_waitcnt vmcnt(0)
	v_mad_u64_u32 v[2:3], s[6:7], v0, s2, v[2:3]
	v_mad_u64_u32 v[11:12], s[2:3], v0, s3, v[11:12]
.LBB207_1113:
	s_and_b64 vcc, exec, s[0:1]
	s_cbranch_vccnz .LBB207_1119
; %bb.1114:
	s_cmp_lg_u32 s33, 0
	s_mov_b32 s26, 0
	s_cbranch_scc0 .LBB207_1120
; %bb.1115:
	s_min_u32 s27, s72, 15
	s_add_i32 s27, s27, 1
	s_cmp_eq_u32 s72, 2
	s_cbranch_scc1 .LBB207_1121
; %bb.1116:
	s_and_b32 s26, s27, 28
	s_add_u32 s6, s34, 0xc4
	s_addc_u32 s7, s35, 0
	v_mov_b32_e32 v13, 0
	s_mov_b32 s36, 0
	s_mov_b64 s[24:25], s[34:35]
	v_mov_b32_e32 v0, 0
	v_mov_b32_e32 v1, v15
.LBB207_1117:                           ; =>This Inner Loop Header: Depth=1
	s_load_dwordx8 s[16:23], s[24:25], 0x4
	s_load_dwordx4 s[0:3], s[24:25], 0x24
	s_load_dwordx8 s[8:15], s[6:7], 0x0
	s_add_u32 s24, s24, 48
	s_addc_u32 s25, s25, 0
	s_waitcnt vmcnt(0) lgkmcnt(0)
	v_mul_hi_u32 v3, s17, v1
	s_add_i32 s36, s36, 4
	s_add_u32 s6, s6, 32
	s_addc_u32 s7, s7, 0
	v_add_u32_e32 v3, v1, v3
	v_lshrrev_b32_e32 v3, s18, v3
	v_mul_lo_u32 v5, v3, s16
	v_mul_hi_u32 v7, s20, v3
	s_cmp_lg_u32 s26, s36
	v_sub_u32_e32 v1, v1, v5
	v_add_u32_e32 v5, v3, v7
	v_mul_lo_u32 v7, v1, s8
	v_mul_lo_u32 v10, v1, s9
	v_lshrrev_b32_e32 v1, s21, v5
	v_mul_lo_u32 v5, v1, s19
	v_mul_hi_u32 v12, s23, v1
	v_sub_u32_e32 v3, v3, v5
	v_add_u32_e32 v5, v1, v12
	v_lshrrev_b32_e32 v5, s0, v5
	v_mul_hi_u32 v14, s2, v5
	v_mul_lo_u32 v16, v5, s22
	v_mul_lo_u32 v12, v3, s10
	;; [unrolled: 1-line block ×3, first 2 shown]
	v_sub_u32_e32 v16, v1, v16
	v_add_u32_e32 v1, v5, v14
	v_lshrrev_b32_e32 v1, s3, v1
	v_mul_lo_u32 v14, v1, s1
	v_mul_lo_u32 v17, v16, s12
	;; [unrolled: 1-line block ×3, first 2 shown]
	v_add3_u32 v0, v7, v0, v12
	v_sub_u32_e32 v5, v5, v14
	v_mul_lo_u32 v14, v5, s14
	v_mul_lo_u32 v5, v5, s15
	v_add3_u32 v3, v10, v13, v3
	v_add3_u32 v0, v17, v0, v14
	;; [unrolled: 1-line block ×3, first 2 shown]
	s_cbranch_scc1 .LBB207_1117
; %bb.1118:
	s_and_b32 s6, s27, 3
	s_cmp_eq_u32 s6, 0
	s_cbranch_scc0 .LBB207_1122
	s_branch .LBB207_1124
.LBB207_1119:
                                        ; implicit-def: $vgpr0
                                        ; implicit-def: $vgpr13
	s_branch .LBB207_1125
.LBB207_1120:
	v_mov_b32_e32 v0, 0
	v_mov_b32_e32 v13, 0
	s_branch .LBB207_1124
.LBB207_1121:
	v_mov_b32_e32 v0, 0
	v_mov_b32_e32 v13, 0
	;; [unrolled: 1-line block ×3, first 2 shown]
	s_and_b32 s6, s27, 3
	s_cmp_eq_u32 s6, 0
	s_cbranch_scc1 .LBB207_1124
.LBB207_1122:
	s_lshl_b32 s0, s26, 3
	s_add_u32 s0, s34, s0
	s_addc_u32 s1, s35, 0
	s_add_u32 s0, s0, 0xc4
	s_addc_u32 s1, s1, 0
	s_mul_i32 s2, s26, 12
	s_add_u32 s2, s34, s2
	s_addc_u32 s3, s35, 0
.LBB207_1123:                           ; =>This Inner Loop Header: Depth=1
	s_load_dwordx2 s[8:9], s[2:3], 0x4
	s_load_dword s7, s[2:3], 0xc
	s_load_dwordx2 s[10:11], s[0:1], 0x0
	s_add_u32 s2, s2, 12
	s_addc_u32 s3, s3, 0
	s_waitcnt vmcnt(0) lgkmcnt(0)
	v_mul_hi_u32 v3, s9, v1
	s_add_u32 s0, s0, 8
	s_addc_u32 s1, s1, 0
	s_add_i32 s6, s6, -1
	v_add_u32_e32 v3, v1, v3
	v_lshrrev_b32_e32 v3, s7, v3
	v_mul_lo_u32 v5, v3, s8
	s_cmp_lg_u32 s6, 0
	v_sub_u32_e32 v5, v1, v5
	v_mad_u64_u32 v[0:1], s[8:9], v5, s10, v[0:1]
	v_mad_u64_u32 v[13:14], s[8:9], v5, s11, v[13:14]
	v_mov_b32_e32 v1, v3
	s_cbranch_scc1 .LBB207_1123
.LBB207_1124:
	s_cbranch_execnz .LBB207_1127
.LBB207_1125:
	s_load_dwordx4 s[0:3], s[34:35], 0x4
	s_load_dwordx2 s[6:7], s[34:35], 0xc4
	s_cmp_lt_u32 s33, 2
	s_waitcnt lgkmcnt(0)
	v_mul_hi_u32 v0, s1, v15
	v_add_u32_e32 v0, v15, v0
	v_lshrrev_b32_e32 v1, s2, v0
	v_mul_lo_u32 v0, v1, s0
	s_waitcnt vmcnt(0)
	v_sub_u32_e32 v3, v15, v0
	v_mul_lo_u32 v0, v3, s6
	v_mul_lo_u32 v13, v3, s7
	s_cbranch_scc1 .LBB207_1127
; %bb.1126:
	s_load_dwordx4 s[0:3], s[34:35], 0x10
	s_load_dwordx2 s[6:7], s[34:35], 0xcc
	s_waitcnt lgkmcnt(0)
	v_mul_hi_u32 v3, s1, v1
	v_add_u32_e32 v3, v1, v3
	v_lshrrev_b32_e32 v3, s2, v3
	v_mul_lo_u32 v3, v3, s0
	v_sub_u32_e32 v3, v1, v3
	v_mad_u64_u32 v[0:1], s[0:1], v3, s6, v[0:1]
	v_mad_u64_u32 v[13:14], s[0:1], v3, s7, v[13:14]
.LBB207_1127:
	s_load_dwordx4 s[8:11], s[34:35], 0x148
	s_load_dword s12, s[4:5], 0x170
	s_waitcnt lgkmcnt(0)
	v_mov_b32_e32 v1, s11
	s_bfe_u32 s13, s12, 0x80008
	v_add_co_u32_e32 v14, vcc, s10, v8
	s_cmp_lt_i32 s13, 11
	v_addc_co_u32_e32 v15, vcc, 0, v1, vcc
	s_cbranch_scc1 .LBB207_1134
; %bb.1128:
	s_and_b32 s14, 0xffff, s13
	s_cmp_gt_i32 s14, 25
	s_mov_b64 s[4:5], 0
	s_cbranch_scc0 .LBB207_1136
; %bb.1129:
	s_cmp_gt_i32 s14, 28
	s_cbranch_scc0 .LBB207_1137
; %bb.1130:
	s_cmp_gt_i32 s14, 43
	;; [unrolled: 3-line block ×3, first 2 shown]
	s_cbranch_scc0 .LBB207_1139
; %bb.1132:
	s_cmp_eq_u32 s14, 46
	s_mov_b64 s[2:3], 0
	s_cbranch_scc0 .LBB207_1142
; %bb.1133:
	global_load_dword v1, v[14:15], off
	s_mov_b32 s0, 0x2f800000
	s_mov_b32 s1, 0xcf800000
	s_mov_b64 s[6:7], -1
	s_waitcnt vmcnt(0)
	v_lshlrev_b32_e32 v1, 16, v1
	v_trunc_f32_e32 v1, v1
	v_mul_f32_e64 v3, |v1|, s0
	v_floor_f32_e32 v3, v3
	v_fma_f32 v5, v3, s1, |v1|
	v_cvt_u32_f32_e32 v5, v5
	v_cvt_u32_f32_e32 v3, v3
	v_ashrrev_i32_e32 v1, 31, v1
	s_mov_b64 s[0:1], 0
	v_xor_b32_e32 v5, v5, v1
	v_xor_b32_e32 v3, v3, v1
	v_sub_co_u32_e32 v7, vcc, v5, v1
	v_subb_co_u32_e32 v8, vcc, v3, v1, vcc
	s_branch .LBB207_1143
.LBB207_1134:
	s_mov_b64 s[6:7], 0
                                        ; implicit-def: $vgpr7_vgpr8
	s_mov_b64 s[2:3], s[28:29]
	s_cbranch_execnz .LBB207_1201
.LBB207_1135:
	s_andn2_b64 vcc, exec, s[6:7]
	s_cbranch_vccz .LBB207_1246
	s_branch .LBB207_2055
.LBB207_1136:
	s_mov_b64 s[6:7], 0
	s_mov_b64 s[0:1], 0
                                        ; implicit-def: $vgpr7_vgpr8
	s_cbranch_execnz .LBB207_1170
	s_branch .LBB207_1197
.LBB207_1137:
	s_mov_b64 s[6:7], 0
	s_mov_b64 s[0:1], 0
                                        ; implicit-def: $vgpr7_vgpr8
	s_cbranch_execz .LBB207_1169
	s_branch .LBB207_1152
.LBB207_1138:
	s_mov_b64 s[6:7], 0
	s_mov_b64 s[0:1], 0
                                        ; implicit-def: $vgpr7_vgpr8
	s_cbranch_execnz .LBB207_1148
	s_branch .LBB207_1151
.LBB207_1139:
	s_mov_b64 s[2:3], -1
	s_mov_b64 s[6:7], 0
	s_mov_b64 s[0:1], 0
                                        ; implicit-def: $vgpr7_vgpr8
	s_branch .LBB207_1143
.LBB207_1140:
	s_andn2_saveexec_b64 s[14:15], s[14:15]
	s_cbranch_execz .LBB207_983
.LBB207_1141:
	s_mov_b32 s16, 0x46000000
	v_add_f32_e64 v5, |v0|, s16
	v_and_b32_e32 v5, 0xff, v5
	v_cmp_ne_u32_e32 vcc, 0, v5
	s_andn2_b64 s[12:13], s[12:13], exec
	s_and_b64 s[16:17], vcc, exec
	s_or_b64 s[12:13], s[12:13], s[16:17]
	s_or_b64 exec, exec, s[14:15]
	v_mov_b32_e32 v6, 0
	s_and_saveexec_b64 s[14:15], s[12:13]
	s_cbranch_execnz .LBB207_984
	s_branch .LBB207_985
.LBB207_1142:
	s_mov_b64 s[0:1], -1
                                        ; implicit-def: $vgpr7_vgpr8
	s_mov_b64 s[6:7], 0
.LBB207_1143:
	s_and_b64 vcc, exec, s[2:3]
	s_cbranch_vccz .LBB207_1146
; %bb.1144:
	s_cmp_eq_u32 s14, 44
	s_cbranch_scc0 .LBB207_1147
; %bb.1145:
	global_load_ubyte v1, v[14:15], off
	s_mov_b32 s0, 0x2f800000
	s_mov_b32 s1, 0xcf800000
	s_mov_b64 s[6:7], -1
	s_waitcnt vmcnt(0)
	v_lshlrev_b32_e32 v3, 23, v1
	v_trunc_f32_e32 v3, v3
	v_mul_f32_e64 v5, |v3|, s0
	v_floor_f32_e32 v5, v5
	v_fma_f32 v7, v5, s1, |v3|
	v_cvt_u32_f32_e32 v7, v7
	v_cvt_u32_f32_e32 v5, v5
	v_ashrrev_i32_e32 v3, 31, v3
	s_mov_b64 s[0:1], 0
	v_xor_b32_e32 v7, v7, v3
	v_xor_b32_e32 v5, v5, v3
	v_sub_co_u32_e32 v7, vcc, v7, v3
	v_subb_co_u32_e32 v3, vcc, v5, v3, vcc
	v_cmp_ne_u32_e32 vcc, 0, v1
	v_cndmask_b32_e32 v8, 0, v3, vcc
	v_cndmask_b32_e32 v7, 0, v7, vcc
.LBB207_1146:
	s_branch .LBB207_1151
.LBB207_1147:
	s_mov_b64 s[0:1], -1
                                        ; implicit-def: $vgpr7_vgpr8
	s_branch .LBB207_1151
.LBB207_1148:
	s_cmp_eq_u32 s14, 29
	s_cbranch_scc0 .LBB207_1150
; %bb.1149:
	global_load_dwordx2 v[7:8], v[14:15], off
	s_mov_b64 s[0:1], 0
	s_mov_b64 s[6:7], -1
	s_branch .LBB207_1151
.LBB207_1150:
	s_mov_b64 s[0:1], -1
                                        ; implicit-def: $vgpr7_vgpr8
.LBB207_1151:
	s_branch .LBB207_1169
.LBB207_1152:
	s_cmp_lt_i32 s14, 27
	s_cbranch_scc1 .LBB207_1155
; %bb.1153:
	s_cmp_gt_i32 s14, 27
	s_cbranch_scc0 .LBB207_1156
; %bb.1154:
	global_load_dword v7, v[14:15], off
	s_waitcnt vmcnt(1)
	v_mov_b32_e32 v8, 0
	s_mov_b64 s[2:3], 0
	s_branch .LBB207_1157
.LBB207_1155:
	s_mov_b64 s[2:3], -1
                                        ; implicit-def: $vgpr7_vgpr8
	s_branch .LBB207_1160
.LBB207_1156:
	s_mov_b64 s[2:3], -1
                                        ; implicit-def: $vgpr7_vgpr8
.LBB207_1157:
	s_andn2_b64 vcc, exec, s[2:3]
	s_cbranch_vccnz .LBB207_1159
; %bb.1158:
	global_load_ushort v1, v[14:15], off
	s_mov_b32 s2, 0
	s_waitcnt vmcnt(1)
	v_mov_b32_e32 v8, s2
	s_waitcnt vmcnt(0)
	v_and_b32_e32 v7, 0xffff, v1
.LBB207_1159:
	s_mov_b64 s[2:3], 0
.LBB207_1160:
	s_andn2_b64 vcc, exec, s[2:3]
	s_cbranch_vccnz .LBB207_1168
; %bb.1161:
	global_load_ubyte v1, v[14:15], off
	s_movk_i32 s2, 0x7f
	s_mov_b64 s[6:7], 0
	s_waitcnt vmcnt(0)
	v_cmp_lt_i16_e32 vcc, s2, v1
	s_and_saveexec_b64 s[2:3], vcc
	s_xor_b64 s[2:3], exec, s[2:3]
; %bb.1162:
	s_movk_i32 s6, 0x80
	v_cmp_ne_u16_e32 vcc, s6, v1
	s_and_b64 s[6:7], vcc, exec
; %bb.1163:
	s_andn2_saveexec_b64 s[2:3], s[2:3]
; %bb.1164:
	v_cmp_ne_u16_e32 vcc, 0, v1
	s_andn2_b64 s[6:7], s[6:7], exec
	s_and_b64 s[16:17], vcc, exec
	s_or_b64 s[6:7], s[6:7], s[16:17]
; %bb.1165:
	s_or_b64 exec, exec, s[2:3]
	v_mov_b32_e32 v7, 0
	v_mov_b32_e32 v8, 0
	s_and_saveexec_b64 s[2:3], s[6:7]
	s_cbranch_execz .LBB207_1167
; %bb.1166:
	v_lshlrev_b32_e32 v3, 24, v1
	v_and_b32_e32 v1, 0xffff, v1
	v_and_b32_e32 v5, 7, v1
	v_ffbh_u32_e32 v8, v5
	v_min_u32_e32 v8, 32, v8
	v_subrev_u32_e32 v10, 28, v8
	v_bfe_u32 v7, v1, 3, 4
	v_lshlrev_b32_e32 v1, v10, v1
	v_sub_u32_e32 v8, 29, v8
	v_and_b32_e32 v1, 7, v1
	v_cmp_eq_u32_e32 vcc, 0, v7
	v_cndmask_b32_e32 v7, v7, v8, vcc
	v_cndmask_b32_e32 v1, v5, v1, vcc
	v_mov_b32_e32 v5, 0x3b800000
	v_lshlrev_b32_e32 v1, 20, v1
	v_and_b32_e32 v3, 0x80000000, v3
	v_lshl_add_u32 v5, v7, 23, v5
	v_or3_b32 v1, v3, v5, v1
	v_trunc_f32_e32 v1, v1
	s_mov_b32 s6, 0x2f800000
	v_mul_f32_e64 v3, |v1|, s6
	v_floor_f32_e32 v3, v3
	s_mov_b32 s6, 0xcf800000
	v_fma_f32 v5, v3, s6, |v1|
	v_cvt_u32_f32_e32 v5, v5
	v_cvt_u32_f32_e32 v3, v3
	v_ashrrev_i32_e32 v1, 31, v1
	v_xor_b32_e32 v5, v5, v1
	v_xor_b32_e32 v3, v3, v1
	v_sub_co_u32_e32 v7, vcc, v5, v1
	v_subb_co_u32_e32 v8, vcc, v3, v1, vcc
.LBB207_1167:
	s_or_b64 exec, exec, s[2:3]
.LBB207_1168:
	s_mov_b64 s[6:7], -1
.LBB207_1169:
	s_branch .LBB207_1197
.LBB207_1170:
	s_cmp_gt_i32 s14, 22
	s_cbranch_scc0 .LBB207_1180
; %bb.1171:
	s_cmp_lt_i32 s14, 24
	s_cbranch_scc1 .LBB207_1181
; %bb.1172:
	s_cmp_gt_i32 s14, 24
	s_cbranch_scc0 .LBB207_1182
; %bb.1173:
	global_load_ubyte v1, v[14:15], off
	s_movk_i32 s2, 0x7f
	s_waitcnt vmcnt(0)
	v_cmp_lt_i16_e32 vcc, s2, v1
	s_and_saveexec_b64 s[2:3], vcc
	s_xor_b64 s[2:3], exec, s[2:3]
; %bb.1174:
	s_movk_i32 s4, 0x80
	v_cmp_ne_u16_e32 vcc, s4, v1
	s_and_b64 s[4:5], vcc, exec
; %bb.1175:
	s_andn2_saveexec_b64 s[2:3], s[2:3]
; %bb.1176:
	v_cmp_ne_u16_e32 vcc, 0, v1
	s_andn2_b64 s[4:5], s[4:5], exec
	s_and_b64 s[6:7], vcc, exec
	s_or_b64 s[4:5], s[4:5], s[6:7]
; %bb.1177:
	s_or_b64 exec, exec, s[2:3]
	v_mov_b32_e32 v7, 0
	v_mov_b32_e32 v8, 0
	s_and_saveexec_b64 s[2:3], s[4:5]
	s_cbranch_execz .LBB207_1179
; %bb.1178:
	v_lshlrev_b32_e32 v3, 24, v1
	v_and_b32_e32 v1, 0xffff, v1
	v_and_b32_e32 v5, 3, v1
	v_ffbh_u32_e32 v8, v5
	v_min_u32_e32 v8, 32, v8
	v_subrev_u32_e32 v10, 29, v8
	v_bfe_u32 v7, v1, 2, 5
	v_lshlrev_b32_e32 v1, v10, v1
	v_sub_u32_e32 v8, 30, v8
	v_and_b32_e32 v1, 3, v1
	v_cmp_eq_u32_e32 vcc, 0, v7
	v_cndmask_b32_e32 v7, v7, v8, vcc
	v_cndmask_b32_e32 v1, v5, v1, vcc
	v_mov_b32_e32 v5, 0x37800000
	v_lshlrev_b32_e32 v1, 21, v1
	v_and_b32_e32 v3, 0x80000000, v3
	v_lshl_add_u32 v5, v7, 23, v5
	v_or3_b32 v1, v3, v5, v1
	v_trunc_f32_e32 v1, v1
	s_mov_b32 s4, 0x2f800000
	v_mul_f32_e64 v3, |v1|, s4
	v_floor_f32_e32 v3, v3
	s_mov_b32 s4, 0xcf800000
	v_fma_f32 v5, v3, s4, |v1|
	v_cvt_u32_f32_e32 v5, v5
	v_cvt_u32_f32_e32 v3, v3
	v_ashrrev_i32_e32 v1, 31, v1
	v_xor_b32_e32 v5, v5, v1
	v_xor_b32_e32 v3, v3, v1
	v_sub_co_u32_e32 v7, vcc, v5, v1
	v_subb_co_u32_e32 v8, vcc, v3, v1, vcc
.LBB207_1179:
	s_or_b64 exec, exec, s[2:3]
	s_mov_b64 s[2:3], 0
	s_branch .LBB207_1183
.LBB207_1180:
                                        ; implicit-def: $vgpr7_vgpr8
	s_mov_b64 s[4:5], 0
	s_branch .LBB207_1189
.LBB207_1181:
	s_mov_b64 s[2:3], -1
                                        ; implicit-def: $vgpr7_vgpr8
	s_branch .LBB207_1186
.LBB207_1182:
	s_mov_b64 s[2:3], -1
                                        ; implicit-def: $vgpr7_vgpr8
.LBB207_1183:
	s_and_b64 vcc, exec, s[2:3]
	s_cbranch_vccz .LBB207_1185
; %bb.1184:
	global_load_ubyte v1, v[14:15], off
	s_mov_b32 s2, 0x7f800000
	s_brev_b32 s3, 1
	s_mov_b32 s4, 0x2f800000
	s_mov_b32 s5, 0xcf800000
	s_waitcnt vmcnt(0)
	v_lshlrev_b32_e32 v1, 24, v1
	v_and_b32_e32 v3, 0x7f000000, v1
	v_ffbh_u32_e32 v5, v3
	v_min_u32_e32 v5, 32, v5
	v_sub_u32_e64 v5, v5, 4 clamp
	v_lshlrev_b32_e32 v8, v5, v3
	v_lshlrev_b32_e32 v5, 23, v5
	v_lshrrev_b32_e32 v8, 4, v8
	v_add_u32_e32 v7, 0x1000000, v3
	v_sub_u32_e32 v5, v8, v5
	v_ashrrev_i32_e32 v7, 8, v7
	v_add_u32_e32 v5, 0x3c000000, v5
	v_and_or_b32 v5, v7, s2, v5
	v_cmp_ne_u32_e32 vcc, 0, v3
	v_cndmask_b32_e32 v3, 0, v5, vcc
	v_and_or_b32 v1, v1, s3, v3
	v_trunc_f32_e32 v1, v1
	v_mul_f32_e64 v3, |v1|, s4
	v_floor_f32_e32 v3, v3
	v_fma_f32 v5, v3, s5, |v1|
	v_cvt_u32_f32_e32 v5, v5
	v_cvt_u32_f32_e32 v3, v3
	v_ashrrev_i32_e32 v1, 31, v1
	v_xor_b32_e32 v5, v5, v1
	v_xor_b32_e32 v3, v3, v1
	v_sub_co_u32_e32 v7, vcc, v5, v1
	v_subb_co_u32_e32 v8, vcc, v3, v1, vcc
.LBB207_1185:
	s_mov_b64 s[2:3], 0
.LBB207_1186:
	s_andn2_b64 vcc, exec, s[2:3]
	s_cbranch_vccnz .LBB207_1188
; %bb.1187:
	global_load_ubyte v1, v[14:15], off
	s_movk_i32 s2, 0x7f00
	s_brev_b32 s3, 16
	s_brev_b32 s4, 1
	s_mov_b32 s5, 0x2f800000
	s_mov_b32 s6, 0xcf800000
	s_waitcnt vmcnt(0)
	v_lshlrev_b16_e32 v3, 8, v1
	v_lshlrev_b32_e32 v1, 25, v1
	v_lshrrev_b32_e32 v5, 4, v1
	v_and_or_b32 v7, v3, s2, 0.5
	v_or_b32_e32 v5, 0x70000000, v5
	v_add_f32_e32 v7, -0.5, v7
	v_mul_f32_e32 v5, 0x7800000, v5
	v_cmp_gt_u32_e32 vcc, s3, v1
	v_bfe_i32 v3, v3, 0, 16
	v_cndmask_b32_e32 v1, v5, v7, vcc
	v_and_or_b32 v1, v3, s4, v1
	v_trunc_f32_e32 v1, v1
	v_mul_f32_e64 v3, |v1|, s5
	v_floor_f32_e32 v3, v3
	v_fma_f32 v5, v3, s6, |v1|
	v_cvt_u32_f32_e32 v5, v5
	v_cvt_u32_f32_e32 v3, v3
	v_ashrrev_i32_e32 v1, 31, v1
	v_xor_b32_e32 v5, v5, v1
	v_xor_b32_e32 v3, v3, v1
	v_sub_co_u32_e32 v7, vcc, v5, v1
	v_subb_co_u32_e32 v8, vcc, v3, v1, vcc
.LBB207_1188:
	s_mov_b64 s[6:7], -1
	s_mov_b64 s[4:5], 0
	s_cbranch_execnz .LBB207_1197
.LBB207_1189:
	s_cmp_gt_i32 s14, 14
	s_cbranch_scc0 .LBB207_1192
; %bb.1190:
	s_cmp_eq_u32 s14, 15
	s_cbranch_scc0 .LBB207_1193
; %bb.1191:
	global_load_ushort v1, v[14:15], off
	s_mov_b32 s0, 0x2f800000
	s_mov_b32 s1, 0xcf800000
	s_mov_b64 s[6:7], -1
	s_waitcnt vmcnt(0)
	v_lshlrev_b32_e32 v1, 16, v1
	v_trunc_f32_e32 v1, v1
	v_mul_f32_e64 v3, |v1|, s0
	v_floor_f32_e32 v3, v3
	v_fma_f32 v5, v3, s1, |v1|
	v_cvt_u32_f32_e32 v5, v5
	v_cvt_u32_f32_e32 v3, v3
	v_ashrrev_i32_e32 v1, 31, v1
	s_mov_b64 s[0:1], 0
	v_xor_b32_e32 v5, v5, v1
	v_xor_b32_e32 v3, v3, v1
	v_sub_co_u32_e32 v7, vcc, v5, v1
	v_subb_co_u32_e32 v8, vcc, v3, v1, vcc
	s_branch .LBB207_1194
.LBB207_1192:
	s_mov_b64 s[2:3], -1
                                        ; implicit-def: $vgpr7_vgpr8
	s_branch .LBB207_1195
.LBB207_1193:
	s_mov_b64 s[0:1], -1
                                        ; implicit-def: $vgpr7_vgpr8
.LBB207_1194:
	s_mov_b64 s[2:3], 0
.LBB207_1195:
	s_and_b64 vcc, exec, s[2:3]
	s_cbranch_vccz .LBB207_1197
; %bb.1196:
	s_cmp_lg_u32 s14, 11
	s_mov_b64 s[4:5], -1
	s_cselect_b64 s[0:1], -1, 0
.LBB207_1197:
	s_and_b64 vcc, exec, s[0:1]
	s_mov_b64 s[2:3], s[28:29]
	s_cbranch_vccnz .LBB207_1258
; %bb.1198:
	s_andn2_b64 vcc, exec, s[4:5]
	s_cbranch_vccnz .LBB207_1200
.LBB207_1199:
	global_load_ubyte v1, v[14:15], off
	s_mov_b32 s0, 0
	s_waitcnt vmcnt(1)
	v_mov_b32_e32 v8, s0
	s_mov_b64 s[6:7], -1
	s_waitcnt vmcnt(0)
	v_cmp_ne_u16_e32 vcc, 0, v1
	v_cndmask_b32_e64 v7, 0, 1, vcc
.LBB207_1200:
	s_branch .LBB207_1135
.LBB207_1201:
	s_and_b32 s4, 0xffff, s13
	s_cmp_lt_i32 s4, 5
	s_cbranch_scc1 .LBB207_1206
; %bb.1202:
	s_cmp_lt_i32 s4, 8
	s_cbranch_scc1 .LBB207_1207
; %bb.1203:
	;; [unrolled: 3-line block ×3, first 2 shown]
	s_cmp_gt_i32 s4, 9
	s_cbranch_scc0 .LBB207_1209
; %bb.1205:
	global_load_dwordx2 v[7:8], v[14:15], off
	s_movk_i32 s0, 0xffe0
	s_waitcnt vmcnt(0)
	v_trunc_f64_e32 v[7:8], v[7:8]
	v_ldexp_f64 v[16:17], v[7:8], s0
	s_mov_b32 s0, 0
	s_mov_b32 s1, 0xc1f00000
	v_floor_f64_e32 v[16:17], v[16:17]
	v_fma_f64 v[18:19], v[16:17], s[0:1], v[7:8]
	v_cvt_i32_f64_e32 v8, v[16:17]
	s_mov_b64 s[0:1], 0
	v_cvt_u32_f64_e32 v7, v[18:19]
	s_branch .LBB207_1210
.LBB207_1206:
                                        ; implicit-def: $vgpr7_vgpr8
	s_branch .LBB207_1227
.LBB207_1207:
                                        ; implicit-def: $vgpr7_vgpr8
	s_branch .LBB207_1216
.LBB207_1208:
	s_mov_b64 s[0:1], -1
                                        ; implicit-def: $vgpr7_vgpr8
	s_branch .LBB207_1213
.LBB207_1209:
	s_mov_b64 s[0:1], -1
                                        ; implicit-def: $vgpr7_vgpr8
.LBB207_1210:
	s_andn2_b64 vcc, exec, s[0:1]
	s_cbranch_vccnz .LBB207_1212
; %bb.1211:
	global_load_dword v1, v[14:15], off
	s_mov_b32 s0, 0x2f800000
	s_mov_b32 s1, 0xcf800000
	s_waitcnt vmcnt(0)
	v_trunc_f32_e32 v1, v1
	v_mul_f32_e64 v3, |v1|, s0
	v_floor_f32_e32 v3, v3
	v_cvt_u32_f32_e32 v5, v3
	v_fma_f32 v3, v3, s1, |v1|
	v_cvt_u32_f32_e32 v3, v3
	v_ashrrev_i32_e32 v1, 31, v1
	v_xor_b32_e32 v5, v5, v1
	v_xor_b32_e32 v3, v3, v1
	v_sub_co_u32_e32 v7, vcc, v3, v1
	v_subb_co_u32_e32 v8, vcc, v5, v1, vcc
.LBB207_1212:
	s_mov_b64 s[0:1], 0
.LBB207_1213:
	s_andn2_b64 vcc, exec, s[0:1]
	s_cbranch_vccnz .LBB207_1215
; %bb.1214:
	global_load_dword v1, v[14:15], off
	s_waitcnt vmcnt(0)
	v_cvt_f32_f16_e32 v1, v1
	v_cvt_i32_f32_e32 v7, v1
	v_ashrrev_i32_e32 v8, 31, v7
.LBB207_1215:
	s_cbranch_execnz .LBB207_1226
.LBB207_1216:
	s_cmp_lt_i32 s4, 6
	s_cbranch_scc1 .LBB207_1219
; %bb.1217:
	s_cmp_gt_i32 s4, 6
	s_cbranch_scc0 .LBB207_1220
; %bb.1218:
	global_load_dwordx2 v[7:8], v[14:15], off
	s_movk_i32 s0, 0xffe0
	s_waitcnt vmcnt(0)
	v_trunc_f64_e32 v[7:8], v[7:8]
	v_ldexp_f64 v[16:17], v[7:8], s0
	s_mov_b32 s0, 0
	s_mov_b32 s1, 0xc1f00000
	v_floor_f64_e32 v[16:17], v[16:17]
	v_fma_f64 v[18:19], v[16:17], s[0:1], v[7:8]
	v_cvt_i32_f64_e32 v8, v[16:17]
	s_mov_b64 s[0:1], 0
	v_cvt_u32_f64_e32 v7, v[18:19]
	s_branch .LBB207_1221
.LBB207_1219:
	s_mov_b64 s[0:1], -1
                                        ; implicit-def: $vgpr7_vgpr8
	s_branch .LBB207_1224
.LBB207_1220:
	s_mov_b64 s[0:1], -1
                                        ; implicit-def: $vgpr7_vgpr8
.LBB207_1221:
	s_andn2_b64 vcc, exec, s[0:1]
	s_cbranch_vccnz .LBB207_1223
; %bb.1222:
	global_load_dword v1, v[14:15], off
	s_mov_b32 s0, 0x2f800000
	s_mov_b32 s1, 0xcf800000
	s_waitcnt vmcnt(0)
	v_trunc_f32_e32 v1, v1
	v_mul_f32_e64 v3, |v1|, s0
	v_floor_f32_e32 v3, v3
	v_cvt_u32_f32_e32 v5, v3
	v_fma_f32 v3, v3, s1, |v1|
	v_cvt_u32_f32_e32 v3, v3
	v_ashrrev_i32_e32 v1, 31, v1
	v_xor_b32_e32 v5, v5, v1
	v_xor_b32_e32 v3, v3, v1
	v_sub_co_u32_e32 v7, vcc, v3, v1
	v_subb_co_u32_e32 v8, vcc, v5, v1, vcc
.LBB207_1223:
	s_mov_b64 s[0:1], 0
.LBB207_1224:
	s_andn2_b64 vcc, exec, s[0:1]
	s_cbranch_vccnz .LBB207_1226
; %bb.1225:
	global_load_ushort v1, v[14:15], off
	s_waitcnt vmcnt(0)
	v_cvt_f32_f16_e32 v1, v1
	v_cvt_i32_f32_e32 v7, v1
	v_ashrrev_i32_e32 v8, 31, v7
.LBB207_1226:
	s_cbranch_execnz .LBB207_1245
.LBB207_1227:
	s_cmp_lt_i32 s4, 2
	s_cbranch_scc1 .LBB207_1231
; %bb.1228:
	s_cmp_lt_i32 s4, 3
	s_cbranch_scc1 .LBB207_1232
; %bb.1229:
	s_cmp_gt_i32 s4, 3
	s_cbranch_scc0 .LBB207_1233
; %bb.1230:
	global_load_dwordx2 v[7:8], v[14:15], off
	s_mov_b64 s[0:1], 0
	s_branch .LBB207_1234
.LBB207_1231:
                                        ; implicit-def: $vgpr7_vgpr8
	s_branch .LBB207_1240
.LBB207_1232:
	s_mov_b64 s[0:1], -1
                                        ; implicit-def: $vgpr7_vgpr8
	s_branch .LBB207_1237
.LBB207_1233:
	s_mov_b64 s[0:1], -1
                                        ; implicit-def: $vgpr7_vgpr8
.LBB207_1234:
	s_andn2_b64 vcc, exec, s[0:1]
	s_cbranch_vccnz .LBB207_1236
; %bb.1235:
	global_load_dword v7, v[14:15], off
	s_waitcnt vmcnt(0)
	v_ashrrev_i32_e32 v8, 31, v7
.LBB207_1236:
	s_mov_b64 s[0:1], 0
.LBB207_1237:
	s_andn2_b64 vcc, exec, s[0:1]
	s_cbranch_vccnz .LBB207_1239
; %bb.1238:
	global_load_ushort v1, v[14:15], off
	s_waitcnt vmcnt(0)
	v_bfe_i32 v7, v1, 0, 16
	v_ashrrev_i32_e32 v8, 31, v7
.LBB207_1239:
	s_cbranch_execnz .LBB207_1245
.LBB207_1240:
	s_cmp_gt_i32 s4, 0
	s_cbranch_scc0 .LBB207_1242
; %bb.1241:
	global_load_sbyte v1, v[14:15], off
	s_mov_b64 s[0:1], 0
	s_waitcnt vmcnt(0)
	v_bfe_i32 v7, v1, 0, 16
	v_ashrrev_i32_e32 v8, 31, v7
	s_branch .LBB207_1243
.LBB207_1242:
	s_mov_b64 s[0:1], -1
                                        ; implicit-def: $vgpr7_vgpr8
.LBB207_1243:
	s_andn2_b64 vcc, exec, s[0:1]
	s_cbranch_vccnz .LBB207_1245
; %bb.1244:
	global_load_ubyte v1, v[14:15], off
	s_mov_b32 s0, 0
	s_waitcnt vmcnt(1)
	v_mov_b32_e32 v8, s0
	s_waitcnt vmcnt(0)
	v_and_b32_e32 v7, 0xffff, v1
.LBB207_1245:
.LBB207_1246:
	s_lshr_b32 s0, s12, 8
	v_mov_b32_e32 v1, s11
	s_and_b32 s14, s0, 0xff
	v_add_co_u32_e32 v14, vcc, s10, v9
	s_cmp_lt_i32 s14, 11
	v_addc_co_u32_e32 v15, vcc, 0, v1, vcc
	s_cbranch_scc1 .LBB207_1253
; %bb.1247:
	s_and_b32 s15, 0xffff, s14
	s_cmp_gt_i32 s15, 25
	s_mov_b64 s[4:5], 0
	s_cbranch_scc0 .LBB207_1255
; %bb.1248:
	s_cmp_gt_i32 s15, 28
	s_cbranch_scc0 .LBB207_1256
; %bb.1249:
	s_cmp_gt_i32 s15, 43
	;; [unrolled: 3-line block ×3, first 2 shown]
	s_cbranch_scc0 .LBB207_1259
; %bb.1251:
	s_cmp_eq_u32 s15, 46
	s_mov_b64 s[12:13], 0
	s_cbranch_scc0 .LBB207_1262
; %bb.1252:
	global_load_dword v1, v[14:15], off
	s_mov_b32 s0, 0x2f800000
	s_mov_b32 s1, 0xcf800000
	s_mov_b64 s[6:7], -1
	s_waitcnt vmcnt(0)
	v_lshlrev_b32_e32 v1, 16, v1
	v_trunc_f32_e32 v1, v1
	v_mul_f32_e64 v3, |v1|, s0
	v_floor_f32_e32 v3, v3
	v_fma_f32 v5, v3, s1, |v1|
	v_cvt_u32_f32_e32 v5, v5
	v_cvt_u32_f32_e32 v3, v3
	v_ashrrev_i32_e32 v1, 31, v1
	s_mov_b64 s[0:1], 0
	v_xor_b32_e32 v5, v5, v1
	v_xor_b32_e32 v3, v3, v1
	v_sub_co_u32_e32 v9, vcc, v5, v1
	v_subb_co_u32_e32 v10, vcc, v3, v1, vcc
	s_branch .LBB207_1263
.LBB207_1253:
	s_mov_b64 s[6:7], 0
                                        ; implicit-def: $vgpr9_vgpr10
	s_cbranch_execnz .LBB207_1324
.LBB207_1254:
	s_andn2_b64 vcc, exec, s[6:7]
	s_cbranch_vccnz .LBB207_2055
	s_branch .LBB207_1371
.LBB207_1255:
	s_mov_b64 s[6:7], 0
	s_mov_b64 s[0:1], 0
                                        ; implicit-def: $vgpr9_vgpr10
	s_cbranch_execnz .LBB207_1292
	s_branch .LBB207_1320
.LBB207_1256:
	s_mov_b64 s[12:13], -1
	s_mov_b64 s[6:7], 0
	s_mov_b64 s[0:1], 0
                                        ; implicit-def: $vgpr9_vgpr10
	s_branch .LBB207_1273
.LBB207_1257:
	s_mov_b64 s[12:13], -1
	s_mov_b64 s[6:7], 0
	s_mov_b64 s[0:1], 0
                                        ; implicit-def: $vgpr9_vgpr10
	s_branch .LBB207_1268
.LBB207_1258:
	s_or_b64 s[2:3], s[28:29], exec
	s_trap 2
	s_cbranch_execz .LBB207_1199
	s_branch .LBB207_1200
.LBB207_1259:
	s_mov_b64 s[12:13], -1
	s_mov_b64 s[6:7], 0
	s_mov_b64 s[0:1], 0
                                        ; implicit-def: $vgpr9_vgpr10
	s_branch .LBB207_1263
.LBB207_1260:
	s_andn2_saveexec_b64 s[16:17], s[16:17]
	s_cbranch_execz .LBB207_995
.LBB207_1261:
	s_mov_b32 s20, 0x42800000
	v_add_f32_e64 v5, |v0|, s20
	v_and_b32_e32 v5, 0xff, v5
	v_cmp_ne_u32_e32 vcc, 0, v5
	s_andn2_b64 s[14:15], s[14:15], exec
	s_and_b64 s[20:21], vcc, exec
	s_or_b64 s[14:15], s[14:15], s[20:21]
	s_or_b64 exec, exec, s[16:17]
	v_mov_b32_e32 v6, 0
	s_and_saveexec_b64 s[16:17], s[14:15]
	s_cbranch_execnz .LBB207_996
	s_branch .LBB207_997
.LBB207_1262:
	s_mov_b64 s[0:1], -1
                                        ; implicit-def: $vgpr9_vgpr10
	s_mov_b64 s[6:7], 0
.LBB207_1263:
	s_and_b64 vcc, exec, s[12:13]
	s_cbranch_vccz .LBB207_1267
; %bb.1264:
	s_cmp_eq_u32 s15, 44
	s_cbranch_scc0 .LBB207_1266
; %bb.1265:
	global_load_ubyte v1, v[14:15], off
	s_mov_b32 s0, 0x2f800000
	s_mov_b32 s1, 0xcf800000
	s_mov_b64 s[6:7], -1
	s_waitcnt vmcnt(0)
	v_lshlrev_b32_e32 v3, 23, v1
	v_trunc_f32_e32 v3, v3
	v_mul_f32_e64 v5, |v3|, s0
	v_floor_f32_e32 v5, v5
	v_fma_f32 v9, v5, s1, |v3|
	v_cvt_u32_f32_e32 v9, v9
	v_cvt_u32_f32_e32 v5, v5
	v_ashrrev_i32_e32 v3, 31, v3
	s_mov_b64 s[0:1], 0
	v_xor_b32_e32 v9, v9, v3
	v_xor_b32_e32 v5, v5, v3
	v_sub_co_u32_e32 v9, vcc, v9, v3
	v_subb_co_u32_e32 v3, vcc, v5, v3, vcc
	v_cmp_ne_u32_e32 vcc, 0, v1
	v_cndmask_b32_e32 v10, 0, v3, vcc
	v_cndmask_b32_e32 v9, 0, v9, vcc
	s_branch .LBB207_1267
.LBB207_1266:
	s_mov_b64 s[0:1], -1
                                        ; implicit-def: $vgpr9_vgpr10
.LBB207_1267:
	s_mov_b64 s[12:13], 0
.LBB207_1268:
	s_and_b64 vcc, exec, s[12:13]
	s_cbranch_vccz .LBB207_1272
; %bb.1269:
	s_cmp_eq_u32 s15, 29
	s_cbranch_scc0 .LBB207_1271
; %bb.1270:
	global_load_dwordx2 v[9:10], v[14:15], off
	s_mov_b64 s[0:1], 0
	s_mov_b64 s[6:7], -1
	s_branch .LBB207_1272
.LBB207_1271:
	s_mov_b64 s[0:1], -1
                                        ; implicit-def: $vgpr9_vgpr10
.LBB207_1272:
	s_mov_b64 s[12:13], 0
.LBB207_1273:
	s_and_b64 vcc, exec, s[12:13]
	s_cbranch_vccz .LBB207_1291
; %bb.1274:
	s_cmp_lt_i32 s15, 27
	s_cbranch_scc1 .LBB207_1277
; %bb.1275:
	s_cmp_gt_i32 s15, 27
	s_cbranch_scc0 .LBB207_1278
; %bb.1276:
	global_load_dword v9, v[14:15], off
	s_waitcnt vmcnt(1)
	v_mov_b32_e32 v10, 0
	s_mov_b64 s[6:7], 0
	s_branch .LBB207_1279
.LBB207_1277:
	s_mov_b64 s[6:7], -1
                                        ; implicit-def: $vgpr9_vgpr10
	s_branch .LBB207_1282
.LBB207_1278:
	s_mov_b64 s[6:7], -1
                                        ; implicit-def: $vgpr9_vgpr10
.LBB207_1279:
	s_andn2_b64 vcc, exec, s[6:7]
	s_cbranch_vccnz .LBB207_1281
; %bb.1280:
	global_load_ushort v1, v[14:15], off
	s_mov_b32 s6, 0
	s_waitcnt vmcnt(1)
	v_mov_b32_e32 v10, s6
	s_waitcnt vmcnt(0)
	v_and_b32_e32 v9, 0xffff, v1
.LBB207_1281:
	s_mov_b64 s[6:7], 0
.LBB207_1282:
	s_andn2_b64 vcc, exec, s[6:7]
	s_cbranch_vccnz .LBB207_1290
; %bb.1283:
	global_load_ubyte v1, v[14:15], off
	s_movk_i32 s6, 0x7f
	s_mov_b64 s[12:13], 0
	s_waitcnt vmcnt(0)
	v_cmp_lt_i16_e32 vcc, s6, v1
	s_and_saveexec_b64 s[6:7], vcc
	s_xor_b64 s[6:7], exec, s[6:7]
; %bb.1284:
	s_movk_i32 s12, 0x80
	v_cmp_ne_u16_e32 vcc, s12, v1
	s_and_b64 s[12:13], vcc, exec
; %bb.1285:
	s_andn2_saveexec_b64 s[6:7], s[6:7]
; %bb.1286:
	v_cmp_ne_u16_e32 vcc, 0, v1
	s_andn2_b64 s[12:13], s[12:13], exec
	s_and_b64 s[16:17], vcc, exec
	s_or_b64 s[12:13], s[12:13], s[16:17]
; %bb.1287:
	s_or_b64 exec, exec, s[6:7]
	v_mov_b32_e32 v9, 0
	v_mov_b32_e32 v10, 0
	s_and_saveexec_b64 s[6:7], s[12:13]
	s_cbranch_execz .LBB207_1289
; %bb.1288:
	v_lshlrev_b32_e32 v3, 24, v1
	v_and_b32_e32 v1, 0xffff, v1
	v_and_b32_e32 v5, 7, v1
	v_ffbh_u32_e32 v10, v5
	v_min_u32_e32 v10, 32, v10
	v_subrev_u32_e32 v12, 28, v10
	v_bfe_u32 v9, v1, 3, 4
	v_lshlrev_b32_e32 v1, v12, v1
	v_sub_u32_e32 v10, 29, v10
	v_and_b32_e32 v1, 7, v1
	v_cmp_eq_u32_e32 vcc, 0, v9
	v_cndmask_b32_e32 v9, v9, v10, vcc
	v_cndmask_b32_e32 v1, v5, v1, vcc
	v_mov_b32_e32 v5, 0x3b800000
	v_lshlrev_b32_e32 v1, 20, v1
	v_and_b32_e32 v3, 0x80000000, v3
	v_lshl_add_u32 v5, v9, 23, v5
	v_or3_b32 v1, v3, v5, v1
	v_trunc_f32_e32 v1, v1
	s_mov_b32 s12, 0x2f800000
	v_mul_f32_e64 v3, |v1|, s12
	v_floor_f32_e32 v3, v3
	s_mov_b32 s12, 0xcf800000
	v_fma_f32 v5, v3, s12, |v1|
	v_cvt_u32_f32_e32 v5, v5
	v_cvt_u32_f32_e32 v3, v3
	v_ashrrev_i32_e32 v1, 31, v1
	v_xor_b32_e32 v5, v5, v1
	v_xor_b32_e32 v3, v3, v1
	v_sub_co_u32_e32 v9, vcc, v5, v1
	v_subb_co_u32_e32 v10, vcc, v3, v1, vcc
.LBB207_1289:
	s_or_b64 exec, exec, s[6:7]
.LBB207_1290:
	s_mov_b64 s[6:7], -1
.LBB207_1291:
	s_branch .LBB207_1320
.LBB207_1292:
	s_cmp_gt_i32 s15, 22
	s_cbranch_scc0 .LBB207_1302
; %bb.1293:
	s_cmp_lt_i32 s15, 24
	s_cbranch_scc1 .LBB207_1303
; %bb.1294:
	s_cmp_gt_i32 s15, 24
	s_cbranch_scc0 .LBB207_1304
; %bb.1295:
	global_load_ubyte v1, v[14:15], off
	s_movk_i32 s4, 0x7f
	s_mov_b64 s[6:7], 0
	s_waitcnt vmcnt(0)
	v_cmp_lt_i16_e32 vcc, s4, v1
	s_and_saveexec_b64 s[4:5], vcc
	s_xor_b64 s[4:5], exec, s[4:5]
; %bb.1296:
	s_movk_i32 s6, 0x80
	v_cmp_ne_u16_e32 vcc, s6, v1
	s_and_b64 s[6:7], vcc, exec
; %bb.1297:
	s_andn2_saveexec_b64 s[4:5], s[4:5]
; %bb.1298:
	v_cmp_ne_u16_e32 vcc, 0, v1
	s_andn2_b64 s[6:7], s[6:7], exec
	s_and_b64 s[12:13], vcc, exec
	s_or_b64 s[6:7], s[6:7], s[12:13]
; %bb.1299:
	s_or_b64 exec, exec, s[4:5]
	v_mov_b32_e32 v9, 0
	v_mov_b32_e32 v10, 0
	s_and_saveexec_b64 s[4:5], s[6:7]
	s_cbranch_execz .LBB207_1301
; %bb.1300:
	v_lshlrev_b32_e32 v3, 24, v1
	v_and_b32_e32 v1, 0xffff, v1
	v_and_b32_e32 v5, 3, v1
	v_ffbh_u32_e32 v10, v5
	v_min_u32_e32 v10, 32, v10
	v_subrev_u32_e32 v12, 29, v10
	v_bfe_u32 v9, v1, 2, 5
	v_lshlrev_b32_e32 v1, v12, v1
	v_sub_u32_e32 v10, 30, v10
	v_and_b32_e32 v1, 3, v1
	v_cmp_eq_u32_e32 vcc, 0, v9
	v_cndmask_b32_e32 v9, v9, v10, vcc
	v_cndmask_b32_e32 v1, v5, v1, vcc
	v_mov_b32_e32 v5, 0x37800000
	v_lshlrev_b32_e32 v1, 21, v1
	v_and_b32_e32 v3, 0x80000000, v3
	v_lshl_add_u32 v5, v9, 23, v5
	v_or3_b32 v1, v3, v5, v1
	v_trunc_f32_e32 v1, v1
	s_mov_b32 s6, 0x2f800000
	v_mul_f32_e64 v3, |v1|, s6
	v_floor_f32_e32 v3, v3
	s_mov_b32 s6, 0xcf800000
	v_fma_f32 v5, v3, s6, |v1|
	v_cvt_u32_f32_e32 v5, v5
	v_cvt_u32_f32_e32 v3, v3
	v_ashrrev_i32_e32 v1, 31, v1
	v_xor_b32_e32 v5, v5, v1
	v_xor_b32_e32 v3, v3, v1
	v_sub_co_u32_e32 v9, vcc, v5, v1
	v_subb_co_u32_e32 v10, vcc, v3, v1, vcc
.LBB207_1301:
	s_or_b64 exec, exec, s[4:5]
	s_mov_b64 s[4:5], 0
	s_branch .LBB207_1305
.LBB207_1302:
	s_mov_b64 s[4:5], -1
                                        ; implicit-def: $vgpr9_vgpr10
	s_branch .LBB207_1311
.LBB207_1303:
	s_mov_b64 s[4:5], -1
                                        ; implicit-def: $vgpr9_vgpr10
	s_branch .LBB207_1308
.LBB207_1304:
	s_mov_b64 s[4:5], -1
                                        ; implicit-def: $vgpr9_vgpr10
.LBB207_1305:
	s_and_b64 vcc, exec, s[4:5]
	s_cbranch_vccz .LBB207_1307
; %bb.1306:
	global_load_ubyte v1, v[14:15], off
	s_mov_b32 s4, 0x7f800000
	s_brev_b32 s5, 1
	s_mov_b32 s6, 0x2f800000
	s_mov_b32 s7, 0xcf800000
	s_waitcnt vmcnt(0)
	v_lshlrev_b32_e32 v1, 24, v1
	v_and_b32_e32 v3, 0x7f000000, v1
	v_ffbh_u32_e32 v5, v3
	v_min_u32_e32 v5, 32, v5
	v_sub_u32_e64 v5, v5, 4 clamp
	v_lshlrev_b32_e32 v10, v5, v3
	v_lshlrev_b32_e32 v5, 23, v5
	v_lshrrev_b32_e32 v10, 4, v10
	v_add_u32_e32 v9, 0x1000000, v3
	v_sub_u32_e32 v5, v10, v5
	v_ashrrev_i32_e32 v9, 8, v9
	v_add_u32_e32 v5, 0x3c000000, v5
	v_and_or_b32 v5, v9, s4, v5
	v_cmp_ne_u32_e32 vcc, 0, v3
	v_cndmask_b32_e32 v3, 0, v5, vcc
	v_and_or_b32 v1, v1, s5, v3
	v_trunc_f32_e32 v1, v1
	v_mul_f32_e64 v3, |v1|, s6
	v_floor_f32_e32 v3, v3
	v_fma_f32 v5, v3, s7, |v1|
	v_cvt_u32_f32_e32 v5, v5
	v_cvt_u32_f32_e32 v3, v3
	v_ashrrev_i32_e32 v1, 31, v1
	v_xor_b32_e32 v5, v5, v1
	v_xor_b32_e32 v3, v3, v1
	v_sub_co_u32_e32 v9, vcc, v5, v1
	v_subb_co_u32_e32 v10, vcc, v3, v1, vcc
.LBB207_1307:
	s_mov_b64 s[4:5], 0
.LBB207_1308:
	s_andn2_b64 vcc, exec, s[4:5]
	s_cbranch_vccnz .LBB207_1310
; %bb.1309:
	global_load_ubyte v1, v[14:15], off
	s_movk_i32 s4, 0x7f00
	s_brev_b32 s5, 16
	s_brev_b32 s6, 1
	s_mov_b32 s7, 0x2f800000
	s_mov_b32 s12, 0xcf800000
	s_waitcnt vmcnt(0)
	v_lshlrev_b16_e32 v3, 8, v1
	v_lshlrev_b32_e32 v1, 25, v1
	v_lshrrev_b32_e32 v5, 4, v1
	v_and_or_b32 v9, v3, s4, 0.5
	v_or_b32_e32 v5, 0x70000000, v5
	v_add_f32_e32 v9, -0.5, v9
	v_mul_f32_e32 v5, 0x7800000, v5
	v_cmp_gt_u32_e32 vcc, s5, v1
	v_bfe_i32 v3, v3, 0, 16
	v_cndmask_b32_e32 v1, v5, v9, vcc
	v_and_or_b32 v1, v3, s6, v1
	v_trunc_f32_e32 v1, v1
	v_mul_f32_e64 v3, |v1|, s7
	v_floor_f32_e32 v3, v3
	v_fma_f32 v5, v3, s12, |v1|
	v_cvt_u32_f32_e32 v5, v5
	v_cvt_u32_f32_e32 v3, v3
	v_ashrrev_i32_e32 v1, 31, v1
	v_xor_b32_e32 v5, v5, v1
	v_xor_b32_e32 v3, v3, v1
	v_sub_co_u32_e32 v9, vcc, v5, v1
	v_subb_co_u32_e32 v10, vcc, v3, v1, vcc
.LBB207_1310:
	s_mov_b64 s[4:5], 0
	s_mov_b64 s[6:7], -1
.LBB207_1311:
	s_andn2_b64 vcc, exec, s[4:5]
	s_mov_b64 s[4:5], 0
	s_cbranch_vccnz .LBB207_1320
; %bb.1312:
	s_cmp_gt_i32 s15, 14
	s_cbranch_scc0 .LBB207_1315
; %bb.1313:
	s_cmp_eq_u32 s15, 15
	s_cbranch_scc0 .LBB207_1316
; %bb.1314:
	global_load_ushort v1, v[14:15], off
	s_mov_b32 s0, 0x2f800000
	s_mov_b32 s1, 0xcf800000
	s_mov_b64 s[6:7], -1
	s_waitcnt vmcnt(0)
	v_lshlrev_b32_e32 v1, 16, v1
	v_trunc_f32_e32 v1, v1
	v_mul_f32_e64 v3, |v1|, s0
	v_floor_f32_e32 v3, v3
	v_fma_f32 v5, v3, s1, |v1|
	v_cvt_u32_f32_e32 v5, v5
	v_cvt_u32_f32_e32 v3, v3
	v_ashrrev_i32_e32 v1, 31, v1
	s_mov_b64 s[0:1], 0
	v_xor_b32_e32 v5, v5, v1
	v_xor_b32_e32 v3, v3, v1
	v_sub_co_u32_e32 v9, vcc, v5, v1
	v_subb_co_u32_e32 v10, vcc, v3, v1, vcc
	s_branch .LBB207_1317
.LBB207_1315:
	s_mov_b64 s[12:13], -1
                                        ; implicit-def: $vgpr9_vgpr10
	s_branch .LBB207_1318
.LBB207_1316:
	s_mov_b64 s[0:1], -1
                                        ; implicit-def: $vgpr9_vgpr10
.LBB207_1317:
	s_mov_b64 s[12:13], 0
.LBB207_1318:
	s_and_b64 vcc, exec, s[12:13]
	s_cbranch_vccz .LBB207_1320
; %bb.1319:
	s_cmp_lg_u32 s15, 11
	s_mov_b64 s[4:5], -1
	s_cselect_b64 s[0:1], -1, 0
.LBB207_1320:
	s_and_b64 vcc, exec, s[0:1]
	s_cbranch_vccnz .LBB207_1383
; %bb.1321:
	s_andn2_b64 vcc, exec, s[4:5]
	s_cbranch_vccnz .LBB207_1323
.LBB207_1322:
	global_load_ubyte v1, v[14:15], off
	s_mov_b32 s0, 0
	s_waitcnt vmcnt(1)
	v_mov_b32_e32 v10, s0
	s_mov_b64 s[6:7], -1
	s_waitcnt vmcnt(0)
	v_cmp_ne_u16_e32 vcc, 0, v1
	v_cndmask_b32_e64 v9, 0, 1, vcc
.LBB207_1323:
	s_branch .LBB207_1254
.LBB207_1324:
	s_and_b32 s4, 0xffff, s14
	s_cmp_lt_i32 s4, 5
	s_cbranch_scc1 .LBB207_1329
; %bb.1325:
	s_cmp_lt_i32 s4, 8
	s_cbranch_scc1 .LBB207_1330
; %bb.1326:
	;; [unrolled: 3-line block ×3, first 2 shown]
	s_cmp_gt_i32 s4, 9
	s_cbranch_scc0 .LBB207_1332
; %bb.1328:
	global_load_dwordx2 v[9:10], v[14:15], off
	s_movk_i32 s0, 0xffe0
	s_waitcnt vmcnt(0)
	v_trunc_f64_e32 v[9:10], v[9:10]
	v_ldexp_f64 v[16:17], v[9:10], s0
	s_mov_b32 s0, 0
	s_mov_b32 s1, 0xc1f00000
	v_floor_f64_e32 v[16:17], v[16:17]
	v_fma_f64 v[18:19], v[16:17], s[0:1], v[9:10]
	v_cvt_i32_f64_e32 v10, v[16:17]
	s_mov_b64 s[0:1], 0
	v_cvt_u32_f64_e32 v9, v[18:19]
	s_branch .LBB207_1333
.LBB207_1329:
                                        ; implicit-def: $vgpr9_vgpr10
	s_branch .LBB207_1351
.LBB207_1330:
	s_mov_b64 s[0:1], -1
                                        ; implicit-def: $vgpr9_vgpr10
	s_branch .LBB207_1339
.LBB207_1331:
	s_mov_b64 s[0:1], -1
                                        ; implicit-def: $vgpr9_vgpr10
	s_branch .LBB207_1336
.LBB207_1332:
	s_mov_b64 s[0:1], -1
                                        ; implicit-def: $vgpr9_vgpr10
.LBB207_1333:
	s_andn2_b64 vcc, exec, s[0:1]
	s_cbranch_vccnz .LBB207_1335
; %bb.1334:
	global_load_dword v1, v[14:15], off
	s_mov_b32 s0, 0x2f800000
	s_mov_b32 s1, 0xcf800000
	s_waitcnt vmcnt(0)
	v_trunc_f32_e32 v1, v1
	v_mul_f32_e64 v3, |v1|, s0
	v_floor_f32_e32 v3, v3
	v_cvt_u32_f32_e32 v5, v3
	v_fma_f32 v3, v3, s1, |v1|
	v_cvt_u32_f32_e32 v3, v3
	v_ashrrev_i32_e32 v1, 31, v1
	v_xor_b32_e32 v5, v5, v1
	v_xor_b32_e32 v3, v3, v1
	v_sub_co_u32_e32 v9, vcc, v3, v1
	v_subb_co_u32_e32 v10, vcc, v5, v1, vcc
.LBB207_1335:
	s_mov_b64 s[0:1], 0
.LBB207_1336:
	s_andn2_b64 vcc, exec, s[0:1]
	s_cbranch_vccnz .LBB207_1338
; %bb.1337:
	global_load_dword v1, v[14:15], off
	s_waitcnt vmcnt(0)
	v_cvt_f32_f16_e32 v1, v1
	v_cvt_i32_f32_e32 v9, v1
	v_ashrrev_i32_e32 v10, 31, v9
.LBB207_1338:
	s_mov_b64 s[0:1], 0
.LBB207_1339:
	s_andn2_b64 vcc, exec, s[0:1]
	s_cbranch_vccnz .LBB207_1350
; %bb.1340:
	s_cmp_lt_i32 s4, 6
	s_cbranch_scc1 .LBB207_1343
; %bb.1341:
	s_cmp_gt_i32 s4, 6
	s_cbranch_scc0 .LBB207_1344
; %bb.1342:
	global_load_dwordx2 v[9:10], v[14:15], off
	s_movk_i32 s0, 0xffe0
	s_waitcnt vmcnt(0)
	v_trunc_f64_e32 v[9:10], v[9:10]
	v_ldexp_f64 v[16:17], v[9:10], s0
	s_mov_b32 s0, 0
	s_mov_b32 s1, 0xc1f00000
	v_floor_f64_e32 v[16:17], v[16:17]
	v_fma_f64 v[18:19], v[16:17], s[0:1], v[9:10]
	v_cvt_i32_f64_e32 v10, v[16:17]
	s_mov_b64 s[0:1], 0
	v_cvt_u32_f64_e32 v9, v[18:19]
	s_branch .LBB207_1345
.LBB207_1343:
	s_mov_b64 s[0:1], -1
                                        ; implicit-def: $vgpr9_vgpr10
	s_branch .LBB207_1348
.LBB207_1344:
	s_mov_b64 s[0:1], -1
                                        ; implicit-def: $vgpr9_vgpr10
.LBB207_1345:
	s_andn2_b64 vcc, exec, s[0:1]
	s_cbranch_vccnz .LBB207_1347
; %bb.1346:
	global_load_dword v1, v[14:15], off
	s_mov_b32 s0, 0x2f800000
	s_mov_b32 s1, 0xcf800000
	s_waitcnt vmcnt(0)
	v_trunc_f32_e32 v1, v1
	v_mul_f32_e64 v3, |v1|, s0
	v_floor_f32_e32 v3, v3
	v_cvt_u32_f32_e32 v5, v3
	v_fma_f32 v3, v3, s1, |v1|
	v_cvt_u32_f32_e32 v3, v3
	v_ashrrev_i32_e32 v1, 31, v1
	v_xor_b32_e32 v5, v5, v1
	v_xor_b32_e32 v3, v3, v1
	v_sub_co_u32_e32 v9, vcc, v3, v1
	v_subb_co_u32_e32 v10, vcc, v5, v1, vcc
.LBB207_1347:
	s_mov_b64 s[0:1], 0
.LBB207_1348:
	s_andn2_b64 vcc, exec, s[0:1]
	s_cbranch_vccnz .LBB207_1350
; %bb.1349:
	global_load_ushort v1, v[14:15], off
	s_waitcnt vmcnt(0)
	v_cvt_f32_f16_e32 v1, v1
	v_cvt_i32_f32_e32 v9, v1
	v_ashrrev_i32_e32 v10, 31, v9
.LBB207_1350:
	s_cbranch_execnz .LBB207_1370
.LBB207_1351:
	s_cmp_lt_i32 s4, 2
	s_cbranch_scc1 .LBB207_1355
; %bb.1352:
	s_cmp_lt_i32 s4, 3
	s_cbranch_scc1 .LBB207_1356
; %bb.1353:
	s_cmp_gt_i32 s4, 3
	s_cbranch_scc0 .LBB207_1357
; %bb.1354:
	global_load_dwordx2 v[9:10], v[14:15], off
	s_mov_b64 s[0:1], 0
	s_branch .LBB207_1358
.LBB207_1355:
	s_mov_b64 s[0:1], -1
                                        ; implicit-def: $vgpr9_vgpr10
	s_branch .LBB207_1364
.LBB207_1356:
	s_mov_b64 s[0:1], -1
                                        ; implicit-def: $vgpr9_vgpr10
	s_branch .LBB207_1361
.LBB207_1357:
	s_mov_b64 s[0:1], -1
                                        ; implicit-def: $vgpr9_vgpr10
.LBB207_1358:
	s_andn2_b64 vcc, exec, s[0:1]
	s_cbranch_vccnz .LBB207_1360
; %bb.1359:
	global_load_dword v9, v[14:15], off
	s_waitcnt vmcnt(0)
	v_ashrrev_i32_e32 v10, 31, v9
.LBB207_1360:
	s_mov_b64 s[0:1], 0
.LBB207_1361:
	s_andn2_b64 vcc, exec, s[0:1]
	s_cbranch_vccnz .LBB207_1363
; %bb.1362:
	global_load_ushort v1, v[14:15], off
	s_waitcnt vmcnt(0)
	v_bfe_i32 v9, v1, 0, 16
	v_ashrrev_i32_e32 v10, 31, v9
.LBB207_1363:
	s_mov_b64 s[0:1], 0
.LBB207_1364:
	s_andn2_b64 vcc, exec, s[0:1]
	s_cbranch_vccnz .LBB207_1370
; %bb.1365:
	s_cmp_gt_i32 s4, 0
	s_cbranch_scc0 .LBB207_1367
; %bb.1366:
	global_load_sbyte v1, v[14:15], off
	s_mov_b64 s[0:1], 0
	s_waitcnt vmcnt(0)
	v_bfe_i32 v9, v1, 0, 16
	v_ashrrev_i32_e32 v10, 31, v9
	s_branch .LBB207_1368
.LBB207_1367:
	s_mov_b64 s[0:1], -1
                                        ; implicit-def: $vgpr9_vgpr10
.LBB207_1368:
	s_andn2_b64 vcc, exec, s[0:1]
	s_cbranch_vccnz .LBB207_1370
; %bb.1369:
	global_load_ubyte v1, v[14:15], off
	s_mov_b32 s0, 0
	s_waitcnt vmcnt(1)
	v_mov_b32_e32 v10, s0
	s_waitcnt vmcnt(0)
	v_and_b32_e32 v9, 0xffff, v1
.LBB207_1370:
.LBB207_1371:
	v_mov_b32_e32 v1, s11
	v_add_co_u32_e32 v14, vcc, s10, v11
	s_cmp_lt_i32 s14, 11
	v_addc_co_u32_e32 v15, vcc, 0, v1, vcc
	s_cbranch_scc1 .LBB207_1378
; %bb.1372:
	s_and_b32 s15, 0xffff, s14
	s_cmp_gt_i32 s15, 25
	s_mov_b64 s[4:5], 0
	s_cbranch_scc0 .LBB207_1380
; %bb.1373:
	s_cmp_gt_i32 s15, 28
	s_cbranch_scc0 .LBB207_1381
; %bb.1374:
	s_cmp_gt_i32 s15, 43
	;; [unrolled: 3-line block ×3, first 2 shown]
	s_cbranch_scc0 .LBB207_1384
; %bb.1376:
	s_cmp_eq_u32 s15, 46
	s_mov_b64 s[12:13], 0
	s_cbranch_scc0 .LBB207_1385
; %bb.1377:
	global_load_dword v1, v[14:15], off
	s_mov_b32 s0, 0x2f800000
	s_mov_b32 s1, 0xcf800000
	s_mov_b64 s[6:7], -1
	s_waitcnt vmcnt(0)
	v_lshlrev_b32_e32 v1, 16, v1
	v_trunc_f32_e32 v1, v1
	v_mul_f32_e64 v3, |v1|, s0
	v_floor_f32_e32 v3, v3
	v_fma_f32 v5, v3, s1, |v1|
	v_cvt_u32_f32_e32 v5, v5
	v_cvt_u32_f32_e32 v3, v3
	v_ashrrev_i32_e32 v1, 31, v1
	s_mov_b64 s[0:1], 0
	v_xor_b32_e32 v5, v5, v1
	v_xor_b32_e32 v3, v3, v1
	v_sub_co_u32_e32 v11, vcc, v5, v1
	v_subb_co_u32_e32 v12, vcc, v3, v1, vcc
	s_branch .LBB207_1386
.LBB207_1378:
	s_mov_b64 s[6:7], 0
                                        ; implicit-def: $vgpr11_vgpr12
	s_cbranch_execnz .LBB207_1448
.LBB207_1379:
	s_andn2_b64 vcc, exec, s[6:7]
	s_cbranch_vccnz .LBB207_2055
	s_branch .LBB207_1496
.LBB207_1380:
	s_mov_b64 s[12:13], -1
	s_mov_b64 s[6:7], 0
	s_mov_b64 s[0:1], 0
                                        ; implicit-def: $vgpr11_vgpr12
	s_branch .LBB207_1415
.LBB207_1381:
	s_mov_b64 s[12:13], -1
	s_mov_b64 s[6:7], 0
	s_mov_b64 s[0:1], 0
                                        ; implicit-def: $vgpr11_vgpr12
	s_branch .LBB207_1396
.LBB207_1382:
	s_mov_b64 s[12:13], -1
	s_mov_b64 s[6:7], 0
	s_mov_b64 s[0:1], 0
                                        ; implicit-def: $vgpr11_vgpr12
	s_branch .LBB207_1391
.LBB207_1383:
	s_trap 2
	s_or_b64 s[2:3], s[2:3], exec
	s_cbranch_execz .LBB207_1322
	s_branch .LBB207_1323
.LBB207_1384:
	s_mov_b64 s[12:13], -1
	s_mov_b64 s[6:7], 0
	s_mov_b64 s[0:1], 0
                                        ; implicit-def: $vgpr11_vgpr12
	s_branch .LBB207_1386
.LBB207_1385:
	s_mov_b64 s[0:1], -1
                                        ; implicit-def: $vgpr11_vgpr12
	s_mov_b64 s[6:7], 0
.LBB207_1386:
	s_and_b64 vcc, exec, s[12:13]
	s_cbranch_vccz .LBB207_1390
; %bb.1387:
	s_cmp_eq_u32 s15, 44
	s_cbranch_scc0 .LBB207_1389
; %bb.1388:
	global_load_ubyte v1, v[14:15], off
	s_mov_b32 s0, 0x2f800000
	s_mov_b32 s1, 0xcf800000
	s_mov_b64 s[6:7], -1
	s_waitcnt vmcnt(0)
	v_lshlrev_b32_e32 v3, 23, v1
	v_trunc_f32_e32 v3, v3
	v_mul_f32_e64 v5, |v3|, s0
	v_floor_f32_e32 v5, v5
	v_fma_f32 v11, v5, s1, |v3|
	v_cvt_u32_f32_e32 v11, v11
	v_cvt_u32_f32_e32 v5, v5
	v_ashrrev_i32_e32 v3, 31, v3
	s_mov_b64 s[0:1], 0
	v_xor_b32_e32 v11, v11, v3
	v_xor_b32_e32 v5, v5, v3
	v_sub_co_u32_e32 v11, vcc, v11, v3
	v_subb_co_u32_e32 v3, vcc, v5, v3, vcc
	v_cmp_ne_u32_e32 vcc, 0, v1
	v_cndmask_b32_e32 v12, 0, v3, vcc
	v_cndmask_b32_e32 v11, 0, v11, vcc
	s_branch .LBB207_1390
.LBB207_1389:
	s_mov_b64 s[0:1], -1
                                        ; implicit-def: $vgpr11_vgpr12
.LBB207_1390:
	s_mov_b64 s[12:13], 0
.LBB207_1391:
	s_and_b64 vcc, exec, s[12:13]
	s_cbranch_vccz .LBB207_1395
; %bb.1392:
	s_cmp_eq_u32 s15, 29
	s_cbranch_scc0 .LBB207_1394
; %bb.1393:
	global_load_dwordx2 v[11:12], v[14:15], off
	s_mov_b64 s[0:1], 0
	s_mov_b64 s[6:7], -1
	s_branch .LBB207_1395
.LBB207_1394:
	s_mov_b64 s[0:1], -1
                                        ; implicit-def: $vgpr11_vgpr12
.LBB207_1395:
	s_mov_b64 s[12:13], 0
.LBB207_1396:
	s_and_b64 vcc, exec, s[12:13]
	s_cbranch_vccz .LBB207_1414
; %bb.1397:
	s_cmp_lt_i32 s15, 27
	s_cbranch_scc1 .LBB207_1400
; %bb.1398:
	s_cmp_gt_i32 s15, 27
	s_cbranch_scc0 .LBB207_1401
; %bb.1399:
	global_load_dword v11, v[14:15], off
	s_waitcnt vmcnt(1)
	v_mov_b32_e32 v12, 0
	s_mov_b64 s[6:7], 0
	s_branch .LBB207_1402
.LBB207_1400:
	s_mov_b64 s[6:7], -1
                                        ; implicit-def: $vgpr11_vgpr12
	s_branch .LBB207_1405
.LBB207_1401:
	s_mov_b64 s[6:7], -1
                                        ; implicit-def: $vgpr11_vgpr12
.LBB207_1402:
	s_andn2_b64 vcc, exec, s[6:7]
	s_cbranch_vccnz .LBB207_1404
; %bb.1403:
	global_load_ushort v1, v[14:15], off
	s_mov_b32 s6, 0
	s_waitcnt vmcnt(1)
	v_mov_b32_e32 v12, s6
	s_waitcnt vmcnt(0)
	v_and_b32_e32 v11, 0xffff, v1
.LBB207_1404:
	s_mov_b64 s[6:7], 0
.LBB207_1405:
	s_andn2_b64 vcc, exec, s[6:7]
	s_cbranch_vccnz .LBB207_1413
; %bb.1406:
	global_load_ubyte v1, v[14:15], off
	s_movk_i32 s6, 0x7f
	s_mov_b64 s[12:13], 0
	s_waitcnt vmcnt(0)
	v_cmp_lt_i16_e32 vcc, s6, v1
	s_and_saveexec_b64 s[6:7], vcc
	s_xor_b64 s[6:7], exec, s[6:7]
; %bb.1407:
	s_movk_i32 s12, 0x80
	v_cmp_ne_u16_e32 vcc, s12, v1
	s_and_b64 s[12:13], vcc, exec
; %bb.1408:
	s_andn2_saveexec_b64 s[6:7], s[6:7]
; %bb.1409:
	v_cmp_ne_u16_e32 vcc, 0, v1
	s_andn2_b64 s[12:13], s[12:13], exec
	s_and_b64 s[16:17], vcc, exec
	s_or_b64 s[12:13], s[12:13], s[16:17]
; %bb.1410:
	s_or_b64 exec, exec, s[6:7]
	v_mov_b32_e32 v11, 0
	v_mov_b32_e32 v12, 0
	s_and_saveexec_b64 s[6:7], s[12:13]
	s_cbranch_execz .LBB207_1412
; %bb.1411:
	v_lshlrev_b32_e32 v3, 24, v1
	v_and_b32_e32 v1, 0xffff, v1
	v_and_b32_e32 v5, 7, v1
	v_ffbh_u32_e32 v12, v5
	v_min_u32_e32 v12, 32, v12
	v_subrev_u32_e32 v16, 28, v12
	v_bfe_u32 v11, v1, 3, 4
	v_lshlrev_b32_e32 v1, v16, v1
	v_sub_u32_e32 v12, 29, v12
	v_and_b32_e32 v1, 7, v1
	v_cmp_eq_u32_e32 vcc, 0, v11
	v_cndmask_b32_e32 v11, v11, v12, vcc
	v_cndmask_b32_e32 v1, v5, v1, vcc
	v_mov_b32_e32 v5, 0x3b800000
	v_lshlrev_b32_e32 v1, 20, v1
	v_and_b32_e32 v3, 0x80000000, v3
	v_lshl_add_u32 v5, v11, 23, v5
	v_or3_b32 v1, v3, v5, v1
	v_trunc_f32_e32 v1, v1
	s_mov_b32 s12, 0x2f800000
	v_mul_f32_e64 v3, |v1|, s12
	v_floor_f32_e32 v3, v3
	s_mov_b32 s12, 0xcf800000
	v_fma_f32 v5, v3, s12, |v1|
	v_cvt_u32_f32_e32 v5, v5
	v_cvt_u32_f32_e32 v3, v3
	v_ashrrev_i32_e32 v1, 31, v1
	v_xor_b32_e32 v5, v5, v1
	v_xor_b32_e32 v3, v3, v1
	v_sub_co_u32_e32 v11, vcc, v5, v1
	v_subb_co_u32_e32 v12, vcc, v3, v1, vcc
.LBB207_1412:
	s_or_b64 exec, exec, s[6:7]
.LBB207_1413:
	s_mov_b64 s[6:7], -1
.LBB207_1414:
	s_mov_b64 s[12:13], 0
.LBB207_1415:
	s_and_b64 vcc, exec, s[12:13]
	s_cbranch_vccz .LBB207_1444
; %bb.1416:
	s_cmp_gt_i32 s15, 22
	s_cbranch_scc0 .LBB207_1426
; %bb.1417:
	s_cmp_lt_i32 s15, 24
	s_cbranch_scc1 .LBB207_1427
; %bb.1418:
	s_cmp_gt_i32 s15, 24
	s_cbranch_scc0 .LBB207_1428
; %bb.1419:
	global_load_ubyte v1, v[14:15], off
	s_movk_i32 s4, 0x7f
	s_mov_b64 s[6:7], 0
	s_waitcnt vmcnt(0)
	v_cmp_lt_i16_e32 vcc, s4, v1
	s_and_saveexec_b64 s[4:5], vcc
	s_xor_b64 s[4:5], exec, s[4:5]
; %bb.1420:
	s_movk_i32 s6, 0x80
	v_cmp_ne_u16_e32 vcc, s6, v1
	s_and_b64 s[6:7], vcc, exec
; %bb.1421:
	s_andn2_saveexec_b64 s[4:5], s[4:5]
; %bb.1422:
	v_cmp_ne_u16_e32 vcc, 0, v1
	s_andn2_b64 s[6:7], s[6:7], exec
	s_and_b64 s[12:13], vcc, exec
	s_or_b64 s[6:7], s[6:7], s[12:13]
; %bb.1423:
	s_or_b64 exec, exec, s[4:5]
	v_mov_b32_e32 v11, 0
	v_mov_b32_e32 v12, 0
	s_and_saveexec_b64 s[4:5], s[6:7]
	s_cbranch_execz .LBB207_1425
; %bb.1424:
	v_lshlrev_b32_e32 v3, 24, v1
	v_and_b32_e32 v1, 0xffff, v1
	v_and_b32_e32 v5, 3, v1
	v_ffbh_u32_e32 v12, v5
	v_min_u32_e32 v12, 32, v12
	v_subrev_u32_e32 v16, 29, v12
	v_bfe_u32 v11, v1, 2, 5
	v_lshlrev_b32_e32 v1, v16, v1
	v_sub_u32_e32 v12, 30, v12
	v_and_b32_e32 v1, 3, v1
	v_cmp_eq_u32_e32 vcc, 0, v11
	v_cndmask_b32_e32 v11, v11, v12, vcc
	v_cndmask_b32_e32 v1, v5, v1, vcc
	v_mov_b32_e32 v5, 0x37800000
	v_lshlrev_b32_e32 v1, 21, v1
	v_and_b32_e32 v3, 0x80000000, v3
	v_lshl_add_u32 v5, v11, 23, v5
	v_or3_b32 v1, v3, v5, v1
	v_trunc_f32_e32 v1, v1
	s_mov_b32 s6, 0x2f800000
	v_mul_f32_e64 v3, |v1|, s6
	v_floor_f32_e32 v3, v3
	s_mov_b32 s6, 0xcf800000
	v_fma_f32 v5, v3, s6, |v1|
	v_cvt_u32_f32_e32 v5, v5
	v_cvt_u32_f32_e32 v3, v3
	v_ashrrev_i32_e32 v1, 31, v1
	v_xor_b32_e32 v5, v5, v1
	v_xor_b32_e32 v3, v3, v1
	v_sub_co_u32_e32 v11, vcc, v5, v1
	v_subb_co_u32_e32 v12, vcc, v3, v1, vcc
.LBB207_1425:
	s_or_b64 exec, exec, s[4:5]
	s_mov_b64 s[4:5], 0
	s_branch .LBB207_1429
.LBB207_1426:
	s_mov_b64 s[4:5], -1
                                        ; implicit-def: $vgpr11_vgpr12
	s_branch .LBB207_1435
.LBB207_1427:
	s_mov_b64 s[4:5], -1
                                        ; implicit-def: $vgpr11_vgpr12
	s_branch .LBB207_1432
.LBB207_1428:
	s_mov_b64 s[4:5], -1
                                        ; implicit-def: $vgpr11_vgpr12
.LBB207_1429:
	s_and_b64 vcc, exec, s[4:5]
	s_cbranch_vccz .LBB207_1431
; %bb.1430:
	global_load_ubyte v1, v[14:15], off
	s_mov_b32 s4, 0x7f800000
	s_brev_b32 s5, 1
	s_mov_b32 s6, 0x2f800000
	s_mov_b32 s7, 0xcf800000
	s_waitcnt vmcnt(0)
	v_lshlrev_b32_e32 v1, 24, v1
	v_and_b32_e32 v3, 0x7f000000, v1
	v_ffbh_u32_e32 v5, v3
	v_min_u32_e32 v5, 32, v5
	v_sub_u32_e64 v5, v5, 4 clamp
	v_lshlrev_b32_e32 v12, v5, v3
	v_lshlrev_b32_e32 v5, 23, v5
	v_lshrrev_b32_e32 v12, 4, v12
	v_add_u32_e32 v11, 0x1000000, v3
	v_sub_u32_e32 v5, v12, v5
	v_ashrrev_i32_e32 v11, 8, v11
	v_add_u32_e32 v5, 0x3c000000, v5
	v_and_or_b32 v5, v11, s4, v5
	v_cmp_ne_u32_e32 vcc, 0, v3
	v_cndmask_b32_e32 v3, 0, v5, vcc
	v_and_or_b32 v1, v1, s5, v3
	v_trunc_f32_e32 v1, v1
	v_mul_f32_e64 v3, |v1|, s6
	v_floor_f32_e32 v3, v3
	v_fma_f32 v5, v3, s7, |v1|
	v_cvt_u32_f32_e32 v5, v5
	v_cvt_u32_f32_e32 v3, v3
	v_ashrrev_i32_e32 v1, 31, v1
	v_xor_b32_e32 v5, v5, v1
	v_xor_b32_e32 v3, v3, v1
	v_sub_co_u32_e32 v11, vcc, v5, v1
	v_subb_co_u32_e32 v12, vcc, v3, v1, vcc
.LBB207_1431:
	s_mov_b64 s[4:5], 0
.LBB207_1432:
	s_andn2_b64 vcc, exec, s[4:5]
	s_cbranch_vccnz .LBB207_1434
; %bb.1433:
	global_load_ubyte v1, v[14:15], off
	s_movk_i32 s4, 0x7f00
	s_brev_b32 s5, 16
	s_brev_b32 s6, 1
	s_mov_b32 s7, 0x2f800000
	s_mov_b32 s12, 0xcf800000
	s_waitcnt vmcnt(0)
	v_lshlrev_b16_e32 v3, 8, v1
	v_lshlrev_b32_e32 v1, 25, v1
	v_lshrrev_b32_e32 v5, 4, v1
	v_and_or_b32 v11, v3, s4, 0.5
	v_or_b32_e32 v5, 0x70000000, v5
	v_add_f32_e32 v11, -0.5, v11
	v_mul_f32_e32 v5, 0x7800000, v5
	v_cmp_gt_u32_e32 vcc, s5, v1
	v_bfe_i32 v3, v3, 0, 16
	v_cndmask_b32_e32 v1, v5, v11, vcc
	v_and_or_b32 v1, v3, s6, v1
	v_trunc_f32_e32 v1, v1
	v_mul_f32_e64 v3, |v1|, s7
	v_floor_f32_e32 v3, v3
	v_fma_f32 v5, v3, s12, |v1|
	v_cvt_u32_f32_e32 v5, v5
	v_cvt_u32_f32_e32 v3, v3
	v_ashrrev_i32_e32 v1, 31, v1
	v_xor_b32_e32 v5, v5, v1
	v_xor_b32_e32 v3, v3, v1
	v_sub_co_u32_e32 v11, vcc, v5, v1
	v_subb_co_u32_e32 v12, vcc, v3, v1, vcc
.LBB207_1434:
	s_mov_b64 s[4:5], 0
	s_mov_b64 s[6:7], -1
.LBB207_1435:
	s_andn2_b64 vcc, exec, s[4:5]
	s_mov_b64 s[4:5], 0
	s_cbranch_vccnz .LBB207_1444
; %bb.1436:
	s_cmp_gt_i32 s15, 14
	s_cbranch_scc0 .LBB207_1439
; %bb.1437:
	s_cmp_eq_u32 s15, 15
	s_cbranch_scc0 .LBB207_1440
; %bb.1438:
	global_load_ushort v1, v[14:15], off
	s_mov_b32 s0, 0x2f800000
	s_mov_b32 s1, 0xcf800000
	s_mov_b64 s[6:7], -1
	s_waitcnt vmcnt(0)
	v_lshlrev_b32_e32 v1, 16, v1
	v_trunc_f32_e32 v1, v1
	v_mul_f32_e64 v3, |v1|, s0
	v_floor_f32_e32 v3, v3
	v_fma_f32 v5, v3, s1, |v1|
	v_cvt_u32_f32_e32 v5, v5
	v_cvt_u32_f32_e32 v3, v3
	v_ashrrev_i32_e32 v1, 31, v1
	s_mov_b64 s[0:1], 0
	v_xor_b32_e32 v5, v5, v1
	v_xor_b32_e32 v3, v3, v1
	v_sub_co_u32_e32 v11, vcc, v5, v1
	v_subb_co_u32_e32 v12, vcc, v3, v1, vcc
	s_branch .LBB207_1441
.LBB207_1439:
	s_mov_b64 s[12:13], -1
                                        ; implicit-def: $vgpr11_vgpr12
	s_branch .LBB207_1442
.LBB207_1440:
	s_mov_b64 s[0:1], -1
                                        ; implicit-def: $vgpr11_vgpr12
.LBB207_1441:
	s_mov_b64 s[12:13], 0
.LBB207_1442:
	s_and_b64 vcc, exec, s[12:13]
	s_cbranch_vccz .LBB207_1444
; %bb.1443:
	s_cmp_lg_u32 s15, 11
	s_mov_b64 s[4:5], -1
	s_cselect_b64 s[0:1], -1, 0
.LBB207_1444:
	s_and_b64 vcc, exec, s[0:1]
	s_cbranch_vccnz .LBB207_1507
; %bb.1445:
	s_andn2_b64 vcc, exec, s[4:5]
	s_cbranch_vccnz .LBB207_1447
.LBB207_1446:
	global_load_ubyte v1, v[14:15], off
	s_mov_b32 s0, 0
	s_waitcnt vmcnt(1)
	v_mov_b32_e32 v12, s0
	s_mov_b64 s[6:7], -1
	s_waitcnt vmcnt(0)
	v_cmp_ne_u16_e32 vcc, 0, v1
	v_cndmask_b32_e64 v11, 0, 1, vcc
.LBB207_1447:
	s_branch .LBB207_1379
.LBB207_1448:
	s_and_b32 s4, 0xffff, s14
	s_cmp_lt_i32 s4, 5
	s_cbranch_scc1 .LBB207_1453
; %bb.1449:
	s_cmp_lt_i32 s4, 8
	s_cbranch_scc1 .LBB207_1454
; %bb.1450:
	s_cmp_lt_i32 s4, 9
	s_cbranch_scc1 .LBB207_1455
; %bb.1451:
	s_cmp_gt_i32 s4, 9
	s_cbranch_scc0 .LBB207_1456
; %bb.1452:
	global_load_dwordx2 v[11:12], v[14:15], off
	s_movk_i32 s0, 0xffe0
	s_waitcnt vmcnt(0)
	v_trunc_f64_e32 v[11:12], v[11:12]
	v_ldexp_f64 v[16:17], v[11:12], s0
	s_mov_b32 s0, 0
	s_mov_b32 s1, 0xc1f00000
	v_floor_f64_e32 v[16:17], v[16:17]
	v_fma_f64 v[18:19], v[16:17], s[0:1], v[11:12]
	v_cvt_i32_f64_e32 v12, v[16:17]
	s_mov_b64 s[0:1], 0
	v_cvt_u32_f64_e32 v11, v[18:19]
	s_branch .LBB207_1457
.LBB207_1453:
	s_mov_b64 s[0:1], -1
                                        ; implicit-def: $vgpr11_vgpr12
	s_branch .LBB207_1475
.LBB207_1454:
	s_mov_b64 s[0:1], -1
                                        ; implicit-def: $vgpr11_vgpr12
	s_branch .LBB207_1463
.LBB207_1455:
	s_mov_b64 s[0:1], -1
                                        ; implicit-def: $vgpr11_vgpr12
	s_branch .LBB207_1460
.LBB207_1456:
	s_mov_b64 s[0:1], -1
                                        ; implicit-def: $vgpr11_vgpr12
.LBB207_1457:
	s_andn2_b64 vcc, exec, s[0:1]
	s_cbranch_vccnz .LBB207_1459
; %bb.1458:
	global_load_dword v1, v[14:15], off
	s_mov_b32 s0, 0x2f800000
	s_mov_b32 s1, 0xcf800000
	s_waitcnt vmcnt(0)
	v_trunc_f32_e32 v1, v1
	v_mul_f32_e64 v3, |v1|, s0
	v_floor_f32_e32 v3, v3
	v_cvt_u32_f32_e32 v5, v3
	v_fma_f32 v3, v3, s1, |v1|
	v_cvt_u32_f32_e32 v3, v3
	v_ashrrev_i32_e32 v1, 31, v1
	v_xor_b32_e32 v5, v5, v1
	v_xor_b32_e32 v3, v3, v1
	v_sub_co_u32_e32 v11, vcc, v3, v1
	v_subb_co_u32_e32 v12, vcc, v5, v1, vcc
.LBB207_1459:
	s_mov_b64 s[0:1], 0
.LBB207_1460:
	s_andn2_b64 vcc, exec, s[0:1]
	s_cbranch_vccnz .LBB207_1462
; %bb.1461:
	global_load_dword v1, v[14:15], off
	s_waitcnt vmcnt(0)
	v_cvt_f32_f16_e32 v1, v1
	v_cvt_i32_f32_e32 v11, v1
	v_ashrrev_i32_e32 v12, 31, v11
.LBB207_1462:
	s_mov_b64 s[0:1], 0
.LBB207_1463:
	s_andn2_b64 vcc, exec, s[0:1]
	s_cbranch_vccnz .LBB207_1474
; %bb.1464:
	s_cmp_lt_i32 s4, 6
	s_cbranch_scc1 .LBB207_1467
; %bb.1465:
	s_cmp_gt_i32 s4, 6
	s_cbranch_scc0 .LBB207_1468
; %bb.1466:
	global_load_dwordx2 v[11:12], v[14:15], off
	s_movk_i32 s0, 0xffe0
	s_waitcnt vmcnt(0)
	v_trunc_f64_e32 v[11:12], v[11:12]
	v_ldexp_f64 v[16:17], v[11:12], s0
	s_mov_b32 s0, 0
	s_mov_b32 s1, 0xc1f00000
	v_floor_f64_e32 v[16:17], v[16:17]
	v_fma_f64 v[18:19], v[16:17], s[0:1], v[11:12]
	v_cvt_i32_f64_e32 v12, v[16:17]
	s_mov_b64 s[0:1], 0
	v_cvt_u32_f64_e32 v11, v[18:19]
	s_branch .LBB207_1469
.LBB207_1467:
	s_mov_b64 s[0:1], -1
                                        ; implicit-def: $vgpr11_vgpr12
	s_branch .LBB207_1472
.LBB207_1468:
	s_mov_b64 s[0:1], -1
                                        ; implicit-def: $vgpr11_vgpr12
.LBB207_1469:
	s_andn2_b64 vcc, exec, s[0:1]
	s_cbranch_vccnz .LBB207_1471
; %bb.1470:
	global_load_dword v1, v[14:15], off
	s_mov_b32 s0, 0x2f800000
	s_mov_b32 s1, 0xcf800000
	s_waitcnt vmcnt(0)
	v_trunc_f32_e32 v1, v1
	v_mul_f32_e64 v3, |v1|, s0
	v_floor_f32_e32 v3, v3
	v_cvt_u32_f32_e32 v5, v3
	v_fma_f32 v3, v3, s1, |v1|
	v_cvt_u32_f32_e32 v3, v3
	v_ashrrev_i32_e32 v1, 31, v1
	v_xor_b32_e32 v5, v5, v1
	v_xor_b32_e32 v3, v3, v1
	v_sub_co_u32_e32 v11, vcc, v3, v1
	v_subb_co_u32_e32 v12, vcc, v5, v1, vcc
.LBB207_1471:
	s_mov_b64 s[0:1], 0
.LBB207_1472:
	s_andn2_b64 vcc, exec, s[0:1]
	s_cbranch_vccnz .LBB207_1474
; %bb.1473:
	global_load_ushort v1, v[14:15], off
	s_waitcnt vmcnt(0)
	v_cvt_f32_f16_e32 v1, v1
	v_cvt_i32_f32_e32 v11, v1
	v_ashrrev_i32_e32 v12, 31, v11
.LBB207_1474:
	s_mov_b64 s[0:1], 0
.LBB207_1475:
	s_andn2_b64 vcc, exec, s[0:1]
	s_cbranch_vccnz .LBB207_1495
; %bb.1476:
	s_cmp_lt_i32 s4, 2
	s_cbranch_scc1 .LBB207_1480
; %bb.1477:
	s_cmp_lt_i32 s4, 3
	s_cbranch_scc1 .LBB207_1481
; %bb.1478:
	s_cmp_gt_i32 s4, 3
	s_cbranch_scc0 .LBB207_1482
; %bb.1479:
	global_load_dwordx2 v[11:12], v[14:15], off
	s_mov_b64 s[0:1], 0
	s_branch .LBB207_1483
.LBB207_1480:
	s_mov_b64 s[0:1], -1
                                        ; implicit-def: $vgpr11_vgpr12
	s_branch .LBB207_1489
.LBB207_1481:
	s_mov_b64 s[0:1], -1
                                        ; implicit-def: $vgpr11_vgpr12
	s_branch .LBB207_1486
.LBB207_1482:
	s_mov_b64 s[0:1], -1
                                        ; implicit-def: $vgpr11_vgpr12
.LBB207_1483:
	s_andn2_b64 vcc, exec, s[0:1]
	s_cbranch_vccnz .LBB207_1485
; %bb.1484:
	global_load_dword v11, v[14:15], off
	s_waitcnt vmcnt(0)
	v_ashrrev_i32_e32 v12, 31, v11
.LBB207_1485:
	s_mov_b64 s[0:1], 0
.LBB207_1486:
	s_andn2_b64 vcc, exec, s[0:1]
	s_cbranch_vccnz .LBB207_1488
; %bb.1487:
	global_load_ushort v1, v[14:15], off
	s_waitcnt vmcnt(0)
	v_bfe_i32 v11, v1, 0, 16
	v_ashrrev_i32_e32 v12, 31, v11
.LBB207_1488:
	s_mov_b64 s[0:1], 0
.LBB207_1489:
	s_andn2_b64 vcc, exec, s[0:1]
	s_cbranch_vccnz .LBB207_1495
; %bb.1490:
	s_cmp_gt_i32 s4, 0
	s_cbranch_scc0 .LBB207_1492
; %bb.1491:
	global_load_sbyte v1, v[14:15], off
	s_mov_b64 s[0:1], 0
	s_waitcnt vmcnt(0)
	v_bfe_i32 v11, v1, 0, 16
	v_ashrrev_i32_e32 v12, 31, v11
	s_branch .LBB207_1493
.LBB207_1492:
	s_mov_b64 s[0:1], -1
                                        ; implicit-def: $vgpr11_vgpr12
.LBB207_1493:
	s_andn2_b64 vcc, exec, s[0:1]
	s_cbranch_vccnz .LBB207_1495
; %bb.1494:
	global_load_ubyte v1, v[14:15], off
	s_mov_b32 s0, 0
	s_waitcnt vmcnt(1)
	v_mov_b32_e32 v12, s0
	s_waitcnt vmcnt(0)
	v_and_b32_e32 v11, 0xffff, v1
.LBB207_1495:
.LBB207_1496:
	v_mov_b32_e32 v1, s11
	v_add_co_u32_e32 v15, vcc, s10, v13
	s_cmp_lt_i32 s14, 11
	v_addc_co_u32_e32 v16, vcc, 0, v1, vcc
	s_cbranch_scc1 .LBB207_1503
; %bb.1497:
	s_and_b32 s12, 0xffff, s14
	s_cmp_gt_i32 s12, 25
	s_mov_b64 s[4:5], 0
	s_cbranch_scc0 .LBB207_1504
; %bb.1498:
	s_cmp_gt_i32 s12, 28
	s_cbranch_scc0 .LBB207_1505
; %bb.1499:
	s_cmp_gt_i32 s12, 43
	;; [unrolled: 3-line block ×3, first 2 shown]
	s_cbranch_scc0 .LBB207_1508
; %bb.1501:
	s_cmp_eq_u32 s12, 46
	s_mov_b64 s[10:11], 0
	s_cbranch_scc0 .LBB207_1509
; %bb.1502:
	global_load_dword v1, v[15:16], off
	s_mov_b32 s0, 0x2f800000
	s_mov_b32 s1, 0xcf800000
	s_mov_b64 s[6:7], -1
	s_waitcnt vmcnt(0)
	v_lshlrev_b32_e32 v1, 16, v1
	v_trunc_f32_e32 v1, v1
	v_mul_f32_e64 v3, |v1|, s0
	v_floor_f32_e32 v3, v3
	v_fma_f32 v5, v3, s1, |v1|
	v_cvt_u32_f32_e32 v5, v5
	v_cvt_u32_f32_e32 v3, v3
	v_ashrrev_i32_e32 v1, 31, v1
	s_mov_b64 s[0:1], 0
	v_xor_b32_e32 v5, v5, v1
	v_xor_b32_e32 v3, v3, v1
	v_sub_co_u32_e32 v13, vcc, v5, v1
	v_subb_co_u32_e32 v14, vcc, v3, v1, vcc
	s_branch .LBB207_1510
.LBB207_1503:
	s_mov_b64 s[0:1], -1
	s_mov_b64 s[6:7], 0
                                        ; implicit-def: $vgpr13_vgpr14
	s_branch .LBB207_1572
.LBB207_1504:
	s_mov_b64 s[10:11], -1
	s_mov_b64 s[6:7], 0
	s_mov_b64 s[0:1], 0
                                        ; implicit-def: $vgpr13_vgpr14
	s_branch .LBB207_1539
.LBB207_1505:
	s_mov_b64 s[10:11], -1
	s_mov_b64 s[6:7], 0
	s_mov_b64 s[0:1], 0
                                        ; implicit-def: $vgpr13_vgpr14
	s_branch .LBB207_1520
.LBB207_1506:
	s_mov_b64 s[10:11], -1
	s_mov_b64 s[6:7], 0
	s_mov_b64 s[0:1], 0
                                        ; implicit-def: $vgpr13_vgpr14
	s_branch .LBB207_1515
.LBB207_1507:
	s_trap 2
	s_or_b64 s[2:3], s[2:3], exec
	s_cbranch_execz .LBB207_1446
	s_branch .LBB207_1447
.LBB207_1508:
	s_mov_b64 s[10:11], -1
	s_mov_b64 s[6:7], 0
	s_mov_b64 s[0:1], 0
                                        ; implicit-def: $vgpr13_vgpr14
	s_branch .LBB207_1510
.LBB207_1509:
	s_mov_b64 s[0:1], -1
                                        ; implicit-def: $vgpr13_vgpr14
	s_mov_b64 s[6:7], 0
.LBB207_1510:
	s_and_b64 vcc, exec, s[10:11]
	s_cbranch_vccz .LBB207_1514
; %bb.1511:
	s_cmp_eq_u32 s12, 44
	s_cbranch_scc0 .LBB207_1513
; %bb.1512:
	global_load_ubyte v1, v[15:16], off
	s_mov_b32 s0, 0x2f800000
	s_mov_b32 s1, 0xcf800000
	s_mov_b64 s[6:7], -1
	s_waitcnt vmcnt(0)
	v_lshlrev_b32_e32 v3, 23, v1
	v_trunc_f32_e32 v3, v3
	v_mul_f32_e64 v5, |v3|, s0
	v_floor_f32_e32 v5, v5
	v_fma_f32 v13, v5, s1, |v3|
	v_cvt_u32_f32_e32 v13, v13
	v_cvt_u32_f32_e32 v5, v5
	v_ashrrev_i32_e32 v3, 31, v3
	s_mov_b64 s[0:1], 0
	v_xor_b32_e32 v13, v13, v3
	v_xor_b32_e32 v5, v5, v3
	v_sub_co_u32_e32 v13, vcc, v13, v3
	v_subb_co_u32_e32 v3, vcc, v5, v3, vcc
	v_cmp_ne_u32_e32 vcc, 0, v1
	v_cndmask_b32_e32 v14, 0, v3, vcc
	v_cndmask_b32_e32 v13, 0, v13, vcc
	s_branch .LBB207_1514
.LBB207_1513:
	s_mov_b64 s[0:1], -1
                                        ; implicit-def: $vgpr13_vgpr14
.LBB207_1514:
	s_mov_b64 s[10:11], 0
.LBB207_1515:
	s_and_b64 vcc, exec, s[10:11]
	s_cbranch_vccz .LBB207_1519
; %bb.1516:
	s_cmp_eq_u32 s12, 29
	s_cbranch_scc0 .LBB207_1518
; %bb.1517:
	global_load_dwordx2 v[13:14], v[15:16], off
	s_mov_b64 s[0:1], 0
	s_mov_b64 s[6:7], -1
	s_branch .LBB207_1519
.LBB207_1518:
	s_mov_b64 s[0:1], -1
                                        ; implicit-def: $vgpr13_vgpr14
.LBB207_1519:
	s_mov_b64 s[10:11], 0
.LBB207_1520:
	s_and_b64 vcc, exec, s[10:11]
	s_cbranch_vccz .LBB207_1538
; %bb.1521:
	s_cmp_lt_i32 s12, 27
	s_cbranch_scc1 .LBB207_1524
; %bb.1522:
	s_cmp_gt_i32 s12, 27
	s_cbranch_scc0 .LBB207_1525
; %bb.1523:
	global_load_dword v13, v[15:16], off
	s_waitcnt vmcnt(1)
	v_mov_b32_e32 v14, 0
	s_mov_b64 s[6:7], 0
	s_branch .LBB207_1526
.LBB207_1524:
	s_mov_b64 s[6:7], -1
                                        ; implicit-def: $vgpr13_vgpr14
	s_branch .LBB207_1529
.LBB207_1525:
	s_mov_b64 s[6:7], -1
                                        ; implicit-def: $vgpr13_vgpr14
.LBB207_1526:
	s_andn2_b64 vcc, exec, s[6:7]
	s_cbranch_vccnz .LBB207_1528
; %bb.1527:
	global_load_ushort v1, v[15:16], off
	s_mov_b32 s6, 0
	s_waitcnt vmcnt(1)
	v_mov_b32_e32 v14, s6
	s_waitcnt vmcnt(0)
	v_and_b32_e32 v13, 0xffff, v1
.LBB207_1528:
	s_mov_b64 s[6:7], 0
.LBB207_1529:
	s_andn2_b64 vcc, exec, s[6:7]
	s_cbranch_vccnz .LBB207_1537
; %bb.1530:
	global_load_ubyte v1, v[15:16], off
	s_movk_i32 s6, 0x7f
	s_mov_b64 s[10:11], 0
	s_waitcnt vmcnt(0)
	v_cmp_lt_i16_e32 vcc, s6, v1
	s_and_saveexec_b64 s[6:7], vcc
	s_xor_b64 s[6:7], exec, s[6:7]
; %bb.1531:
	s_movk_i32 s10, 0x80
	v_cmp_ne_u16_e32 vcc, s10, v1
	s_and_b64 s[10:11], vcc, exec
; %bb.1532:
	s_andn2_saveexec_b64 s[6:7], s[6:7]
; %bb.1533:
	v_cmp_ne_u16_e32 vcc, 0, v1
	s_andn2_b64 s[10:11], s[10:11], exec
	s_and_b64 s[16:17], vcc, exec
	s_or_b64 s[10:11], s[10:11], s[16:17]
; %bb.1534:
	s_or_b64 exec, exec, s[6:7]
	v_mov_b32_e32 v13, 0
	v_mov_b32_e32 v14, 0
	s_and_saveexec_b64 s[6:7], s[10:11]
	s_cbranch_execz .LBB207_1536
; %bb.1535:
	v_lshlrev_b32_e32 v3, 24, v1
	v_and_b32_e32 v1, 0xffff, v1
	v_and_b32_e32 v5, 7, v1
	v_ffbh_u32_e32 v14, v5
	v_min_u32_e32 v14, 32, v14
	v_subrev_u32_e32 v17, 28, v14
	v_bfe_u32 v13, v1, 3, 4
	v_lshlrev_b32_e32 v1, v17, v1
	v_sub_u32_e32 v14, 29, v14
	v_and_b32_e32 v1, 7, v1
	v_cmp_eq_u32_e32 vcc, 0, v13
	v_cndmask_b32_e32 v13, v13, v14, vcc
	v_cndmask_b32_e32 v1, v5, v1, vcc
	v_mov_b32_e32 v5, 0x3b800000
	v_lshlrev_b32_e32 v1, 20, v1
	v_and_b32_e32 v3, 0x80000000, v3
	v_lshl_add_u32 v5, v13, 23, v5
	v_or3_b32 v1, v3, v5, v1
	v_trunc_f32_e32 v1, v1
	s_mov_b32 s10, 0x2f800000
	v_mul_f32_e64 v3, |v1|, s10
	v_floor_f32_e32 v3, v3
	s_mov_b32 s10, 0xcf800000
	v_fma_f32 v5, v3, s10, |v1|
	v_cvt_u32_f32_e32 v5, v5
	v_cvt_u32_f32_e32 v3, v3
	v_ashrrev_i32_e32 v1, 31, v1
	v_xor_b32_e32 v5, v5, v1
	v_xor_b32_e32 v3, v3, v1
	v_sub_co_u32_e32 v13, vcc, v5, v1
	v_subb_co_u32_e32 v14, vcc, v3, v1, vcc
.LBB207_1536:
	s_or_b64 exec, exec, s[6:7]
.LBB207_1537:
	s_mov_b64 s[6:7], -1
.LBB207_1538:
	s_mov_b64 s[10:11], 0
.LBB207_1539:
	s_and_b64 vcc, exec, s[10:11]
	s_cbranch_vccz .LBB207_1568
; %bb.1540:
	s_cmp_gt_i32 s12, 22
	s_cbranch_scc0 .LBB207_1550
; %bb.1541:
	s_cmp_lt_i32 s12, 24
	s_cbranch_scc1 .LBB207_1551
; %bb.1542:
	s_cmp_gt_i32 s12, 24
	s_cbranch_scc0 .LBB207_1552
; %bb.1543:
	global_load_ubyte v1, v[15:16], off
	s_movk_i32 s4, 0x7f
	s_mov_b64 s[6:7], 0
	s_waitcnt vmcnt(0)
	v_cmp_lt_i16_e32 vcc, s4, v1
	s_and_saveexec_b64 s[4:5], vcc
	s_xor_b64 s[4:5], exec, s[4:5]
; %bb.1544:
	s_movk_i32 s6, 0x80
	v_cmp_ne_u16_e32 vcc, s6, v1
	s_and_b64 s[6:7], vcc, exec
; %bb.1545:
	s_andn2_saveexec_b64 s[4:5], s[4:5]
; %bb.1546:
	v_cmp_ne_u16_e32 vcc, 0, v1
	s_andn2_b64 s[6:7], s[6:7], exec
	s_and_b64 s[10:11], vcc, exec
	s_or_b64 s[6:7], s[6:7], s[10:11]
; %bb.1547:
	s_or_b64 exec, exec, s[4:5]
	v_mov_b32_e32 v13, 0
	v_mov_b32_e32 v14, 0
	s_and_saveexec_b64 s[4:5], s[6:7]
	s_cbranch_execz .LBB207_1549
; %bb.1548:
	v_lshlrev_b32_e32 v3, 24, v1
	v_and_b32_e32 v1, 0xffff, v1
	v_and_b32_e32 v5, 3, v1
	v_ffbh_u32_e32 v14, v5
	v_min_u32_e32 v14, 32, v14
	v_subrev_u32_e32 v17, 29, v14
	v_bfe_u32 v13, v1, 2, 5
	v_lshlrev_b32_e32 v1, v17, v1
	v_sub_u32_e32 v14, 30, v14
	v_and_b32_e32 v1, 3, v1
	v_cmp_eq_u32_e32 vcc, 0, v13
	v_cndmask_b32_e32 v13, v13, v14, vcc
	v_cndmask_b32_e32 v1, v5, v1, vcc
	v_mov_b32_e32 v5, 0x37800000
	v_lshlrev_b32_e32 v1, 21, v1
	v_and_b32_e32 v3, 0x80000000, v3
	v_lshl_add_u32 v5, v13, 23, v5
	v_or3_b32 v1, v3, v5, v1
	v_trunc_f32_e32 v1, v1
	s_mov_b32 s6, 0x2f800000
	v_mul_f32_e64 v3, |v1|, s6
	v_floor_f32_e32 v3, v3
	s_mov_b32 s6, 0xcf800000
	v_fma_f32 v5, v3, s6, |v1|
	v_cvt_u32_f32_e32 v5, v5
	v_cvt_u32_f32_e32 v3, v3
	v_ashrrev_i32_e32 v1, 31, v1
	v_xor_b32_e32 v5, v5, v1
	v_xor_b32_e32 v3, v3, v1
	v_sub_co_u32_e32 v13, vcc, v5, v1
	v_subb_co_u32_e32 v14, vcc, v3, v1, vcc
.LBB207_1549:
	s_or_b64 exec, exec, s[4:5]
	s_mov_b64 s[4:5], 0
	s_branch .LBB207_1553
.LBB207_1550:
	s_mov_b64 s[4:5], -1
                                        ; implicit-def: $vgpr13_vgpr14
	s_branch .LBB207_1559
.LBB207_1551:
	s_mov_b64 s[4:5], -1
                                        ; implicit-def: $vgpr13_vgpr14
	s_branch .LBB207_1556
.LBB207_1552:
	s_mov_b64 s[4:5], -1
                                        ; implicit-def: $vgpr13_vgpr14
.LBB207_1553:
	s_and_b64 vcc, exec, s[4:5]
	s_cbranch_vccz .LBB207_1555
; %bb.1554:
	global_load_ubyte v1, v[15:16], off
	s_mov_b32 s4, 0x7f800000
	s_brev_b32 s5, 1
	s_mov_b32 s6, 0x2f800000
	s_mov_b32 s7, 0xcf800000
	s_waitcnt vmcnt(0)
	v_lshlrev_b32_e32 v1, 24, v1
	v_and_b32_e32 v3, 0x7f000000, v1
	v_ffbh_u32_e32 v5, v3
	v_min_u32_e32 v5, 32, v5
	v_sub_u32_e64 v5, v5, 4 clamp
	v_lshlrev_b32_e32 v14, v5, v3
	v_lshlrev_b32_e32 v5, 23, v5
	v_lshrrev_b32_e32 v14, 4, v14
	v_add_u32_e32 v13, 0x1000000, v3
	v_sub_u32_e32 v5, v14, v5
	v_ashrrev_i32_e32 v13, 8, v13
	v_add_u32_e32 v5, 0x3c000000, v5
	v_and_or_b32 v5, v13, s4, v5
	v_cmp_ne_u32_e32 vcc, 0, v3
	v_cndmask_b32_e32 v3, 0, v5, vcc
	v_and_or_b32 v1, v1, s5, v3
	v_trunc_f32_e32 v1, v1
	v_mul_f32_e64 v3, |v1|, s6
	v_floor_f32_e32 v3, v3
	v_fma_f32 v5, v3, s7, |v1|
	v_cvt_u32_f32_e32 v5, v5
	v_cvt_u32_f32_e32 v3, v3
	v_ashrrev_i32_e32 v1, 31, v1
	v_xor_b32_e32 v5, v5, v1
	v_xor_b32_e32 v3, v3, v1
	v_sub_co_u32_e32 v13, vcc, v5, v1
	v_subb_co_u32_e32 v14, vcc, v3, v1, vcc
.LBB207_1555:
	s_mov_b64 s[4:5], 0
.LBB207_1556:
	s_andn2_b64 vcc, exec, s[4:5]
	s_cbranch_vccnz .LBB207_1558
; %bb.1557:
	global_load_ubyte v1, v[15:16], off
	s_movk_i32 s4, 0x7f00
	s_brev_b32 s5, 16
	s_brev_b32 s6, 1
	s_mov_b32 s7, 0x2f800000
	s_mov_b32 s10, 0xcf800000
	s_waitcnt vmcnt(0)
	v_lshlrev_b16_e32 v3, 8, v1
	v_lshlrev_b32_e32 v1, 25, v1
	v_lshrrev_b32_e32 v5, 4, v1
	v_and_or_b32 v13, v3, s4, 0.5
	v_or_b32_e32 v5, 0x70000000, v5
	v_add_f32_e32 v13, -0.5, v13
	v_mul_f32_e32 v5, 0x7800000, v5
	v_cmp_gt_u32_e32 vcc, s5, v1
	v_bfe_i32 v3, v3, 0, 16
	v_cndmask_b32_e32 v1, v5, v13, vcc
	v_and_or_b32 v1, v3, s6, v1
	v_trunc_f32_e32 v1, v1
	v_mul_f32_e64 v3, |v1|, s7
	v_floor_f32_e32 v3, v3
	v_fma_f32 v5, v3, s10, |v1|
	v_cvt_u32_f32_e32 v5, v5
	v_cvt_u32_f32_e32 v3, v3
	v_ashrrev_i32_e32 v1, 31, v1
	v_xor_b32_e32 v5, v5, v1
	v_xor_b32_e32 v3, v3, v1
	v_sub_co_u32_e32 v13, vcc, v5, v1
	v_subb_co_u32_e32 v14, vcc, v3, v1, vcc
.LBB207_1558:
	s_mov_b64 s[4:5], 0
	s_mov_b64 s[6:7], -1
.LBB207_1559:
	s_andn2_b64 vcc, exec, s[4:5]
	s_mov_b64 s[4:5], 0
	s_cbranch_vccnz .LBB207_1568
; %bb.1560:
	s_cmp_gt_i32 s12, 14
	s_cbranch_scc0 .LBB207_1563
; %bb.1561:
	s_cmp_eq_u32 s12, 15
	s_cbranch_scc0 .LBB207_1564
; %bb.1562:
	global_load_ushort v1, v[15:16], off
	s_mov_b32 s0, 0x2f800000
	s_mov_b32 s1, 0xcf800000
	s_mov_b64 s[6:7], -1
	s_waitcnt vmcnt(0)
	v_lshlrev_b32_e32 v1, 16, v1
	v_trunc_f32_e32 v1, v1
	v_mul_f32_e64 v3, |v1|, s0
	v_floor_f32_e32 v3, v3
	v_fma_f32 v5, v3, s1, |v1|
	v_cvt_u32_f32_e32 v5, v5
	v_cvt_u32_f32_e32 v3, v3
	v_ashrrev_i32_e32 v1, 31, v1
	s_mov_b64 s[0:1], 0
	v_xor_b32_e32 v5, v5, v1
	v_xor_b32_e32 v3, v3, v1
	v_sub_co_u32_e32 v13, vcc, v5, v1
	v_subb_co_u32_e32 v14, vcc, v3, v1, vcc
	s_branch .LBB207_1565
.LBB207_1563:
	s_mov_b64 s[10:11], -1
                                        ; implicit-def: $vgpr13_vgpr14
	s_branch .LBB207_1566
.LBB207_1564:
	s_mov_b64 s[0:1], -1
                                        ; implicit-def: $vgpr13_vgpr14
.LBB207_1565:
	s_mov_b64 s[10:11], 0
.LBB207_1566:
	s_and_b64 vcc, exec, s[10:11]
	s_cbranch_vccz .LBB207_1568
; %bb.1567:
	s_cmp_lg_u32 s12, 11
	s_mov_b64 s[4:5], -1
	s_cselect_b64 s[0:1], -1, 0
.LBB207_1568:
	s_and_b64 vcc, exec, s[0:1]
	s_cbranch_vccnz .LBB207_2101
; %bb.1569:
	s_andn2_b64 vcc, exec, s[4:5]
	s_cbranch_vccnz .LBB207_1571
.LBB207_1570:
	global_load_ubyte v1, v[15:16], off
	s_mov_b32 s0, 0
	s_waitcnt vmcnt(1)
	v_mov_b32_e32 v14, s0
	s_mov_b64 s[6:7], -1
	s_waitcnt vmcnt(0)
	v_cmp_ne_u16_e32 vcc, 0, v1
	v_cndmask_b32_e64 v13, 0, 1, vcc
.LBB207_1571:
	s_mov_b64 s[0:1], 0
.LBB207_1572:
	s_and_b64 vcc, exec, s[0:1]
	s_cbranch_vccz .LBB207_1621
; %bb.1573:
	s_and_b32 s4, 0xffff, s14
	s_cmp_lt_i32 s4, 5
	s_cbranch_scc1 .LBB207_1578
; %bb.1574:
	s_cmp_lt_i32 s4, 8
	s_cbranch_scc1 .LBB207_1579
; %bb.1575:
	;; [unrolled: 3-line block ×3, first 2 shown]
	s_cmp_gt_i32 s4, 9
	s_cbranch_scc0 .LBB207_1581
; %bb.1577:
	global_load_dwordx2 v[13:14], v[15:16], off
	s_movk_i32 s0, 0xffe0
	s_waitcnt vmcnt(0)
	v_trunc_f64_e32 v[13:14], v[13:14]
	v_ldexp_f64 v[17:18], v[13:14], s0
	s_mov_b32 s0, 0
	s_mov_b32 s1, 0xc1f00000
	v_floor_f64_e32 v[17:18], v[17:18]
	v_fma_f64 v[19:20], v[17:18], s[0:1], v[13:14]
	v_cvt_i32_f64_e32 v14, v[17:18]
	s_mov_b64 s[0:1], 0
	v_cvt_u32_f64_e32 v13, v[19:20]
	s_branch .LBB207_1582
.LBB207_1578:
	s_mov_b64 s[0:1], -1
                                        ; implicit-def: $vgpr13_vgpr14
	s_branch .LBB207_1600
.LBB207_1579:
	s_mov_b64 s[0:1], -1
                                        ; implicit-def: $vgpr13_vgpr14
	s_branch .LBB207_1588
.LBB207_1580:
	s_mov_b64 s[0:1], -1
                                        ; implicit-def: $vgpr13_vgpr14
	s_branch .LBB207_1585
.LBB207_1581:
	s_mov_b64 s[0:1], -1
                                        ; implicit-def: $vgpr13_vgpr14
.LBB207_1582:
	s_andn2_b64 vcc, exec, s[0:1]
	s_cbranch_vccnz .LBB207_1584
; %bb.1583:
	global_load_dword v1, v[15:16], off
	s_mov_b32 s0, 0x2f800000
	s_mov_b32 s1, 0xcf800000
	s_waitcnt vmcnt(0)
	v_trunc_f32_e32 v1, v1
	v_mul_f32_e64 v3, |v1|, s0
	v_floor_f32_e32 v3, v3
	v_cvt_u32_f32_e32 v5, v3
	v_fma_f32 v3, v3, s1, |v1|
	v_cvt_u32_f32_e32 v3, v3
	v_ashrrev_i32_e32 v1, 31, v1
	v_xor_b32_e32 v5, v5, v1
	v_xor_b32_e32 v3, v3, v1
	v_sub_co_u32_e32 v13, vcc, v3, v1
	v_subb_co_u32_e32 v14, vcc, v5, v1, vcc
.LBB207_1584:
	s_mov_b64 s[0:1], 0
.LBB207_1585:
	s_andn2_b64 vcc, exec, s[0:1]
	s_cbranch_vccnz .LBB207_1587
; %bb.1586:
	global_load_dword v1, v[15:16], off
	s_waitcnt vmcnt(0)
	v_cvt_f32_f16_e32 v1, v1
	v_cvt_i32_f32_e32 v13, v1
	v_ashrrev_i32_e32 v14, 31, v13
.LBB207_1587:
	s_mov_b64 s[0:1], 0
.LBB207_1588:
	s_andn2_b64 vcc, exec, s[0:1]
	s_cbranch_vccnz .LBB207_1599
; %bb.1589:
	s_cmp_lt_i32 s4, 6
	s_cbranch_scc1 .LBB207_1592
; %bb.1590:
	s_cmp_gt_i32 s4, 6
	s_cbranch_scc0 .LBB207_1593
; %bb.1591:
	global_load_dwordx2 v[13:14], v[15:16], off
	s_movk_i32 s0, 0xffe0
	s_waitcnt vmcnt(0)
	v_trunc_f64_e32 v[13:14], v[13:14]
	v_ldexp_f64 v[17:18], v[13:14], s0
	s_mov_b32 s0, 0
	s_mov_b32 s1, 0xc1f00000
	v_floor_f64_e32 v[17:18], v[17:18]
	v_fma_f64 v[19:20], v[17:18], s[0:1], v[13:14]
	v_cvt_i32_f64_e32 v14, v[17:18]
	s_mov_b64 s[0:1], 0
	v_cvt_u32_f64_e32 v13, v[19:20]
	s_branch .LBB207_1594
.LBB207_1592:
	s_mov_b64 s[0:1], -1
                                        ; implicit-def: $vgpr13_vgpr14
	s_branch .LBB207_1597
.LBB207_1593:
	s_mov_b64 s[0:1], -1
                                        ; implicit-def: $vgpr13_vgpr14
.LBB207_1594:
	s_andn2_b64 vcc, exec, s[0:1]
	s_cbranch_vccnz .LBB207_1596
; %bb.1595:
	global_load_dword v1, v[15:16], off
	s_mov_b32 s0, 0x2f800000
	s_mov_b32 s1, 0xcf800000
	s_waitcnt vmcnt(0)
	v_trunc_f32_e32 v1, v1
	v_mul_f32_e64 v3, |v1|, s0
	v_floor_f32_e32 v3, v3
	v_cvt_u32_f32_e32 v5, v3
	v_fma_f32 v3, v3, s1, |v1|
	v_cvt_u32_f32_e32 v3, v3
	v_ashrrev_i32_e32 v1, 31, v1
	v_xor_b32_e32 v5, v5, v1
	v_xor_b32_e32 v3, v3, v1
	v_sub_co_u32_e32 v13, vcc, v3, v1
	v_subb_co_u32_e32 v14, vcc, v5, v1, vcc
.LBB207_1596:
	s_mov_b64 s[0:1], 0
.LBB207_1597:
	s_andn2_b64 vcc, exec, s[0:1]
	s_cbranch_vccnz .LBB207_1599
; %bb.1598:
	global_load_ushort v1, v[15:16], off
	s_waitcnt vmcnt(0)
	v_cvt_f32_f16_e32 v1, v1
	v_cvt_i32_f32_e32 v13, v1
	v_ashrrev_i32_e32 v14, 31, v13
.LBB207_1599:
	s_mov_b64 s[0:1], 0
.LBB207_1600:
	s_andn2_b64 vcc, exec, s[0:1]
	s_cbranch_vccnz .LBB207_1620
; %bb.1601:
	s_cmp_lt_i32 s4, 2
	s_cbranch_scc1 .LBB207_1605
; %bb.1602:
	s_cmp_lt_i32 s4, 3
	s_cbranch_scc1 .LBB207_1606
; %bb.1603:
	s_cmp_gt_i32 s4, 3
	s_cbranch_scc0 .LBB207_1607
; %bb.1604:
	global_load_dwordx2 v[13:14], v[15:16], off
	s_mov_b64 s[0:1], 0
	s_branch .LBB207_1608
.LBB207_1605:
	s_mov_b64 s[0:1], -1
                                        ; implicit-def: $vgpr13_vgpr14
	s_branch .LBB207_1614
.LBB207_1606:
	s_mov_b64 s[0:1], -1
                                        ; implicit-def: $vgpr13_vgpr14
	s_branch .LBB207_1611
.LBB207_1607:
	s_mov_b64 s[0:1], -1
                                        ; implicit-def: $vgpr13_vgpr14
.LBB207_1608:
	s_andn2_b64 vcc, exec, s[0:1]
	s_cbranch_vccnz .LBB207_1610
; %bb.1609:
	global_load_dword v13, v[15:16], off
	s_waitcnt vmcnt(0)
	v_ashrrev_i32_e32 v14, 31, v13
.LBB207_1610:
	s_mov_b64 s[0:1], 0
.LBB207_1611:
	s_andn2_b64 vcc, exec, s[0:1]
	s_cbranch_vccnz .LBB207_1613
; %bb.1612:
	global_load_ushort v1, v[15:16], off
	s_waitcnt vmcnt(0)
	v_bfe_i32 v13, v1, 0, 16
	v_ashrrev_i32_e32 v14, 31, v13
.LBB207_1613:
	s_mov_b64 s[0:1], 0
.LBB207_1614:
	s_andn2_b64 vcc, exec, s[0:1]
	s_cbranch_vccnz .LBB207_1620
; %bb.1615:
	s_cmp_gt_i32 s4, 0
	s_cbranch_scc0 .LBB207_1617
; %bb.1616:
	global_load_sbyte v1, v[15:16], off
	s_mov_b64 s[0:1], 0
	s_waitcnt vmcnt(0)
	v_bfe_i32 v13, v1, 0, 16
	v_ashrrev_i32_e32 v14, 31, v13
	s_branch .LBB207_1618
.LBB207_1617:
	s_mov_b64 s[0:1], -1
                                        ; implicit-def: $vgpr13_vgpr14
.LBB207_1618:
	s_andn2_b64 vcc, exec, s[0:1]
	s_cbranch_vccnz .LBB207_1620
; %bb.1619:
	global_load_ubyte v1, v[15:16], off
	s_mov_b32 s0, 0
	s_waitcnt vmcnt(1)
	v_mov_b32_e32 v14, s0
	s_waitcnt vmcnt(0)
	v_and_b32_e32 v13, 0xffff, v1
.LBB207_1620:
	s_mov_b64 s[6:7], -1
.LBB207_1621:
	s_andn2_b64 vcc, exec, s[6:7]
	s_cbranch_vccnz .LBB207_2055
; %bb.1622:
	s_load_dwordx2 s[0:1], s[34:35], 0x160
	s_load_dword s6, s[34:35], 0x168
	v_mov_b32_e32 v1, s9
	s_waitcnt vmcnt(0)
	v_add_co_u32_e32 v5, vcc, s8, v6
	s_waitcnt lgkmcnt(0)
	v_cmp_lt_u64_e64 s[4:5], s[0:1], 63
	v_addc_co_u32_e32 v6, vcc, 0, v1, vcc
	s_and_b64 s[4:5], s[4:5], exec
	s_cselect_b32 s15, s0, 63
	s_and_b32 s14, s6, 0xff
	v_ashrrev_i64 v[7:8], s15, v[7:8]
	s_cmp_lt_i32 s14, 11
	s_cbranch_scc1 .LBB207_1700
; %bb.1623:
	s_and_b32 s16, 0xffff, s14
	s_mov_b64 s[10:11], -1
	s_mov_b64 s[4:5], 0
	s_cmp_gt_i32 s16, 25
	s_mov_b64 s[6:7], 0
	s_mov_b64 s[0:1], 0
	s_cbranch_scc0 .LBB207_1656
; %bb.1624:
	s_cmp_gt_i32 s16, 28
	s_cbranch_scc0 .LBB207_1639
; %bb.1625:
	s_cmp_gt_i32 s16, 43
	;; [unrolled: 3-line block ×3, first 2 shown]
	s_cbranch_scc0 .LBB207_1629
; %bb.1627:
	s_mov_b64 s[0:1], -1
	s_mov_b64 s[10:11], 0
	s_cmp_eq_u32 s16, 46
	s_cbranch_scc0 .LBB207_1629
; %bb.1628:
	v_xor_b32_e32 v3, v7, v8
	v_ffbh_i32_e32 v1, v8
	v_ashrrev_i32_e32 v3, 31, v3
	v_add_u32_e32 v1, -1, v1
	v_add_u32_e32 v3, 32, v3
	v_min_u32_e32 v1, v1, v3
	v_lshlrev_b64 v[15:16], v1, v[7:8]
	v_sub_u32_e32 v1, 32, v1
	v_min_u32_e32 v3, 1, v15
	v_or_b32_e32 v3, v16, v3
	v_cvt_f32_i32_e32 v3, v3
	s_movk_i32 s0, 0x7fff
	s_mov_b64 s[6:7], -1
	v_ldexp_f32 v1, v3, v1
	v_bfe_u32 v3, v1, 16, 1
	v_add3_u32 v1, v1, v3, s0
	v_lshrrev_b32_e32 v1, 16, v1
	global_store_dword v[5:6], v1, off
	s_mov_b64 s[0:1], 0
.LBB207_1629:
	s_and_b64 vcc, exec, s[10:11]
	s_cbranch_vccz .LBB207_1634
; %bb.1630:
	s_cmp_eq_u32 s16, 44
	s_mov_b64 s[0:1], -1
	s_cbranch_scc0 .LBB207_1634
; %bb.1631:
	v_xor_b32_e32 v3, v7, v8
	v_ffbh_i32_e32 v1, v8
	v_ashrrev_i32_e32 v3, 31, v3
	v_add_u32_e32 v1, -1, v1
	v_add_u32_e32 v3, 32, v3
	v_min_u32_e32 v1, v1, v3
	v_lshlrev_b64 v[15:16], v1, v[7:8]
	v_sub_u32_e32 v1, 32, v1
	v_min_u32_e32 v3, 1, v15
	v_or_b32_e32 v3, v16, v3
	v_cvt_f32_i32_e32 v3, v3
	s_movk_i32 s0, 0xff
	v_mov_b32_e32 v15, 0xff
	v_ldexp_f32 v1, v3, v1
	v_bfe_u32 v3, v1, 23, 8
	v_cmp_ne_u32_e32 vcc, s0, v3
	s_and_saveexec_b64 s[6:7], vcc
; %bb.1632:
	s_mov_b32 s0, 0x3fffff
	v_lshrrev_b32_e32 v15, 23, v1
	v_and_b32_e32 v16, 0x400000, v1
	v_and_or_b32 v1, v1, s0, v3
	v_cmp_ne_u32_e32 vcc, 0, v16
	v_cmp_ne_u32_e64 s[0:1], 0, v1
	s_and_b64 s[0:1], vcc, s[0:1]
	v_cndmask_b32_e64 v1, 0, 1, s[0:1]
	v_add_u32_e32 v15, v15, v1
; %bb.1633:
	s_or_b64 exec, exec, s[6:7]
	s_mov_b64 s[0:1], 0
	s_mov_b64 s[6:7], -1
	global_store_byte v[5:6], v15, off
.LBB207_1634:
	s_mov_b64 s[10:11], 0
.LBB207_1635:
	s_and_b64 vcc, exec, s[10:11]
	s_cbranch_vccz .LBB207_1638
; %bb.1636:
	s_cmp_eq_u32 s16, 29
	s_mov_b64 s[0:1], -1
	s_cbranch_scc0 .LBB207_1638
; %bb.1637:
	global_store_dwordx2 v[5:6], v[7:8], off
	s_mov_b64 s[0:1], 0
	s_mov_b64 s[6:7], -1
.LBB207_1638:
	s_mov_b64 s[10:11], 0
.LBB207_1639:
	s_and_b64 vcc, exec, s[10:11]
	s_cbranch_vccz .LBB207_1655
; %bb.1640:
	s_cmp_lt_i32 s16, 27
	s_mov_b64 s[6:7], -1
	s_cbranch_scc1 .LBB207_1646
; %bb.1641:
	s_cmp_gt_i32 s16, 27
	s_cbranch_scc0 .LBB207_1643
; %bb.1642:
	s_mov_b64 s[6:7], 0
	global_store_dword v[5:6], v7, off
.LBB207_1643:
	s_andn2_b64 vcc, exec, s[6:7]
	s_cbranch_vccnz .LBB207_1645
; %bb.1644:
	global_store_short v[5:6], v7, off
.LBB207_1645:
	s_mov_b64 s[6:7], 0
.LBB207_1646:
	s_andn2_b64 vcc, exec, s[6:7]
	s_cbranch_vccnz .LBB207_1654
; %bb.1647:
	v_xor_b32_e32 v3, v7, v8
	v_ffbh_i32_e32 v1, v8
	v_ashrrev_i32_e32 v3, 31, v3
	v_add_u32_e32 v1, -1, v1
	v_add_u32_e32 v3, 32, v3
	v_min_u32_e32 v1, v1, v3
	v_lshlrev_b64 v[15:16], v1, v[7:8]
	v_sub_u32_e32 v1, 32, v1
	v_min_u32_e32 v3, 1, v15
	v_or_b32_e32 v3, v16, v3
	v_cvt_f32_i32_e32 v3, v3
	s_mov_b32 s6, 0x43800000
	v_mov_b32_e32 v15, 0x80
	v_ldexp_f32 v1, v3, v1
	v_and_b32_e32 v3, 0x7fffffff, v1
	v_cmp_gt_u32_e32 vcc, s6, v3
	s_and_saveexec_b64 s[6:7], vcc
	s_cbranch_execz .LBB207_1653
; %bb.1648:
	s_mov_b32 s10, 0x3bffffff
	v_cmp_lt_u32_e32 vcc, s10, v3
	s_mov_b64 s[10:11], 0
                                        ; implicit-def: $vgpr3
	s_and_saveexec_b64 s[12:13], vcc
	s_xor_b64 s[12:13], exec, s[12:13]
	s_cbranch_execz .LBB207_2102
; %bb.1649:
	v_bfe_u32 v3, v1, 20, 1
	s_mov_b32 s17, 0x487ffff
	v_add3_u32 v3, v1, v3, s17
	s_mov_b64 s[10:11], exec
	v_lshrrev_b32_e32 v3, 20, v3
	s_andn2_saveexec_b64 s[12:13], s[12:13]
	s_cbranch_execnz .LBB207_2103
.LBB207_1650:
	s_or_b64 exec, exec, s[12:13]
	v_mov_b32_e32 v15, 0
	s_and_saveexec_b64 s[12:13], s[10:11]
.LBB207_1651:
	v_lshrrev_b32_e32 v1, 24, v1
	s_movk_i32 s10, 0x80
	v_and_or_b32 v15, v1, s10, v3
.LBB207_1652:
	s_or_b64 exec, exec, s[12:13]
.LBB207_1653:
	s_or_b64 exec, exec, s[6:7]
	global_store_byte v[5:6], v15, off
.LBB207_1654:
	s_mov_b64 s[6:7], -1
.LBB207_1655:
	s_mov_b64 s[10:11], 0
.LBB207_1656:
	s_and_b64 vcc, exec, s[10:11]
	s_cbranch_vccz .LBB207_1696
; %bb.1657:
	s_cmp_gt_i32 s16, 22
	s_mov_b64 s[4:5], -1
	s_cbranch_scc0 .LBB207_1689
; %bb.1658:
	s_cmp_lt_i32 s16, 24
	s_cbranch_scc1 .LBB207_1678
; %bb.1659:
	s_cmp_gt_i32 s16, 24
	s_cbranch_scc0 .LBB207_1667
; %bb.1660:
	v_xor_b32_e32 v3, v7, v8
	v_ffbh_i32_e32 v1, v8
	v_ashrrev_i32_e32 v3, 31, v3
	v_add_u32_e32 v1, -1, v1
	v_add_u32_e32 v3, 32, v3
	v_min_u32_e32 v1, v1, v3
	v_lshlrev_b64 v[15:16], v1, v[7:8]
	v_sub_u32_e32 v1, 32, v1
	v_min_u32_e32 v3, 1, v15
	v_or_b32_e32 v3, v16, v3
	v_cvt_f32_i32_e32 v3, v3
	s_mov_b32 s4, 0x47800000
	v_mov_b32_e32 v15, 0x80
	v_ldexp_f32 v1, v3, v1
	v_and_b32_e32 v3, 0x7fffffff, v1
	v_cmp_gt_u32_e32 vcc, s4, v3
	s_and_saveexec_b64 s[4:5], vcc
	s_cbranch_execz .LBB207_1666
; %bb.1661:
	s_mov_b32 s6, 0x37ffffff
	v_cmp_lt_u32_e32 vcc, s6, v3
	s_mov_b64 s[6:7], 0
                                        ; implicit-def: $vgpr3
	s_and_saveexec_b64 s[10:11], vcc
	s_xor_b64 s[10:11], exec, s[10:11]
	s_cbranch_execz .LBB207_2105
; %bb.1662:
	v_bfe_u32 v3, v1, 21, 1
	s_mov_b32 s12, 0x88fffff
	v_add3_u32 v3, v1, v3, s12
	s_mov_b64 s[6:7], exec
	v_lshrrev_b32_e32 v3, 21, v3
	s_andn2_saveexec_b64 s[10:11], s[10:11]
	s_cbranch_execnz .LBB207_2106
.LBB207_1663:
	s_or_b64 exec, exec, s[10:11]
	v_mov_b32_e32 v15, 0
	s_and_saveexec_b64 s[10:11], s[6:7]
.LBB207_1664:
	v_lshrrev_b32_e32 v1, 24, v1
	s_movk_i32 s6, 0x80
	v_and_or_b32 v15, v1, s6, v3
.LBB207_1665:
	s_or_b64 exec, exec, s[10:11]
.LBB207_1666:
	s_or_b64 exec, exec, s[4:5]
	s_mov_b64 s[4:5], 0
	global_store_byte v[5:6], v15, off
.LBB207_1667:
	s_and_b64 vcc, exec, s[4:5]
	s_cbranch_vccz .LBB207_1677
; %bb.1668:
	v_xor_b32_e32 v3, v7, v8
	v_ffbh_i32_e32 v1, v8
	v_ashrrev_i32_e32 v3, 31, v3
	v_add_u32_e32 v1, -1, v1
	v_add_u32_e32 v3, 32, v3
	v_min_u32_e32 v1, v1, v3
	v_lshlrev_b64 v[15:16], v1, v[7:8]
	v_sub_u32_e32 v1, 32, v1
	v_min_u32_e32 v3, 1, v15
	v_or_b32_e32 v3, v16, v3
	v_cvt_f32_i32_e32 v3, v3
	s_mov_b32 s4, 0x43f00000
	v_ldexp_f32 v1, v3, v1
	v_and_b32_e32 v15, 0x7fffffff, v1
	v_cmp_gt_u32_e32 vcc, s4, v15
                                        ; implicit-def: $vgpr3
	s_and_saveexec_b64 s[4:5], vcc
	s_xor_b64 s[4:5], exec, s[4:5]
	s_cbranch_execz .LBB207_1674
; %bb.1669:
	s_mov_b32 s6, 0x3c7fffff
	v_cmp_lt_u32_e32 vcc, s6, v15
                                        ; implicit-def: $vgpr3
	s_and_saveexec_b64 s[6:7], vcc
	s_xor_b64 s[6:7], exec, s[6:7]
; %bb.1670:
	v_bfe_u32 v3, v1, 20, 1
	s_mov_b32 s10, 0x407ffff
	v_add3_u32 v3, v1, v3, s10
	v_lshrrev_b32_e32 v15, 20, v3
	v_and_b32_e32 v3, 0xff00000, v3
	s_mov_b32 s10, 0x7f00000
	v_mov_b32_e32 v16, 0x7e
	v_cmp_ne_u32_e32 vcc, s10, v3
	v_cndmask_b32_e32 v3, v16, v15, vcc
; %bb.1671:
	s_andn2_saveexec_b64 s[6:7], s[6:7]
; %bb.1672:
	s_mov_b32 s10, 0x46800000
	v_add_f32_e64 v3, |v1|, s10
; %bb.1673:
	s_or_b64 exec, exec, s[6:7]
                                        ; implicit-def: $vgpr15
.LBB207_1674:
	s_andn2_saveexec_b64 s[4:5], s[4:5]
; %bb.1675:
	s_mov_b32 s6, 0x7f800000
	v_mov_b32_e32 v3, 0x7e
	v_mov_b32_e32 v16, 0x7f
	v_cmp_lt_u32_e32 vcc, s6, v15
	v_cndmask_b32_e32 v3, v3, v16, vcc
; %bb.1676:
	s_or_b64 exec, exec, s[4:5]
	v_lshrrev_b32_e32 v1, 24, v1
	s_movk_i32 s4, 0x80
	v_and_or_b32 v1, v1, s4, v3
	global_store_byte v[5:6], v1, off
.LBB207_1677:
	s_mov_b64 s[4:5], 0
.LBB207_1678:
	s_andn2_b64 vcc, exec, s[4:5]
	s_cbranch_vccnz .LBB207_1688
; %bb.1679:
	v_xor_b32_e32 v3, v7, v8
	v_ffbh_i32_e32 v1, v8
	v_ashrrev_i32_e32 v3, 31, v3
	v_add_u32_e32 v1, -1, v1
	v_add_u32_e32 v3, 32, v3
	v_min_u32_e32 v1, v1, v3
	v_lshlrev_b64 v[15:16], v1, v[7:8]
	v_sub_u32_e32 v1, 32, v1
	v_min_u32_e32 v3, 1, v15
	v_or_b32_e32 v3, v16, v3
	v_cvt_f32_i32_e32 v3, v3
	s_mov_b32 s4, 0x47800000
	v_ldexp_f32 v1, v3, v1
	v_and_b32_e32 v15, 0x7fffffff, v1
	v_cmp_gt_u32_e32 vcc, s4, v15
                                        ; implicit-def: $vgpr3
	s_and_saveexec_b64 s[4:5], vcc
	s_xor_b64 s[4:5], exec, s[4:5]
	s_cbranch_execz .LBB207_1685
; %bb.1680:
	s_mov_b32 s6, 0x387fffff
	v_cmp_lt_u32_e32 vcc, s6, v15
                                        ; implicit-def: $vgpr3
	s_and_saveexec_b64 s[6:7], vcc
	s_xor_b64 s[6:7], exec, s[6:7]
; %bb.1681:
	v_bfe_u32 v3, v1, 21, 1
	s_mov_b32 s10, 0x80fffff
	v_add3_u32 v3, v1, v3, s10
	v_lshrrev_b32_e32 v3, 21, v3
; %bb.1682:
	s_andn2_saveexec_b64 s[6:7], s[6:7]
; %bb.1683:
	s_mov_b32 s10, 0x43000000
	v_add_f32_e64 v3, |v1|, s10
; %bb.1684:
	s_or_b64 exec, exec, s[6:7]
                                        ; implicit-def: $vgpr15
.LBB207_1685:
	s_andn2_saveexec_b64 s[4:5], s[4:5]
; %bb.1686:
	s_mov_b32 s6, 0x7f800000
	v_mov_b32_e32 v3, 0x7c
	v_mov_b32_e32 v16, 0x7f
	v_cmp_lt_u32_e32 vcc, s6, v15
	v_cndmask_b32_e32 v3, v3, v16, vcc
; %bb.1687:
	s_or_b64 exec, exec, s[4:5]
	v_lshrrev_b32_e32 v1, 24, v1
	s_movk_i32 s4, 0x80
	v_and_or_b32 v1, v1, s4, v3
	global_store_byte v[5:6], v1, off
.LBB207_1688:
	s_mov_b64 s[4:5], 0
	s_mov_b64 s[6:7], -1
.LBB207_1689:
	s_andn2_b64 vcc, exec, s[4:5]
	s_mov_b64 s[4:5], 0
	s_cbranch_vccnz .LBB207_1696
; %bb.1690:
	s_cmp_gt_i32 s16, 14
	s_mov_b64 s[10:11], -1
	s_cbranch_scc0 .LBB207_1694
; %bb.1691:
	s_cmp_eq_u32 s16, 15
	s_mov_b64 s[0:1], -1
	s_cbranch_scc0 .LBB207_1693
; %bb.1692:
	v_xor_b32_e32 v3, v7, v8
	v_ffbh_i32_e32 v1, v8
	v_ashrrev_i32_e32 v3, 31, v3
	v_add_u32_e32 v1, -1, v1
	v_add_u32_e32 v3, 32, v3
	v_min_u32_e32 v1, v1, v3
	v_lshlrev_b64 v[15:16], v1, v[7:8]
	v_sub_u32_e32 v1, 32, v1
	v_min_u32_e32 v3, 1, v15
	v_or_b32_e32 v3, v16, v3
	v_cvt_f32_i32_e32 v3, v3
	s_movk_i32 s0, 0x7fff
	s_mov_b64 s[6:7], -1
	v_ldexp_f32 v1, v3, v1
	v_bfe_u32 v3, v1, 16, 1
	v_add3_u32 v1, v1, v3, s0
	global_store_short_d16_hi v[5:6], v1, off
	s_mov_b64 s[0:1], 0
.LBB207_1693:
	s_mov_b64 s[10:11], 0
.LBB207_1694:
	s_and_b64 vcc, exec, s[10:11]
	s_cbranch_vccz .LBB207_1696
; %bb.1695:
	s_cmp_lg_u32 s16, 11
	s_mov_b64 s[4:5], -1
	s_cselect_b64 s[0:1], -1, 0
.LBB207_1696:
	s_and_b64 vcc, exec, s[0:1]
	s_cbranch_vccnz .LBB207_2104
; %bb.1697:
	s_andn2_b64 vcc, exec, s[4:5]
	s_cbranch_vccnz .LBB207_1699
.LBB207_1698:
	v_cmp_ne_u64_e32 vcc, 0, v[7:8]
	s_mov_b64 s[6:7], -1
	v_cndmask_b32_e64 v1, 0, 1, vcc
	global_store_byte v[5:6], v1, off
.LBB207_1699:
	s_mov_b64 s[0:1], 0
	s_branch .LBB207_1701
.LBB207_1700:
	s_mov_b64 s[0:1], -1
	s_mov_b64 s[6:7], 0
.LBB207_1701:
	s_and_b64 vcc, exec, s[0:1]
	s_cbranch_vccz .LBB207_1740
; %bb.1702:
	s_and_b32 s4, 0xffff, s14
	s_cmp_lt_i32 s4, 5
	s_mov_b64 s[0:1], -1
	s_cbranch_scc1 .LBB207_1723
; %bb.1703:
	s_cmp_lt_i32 s4, 8
	s_cbranch_scc1 .LBB207_1713
; %bb.1704:
	s_cmp_lt_i32 s4, 9
	s_cbranch_scc1 .LBB207_1710
; %bb.1705:
	s_cmp_gt_i32 s4, 9
	s_cbranch_scc0 .LBB207_1707
; %bb.1706:
	v_cvt_f64_i32_e32 v[15:16], v8
	v_cvt_f64_u32_e32 v[17:18], v7
	s_mov_b64 s[0:1], 0
	v_ldexp_f64 v[15:16], v[15:16], 32
	v_add_f64 v[15:16], v[15:16], v[17:18]
	v_mov_b32_e32 v17, 0
	v_mov_b32_e32 v18, v17
	global_store_dwordx4 v[5:6], v[15:18], off
.LBB207_1707:
	s_andn2_b64 vcc, exec, s[0:1]
	s_cbranch_vccnz .LBB207_1709
; %bb.1708:
	v_xor_b32_e32 v3, v7, v8
	v_ffbh_i32_e32 v1, v8
	v_ashrrev_i32_e32 v3, 31, v3
	v_add_u32_e32 v1, -1, v1
	v_add_u32_e32 v3, 32, v3
	v_min_u32_e32 v1, v1, v3
	v_lshlrev_b64 v[15:16], v1, v[7:8]
	v_sub_u32_e32 v1, 32, v1
	v_min_u32_e32 v3, 1, v15
	v_or_b32_e32 v3, v16, v3
	v_cvt_f32_i32_e32 v3, v3
	v_mov_b32_e32 v16, 0
	v_ldexp_f32 v15, v3, v1
	global_store_dwordx2 v[5:6], v[15:16], off
.LBB207_1709:
	s_mov_b64 s[0:1], 0
.LBB207_1710:
	s_andn2_b64 vcc, exec, s[0:1]
	s_cbranch_vccnz .LBB207_1712
; %bb.1711:
	v_xor_b32_e32 v3, v7, v8
	v_ffbh_i32_e32 v1, v8
	v_ashrrev_i32_e32 v3, 31, v3
	v_add_u32_e32 v1, -1, v1
	v_add_u32_e32 v3, 32, v3
	v_min_u32_e32 v1, v1, v3
	v_lshlrev_b64 v[15:16], v1, v[7:8]
	v_sub_u32_e32 v1, 32, v1
	v_min_u32_e32 v3, 1, v15
	v_or_b32_e32 v3, v16, v3
	v_cvt_f32_i32_e32 v3, v3
	v_ldexp_f32 v1, v3, v1
	v_cvt_f16_f32_e32 v1, v1
	global_store_dword v[5:6], v1, off
.LBB207_1712:
	s_mov_b64 s[0:1], 0
.LBB207_1713:
	s_andn2_b64 vcc, exec, s[0:1]
	s_cbranch_vccnz .LBB207_1722
; %bb.1714:
	s_cmp_lt_i32 s4, 6
	s_mov_b64 s[0:1], -1
	s_cbranch_scc1 .LBB207_1720
; %bb.1715:
	s_cmp_gt_i32 s4, 6
	s_cbranch_scc0 .LBB207_1717
; %bb.1716:
	v_cvt_f64_i32_e32 v[15:16], v8
	v_cvt_f64_u32_e32 v[17:18], v7
	s_mov_b64 s[0:1], 0
	v_ldexp_f64 v[15:16], v[15:16], 32
	v_add_f64 v[15:16], v[15:16], v[17:18]
	global_store_dwordx2 v[5:6], v[15:16], off
.LBB207_1717:
	s_andn2_b64 vcc, exec, s[0:1]
	s_cbranch_vccnz .LBB207_1719
; %bb.1718:
	v_xor_b32_e32 v3, v7, v8
	v_ffbh_i32_e32 v1, v8
	v_ashrrev_i32_e32 v3, 31, v3
	v_add_u32_e32 v1, -1, v1
	v_add_u32_e32 v3, 32, v3
	v_min_u32_e32 v1, v1, v3
	v_lshlrev_b64 v[15:16], v1, v[7:8]
	v_sub_u32_e32 v1, 32, v1
	v_min_u32_e32 v3, 1, v15
	v_or_b32_e32 v3, v16, v3
	v_cvt_f32_i32_e32 v3, v3
	v_ldexp_f32 v1, v3, v1
	global_store_dword v[5:6], v1, off
.LBB207_1719:
	s_mov_b64 s[0:1], 0
.LBB207_1720:
	s_andn2_b64 vcc, exec, s[0:1]
	s_cbranch_vccnz .LBB207_1722
; %bb.1721:
	v_xor_b32_e32 v3, v7, v8
	v_ffbh_i32_e32 v1, v8
	v_ashrrev_i32_e32 v3, 31, v3
	v_add_u32_e32 v1, -1, v1
	v_add_u32_e32 v3, 32, v3
	v_min_u32_e32 v1, v1, v3
	v_lshlrev_b64 v[15:16], v1, v[7:8]
	v_sub_u32_e32 v1, 32, v1
	v_min_u32_e32 v3, 1, v15
	v_or_b32_e32 v3, v16, v3
	v_cvt_f32_i32_e32 v3, v3
	v_ldexp_f32 v1, v3, v1
	v_cvt_f16_f32_e32 v1, v1
	global_store_short v[5:6], v1, off
.LBB207_1722:
	s_mov_b64 s[0:1], 0
.LBB207_1723:
	s_andn2_b64 vcc, exec, s[0:1]
	s_cbranch_vccnz .LBB207_1739
; %bb.1724:
	s_cmp_lt_i32 s4, 2
	s_mov_b64 s[0:1], -1
	s_cbranch_scc1 .LBB207_1734
; %bb.1725:
	s_cmp_lt_i32 s4, 3
	s_cbranch_scc1 .LBB207_1731
; %bb.1726:
	s_cmp_gt_i32 s4, 3
	s_cbranch_scc0 .LBB207_1728
; %bb.1727:
	global_store_dwordx2 v[5:6], v[7:8], off
	s_mov_b64 s[0:1], 0
.LBB207_1728:
	s_andn2_b64 vcc, exec, s[0:1]
	s_cbranch_vccnz .LBB207_1730
; %bb.1729:
	global_store_dword v[5:6], v7, off
.LBB207_1730:
	s_mov_b64 s[0:1], 0
.LBB207_1731:
	s_andn2_b64 vcc, exec, s[0:1]
	s_cbranch_vccnz .LBB207_1733
; %bb.1732:
	global_store_short v[5:6], v7, off
.LBB207_1733:
	s_mov_b64 s[0:1], 0
.LBB207_1734:
	s_andn2_b64 vcc, exec, s[0:1]
	s_cbranch_vccnz .LBB207_1739
; %bb.1735:
	s_cmp_gt_i32 s4, 0
	s_mov_b64 s[0:1], -1
	s_cbranch_scc0 .LBB207_1737
; %bb.1736:
	global_store_byte v[5:6], v7, off
	s_mov_b64 s[0:1], 0
.LBB207_1737:
	s_andn2_b64 vcc, exec, s[0:1]
	s_cbranch_vccnz .LBB207_1739
; %bb.1738:
	global_store_byte v[5:6], v7, off
.LBB207_1739:
	s_mov_b64 s[6:7], -1
.LBB207_1740:
	s_andn2_b64 vcc, exec, s[6:7]
	s_cbranch_vccnz .LBB207_2055
; %bb.1741:
	v_ashrrev_i64 v[5:6], s15, v[9:10]
	v_mov_b32_e32 v1, s9
	s_and_b32 s16, 0xffff, s14
	v_add_co_u32_e32 v3, vcc, s8, v4
	s_cmp_lt_i32 s16, 11
	v_addc_co_u32_e32 v4, vcc, 0, v1, vcc
	s_cbranch_scc1 .LBB207_1819
; %bb.1742:
	s_mov_b64 s[10:11], -1
	s_mov_b64 s[4:5], 0
	s_cmp_gt_i32 s16, 25
	s_mov_b64 s[6:7], 0
	s_mov_b64 s[0:1], 0
	s_cbranch_scc0 .LBB207_1775
; %bb.1743:
	s_cmp_gt_i32 s16, 28
	s_cbranch_scc0 .LBB207_1758
; %bb.1744:
	s_cmp_gt_i32 s16, 43
	s_cbranch_scc0 .LBB207_1754
; %bb.1745:
	s_cmp_gt_i32 s16, 45
	s_cbranch_scc0 .LBB207_1748
; %bb.1746:
	s_mov_b64 s[0:1], -1
	s_mov_b64 s[10:11], 0
	s_cmp_eq_u32 s16, 46
	s_cbranch_scc0 .LBB207_1748
; %bb.1747:
	v_xor_b32_e32 v7, v5, v6
	v_ffbh_i32_e32 v1, v6
	v_ashrrev_i32_e32 v7, 31, v7
	v_add_u32_e32 v1, -1, v1
	v_add_u32_e32 v7, 32, v7
	v_min_u32_e32 v1, v1, v7
	v_lshlrev_b64 v[7:8], v1, v[5:6]
	v_sub_u32_e32 v1, 32, v1
	v_min_u32_e32 v7, 1, v7
	v_or_b32_e32 v7, v8, v7
	v_cvt_f32_i32_e32 v7, v7
	s_movk_i32 s0, 0x7fff
	s_mov_b64 s[6:7], -1
	v_ldexp_f32 v1, v7, v1
	v_bfe_u32 v7, v1, 16, 1
	v_add3_u32 v1, v1, v7, s0
	v_lshrrev_b32_e32 v1, 16, v1
	global_store_dword v[3:4], v1, off
	s_mov_b64 s[0:1], 0
.LBB207_1748:
	s_and_b64 vcc, exec, s[10:11]
	s_cbranch_vccz .LBB207_1753
; %bb.1749:
	s_cmp_eq_u32 s16, 44
	s_mov_b64 s[0:1], -1
	s_cbranch_scc0 .LBB207_1753
; %bb.1750:
	v_xor_b32_e32 v7, v5, v6
	v_ffbh_i32_e32 v1, v6
	v_ashrrev_i32_e32 v7, 31, v7
	v_add_u32_e32 v1, -1, v1
	v_add_u32_e32 v7, 32, v7
	v_min_u32_e32 v1, v1, v7
	v_lshlrev_b64 v[7:8], v1, v[5:6]
	v_sub_u32_e32 v1, 32, v1
	v_min_u32_e32 v7, 1, v7
	v_or_b32_e32 v7, v8, v7
	v_cvt_f32_i32_e32 v7, v7
	s_movk_i32 s0, 0xff
	v_mov_b32_e32 v8, 0xff
	v_ldexp_f32 v1, v7, v1
	v_bfe_u32 v7, v1, 23, 8
	v_cmp_ne_u32_e32 vcc, s0, v7
	s_and_saveexec_b64 s[6:7], vcc
; %bb.1751:
	s_mov_b32 s0, 0x3fffff
	v_lshrrev_b32_e32 v8, 23, v1
	v_and_b32_e32 v9, 0x400000, v1
	v_and_or_b32 v1, v1, s0, v7
	v_cmp_ne_u32_e32 vcc, 0, v9
	v_cmp_ne_u32_e64 s[0:1], 0, v1
	s_and_b64 s[0:1], vcc, s[0:1]
	v_cndmask_b32_e64 v1, 0, 1, s[0:1]
	v_add_u32_e32 v8, v8, v1
; %bb.1752:
	s_or_b64 exec, exec, s[6:7]
	s_mov_b64 s[0:1], 0
	s_mov_b64 s[6:7], -1
	global_store_byte v[3:4], v8, off
.LBB207_1753:
	s_mov_b64 s[10:11], 0
.LBB207_1754:
	s_and_b64 vcc, exec, s[10:11]
	s_cbranch_vccz .LBB207_1757
; %bb.1755:
	s_cmp_eq_u32 s16, 29
	s_mov_b64 s[0:1], -1
	s_cbranch_scc0 .LBB207_1757
; %bb.1756:
	global_store_dwordx2 v[3:4], v[5:6], off
	s_mov_b64 s[0:1], 0
	s_mov_b64 s[6:7], -1
.LBB207_1757:
	s_mov_b64 s[10:11], 0
.LBB207_1758:
	s_and_b64 vcc, exec, s[10:11]
	s_cbranch_vccz .LBB207_1774
; %bb.1759:
	s_cmp_lt_i32 s16, 27
	s_mov_b64 s[6:7], -1
	s_cbranch_scc1 .LBB207_1765
; %bb.1760:
	s_cmp_gt_i32 s16, 27
	s_cbranch_scc0 .LBB207_1762
; %bb.1761:
	s_mov_b64 s[6:7], 0
	global_store_dword v[3:4], v5, off
.LBB207_1762:
	s_andn2_b64 vcc, exec, s[6:7]
	s_cbranch_vccnz .LBB207_1764
; %bb.1763:
	global_store_short v[3:4], v5, off
.LBB207_1764:
	s_mov_b64 s[6:7], 0
.LBB207_1765:
	s_andn2_b64 vcc, exec, s[6:7]
	s_cbranch_vccnz .LBB207_1773
; %bb.1766:
	v_xor_b32_e32 v7, v5, v6
	v_ffbh_i32_e32 v1, v6
	v_ashrrev_i32_e32 v7, 31, v7
	v_add_u32_e32 v1, -1, v1
	v_add_u32_e32 v7, 32, v7
	v_min_u32_e32 v1, v1, v7
	v_lshlrev_b64 v[7:8], v1, v[5:6]
	v_sub_u32_e32 v1, 32, v1
	v_min_u32_e32 v7, 1, v7
	v_or_b32_e32 v7, v8, v7
	v_cvt_f32_i32_e32 v7, v7
	s_mov_b32 s6, 0x43800000
	v_mov_b32_e32 v8, 0x80
	v_ldexp_f32 v1, v7, v1
	v_and_b32_e32 v7, 0x7fffffff, v1
	v_cmp_gt_u32_e32 vcc, s6, v7
	s_and_saveexec_b64 s[6:7], vcc
	s_cbranch_execz .LBB207_1772
; %bb.1767:
	s_mov_b32 s10, 0x3bffffff
	v_cmp_lt_u32_e32 vcc, s10, v7
	s_mov_b64 s[10:11], 0
                                        ; implicit-def: $vgpr7
	s_and_saveexec_b64 s[12:13], vcc
	s_xor_b64 s[12:13], exec, s[12:13]
	s_cbranch_execz .LBB207_2107
; %bb.1768:
	v_bfe_u32 v7, v1, 20, 1
	s_mov_b32 s17, 0x487ffff
	v_add3_u32 v7, v1, v7, s17
	s_mov_b64 s[10:11], exec
	v_lshrrev_b32_e32 v7, 20, v7
	s_andn2_saveexec_b64 s[12:13], s[12:13]
	s_cbranch_execnz .LBB207_2108
.LBB207_1769:
	s_or_b64 exec, exec, s[12:13]
	v_mov_b32_e32 v8, 0
	s_and_saveexec_b64 s[12:13], s[10:11]
.LBB207_1770:
	v_lshrrev_b32_e32 v1, 24, v1
	s_movk_i32 s10, 0x80
	v_and_or_b32 v8, v1, s10, v7
.LBB207_1771:
	s_or_b64 exec, exec, s[12:13]
.LBB207_1772:
	s_or_b64 exec, exec, s[6:7]
	global_store_byte v[3:4], v8, off
.LBB207_1773:
	s_mov_b64 s[6:7], -1
.LBB207_1774:
	s_mov_b64 s[10:11], 0
.LBB207_1775:
	s_and_b64 vcc, exec, s[10:11]
	s_cbranch_vccz .LBB207_1815
; %bb.1776:
	s_cmp_gt_i32 s16, 22
	s_mov_b64 s[4:5], -1
	s_cbranch_scc0 .LBB207_1808
; %bb.1777:
	s_cmp_lt_i32 s16, 24
	s_cbranch_scc1 .LBB207_1797
; %bb.1778:
	s_cmp_gt_i32 s16, 24
	s_cbranch_scc0 .LBB207_1786
; %bb.1779:
	v_xor_b32_e32 v7, v5, v6
	v_ffbh_i32_e32 v1, v6
	v_ashrrev_i32_e32 v7, 31, v7
	v_add_u32_e32 v1, -1, v1
	v_add_u32_e32 v7, 32, v7
	v_min_u32_e32 v1, v1, v7
	v_lshlrev_b64 v[7:8], v1, v[5:6]
	v_sub_u32_e32 v1, 32, v1
	v_min_u32_e32 v7, 1, v7
	v_or_b32_e32 v7, v8, v7
	v_cvt_f32_i32_e32 v7, v7
	s_mov_b32 s4, 0x47800000
	v_mov_b32_e32 v8, 0x80
	v_ldexp_f32 v1, v7, v1
	v_and_b32_e32 v7, 0x7fffffff, v1
	v_cmp_gt_u32_e32 vcc, s4, v7
	s_and_saveexec_b64 s[4:5], vcc
	s_cbranch_execz .LBB207_1785
; %bb.1780:
	s_mov_b32 s6, 0x37ffffff
	v_cmp_lt_u32_e32 vcc, s6, v7
	s_mov_b64 s[6:7], 0
                                        ; implicit-def: $vgpr7
	s_and_saveexec_b64 s[10:11], vcc
	s_xor_b64 s[10:11], exec, s[10:11]
	s_cbranch_execz .LBB207_2110
; %bb.1781:
	v_bfe_u32 v7, v1, 21, 1
	s_mov_b32 s12, 0x88fffff
	v_add3_u32 v7, v1, v7, s12
	s_mov_b64 s[6:7], exec
	v_lshrrev_b32_e32 v7, 21, v7
	s_andn2_saveexec_b64 s[10:11], s[10:11]
	s_cbranch_execnz .LBB207_2111
.LBB207_1782:
	s_or_b64 exec, exec, s[10:11]
	v_mov_b32_e32 v8, 0
	s_and_saveexec_b64 s[10:11], s[6:7]
.LBB207_1783:
	v_lshrrev_b32_e32 v1, 24, v1
	s_movk_i32 s6, 0x80
	v_and_or_b32 v8, v1, s6, v7
.LBB207_1784:
	s_or_b64 exec, exec, s[10:11]
.LBB207_1785:
	s_or_b64 exec, exec, s[4:5]
	s_mov_b64 s[4:5], 0
	global_store_byte v[3:4], v8, off
.LBB207_1786:
	s_and_b64 vcc, exec, s[4:5]
	s_cbranch_vccz .LBB207_1796
; %bb.1787:
	v_xor_b32_e32 v7, v5, v6
	v_ffbh_i32_e32 v1, v6
	v_ashrrev_i32_e32 v7, 31, v7
	v_add_u32_e32 v1, -1, v1
	v_add_u32_e32 v7, 32, v7
	v_min_u32_e32 v1, v1, v7
	v_lshlrev_b64 v[7:8], v1, v[5:6]
	v_sub_u32_e32 v1, 32, v1
	v_min_u32_e32 v7, 1, v7
	v_or_b32_e32 v7, v8, v7
	v_cvt_f32_i32_e32 v7, v7
	s_mov_b32 s4, 0x43f00000
	v_ldexp_f32 v1, v7, v1
	v_and_b32_e32 v8, 0x7fffffff, v1
	v_cmp_gt_u32_e32 vcc, s4, v8
                                        ; implicit-def: $vgpr7
	s_and_saveexec_b64 s[4:5], vcc
	s_xor_b64 s[4:5], exec, s[4:5]
	s_cbranch_execz .LBB207_1793
; %bb.1788:
	s_mov_b32 s6, 0x3c7fffff
	v_cmp_lt_u32_e32 vcc, s6, v8
                                        ; implicit-def: $vgpr7
	s_and_saveexec_b64 s[6:7], vcc
	s_xor_b64 s[6:7], exec, s[6:7]
; %bb.1789:
	v_bfe_u32 v7, v1, 20, 1
	s_mov_b32 s10, 0x407ffff
	v_add3_u32 v7, v1, v7, s10
	v_lshrrev_b32_e32 v8, 20, v7
	v_and_b32_e32 v7, 0xff00000, v7
	s_mov_b32 s10, 0x7f00000
	v_mov_b32_e32 v9, 0x7e
	v_cmp_ne_u32_e32 vcc, s10, v7
	v_cndmask_b32_e32 v7, v9, v8, vcc
; %bb.1790:
	s_andn2_saveexec_b64 s[6:7], s[6:7]
; %bb.1791:
	s_mov_b32 s10, 0x46800000
	v_add_f32_e64 v7, |v1|, s10
; %bb.1792:
	s_or_b64 exec, exec, s[6:7]
                                        ; implicit-def: $vgpr8
.LBB207_1793:
	s_andn2_saveexec_b64 s[4:5], s[4:5]
; %bb.1794:
	s_mov_b32 s6, 0x7f800000
	v_mov_b32_e32 v7, 0x7e
	v_mov_b32_e32 v9, 0x7f
	v_cmp_lt_u32_e32 vcc, s6, v8
	v_cndmask_b32_e32 v7, v7, v9, vcc
; %bb.1795:
	s_or_b64 exec, exec, s[4:5]
	v_lshrrev_b32_e32 v1, 24, v1
	s_movk_i32 s4, 0x80
	v_and_or_b32 v1, v1, s4, v7
	global_store_byte v[3:4], v1, off
.LBB207_1796:
	s_mov_b64 s[4:5], 0
.LBB207_1797:
	s_andn2_b64 vcc, exec, s[4:5]
	s_cbranch_vccnz .LBB207_1807
; %bb.1798:
	v_xor_b32_e32 v7, v5, v6
	v_ffbh_i32_e32 v1, v6
	v_ashrrev_i32_e32 v7, 31, v7
	v_add_u32_e32 v1, -1, v1
	v_add_u32_e32 v7, 32, v7
	v_min_u32_e32 v1, v1, v7
	v_lshlrev_b64 v[7:8], v1, v[5:6]
	v_sub_u32_e32 v1, 32, v1
	v_min_u32_e32 v7, 1, v7
	v_or_b32_e32 v7, v8, v7
	v_cvt_f32_i32_e32 v7, v7
	s_mov_b32 s4, 0x47800000
	v_ldexp_f32 v1, v7, v1
	v_and_b32_e32 v8, 0x7fffffff, v1
	v_cmp_gt_u32_e32 vcc, s4, v8
                                        ; implicit-def: $vgpr7
	s_and_saveexec_b64 s[4:5], vcc
	s_xor_b64 s[4:5], exec, s[4:5]
	s_cbranch_execz .LBB207_1804
; %bb.1799:
	s_mov_b32 s6, 0x387fffff
	v_cmp_lt_u32_e32 vcc, s6, v8
                                        ; implicit-def: $vgpr7
	s_and_saveexec_b64 s[6:7], vcc
	s_xor_b64 s[6:7], exec, s[6:7]
; %bb.1800:
	v_bfe_u32 v7, v1, 21, 1
	s_mov_b32 s10, 0x80fffff
	v_add3_u32 v7, v1, v7, s10
	v_lshrrev_b32_e32 v7, 21, v7
; %bb.1801:
	s_andn2_saveexec_b64 s[6:7], s[6:7]
; %bb.1802:
	s_mov_b32 s10, 0x43000000
	v_add_f32_e64 v7, |v1|, s10
; %bb.1803:
	s_or_b64 exec, exec, s[6:7]
                                        ; implicit-def: $vgpr8
.LBB207_1804:
	s_andn2_saveexec_b64 s[4:5], s[4:5]
; %bb.1805:
	s_mov_b32 s6, 0x7f800000
	v_mov_b32_e32 v7, 0x7c
	v_mov_b32_e32 v9, 0x7f
	v_cmp_lt_u32_e32 vcc, s6, v8
	v_cndmask_b32_e32 v7, v7, v9, vcc
; %bb.1806:
	s_or_b64 exec, exec, s[4:5]
	v_lshrrev_b32_e32 v1, 24, v1
	s_movk_i32 s4, 0x80
	v_and_or_b32 v1, v1, s4, v7
	global_store_byte v[3:4], v1, off
.LBB207_1807:
	s_mov_b64 s[4:5], 0
	s_mov_b64 s[6:7], -1
.LBB207_1808:
	s_andn2_b64 vcc, exec, s[4:5]
	s_mov_b64 s[4:5], 0
	s_cbranch_vccnz .LBB207_1815
; %bb.1809:
	s_cmp_gt_i32 s16, 14
	s_mov_b64 s[10:11], -1
	s_cbranch_scc0 .LBB207_1813
; %bb.1810:
	s_cmp_eq_u32 s16, 15
	s_mov_b64 s[0:1], -1
	s_cbranch_scc0 .LBB207_1812
; %bb.1811:
	v_xor_b32_e32 v7, v5, v6
	v_ffbh_i32_e32 v1, v6
	v_ashrrev_i32_e32 v7, 31, v7
	v_add_u32_e32 v1, -1, v1
	v_add_u32_e32 v7, 32, v7
	v_min_u32_e32 v1, v1, v7
	v_lshlrev_b64 v[7:8], v1, v[5:6]
	v_sub_u32_e32 v1, 32, v1
	v_min_u32_e32 v7, 1, v7
	v_or_b32_e32 v7, v8, v7
	v_cvt_f32_i32_e32 v7, v7
	s_movk_i32 s0, 0x7fff
	s_mov_b64 s[6:7], -1
	v_ldexp_f32 v1, v7, v1
	v_bfe_u32 v7, v1, 16, 1
	v_add3_u32 v1, v1, v7, s0
	global_store_short_d16_hi v[3:4], v1, off
	s_mov_b64 s[0:1], 0
.LBB207_1812:
	s_mov_b64 s[10:11], 0
.LBB207_1813:
	s_and_b64 vcc, exec, s[10:11]
	s_cbranch_vccz .LBB207_1815
; %bb.1814:
	s_cmp_lg_u32 s16, 11
	s_mov_b64 s[4:5], -1
	s_cselect_b64 s[0:1], -1, 0
.LBB207_1815:
	s_and_b64 vcc, exec, s[0:1]
	s_cbranch_vccnz .LBB207_2109
; %bb.1816:
	s_andn2_b64 vcc, exec, s[4:5]
	s_cbranch_vccnz .LBB207_1818
.LBB207_1817:
	v_cmp_ne_u64_e32 vcc, 0, v[5:6]
	s_mov_b64 s[6:7], -1
	v_cndmask_b32_e64 v1, 0, 1, vcc
	global_store_byte v[3:4], v1, off
.LBB207_1818:
	s_mov_b64 s[0:1], 0
	s_branch .LBB207_1820
.LBB207_1819:
	s_mov_b64 s[0:1], -1
	s_mov_b64 s[6:7], 0
.LBB207_1820:
	s_and_b64 vcc, exec, s[0:1]
	s_cbranch_vccz .LBB207_1859
; %bb.1821:
	s_cmp_lt_i32 s16, 5
	s_mov_b64 s[0:1], -1
	s_cbranch_scc1 .LBB207_1842
; %bb.1822:
	s_cmp_lt_i32 s16, 8
	s_cbranch_scc1 .LBB207_1832
; %bb.1823:
	s_cmp_lt_i32 s16, 9
	s_cbranch_scc1 .LBB207_1829
; %bb.1824:
	s_cmp_gt_i32 s16, 9
	s_cbranch_scc0 .LBB207_1826
; %bb.1825:
	v_cvt_f64_i32_e32 v[7:8], v6
	v_cvt_f64_u32_e32 v[9:10], v5
	s_mov_b64 s[0:1], 0
	v_ldexp_f64 v[7:8], v[7:8], 32
	v_add_f64 v[7:8], v[7:8], v[9:10]
	v_mov_b32_e32 v9, 0
	v_mov_b32_e32 v10, v9
	global_store_dwordx4 v[3:4], v[7:10], off
.LBB207_1826:
	s_andn2_b64 vcc, exec, s[0:1]
	s_cbranch_vccnz .LBB207_1828
; %bb.1827:
	v_xor_b32_e32 v7, v5, v6
	v_ffbh_i32_e32 v1, v6
	v_ashrrev_i32_e32 v7, 31, v7
	v_add_u32_e32 v1, -1, v1
	v_add_u32_e32 v7, 32, v7
	v_min_u32_e32 v1, v1, v7
	v_lshlrev_b64 v[7:8], v1, v[5:6]
	v_sub_u32_e32 v1, 32, v1
	v_min_u32_e32 v7, 1, v7
	v_or_b32_e32 v7, v8, v7
	v_cvt_f32_i32_e32 v7, v7
	v_mov_b32_e32 v8, 0
	v_ldexp_f32 v7, v7, v1
	global_store_dwordx2 v[3:4], v[7:8], off
.LBB207_1828:
	s_mov_b64 s[0:1], 0
.LBB207_1829:
	s_andn2_b64 vcc, exec, s[0:1]
	s_cbranch_vccnz .LBB207_1831
; %bb.1830:
	v_xor_b32_e32 v7, v5, v6
	v_ffbh_i32_e32 v1, v6
	v_ashrrev_i32_e32 v7, 31, v7
	v_add_u32_e32 v1, -1, v1
	v_add_u32_e32 v7, 32, v7
	v_min_u32_e32 v1, v1, v7
	v_lshlrev_b64 v[7:8], v1, v[5:6]
	v_sub_u32_e32 v1, 32, v1
	v_min_u32_e32 v7, 1, v7
	v_or_b32_e32 v7, v8, v7
	v_cvt_f32_i32_e32 v7, v7
	v_ldexp_f32 v1, v7, v1
	v_cvt_f16_f32_e32 v1, v1
	global_store_dword v[3:4], v1, off
.LBB207_1831:
	s_mov_b64 s[0:1], 0
.LBB207_1832:
	s_andn2_b64 vcc, exec, s[0:1]
	s_cbranch_vccnz .LBB207_1841
; %bb.1833:
	s_cmp_lt_i32 s16, 6
	s_mov_b64 s[0:1], -1
	s_cbranch_scc1 .LBB207_1839
; %bb.1834:
	s_cmp_gt_i32 s16, 6
	s_cbranch_scc0 .LBB207_1836
; %bb.1835:
	v_cvt_f64_i32_e32 v[7:8], v6
	v_cvt_f64_u32_e32 v[9:10], v5
	s_mov_b64 s[0:1], 0
	v_ldexp_f64 v[7:8], v[7:8], 32
	v_add_f64 v[7:8], v[7:8], v[9:10]
	global_store_dwordx2 v[3:4], v[7:8], off
.LBB207_1836:
	s_andn2_b64 vcc, exec, s[0:1]
	s_cbranch_vccnz .LBB207_1838
; %bb.1837:
	v_xor_b32_e32 v7, v5, v6
	v_ffbh_i32_e32 v1, v6
	v_ashrrev_i32_e32 v7, 31, v7
	v_add_u32_e32 v1, -1, v1
	v_add_u32_e32 v7, 32, v7
	v_min_u32_e32 v1, v1, v7
	v_lshlrev_b64 v[7:8], v1, v[5:6]
	v_sub_u32_e32 v1, 32, v1
	v_min_u32_e32 v7, 1, v7
	v_or_b32_e32 v7, v8, v7
	v_cvt_f32_i32_e32 v7, v7
	v_ldexp_f32 v1, v7, v1
	global_store_dword v[3:4], v1, off
.LBB207_1838:
	s_mov_b64 s[0:1], 0
.LBB207_1839:
	s_andn2_b64 vcc, exec, s[0:1]
	s_cbranch_vccnz .LBB207_1841
; %bb.1840:
	v_xor_b32_e32 v7, v5, v6
	v_ffbh_i32_e32 v1, v6
	v_ashrrev_i32_e32 v7, 31, v7
	v_add_u32_e32 v1, -1, v1
	v_add_u32_e32 v7, 32, v7
	v_min_u32_e32 v1, v1, v7
	v_lshlrev_b64 v[7:8], v1, v[5:6]
	v_sub_u32_e32 v1, 32, v1
	v_min_u32_e32 v7, 1, v7
	v_or_b32_e32 v7, v8, v7
	v_cvt_f32_i32_e32 v7, v7
	v_ldexp_f32 v1, v7, v1
	v_cvt_f16_f32_e32 v1, v1
	global_store_short v[3:4], v1, off
.LBB207_1841:
	s_mov_b64 s[0:1], 0
.LBB207_1842:
	s_andn2_b64 vcc, exec, s[0:1]
	s_cbranch_vccnz .LBB207_1858
; %bb.1843:
	s_cmp_lt_i32 s16, 2
	s_mov_b64 s[0:1], -1
	s_cbranch_scc1 .LBB207_1853
; %bb.1844:
	s_cmp_lt_i32 s16, 3
	s_cbranch_scc1 .LBB207_1850
; %bb.1845:
	s_cmp_gt_i32 s16, 3
	s_cbranch_scc0 .LBB207_1847
; %bb.1846:
	global_store_dwordx2 v[3:4], v[5:6], off
	s_mov_b64 s[0:1], 0
.LBB207_1847:
	s_andn2_b64 vcc, exec, s[0:1]
	s_cbranch_vccnz .LBB207_1849
; %bb.1848:
	global_store_dword v[3:4], v5, off
.LBB207_1849:
	s_mov_b64 s[0:1], 0
.LBB207_1850:
	s_andn2_b64 vcc, exec, s[0:1]
	s_cbranch_vccnz .LBB207_1852
; %bb.1851:
	global_store_short v[3:4], v5, off
.LBB207_1852:
	s_mov_b64 s[0:1], 0
.LBB207_1853:
	s_andn2_b64 vcc, exec, s[0:1]
	s_cbranch_vccnz .LBB207_1858
; %bb.1854:
	s_cmp_gt_i32 s16, 0
	s_mov_b64 s[0:1], -1
	s_cbranch_scc0 .LBB207_1856
; %bb.1855:
	global_store_byte v[3:4], v5, off
	s_mov_b64 s[0:1], 0
.LBB207_1856:
	s_andn2_b64 vcc, exec, s[0:1]
	s_cbranch_vccnz .LBB207_1858
; %bb.1857:
	global_store_byte v[3:4], v5, off
.LBB207_1858:
	s_mov_b64 s[6:7], -1
.LBB207_1859:
	s_andn2_b64 vcc, exec, s[6:7]
	s_cbranch_vccnz .LBB207_2055
; %bb.1860:
	v_ashrrev_i64 v[3:4], s15, v[11:12]
	v_mov_b32_e32 v5, s9
	v_add_co_u32_e32 v1, vcc, s8, v2
	s_cmp_lt_i32 s16, 11
	v_addc_co_u32_e32 v2, vcc, 0, v5, vcc
	s_cbranch_scc1 .LBB207_1938
; %bb.1861:
	s_mov_b64 s[10:11], -1
	s_mov_b64 s[4:5], 0
	s_cmp_gt_i32 s16, 25
	s_mov_b64 s[6:7], 0
	s_mov_b64 s[0:1], 0
	s_cbranch_scc0 .LBB207_1894
; %bb.1862:
	s_cmp_gt_i32 s16, 28
	s_cbranch_scc0 .LBB207_1877
; %bb.1863:
	s_cmp_gt_i32 s16, 43
	;; [unrolled: 3-line block ×3, first 2 shown]
	s_cbranch_scc0 .LBB207_1867
; %bb.1865:
	s_mov_b64 s[0:1], -1
	s_mov_b64 s[10:11], 0
	s_cmp_eq_u32 s16, 46
	s_cbranch_scc0 .LBB207_1867
; %bb.1866:
	v_xor_b32_e32 v6, v3, v4
	v_ffbh_i32_e32 v5, v4
	v_ashrrev_i32_e32 v6, 31, v6
	v_add_u32_e32 v5, -1, v5
	v_add_u32_e32 v6, 32, v6
	v_min_u32_e32 v7, v5, v6
	v_lshlrev_b64 v[5:6], v7, v[3:4]
	s_movk_i32 s0, 0x7fff
	v_min_u32_e32 v5, 1, v5
	v_or_b32_e32 v5, v6, v5
	v_cvt_f32_i32_e32 v5, v5
	v_sub_u32_e32 v6, 32, v7
	s_mov_b64 s[6:7], -1
	v_ldexp_f32 v5, v5, v6
	v_bfe_u32 v6, v5, 16, 1
	v_add3_u32 v5, v5, v6, s0
	v_lshrrev_b32_e32 v5, 16, v5
	global_store_dword v[1:2], v5, off
	s_mov_b64 s[0:1], 0
.LBB207_1867:
	s_and_b64 vcc, exec, s[10:11]
	s_cbranch_vccz .LBB207_1872
; %bb.1868:
	s_cmp_eq_u32 s16, 44
	s_mov_b64 s[0:1], -1
	s_cbranch_scc0 .LBB207_1872
; %bb.1869:
	v_xor_b32_e32 v6, v3, v4
	v_ffbh_i32_e32 v5, v4
	v_ashrrev_i32_e32 v6, 31, v6
	v_add_u32_e32 v5, -1, v5
	v_add_u32_e32 v6, 32, v6
	v_min_u32_e32 v7, v5, v6
	v_lshlrev_b64 v[5:6], v7, v[3:4]
	s_movk_i32 s0, 0xff
	v_min_u32_e32 v5, 1, v5
	v_or_b32_e32 v5, v6, v5
	v_cvt_f32_i32_e32 v5, v5
	v_sub_u32_e32 v6, 32, v7
	v_mov_b32_e32 v7, 0xff
	v_ldexp_f32 v5, v5, v6
	v_bfe_u32 v6, v5, 23, 8
	v_cmp_ne_u32_e32 vcc, s0, v6
	s_and_saveexec_b64 s[6:7], vcc
; %bb.1870:
	s_mov_b32 s0, 0x3fffff
	v_lshrrev_b32_e32 v7, 23, v5
	v_and_b32_e32 v8, 0x400000, v5
	v_and_or_b32 v5, v5, s0, v6
	v_cmp_ne_u32_e32 vcc, 0, v8
	v_cmp_ne_u32_e64 s[0:1], 0, v5
	s_and_b64 s[0:1], vcc, s[0:1]
	v_cndmask_b32_e64 v5, 0, 1, s[0:1]
	v_add_u32_e32 v7, v7, v5
; %bb.1871:
	s_or_b64 exec, exec, s[6:7]
	s_mov_b64 s[0:1], 0
	s_mov_b64 s[6:7], -1
	global_store_byte v[1:2], v7, off
.LBB207_1872:
	s_mov_b64 s[10:11], 0
.LBB207_1873:
	s_and_b64 vcc, exec, s[10:11]
	s_cbranch_vccz .LBB207_1876
; %bb.1874:
	s_cmp_eq_u32 s16, 29
	s_mov_b64 s[0:1], -1
	s_cbranch_scc0 .LBB207_1876
; %bb.1875:
	global_store_dwordx2 v[1:2], v[3:4], off
	s_mov_b64 s[0:1], 0
	s_mov_b64 s[6:7], -1
.LBB207_1876:
	s_mov_b64 s[10:11], 0
.LBB207_1877:
	s_and_b64 vcc, exec, s[10:11]
	s_cbranch_vccz .LBB207_1893
; %bb.1878:
	s_cmp_lt_i32 s16, 27
	s_mov_b64 s[6:7], -1
	s_cbranch_scc1 .LBB207_1884
; %bb.1879:
	s_cmp_gt_i32 s16, 27
	s_cbranch_scc0 .LBB207_1881
; %bb.1880:
	s_mov_b64 s[6:7], 0
	global_store_dword v[1:2], v3, off
.LBB207_1881:
	s_andn2_b64 vcc, exec, s[6:7]
	s_cbranch_vccnz .LBB207_1883
; %bb.1882:
	global_store_short v[1:2], v3, off
.LBB207_1883:
	s_mov_b64 s[6:7], 0
.LBB207_1884:
	s_andn2_b64 vcc, exec, s[6:7]
	s_cbranch_vccnz .LBB207_1892
; %bb.1885:
	v_xor_b32_e32 v6, v3, v4
	v_ffbh_i32_e32 v5, v4
	v_ashrrev_i32_e32 v6, 31, v6
	v_add_u32_e32 v5, -1, v5
	v_add_u32_e32 v6, 32, v6
	v_min_u32_e32 v7, v5, v6
	v_lshlrev_b64 v[5:6], v7, v[3:4]
	s_mov_b32 s6, 0x43800000
	v_min_u32_e32 v5, 1, v5
	v_or_b32_e32 v5, v6, v5
	v_cvt_f32_i32_e32 v5, v5
	v_sub_u32_e32 v6, 32, v7
	v_mov_b32_e32 v7, 0x80
	v_ldexp_f32 v5, v5, v6
	v_and_b32_e32 v6, 0x7fffffff, v5
	v_cmp_gt_u32_e32 vcc, s6, v6
	s_and_saveexec_b64 s[6:7], vcc
	s_cbranch_execz .LBB207_1891
; %bb.1886:
	s_mov_b32 s10, 0x3bffffff
	v_cmp_lt_u32_e32 vcc, s10, v6
	s_mov_b64 s[10:11], 0
                                        ; implicit-def: $vgpr6
	s_and_saveexec_b64 s[12:13], vcc
	s_xor_b64 s[12:13], exec, s[12:13]
	s_cbranch_execz .LBB207_2112
; %bb.1887:
	v_bfe_u32 v6, v5, 20, 1
	s_mov_b32 s17, 0x487ffff
	v_add3_u32 v6, v5, v6, s17
	s_mov_b64 s[10:11], exec
	v_lshrrev_b32_e32 v6, 20, v6
	s_andn2_saveexec_b64 s[12:13], s[12:13]
	s_cbranch_execnz .LBB207_2113
.LBB207_1888:
	s_or_b64 exec, exec, s[12:13]
	v_mov_b32_e32 v7, 0
	s_and_saveexec_b64 s[12:13], s[10:11]
.LBB207_1889:
	v_lshrrev_b32_e32 v5, 24, v5
	s_movk_i32 s10, 0x80
	v_and_or_b32 v7, v5, s10, v6
.LBB207_1890:
	s_or_b64 exec, exec, s[12:13]
.LBB207_1891:
	s_or_b64 exec, exec, s[6:7]
	global_store_byte v[1:2], v7, off
.LBB207_1892:
	s_mov_b64 s[6:7], -1
.LBB207_1893:
	s_mov_b64 s[10:11], 0
.LBB207_1894:
	s_and_b64 vcc, exec, s[10:11]
	s_cbranch_vccz .LBB207_1934
; %bb.1895:
	s_cmp_gt_i32 s16, 22
	s_mov_b64 s[4:5], -1
	s_cbranch_scc0 .LBB207_1927
; %bb.1896:
	s_cmp_lt_i32 s16, 24
	s_cbranch_scc1 .LBB207_1916
; %bb.1897:
	s_cmp_gt_i32 s16, 24
	s_cbranch_scc0 .LBB207_1905
; %bb.1898:
	v_xor_b32_e32 v6, v3, v4
	v_ffbh_i32_e32 v5, v4
	v_ashrrev_i32_e32 v6, 31, v6
	v_add_u32_e32 v5, -1, v5
	v_add_u32_e32 v6, 32, v6
	v_min_u32_e32 v7, v5, v6
	v_lshlrev_b64 v[5:6], v7, v[3:4]
	s_mov_b32 s4, 0x47800000
	v_min_u32_e32 v5, 1, v5
	v_or_b32_e32 v5, v6, v5
	v_cvt_f32_i32_e32 v5, v5
	v_sub_u32_e32 v6, 32, v7
	v_mov_b32_e32 v7, 0x80
	v_ldexp_f32 v5, v5, v6
	v_and_b32_e32 v6, 0x7fffffff, v5
	v_cmp_gt_u32_e32 vcc, s4, v6
	s_and_saveexec_b64 s[4:5], vcc
	s_cbranch_execz .LBB207_1904
; %bb.1899:
	s_mov_b32 s6, 0x37ffffff
	v_cmp_lt_u32_e32 vcc, s6, v6
	s_mov_b64 s[6:7], 0
                                        ; implicit-def: $vgpr6
	s_and_saveexec_b64 s[10:11], vcc
	s_xor_b64 s[10:11], exec, s[10:11]
	s_cbranch_execz .LBB207_2115
; %bb.1900:
	v_bfe_u32 v6, v5, 21, 1
	s_mov_b32 s12, 0x88fffff
	v_add3_u32 v6, v5, v6, s12
	s_mov_b64 s[6:7], exec
	v_lshrrev_b32_e32 v6, 21, v6
	s_andn2_saveexec_b64 s[10:11], s[10:11]
	s_cbranch_execnz .LBB207_2116
.LBB207_1901:
	s_or_b64 exec, exec, s[10:11]
	v_mov_b32_e32 v7, 0
	s_and_saveexec_b64 s[10:11], s[6:7]
.LBB207_1902:
	v_lshrrev_b32_e32 v5, 24, v5
	s_movk_i32 s6, 0x80
	v_and_or_b32 v7, v5, s6, v6
.LBB207_1903:
	s_or_b64 exec, exec, s[10:11]
.LBB207_1904:
	s_or_b64 exec, exec, s[4:5]
	s_mov_b64 s[4:5], 0
	global_store_byte v[1:2], v7, off
.LBB207_1905:
	s_and_b64 vcc, exec, s[4:5]
	s_cbranch_vccz .LBB207_1915
; %bb.1906:
	v_xor_b32_e32 v6, v3, v4
	v_ffbh_i32_e32 v5, v4
	v_ashrrev_i32_e32 v6, 31, v6
	v_add_u32_e32 v5, -1, v5
	v_add_u32_e32 v6, 32, v6
	v_min_u32_e32 v7, v5, v6
	v_lshlrev_b64 v[5:6], v7, v[3:4]
	s_mov_b32 s4, 0x43f00000
	v_min_u32_e32 v5, 1, v5
	v_or_b32_e32 v5, v6, v5
	v_cvt_f32_i32_e32 v5, v5
	v_sub_u32_e32 v6, 32, v7
	v_ldexp_f32 v5, v5, v6
	v_and_b32_e32 v7, 0x7fffffff, v5
	v_cmp_gt_u32_e32 vcc, s4, v7
                                        ; implicit-def: $vgpr6
	s_and_saveexec_b64 s[4:5], vcc
	s_xor_b64 s[4:5], exec, s[4:5]
	s_cbranch_execz .LBB207_1912
; %bb.1907:
	s_mov_b32 s6, 0x3c7fffff
	v_cmp_lt_u32_e32 vcc, s6, v7
                                        ; implicit-def: $vgpr6
	s_and_saveexec_b64 s[6:7], vcc
	s_xor_b64 s[6:7], exec, s[6:7]
; %bb.1908:
	v_bfe_u32 v6, v5, 20, 1
	s_mov_b32 s10, 0x407ffff
	v_add3_u32 v6, v5, v6, s10
	v_lshrrev_b32_e32 v7, 20, v6
	v_and_b32_e32 v6, 0xff00000, v6
	s_mov_b32 s10, 0x7f00000
	v_mov_b32_e32 v8, 0x7e
	v_cmp_ne_u32_e32 vcc, s10, v6
	v_cndmask_b32_e32 v6, v8, v7, vcc
; %bb.1909:
	s_andn2_saveexec_b64 s[6:7], s[6:7]
; %bb.1910:
	s_mov_b32 s10, 0x46800000
	v_add_f32_e64 v6, |v5|, s10
; %bb.1911:
	s_or_b64 exec, exec, s[6:7]
                                        ; implicit-def: $vgpr7
.LBB207_1912:
	s_andn2_saveexec_b64 s[4:5], s[4:5]
; %bb.1913:
	s_mov_b32 s6, 0x7f800000
	v_mov_b32_e32 v6, 0x7e
	v_mov_b32_e32 v8, 0x7f
	v_cmp_lt_u32_e32 vcc, s6, v7
	v_cndmask_b32_e32 v6, v6, v8, vcc
; %bb.1914:
	s_or_b64 exec, exec, s[4:5]
	v_lshrrev_b32_e32 v5, 24, v5
	s_movk_i32 s4, 0x80
	v_and_or_b32 v5, v5, s4, v6
	global_store_byte v[1:2], v5, off
.LBB207_1915:
	s_mov_b64 s[4:5], 0
.LBB207_1916:
	s_andn2_b64 vcc, exec, s[4:5]
	s_cbranch_vccnz .LBB207_1926
; %bb.1917:
	v_xor_b32_e32 v6, v3, v4
	v_ffbh_i32_e32 v5, v4
	v_ashrrev_i32_e32 v6, 31, v6
	v_add_u32_e32 v5, -1, v5
	v_add_u32_e32 v6, 32, v6
	v_min_u32_e32 v7, v5, v6
	v_lshlrev_b64 v[5:6], v7, v[3:4]
	s_mov_b32 s4, 0x47800000
	v_min_u32_e32 v5, 1, v5
	v_or_b32_e32 v5, v6, v5
	v_cvt_f32_i32_e32 v5, v5
	v_sub_u32_e32 v6, 32, v7
	v_ldexp_f32 v5, v5, v6
	v_and_b32_e32 v7, 0x7fffffff, v5
	v_cmp_gt_u32_e32 vcc, s4, v7
                                        ; implicit-def: $vgpr6
	s_and_saveexec_b64 s[4:5], vcc
	s_xor_b64 s[4:5], exec, s[4:5]
	s_cbranch_execz .LBB207_1923
; %bb.1918:
	s_mov_b32 s6, 0x387fffff
	v_cmp_lt_u32_e32 vcc, s6, v7
                                        ; implicit-def: $vgpr6
	s_and_saveexec_b64 s[6:7], vcc
	s_xor_b64 s[6:7], exec, s[6:7]
; %bb.1919:
	v_bfe_u32 v6, v5, 21, 1
	s_mov_b32 s10, 0x80fffff
	v_add3_u32 v6, v5, v6, s10
	v_lshrrev_b32_e32 v6, 21, v6
; %bb.1920:
	s_andn2_saveexec_b64 s[6:7], s[6:7]
; %bb.1921:
	s_mov_b32 s10, 0x43000000
	v_add_f32_e64 v6, |v5|, s10
; %bb.1922:
	s_or_b64 exec, exec, s[6:7]
                                        ; implicit-def: $vgpr7
.LBB207_1923:
	s_andn2_saveexec_b64 s[4:5], s[4:5]
; %bb.1924:
	s_mov_b32 s6, 0x7f800000
	v_mov_b32_e32 v6, 0x7c
	v_mov_b32_e32 v8, 0x7f
	v_cmp_lt_u32_e32 vcc, s6, v7
	v_cndmask_b32_e32 v6, v6, v8, vcc
; %bb.1925:
	s_or_b64 exec, exec, s[4:5]
	v_lshrrev_b32_e32 v5, 24, v5
	s_movk_i32 s4, 0x80
	v_and_or_b32 v5, v5, s4, v6
	global_store_byte v[1:2], v5, off
.LBB207_1926:
	s_mov_b64 s[4:5], 0
	s_mov_b64 s[6:7], -1
.LBB207_1927:
	s_andn2_b64 vcc, exec, s[4:5]
	s_mov_b64 s[4:5], 0
	s_cbranch_vccnz .LBB207_1934
; %bb.1928:
	s_cmp_gt_i32 s16, 14
	s_mov_b64 s[10:11], -1
	s_cbranch_scc0 .LBB207_1932
; %bb.1929:
	s_cmp_eq_u32 s16, 15
	s_mov_b64 s[0:1], -1
	s_cbranch_scc0 .LBB207_1931
; %bb.1930:
	v_xor_b32_e32 v6, v3, v4
	v_ffbh_i32_e32 v5, v4
	v_ashrrev_i32_e32 v6, 31, v6
	v_add_u32_e32 v5, -1, v5
	v_add_u32_e32 v6, 32, v6
	v_min_u32_e32 v7, v5, v6
	v_lshlrev_b64 v[5:6], v7, v[3:4]
	s_movk_i32 s0, 0x7fff
	v_min_u32_e32 v5, 1, v5
	v_or_b32_e32 v5, v6, v5
	v_cvt_f32_i32_e32 v5, v5
	v_sub_u32_e32 v6, 32, v7
	s_mov_b64 s[6:7], -1
	v_ldexp_f32 v5, v5, v6
	v_bfe_u32 v6, v5, 16, 1
	v_add3_u32 v5, v5, v6, s0
	global_store_short_d16_hi v[1:2], v5, off
	s_mov_b64 s[0:1], 0
.LBB207_1931:
	s_mov_b64 s[10:11], 0
.LBB207_1932:
	s_and_b64 vcc, exec, s[10:11]
	s_cbranch_vccz .LBB207_1934
; %bb.1933:
	s_cmp_lg_u32 s16, 11
	s_mov_b64 s[4:5], -1
	s_cselect_b64 s[0:1], -1, 0
.LBB207_1934:
	s_and_b64 vcc, exec, s[0:1]
	s_cbranch_vccnz .LBB207_2114
; %bb.1935:
	s_andn2_b64 vcc, exec, s[4:5]
	s_cbranch_vccnz .LBB207_1937
.LBB207_1936:
	v_cmp_ne_u64_e32 vcc, 0, v[3:4]
	s_mov_b64 s[6:7], -1
	v_cndmask_b32_e64 v5, 0, 1, vcc
	global_store_byte v[1:2], v5, off
.LBB207_1937:
	s_mov_b64 s[0:1], 0
	s_branch .LBB207_1939
.LBB207_1938:
	s_mov_b64 s[0:1], -1
	s_mov_b64 s[6:7], 0
.LBB207_1939:
	s_and_b64 vcc, exec, s[0:1]
	s_cbranch_vccz .LBB207_1978
; %bb.1940:
	s_cmp_lt_i32 s16, 5
	s_mov_b64 s[0:1], -1
	s_cbranch_scc1 .LBB207_1961
; %bb.1941:
	s_cmp_lt_i32 s16, 8
	s_cbranch_scc1 .LBB207_1951
; %bb.1942:
	s_cmp_lt_i32 s16, 9
	s_cbranch_scc1 .LBB207_1948
; %bb.1943:
	s_cmp_gt_i32 s16, 9
	s_cbranch_scc0 .LBB207_1945
; %bb.1944:
	v_cvt_f64_i32_e32 v[5:6], v4
	v_cvt_f64_u32_e32 v[7:8], v3
	s_mov_b64 s[0:1], 0
	v_ldexp_f64 v[5:6], v[5:6], 32
	v_add_f64 v[5:6], v[5:6], v[7:8]
	v_mov_b32_e32 v7, 0
	v_mov_b32_e32 v8, v7
	global_store_dwordx4 v[1:2], v[5:8], off
.LBB207_1945:
	s_andn2_b64 vcc, exec, s[0:1]
	s_cbranch_vccnz .LBB207_1947
; %bb.1946:
	v_xor_b32_e32 v6, v3, v4
	v_ffbh_i32_e32 v5, v4
	v_ashrrev_i32_e32 v6, 31, v6
	v_add_u32_e32 v5, -1, v5
	v_add_u32_e32 v6, 32, v6
	v_min_u32_e32 v7, v5, v6
	v_lshlrev_b64 v[5:6], v7, v[3:4]
	v_min_u32_e32 v5, 1, v5
	v_or_b32_e32 v5, v6, v5
	v_cvt_f32_i32_e32 v5, v5
	v_sub_u32_e32 v6, 32, v7
	v_ldexp_f32 v5, v5, v6
	v_mov_b32_e32 v6, 0
	global_store_dwordx2 v[1:2], v[5:6], off
.LBB207_1947:
	s_mov_b64 s[0:1], 0
.LBB207_1948:
	s_andn2_b64 vcc, exec, s[0:1]
	s_cbranch_vccnz .LBB207_1950
; %bb.1949:
	v_xor_b32_e32 v6, v3, v4
	v_ffbh_i32_e32 v5, v4
	v_ashrrev_i32_e32 v6, 31, v6
	v_add_u32_e32 v5, -1, v5
	v_add_u32_e32 v6, 32, v6
	v_min_u32_e32 v7, v5, v6
	v_lshlrev_b64 v[5:6], v7, v[3:4]
	v_min_u32_e32 v5, 1, v5
	v_or_b32_e32 v5, v6, v5
	v_cvt_f32_i32_e32 v5, v5
	v_sub_u32_e32 v6, 32, v7
	v_ldexp_f32 v5, v5, v6
	v_cvt_f16_f32_e32 v5, v5
	global_store_dword v[1:2], v5, off
.LBB207_1950:
	s_mov_b64 s[0:1], 0
.LBB207_1951:
	s_andn2_b64 vcc, exec, s[0:1]
	s_cbranch_vccnz .LBB207_1960
; %bb.1952:
	s_cmp_lt_i32 s16, 6
	s_mov_b64 s[0:1], -1
	s_cbranch_scc1 .LBB207_1958
; %bb.1953:
	s_cmp_gt_i32 s16, 6
	s_cbranch_scc0 .LBB207_1955
; %bb.1954:
	v_cvt_f64_i32_e32 v[5:6], v4
	v_cvt_f64_u32_e32 v[7:8], v3
	s_mov_b64 s[0:1], 0
	v_ldexp_f64 v[5:6], v[5:6], 32
	v_add_f64 v[5:6], v[5:6], v[7:8]
	global_store_dwordx2 v[1:2], v[5:6], off
.LBB207_1955:
	s_andn2_b64 vcc, exec, s[0:1]
	s_cbranch_vccnz .LBB207_1957
; %bb.1956:
	v_xor_b32_e32 v6, v3, v4
	v_ffbh_i32_e32 v5, v4
	v_ashrrev_i32_e32 v6, 31, v6
	v_add_u32_e32 v5, -1, v5
	v_add_u32_e32 v6, 32, v6
	v_min_u32_e32 v7, v5, v6
	v_lshlrev_b64 v[5:6], v7, v[3:4]
	v_min_u32_e32 v5, 1, v5
	v_or_b32_e32 v5, v6, v5
	v_cvt_f32_i32_e32 v5, v5
	v_sub_u32_e32 v6, 32, v7
	v_ldexp_f32 v5, v5, v6
	global_store_dword v[1:2], v5, off
.LBB207_1957:
	s_mov_b64 s[0:1], 0
.LBB207_1958:
	s_andn2_b64 vcc, exec, s[0:1]
	s_cbranch_vccnz .LBB207_1960
; %bb.1959:
	v_xor_b32_e32 v6, v3, v4
	v_ffbh_i32_e32 v5, v4
	v_ashrrev_i32_e32 v6, 31, v6
	v_add_u32_e32 v5, -1, v5
	v_add_u32_e32 v6, 32, v6
	v_min_u32_e32 v7, v5, v6
	v_lshlrev_b64 v[5:6], v7, v[3:4]
	v_min_u32_e32 v5, 1, v5
	v_or_b32_e32 v5, v6, v5
	v_cvt_f32_i32_e32 v5, v5
	v_sub_u32_e32 v6, 32, v7
	v_ldexp_f32 v5, v5, v6
	v_cvt_f16_f32_e32 v5, v5
	global_store_short v[1:2], v5, off
.LBB207_1960:
	s_mov_b64 s[0:1], 0
.LBB207_1961:
	s_andn2_b64 vcc, exec, s[0:1]
	s_cbranch_vccnz .LBB207_1977
; %bb.1962:
	s_cmp_lt_i32 s16, 2
	s_mov_b64 s[0:1], -1
	s_cbranch_scc1 .LBB207_1972
; %bb.1963:
	s_cmp_lt_i32 s16, 3
	s_cbranch_scc1 .LBB207_1969
; %bb.1964:
	s_cmp_gt_i32 s16, 3
	s_cbranch_scc0 .LBB207_1966
; %bb.1965:
	global_store_dwordx2 v[1:2], v[3:4], off
	s_mov_b64 s[0:1], 0
.LBB207_1966:
	s_andn2_b64 vcc, exec, s[0:1]
	s_cbranch_vccnz .LBB207_1968
; %bb.1967:
	global_store_dword v[1:2], v3, off
.LBB207_1968:
	s_mov_b64 s[0:1], 0
.LBB207_1969:
	s_andn2_b64 vcc, exec, s[0:1]
	s_cbranch_vccnz .LBB207_1971
; %bb.1970:
	global_store_short v[1:2], v3, off
.LBB207_1971:
	s_mov_b64 s[0:1], 0
.LBB207_1972:
	s_andn2_b64 vcc, exec, s[0:1]
	s_cbranch_vccnz .LBB207_1977
; %bb.1973:
	s_cmp_gt_i32 s16, 0
	s_mov_b64 s[0:1], -1
	s_cbranch_scc0 .LBB207_1975
; %bb.1974:
	global_store_byte v[1:2], v3, off
	s_mov_b64 s[0:1], 0
.LBB207_1975:
	s_andn2_b64 vcc, exec, s[0:1]
	s_cbranch_vccnz .LBB207_1977
; %bb.1976:
	global_store_byte v[1:2], v3, off
.LBB207_1977:
	s_mov_b64 s[6:7], -1
.LBB207_1978:
	s_andn2_b64 vcc, exec, s[6:7]
	s_cbranch_vccnz .LBB207_2055
; %bb.1979:
	v_ashrrev_i64 v[2:3], s15, v[13:14]
	v_mov_b32_e32 v1, s9
	v_add_co_u32_e32 v0, vcc, s8, v0
	s_cmp_lt_i32 s16, 11
	v_addc_co_u32_e32 v1, vcc, 0, v1, vcc
	s_cbranch_scc1 .LBB207_2100
; %bb.1980:
	s_mov_b64 s[6:7], -1
	s_mov_b64 s[4:5], 0
	s_cmp_gt_i32 s16, 25
	s_mov_b64 s[0:1], 0
	s_cbranch_scc0 .LBB207_2013
; %bb.1981:
	s_cmp_gt_i32 s16, 28
	s_cbranch_scc0 .LBB207_1997
; %bb.1982:
	s_cmp_gt_i32 s16, 43
	;; [unrolled: 3-line block ×3, first 2 shown]
	s_cbranch_scc0 .LBB207_1987
; %bb.1984:
	s_cmp_eq_u32 s16, 46
	s_mov_b64 s[0:1], -1
	s_cbranch_scc0 .LBB207_1986
; %bb.1985:
	v_xor_b32_e32 v5, v2, v3
	v_ffbh_i32_e32 v4, v3
	v_ashrrev_i32_e32 v5, 31, v5
	v_add_u32_e32 v4, -1, v4
	v_add_u32_e32 v5, 32, v5
	v_min_u32_e32 v6, v4, v5
	v_lshlrev_b64 v[4:5], v6, v[2:3]
	s_movk_i32 s0, 0x7fff
	v_min_u32_e32 v4, 1, v4
	v_or_b32_e32 v4, v5, v4
	v_cvt_f32_i32_e32 v4, v4
	v_sub_u32_e32 v5, 32, v6
	v_ldexp_f32 v4, v4, v5
	v_bfe_u32 v5, v4, 16, 1
	v_add3_u32 v4, v4, v5, s0
	v_lshrrev_b32_e32 v4, 16, v4
	global_store_dword v[0:1], v4, off
	s_mov_b64 s[0:1], 0
.LBB207_1986:
	s_mov_b64 s[6:7], 0
.LBB207_1987:
	s_and_b64 vcc, exec, s[6:7]
	s_cbranch_vccz .LBB207_1992
; %bb.1988:
	s_cmp_eq_u32 s16, 44
	s_mov_b64 s[0:1], -1
	s_cbranch_scc0 .LBB207_1992
; %bb.1989:
	v_xor_b32_e32 v5, v2, v3
	v_ffbh_i32_e32 v4, v3
	v_ashrrev_i32_e32 v5, 31, v5
	v_add_u32_e32 v4, -1, v4
	v_add_u32_e32 v5, 32, v5
	v_min_u32_e32 v6, v4, v5
	v_lshlrev_b64 v[4:5], v6, v[2:3]
	s_movk_i32 s0, 0xff
	v_min_u32_e32 v4, 1, v4
	v_or_b32_e32 v4, v5, v4
	v_cvt_f32_i32_e32 v4, v4
	v_sub_u32_e32 v5, 32, v6
	v_mov_b32_e32 v6, 0xff
	v_ldexp_f32 v4, v4, v5
	v_bfe_u32 v5, v4, 23, 8
	v_cmp_ne_u32_e32 vcc, s0, v5
	s_and_saveexec_b64 s[6:7], vcc
; %bb.1990:
	s_mov_b32 s0, 0x3fffff
	v_lshrrev_b32_e32 v6, 23, v4
	v_and_b32_e32 v7, 0x400000, v4
	v_and_or_b32 v4, v4, s0, v5
	v_cmp_ne_u32_e32 vcc, 0, v7
	v_cmp_ne_u32_e64 s[0:1], 0, v4
	s_and_b64 s[0:1], vcc, s[0:1]
	v_cndmask_b32_e64 v4, 0, 1, s[0:1]
	v_add_u32_e32 v6, v6, v4
; %bb.1991:
	s_or_b64 exec, exec, s[6:7]
	s_mov_b64 s[0:1], 0
	global_store_byte v[0:1], v6, off
.LBB207_1992:
	s_mov_b64 s[6:7], 0
.LBB207_1993:
	s_and_b64 vcc, exec, s[6:7]
	s_cbranch_vccz .LBB207_1996
; %bb.1994:
	s_cmp_eq_u32 s16, 29
	s_mov_b64 s[0:1], -1
	s_cbranch_scc0 .LBB207_1996
; %bb.1995:
	global_store_dwordx2 v[0:1], v[2:3], off
	s_mov_b64 s[0:1], 0
.LBB207_1996:
	s_mov_b64 s[6:7], 0
.LBB207_1997:
	s_and_b64 vcc, exec, s[6:7]
	s_cbranch_vccz .LBB207_2012
; %bb.1998:
	s_cmp_lt_i32 s16, 27
	s_mov_b64 s[6:7], -1
	s_cbranch_scc1 .LBB207_2004
; %bb.1999:
	s_cmp_gt_i32 s16, 27
	s_cbranch_scc0 .LBB207_2001
; %bb.2000:
	global_store_dword v[0:1], v2, off
	s_mov_b64 s[6:7], 0
.LBB207_2001:
	s_andn2_b64 vcc, exec, s[6:7]
	s_cbranch_vccnz .LBB207_2003
; %bb.2002:
	global_store_short v[0:1], v2, off
.LBB207_2003:
	s_mov_b64 s[6:7], 0
.LBB207_2004:
	s_andn2_b64 vcc, exec, s[6:7]
	s_cbranch_vccnz .LBB207_2012
; %bb.2005:
	v_xor_b32_e32 v5, v2, v3
	v_ffbh_i32_e32 v4, v3
	v_ashrrev_i32_e32 v5, 31, v5
	v_add_u32_e32 v4, -1, v4
	v_add_u32_e32 v5, 32, v5
	v_min_u32_e32 v6, v4, v5
	v_lshlrev_b64 v[4:5], v6, v[2:3]
	s_mov_b32 s6, 0x43800000
	v_min_u32_e32 v4, 1, v4
	v_or_b32_e32 v4, v5, v4
	v_cvt_f32_i32_e32 v4, v4
	v_sub_u32_e32 v5, 32, v6
	v_mov_b32_e32 v6, 0x80
	v_ldexp_f32 v4, v4, v5
	v_and_b32_e32 v5, 0x7fffffff, v4
	v_cmp_gt_u32_e32 vcc, s6, v5
	s_and_saveexec_b64 s[6:7], vcc
	s_cbranch_execz .LBB207_2011
; %bb.2006:
	s_mov_b32 s8, 0x3bffffff
	v_cmp_lt_u32_e32 vcc, s8, v5
	s_mov_b64 s[8:9], 0
                                        ; implicit-def: $vgpr5
	s_and_saveexec_b64 s[10:11], vcc
	s_xor_b64 s[10:11], exec, s[10:11]
	s_cbranch_execz .LBB207_2117
; %bb.2007:
	v_bfe_u32 v5, v4, 20, 1
	s_mov_b32 s12, 0x487ffff
	v_add3_u32 v5, v4, v5, s12
	s_mov_b64 s[8:9], exec
	v_lshrrev_b32_e32 v5, 20, v5
	s_andn2_saveexec_b64 s[10:11], s[10:11]
	s_cbranch_execnz .LBB207_2118
.LBB207_2008:
	s_or_b64 exec, exec, s[10:11]
	v_mov_b32_e32 v6, 0
	s_and_saveexec_b64 s[10:11], s[8:9]
.LBB207_2009:
	v_lshrrev_b32_e32 v4, 24, v4
	s_movk_i32 s8, 0x80
	v_and_or_b32 v6, v4, s8, v5
.LBB207_2010:
	s_or_b64 exec, exec, s[10:11]
.LBB207_2011:
	s_or_b64 exec, exec, s[6:7]
	global_store_byte v[0:1], v6, off
.LBB207_2012:
	s_mov_b64 s[6:7], 0
.LBB207_2013:
	s_and_b64 vcc, exec, s[6:7]
	s_cbranch_vccz .LBB207_2053
; %bb.2014:
	s_cmp_gt_i32 s16, 22
	s_mov_b64 s[4:5], -1
	s_cbranch_scc0 .LBB207_2046
; %bb.2015:
	s_cmp_lt_i32 s16, 24
	s_cbranch_scc1 .LBB207_2035
; %bb.2016:
	s_cmp_gt_i32 s16, 24
	s_cbranch_scc0 .LBB207_2024
; %bb.2017:
	v_xor_b32_e32 v5, v2, v3
	v_ffbh_i32_e32 v4, v3
	v_ashrrev_i32_e32 v5, 31, v5
	v_add_u32_e32 v4, -1, v4
	v_add_u32_e32 v5, 32, v5
	v_min_u32_e32 v6, v4, v5
	v_lshlrev_b64 v[4:5], v6, v[2:3]
	s_mov_b32 s4, 0x47800000
	v_min_u32_e32 v4, 1, v4
	v_or_b32_e32 v4, v5, v4
	v_cvt_f32_i32_e32 v4, v4
	v_sub_u32_e32 v5, 32, v6
	v_mov_b32_e32 v6, 0x80
	v_ldexp_f32 v4, v4, v5
	v_and_b32_e32 v5, 0x7fffffff, v4
	v_cmp_gt_u32_e32 vcc, s4, v5
	s_and_saveexec_b64 s[4:5], vcc
	s_cbranch_execz .LBB207_2023
; %bb.2018:
	s_mov_b32 s6, 0x37ffffff
	v_cmp_lt_u32_e32 vcc, s6, v5
	s_mov_b64 s[6:7], 0
                                        ; implicit-def: $vgpr5
	s_and_saveexec_b64 s[8:9], vcc
	s_xor_b64 s[8:9], exec, s[8:9]
	s_cbranch_execz .LBB207_2120
; %bb.2019:
	v_bfe_u32 v5, v4, 21, 1
	s_mov_b32 s10, 0x88fffff
	v_add3_u32 v5, v4, v5, s10
	s_mov_b64 s[6:7], exec
	v_lshrrev_b32_e32 v5, 21, v5
	s_andn2_saveexec_b64 s[8:9], s[8:9]
	s_cbranch_execnz .LBB207_2121
.LBB207_2020:
	s_or_b64 exec, exec, s[8:9]
	v_mov_b32_e32 v6, 0
	s_and_saveexec_b64 s[8:9], s[6:7]
.LBB207_2021:
	v_lshrrev_b32_e32 v4, 24, v4
	s_movk_i32 s6, 0x80
	v_and_or_b32 v6, v4, s6, v5
.LBB207_2022:
	s_or_b64 exec, exec, s[8:9]
.LBB207_2023:
	s_or_b64 exec, exec, s[4:5]
	s_mov_b64 s[4:5], 0
	global_store_byte v[0:1], v6, off
.LBB207_2024:
	s_and_b64 vcc, exec, s[4:5]
	s_cbranch_vccz .LBB207_2034
; %bb.2025:
	v_xor_b32_e32 v5, v2, v3
	v_ffbh_i32_e32 v4, v3
	v_ashrrev_i32_e32 v5, 31, v5
	v_add_u32_e32 v4, -1, v4
	v_add_u32_e32 v5, 32, v5
	v_min_u32_e32 v6, v4, v5
	v_lshlrev_b64 v[4:5], v6, v[2:3]
	s_mov_b32 s4, 0x43f00000
	v_min_u32_e32 v4, 1, v4
	v_or_b32_e32 v4, v5, v4
	v_cvt_f32_i32_e32 v4, v4
	v_sub_u32_e32 v5, 32, v6
	v_ldexp_f32 v4, v4, v5
	v_and_b32_e32 v6, 0x7fffffff, v4
	v_cmp_gt_u32_e32 vcc, s4, v6
                                        ; implicit-def: $vgpr5
	s_and_saveexec_b64 s[4:5], vcc
	s_xor_b64 s[4:5], exec, s[4:5]
	s_cbranch_execz .LBB207_2031
; %bb.2026:
	s_mov_b32 s6, 0x3c7fffff
	v_cmp_lt_u32_e32 vcc, s6, v6
                                        ; implicit-def: $vgpr5
	s_and_saveexec_b64 s[6:7], vcc
	s_xor_b64 s[6:7], exec, s[6:7]
; %bb.2027:
	v_bfe_u32 v5, v4, 20, 1
	s_mov_b32 s8, 0x407ffff
	v_add3_u32 v5, v4, v5, s8
	v_lshrrev_b32_e32 v6, 20, v5
	v_and_b32_e32 v5, 0xff00000, v5
	s_mov_b32 s8, 0x7f00000
	v_mov_b32_e32 v7, 0x7e
	v_cmp_ne_u32_e32 vcc, s8, v5
	v_cndmask_b32_e32 v5, v7, v6, vcc
; %bb.2028:
	s_andn2_saveexec_b64 s[6:7], s[6:7]
; %bb.2029:
	s_mov_b32 s8, 0x46800000
	v_add_f32_e64 v5, |v4|, s8
; %bb.2030:
	s_or_b64 exec, exec, s[6:7]
                                        ; implicit-def: $vgpr6
.LBB207_2031:
	s_andn2_saveexec_b64 s[4:5], s[4:5]
; %bb.2032:
	s_mov_b32 s6, 0x7f800000
	v_mov_b32_e32 v5, 0x7e
	v_mov_b32_e32 v7, 0x7f
	v_cmp_lt_u32_e32 vcc, s6, v6
	v_cndmask_b32_e32 v5, v5, v7, vcc
; %bb.2033:
	s_or_b64 exec, exec, s[4:5]
	v_lshrrev_b32_e32 v4, 24, v4
	s_movk_i32 s4, 0x80
	v_and_or_b32 v4, v4, s4, v5
	global_store_byte v[0:1], v4, off
.LBB207_2034:
	s_mov_b64 s[4:5], 0
.LBB207_2035:
	s_andn2_b64 vcc, exec, s[4:5]
	s_cbranch_vccnz .LBB207_2045
; %bb.2036:
	v_xor_b32_e32 v5, v2, v3
	v_ffbh_i32_e32 v4, v3
	v_ashrrev_i32_e32 v5, 31, v5
	v_add_u32_e32 v4, -1, v4
	v_add_u32_e32 v5, 32, v5
	v_min_u32_e32 v6, v4, v5
	v_lshlrev_b64 v[4:5], v6, v[2:3]
	s_mov_b32 s4, 0x47800000
	v_min_u32_e32 v4, 1, v4
	v_or_b32_e32 v4, v5, v4
	v_cvt_f32_i32_e32 v4, v4
	v_sub_u32_e32 v5, 32, v6
	v_ldexp_f32 v4, v4, v5
	v_and_b32_e32 v6, 0x7fffffff, v4
	v_cmp_gt_u32_e32 vcc, s4, v6
                                        ; implicit-def: $vgpr5
	s_and_saveexec_b64 s[4:5], vcc
	s_xor_b64 s[4:5], exec, s[4:5]
	s_cbranch_execz .LBB207_2042
; %bb.2037:
	s_mov_b32 s6, 0x387fffff
	v_cmp_lt_u32_e32 vcc, s6, v6
                                        ; implicit-def: $vgpr5
	s_and_saveexec_b64 s[6:7], vcc
	s_xor_b64 s[6:7], exec, s[6:7]
; %bb.2038:
	v_bfe_u32 v5, v4, 21, 1
	s_mov_b32 s8, 0x80fffff
	v_add3_u32 v5, v4, v5, s8
	v_lshrrev_b32_e32 v5, 21, v5
; %bb.2039:
	s_andn2_saveexec_b64 s[6:7], s[6:7]
; %bb.2040:
	s_mov_b32 s8, 0x43000000
	v_add_f32_e64 v5, |v4|, s8
; %bb.2041:
	s_or_b64 exec, exec, s[6:7]
                                        ; implicit-def: $vgpr6
.LBB207_2042:
	s_andn2_saveexec_b64 s[4:5], s[4:5]
; %bb.2043:
	s_mov_b32 s6, 0x7f800000
	v_mov_b32_e32 v5, 0x7c
	v_mov_b32_e32 v7, 0x7f
	v_cmp_lt_u32_e32 vcc, s6, v6
	v_cndmask_b32_e32 v5, v5, v7, vcc
; %bb.2044:
	s_or_b64 exec, exec, s[4:5]
	v_lshrrev_b32_e32 v4, 24, v4
	s_movk_i32 s4, 0x80
	v_and_or_b32 v4, v4, s4, v5
	global_store_byte v[0:1], v4, off
.LBB207_2045:
	s_mov_b64 s[4:5], 0
.LBB207_2046:
	s_andn2_b64 vcc, exec, s[4:5]
	s_mov_b64 s[4:5], 0
	s_cbranch_vccnz .LBB207_2053
; %bb.2047:
	s_cmp_gt_i32 s16, 14
	s_mov_b64 s[6:7], -1
	s_cbranch_scc0 .LBB207_2051
; %bb.2048:
	s_cmp_eq_u32 s16, 15
	s_mov_b64 s[0:1], -1
	s_cbranch_scc0 .LBB207_2050
; %bb.2049:
	v_xor_b32_e32 v5, v2, v3
	v_ffbh_i32_e32 v4, v3
	v_ashrrev_i32_e32 v5, 31, v5
	v_add_u32_e32 v4, -1, v4
	v_add_u32_e32 v5, 32, v5
	v_min_u32_e32 v6, v4, v5
	v_lshlrev_b64 v[4:5], v6, v[2:3]
	s_movk_i32 s0, 0x7fff
	v_min_u32_e32 v4, 1, v4
	v_or_b32_e32 v4, v5, v4
	v_cvt_f32_i32_e32 v4, v4
	v_sub_u32_e32 v5, 32, v6
	v_ldexp_f32 v4, v4, v5
	v_bfe_u32 v5, v4, 16, 1
	v_add3_u32 v4, v4, v5, s0
	global_store_short_d16_hi v[0:1], v4, off
	s_mov_b64 s[0:1], 0
.LBB207_2050:
	s_mov_b64 s[6:7], 0
.LBB207_2051:
	s_and_b64 vcc, exec, s[6:7]
	s_cbranch_vccz .LBB207_2053
; %bb.2052:
	s_cmp_lg_u32 s16, 11
	s_mov_b64 s[4:5], -1
	s_cselect_b64 s[0:1], -1, 0
.LBB207_2053:
	s_and_b64 vcc, exec, s[0:1]
	s_cbranch_vccnz .LBB207_2119
.LBB207_2054:
	s_mov_b64 s[0:1], 0
	s_branch .LBB207_2056
.LBB207_2055:
	s_mov_b64 s[0:1], 0
	s_mov_b64 s[4:5], 0
                                        ; implicit-def: $vgpr0_vgpr1
                                        ; implicit-def: $sgpr14
                                        ; implicit-def: $vgpr2_vgpr3
.LBB207_2056:
	s_and_b64 s[6:7], s[4:5], exec
	s_andn2_b64 s[4:5], s[28:29], exec
	s_and_b64 s[2:3], s[2:3], exec
	s_and_b64 s[0:1], s[0:1], exec
	s_or_b64 s[28:29], s[4:5], s[2:3]
.LBB207_2057:
	s_or_b64 exec, exec, s[30:31]
	s_and_saveexec_b64 s[2:3], s[28:29]
	s_cbranch_execz .LBB207_2060
; %bb.2058:
	; divergent unreachable
	s_or_b64 exec, exec, s[2:3]
	s_and_saveexec_b64 s[2:3], s[6:7]
	s_xor_b64 s[2:3], exec, s[2:3]
	s_cbranch_execnz .LBB207_2061
.LBB207_2059:
	s_or_b64 exec, exec, s[2:3]
	s_and_saveexec_b64 s[2:3], s[0:1]
	s_cbranch_execnz .LBB207_2062
	s_branch .LBB207_2099
.LBB207_2060:
	s_or_b64 exec, exec, s[2:3]
	s_and_saveexec_b64 s[2:3], s[6:7]
	s_xor_b64 s[2:3], exec, s[2:3]
	s_cbranch_execz .LBB207_2059
.LBB207_2061:
	s_waitcnt vmcnt(0)
	v_cmp_ne_u64_e32 vcc, 0, v[2:3]
	v_cndmask_b32_e64 v4, 0, 1, vcc
	global_store_byte v[0:1], v4, off
	s_or_b64 exec, exec, s[2:3]
	s_and_saveexec_b64 s[2:3], s[0:1]
	s_cbranch_execz .LBB207_2099
.LBB207_2062:
	s_sext_i32_i16 s2, s14
	s_cmp_lt_i32 s2, 5
	s_mov_b64 s[0:1], -1
	s_cbranch_scc1 .LBB207_2083
; %bb.2063:
	s_cmp_lt_i32 s2, 8
	s_cbranch_scc1 .LBB207_2073
; %bb.2064:
	s_cmp_lt_i32 s2, 9
	s_cbranch_scc1 .LBB207_2070
; %bb.2065:
	s_cmp_gt_i32 s2, 9
	s_cbranch_scc0 .LBB207_2067
; %bb.2066:
	s_waitcnt vmcnt(0)
	v_cvt_f64_i32_e32 v[4:5], v3
	v_cvt_f64_u32_e32 v[6:7], v2
	s_mov_b64 s[0:1], 0
	v_ldexp_f64 v[4:5], v[4:5], 32
	v_add_f64 v[4:5], v[4:5], v[6:7]
	v_mov_b32_e32 v6, 0
	v_mov_b32_e32 v7, v6
	global_store_dwordx4 v[0:1], v[4:7], off
.LBB207_2067:
	s_andn2_b64 vcc, exec, s[0:1]
	s_cbranch_vccnz .LBB207_2069
; %bb.2068:
	s_waitcnt vmcnt(0)
	v_xor_b32_e32 v5, v2, v3
	v_ffbh_i32_e32 v4, v3
	v_ashrrev_i32_e32 v5, 31, v5
	v_add_u32_e32 v4, -1, v4
	v_add_u32_e32 v5, 32, v5
	v_min_u32_e32 v6, v4, v5
	v_lshlrev_b64 v[4:5], v6, v[2:3]
	v_min_u32_e32 v4, 1, v4
	v_or_b32_e32 v4, v5, v4
	v_cvt_f32_i32_e32 v4, v4
	v_sub_u32_e32 v5, 32, v6
	v_ldexp_f32 v4, v4, v5
	v_mov_b32_e32 v5, 0
	global_store_dwordx2 v[0:1], v[4:5], off
.LBB207_2069:
	s_mov_b64 s[0:1], 0
.LBB207_2070:
	s_andn2_b64 vcc, exec, s[0:1]
	s_cbranch_vccnz .LBB207_2072
; %bb.2071:
	s_waitcnt vmcnt(0)
	v_xor_b32_e32 v5, v2, v3
	v_ffbh_i32_e32 v4, v3
	v_ashrrev_i32_e32 v5, 31, v5
	v_add_u32_e32 v4, -1, v4
	v_add_u32_e32 v5, 32, v5
	v_min_u32_e32 v6, v4, v5
	v_lshlrev_b64 v[4:5], v6, v[2:3]
	v_min_u32_e32 v4, 1, v4
	v_or_b32_e32 v4, v5, v4
	v_cvt_f32_i32_e32 v4, v4
	v_sub_u32_e32 v5, 32, v6
	v_ldexp_f32 v4, v4, v5
	v_cvt_f16_f32_e32 v4, v4
	global_store_dword v[0:1], v4, off
.LBB207_2072:
	s_mov_b64 s[0:1], 0
.LBB207_2073:
	s_andn2_b64 vcc, exec, s[0:1]
	s_cbranch_vccnz .LBB207_2082
; %bb.2074:
	s_sext_i32_i16 s2, s14
	s_cmp_lt_i32 s2, 6
	s_mov_b64 s[0:1], -1
	s_cbranch_scc1 .LBB207_2080
; %bb.2075:
	s_cmp_gt_i32 s2, 6
	s_cbranch_scc0 .LBB207_2077
; %bb.2076:
	s_waitcnt vmcnt(0)
	v_cvt_f64_i32_e32 v[4:5], v3
	v_cvt_f64_u32_e32 v[6:7], v2
	s_mov_b64 s[0:1], 0
	v_ldexp_f64 v[4:5], v[4:5], 32
	v_add_f64 v[4:5], v[4:5], v[6:7]
	global_store_dwordx2 v[0:1], v[4:5], off
.LBB207_2077:
	s_andn2_b64 vcc, exec, s[0:1]
	s_cbranch_vccnz .LBB207_2079
; %bb.2078:
	s_waitcnt vmcnt(0)
	v_xor_b32_e32 v5, v2, v3
	v_ffbh_i32_e32 v4, v3
	v_ashrrev_i32_e32 v5, 31, v5
	v_add_u32_e32 v4, -1, v4
	v_add_u32_e32 v5, 32, v5
	v_min_u32_e32 v6, v4, v5
	v_lshlrev_b64 v[4:5], v6, v[2:3]
	v_min_u32_e32 v4, 1, v4
	v_or_b32_e32 v4, v5, v4
	v_cvt_f32_i32_e32 v4, v4
	v_sub_u32_e32 v5, 32, v6
	v_ldexp_f32 v4, v4, v5
	global_store_dword v[0:1], v4, off
.LBB207_2079:
	s_mov_b64 s[0:1], 0
.LBB207_2080:
	s_andn2_b64 vcc, exec, s[0:1]
	s_cbranch_vccnz .LBB207_2082
; %bb.2081:
	s_waitcnt vmcnt(0)
	v_xor_b32_e32 v5, v2, v3
	v_ffbh_i32_e32 v4, v3
	v_ashrrev_i32_e32 v5, 31, v5
	v_add_u32_e32 v4, -1, v4
	v_add_u32_e32 v5, 32, v5
	v_min_u32_e32 v6, v4, v5
	v_lshlrev_b64 v[4:5], v6, v[2:3]
	v_min_u32_e32 v4, 1, v4
	v_or_b32_e32 v4, v5, v4
	v_cvt_f32_i32_e32 v4, v4
	v_sub_u32_e32 v5, 32, v6
	v_ldexp_f32 v4, v4, v5
	v_cvt_f16_f32_e32 v4, v4
	global_store_short v[0:1], v4, off
.LBB207_2082:
	s_mov_b64 s[0:1], 0
.LBB207_2083:
	s_andn2_b64 vcc, exec, s[0:1]
	s_cbranch_vccnz .LBB207_2099
; %bb.2084:
	s_sext_i32_i16 s2, s14
	s_cmp_lt_i32 s2, 2
	s_mov_b64 s[0:1], -1
	s_cbranch_scc1 .LBB207_2094
; %bb.2085:
	s_cmp_lt_i32 s2, 3
	s_cbranch_scc1 .LBB207_2091
; %bb.2086:
	s_cmp_gt_i32 s2, 3
	s_cbranch_scc0 .LBB207_2088
; %bb.2087:
	s_waitcnt vmcnt(0)
	global_store_dwordx2 v[0:1], v[2:3], off
	s_mov_b64 s[0:1], 0
.LBB207_2088:
	s_andn2_b64 vcc, exec, s[0:1]
	s_cbranch_vccnz .LBB207_2090
; %bb.2089:
	global_store_dword v[0:1], v2, off
.LBB207_2090:
	s_mov_b64 s[0:1], 0
.LBB207_2091:
	s_andn2_b64 vcc, exec, s[0:1]
	s_cbranch_vccnz .LBB207_2093
; %bb.2092:
	global_store_short v[0:1], v2, off
.LBB207_2093:
	s_mov_b64 s[0:1], 0
.LBB207_2094:
	s_andn2_b64 vcc, exec, s[0:1]
	s_cbranch_vccnz .LBB207_2099
; %bb.2095:
	s_sext_i32_i16 s0, s14
	s_cmp_gt_i32 s0, 0
	s_mov_b64 s[0:1], -1
	s_cbranch_scc0 .LBB207_2097
; %bb.2096:
	global_store_byte v[0:1], v2, off
	s_mov_b64 s[0:1], 0
.LBB207_2097:
	s_andn2_b64 vcc, exec, s[0:1]
	s_cbranch_vccnz .LBB207_2099
; %bb.2098:
	global_store_byte v[0:1], v2, off
	s_endpgm
.LBB207_2099:
	s_endpgm
.LBB207_2100:
	s_mov_b64 s[4:5], 0
	s_mov_b64 s[0:1], -1
	s_branch .LBB207_2056
.LBB207_2101:
	s_trap 2
	s_or_b64 s[2:3], s[2:3], exec
	s_cbranch_execz .LBB207_1570
	s_branch .LBB207_1571
.LBB207_2102:
	s_andn2_saveexec_b64 s[12:13], s[12:13]
	s_cbranch_execz .LBB207_1650
.LBB207_2103:
	s_mov_b32 s17, 0x46000000
	v_add_f32_e64 v3, |v1|, s17
	v_and_b32_e32 v3, 0xff, v3
	v_cmp_ne_u32_e32 vcc, 0, v3
	s_andn2_b64 s[10:11], s[10:11], exec
	s_and_b64 s[18:19], vcc, exec
	s_or_b64 s[10:11], s[10:11], s[18:19]
	s_or_b64 exec, exec, s[12:13]
	v_mov_b32_e32 v15, 0
	s_and_saveexec_b64 s[12:13], s[10:11]
	s_cbranch_execnz .LBB207_1651
	s_branch .LBB207_1652
.LBB207_2104:
	s_trap 2
	s_or_b64 s[2:3], s[2:3], exec
	s_cbranch_execz .LBB207_1698
	s_branch .LBB207_1699
.LBB207_2105:
	s_andn2_saveexec_b64 s[10:11], s[10:11]
	s_cbranch_execz .LBB207_1663
.LBB207_2106:
	s_mov_b32 s12, 0x42800000
	v_add_f32_e64 v3, |v1|, s12
	v_and_b32_e32 v3, 0xff, v3
	v_cmp_ne_u32_e32 vcc, 0, v3
	s_andn2_b64 s[6:7], s[6:7], exec
	s_and_b64 s[12:13], vcc, exec
	s_or_b64 s[6:7], s[6:7], s[12:13]
	s_or_b64 exec, exec, s[10:11]
	v_mov_b32_e32 v15, 0
	s_and_saveexec_b64 s[10:11], s[6:7]
	s_cbranch_execnz .LBB207_1664
	s_branch .LBB207_1665
.LBB207_2107:
	s_andn2_saveexec_b64 s[12:13], s[12:13]
	s_cbranch_execz .LBB207_1769
.LBB207_2108:
	s_mov_b32 s17, 0x46000000
	v_add_f32_e64 v7, |v1|, s17
	v_and_b32_e32 v7, 0xff, v7
	v_cmp_ne_u32_e32 vcc, 0, v7
	s_andn2_b64 s[10:11], s[10:11], exec
	s_and_b64 s[18:19], vcc, exec
	s_or_b64 s[10:11], s[10:11], s[18:19]
	s_or_b64 exec, exec, s[12:13]
	v_mov_b32_e32 v8, 0
	s_and_saveexec_b64 s[12:13], s[10:11]
	s_cbranch_execnz .LBB207_1770
	s_branch .LBB207_1771
.LBB207_2109:
	s_trap 2
	s_or_b64 s[2:3], s[2:3], exec
	s_cbranch_execz .LBB207_1817
	s_branch .LBB207_1818
.LBB207_2110:
	s_andn2_saveexec_b64 s[10:11], s[10:11]
	s_cbranch_execz .LBB207_1782
.LBB207_2111:
	s_mov_b32 s12, 0x42800000
	v_add_f32_e64 v7, |v1|, s12
	v_and_b32_e32 v7, 0xff, v7
	v_cmp_ne_u32_e32 vcc, 0, v7
	s_andn2_b64 s[6:7], s[6:7], exec
	s_and_b64 s[12:13], vcc, exec
	s_or_b64 s[6:7], s[6:7], s[12:13]
	s_or_b64 exec, exec, s[10:11]
	v_mov_b32_e32 v8, 0
	s_and_saveexec_b64 s[10:11], s[6:7]
	s_cbranch_execnz .LBB207_1783
	s_branch .LBB207_1784
.LBB207_2112:
	s_andn2_saveexec_b64 s[12:13], s[12:13]
	s_cbranch_execz .LBB207_1888
.LBB207_2113:
	s_mov_b32 s17, 0x46000000
	v_add_f32_e64 v6, |v5|, s17
	v_and_b32_e32 v6, 0xff, v6
	v_cmp_ne_u32_e32 vcc, 0, v6
	s_andn2_b64 s[10:11], s[10:11], exec
	s_and_b64 s[18:19], vcc, exec
	s_or_b64 s[10:11], s[10:11], s[18:19]
	s_or_b64 exec, exec, s[12:13]
	v_mov_b32_e32 v7, 0
	s_and_saveexec_b64 s[12:13], s[10:11]
	s_cbranch_execnz .LBB207_1889
	s_branch .LBB207_1890
.LBB207_2114:
	s_trap 2
	s_or_b64 s[2:3], s[2:3], exec
	s_cbranch_execz .LBB207_1936
	s_branch .LBB207_1937
.LBB207_2115:
	s_andn2_saveexec_b64 s[10:11], s[10:11]
	s_cbranch_execz .LBB207_1901
.LBB207_2116:
	s_mov_b32 s12, 0x42800000
	v_add_f32_e64 v6, |v5|, s12
	v_and_b32_e32 v6, 0xff, v6
	v_cmp_ne_u32_e32 vcc, 0, v6
	s_andn2_b64 s[6:7], s[6:7], exec
	s_and_b64 s[12:13], vcc, exec
	s_or_b64 s[6:7], s[6:7], s[12:13]
	s_or_b64 exec, exec, s[10:11]
	v_mov_b32_e32 v7, 0
	s_and_saveexec_b64 s[10:11], s[6:7]
	s_cbranch_execnz .LBB207_1902
	s_branch .LBB207_1903
.LBB207_2117:
	s_andn2_saveexec_b64 s[10:11], s[10:11]
	s_cbranch_execz .LBB207_2008
.LBB207_2118:
	s_mov_b32 s12, 0x46000000
	v_add_f32_e64 v5, |v4|, s12
	v_and_b32_e32 v5, 0xff, v5
	v_cmp_ne_u32_e32 vcc, 0, v5
	s_andn2_b64 s[8:9], s[8:9], exec
	s_and_b64 s[12:13], vcc, exec
	s_or_b64 s[8:9], s[8:9], s[12:13]
	s_or_b64 exec, exec, s[10:11]
	v_mov_b32_e32 v6, 0
	s_and_saveexec_b64 s[10:11], s[8:9]
	s_cbranch_execnz .LBB207_2009
	s_branch .LBB207_2010
.LBB207_2119:
	s_mov_b64 s[4:5], 0
	s_or_b64 s[2:3], s[2:3], exec
	s_trap 2
	s_branch .LBB207_2054
.LBB207_2120:
	s_andn2_saveexec_b64 s[8:9], s[8:9]
	s_cbranch_execz .LBB207_2020
.LBB207_2121:
	s_mov_b32 s10, 0x42800000
	v_add_f32_e64 v5, |v4|, s10
	v_and_b32_e32 v5, 0xff, v5
	v_cmp_ne_u32_e32 vcc, 0, v5
	s_andn2_b64 s[6:7], s[6:7], exec
	s_and_b64 s[10:11], vcc, exec
	s_or_b64 s[6:7], s[6:7], s[10:11]
	s_or_b64 exec, exec, s[8:9]
	v_mov_b32_e32 v6, 0
	s_and_saveexec_b64 s[8:9], s[6:7]
	s_cbranch_execnz .LBB207_2021
	s_branch .LBB207_2022
	.section	.rodata,"a",@progbits
	.p2align	6, 0x0
	.amdhsa_kernel _ZN2at6native32elementwise_kernel_manual_unrollILi128ELi4EZNS0_15gpu_kernel_implINS0_13BUnaryFunctorIlllZZZNS0_18rshift_kernel_cudaERNS_18TensorIteratorBaseEENKUlvE_clEvENKUlvE2_clEvEUlllE_EEEEvS5_RKT_EUlibE0_EEviT1_
		.amdhsa_group_segment_fixed_size 0
		.amdhsa_private_segment_fixed_size 0
		.amdhsa_kernarg_size 376
		.amdhsa_user_sgpr_count 6
		.amdhsa_user_sgpr_private_segment_buffer 1
		.amdhsa_user_sgpr_dispatch_ptr 0
		.amdhsa_user_sgpr_queue_ptr 0
		.amdhsa_user_sgpr_kernarg_segment_ptr 1
		.amdhsa_user_sgpr_dispatch_id 0
		.amdhsa_user_sgpr_flat_scratch_init 0
		.amdhsa_user_sgpr_private_segment_size 0
		.amdhsa_uses_dynamic_stack 0
		.amdhsa_system_sgpr_private_segment_wavefront_offset 0
		.amdhsa_system_sgpr_workgroup_id_x 1
		.amdhsa_system_sgpr_workgroup_id_y 0
		.amdhsa_system_sgpr_workgroup_id_z 0
		.amdhsa_system_sgpr_workgroup_info 0
		.amdhsa_system_vgpr_workitem_id 0
		.amdhsa_next_free_vgpr 21
		.amdhsa_next_free_sgpr 79
		.amdhsa_reserve_vcc 1
		.amdhsa_reserve_flat_scratch 0
		.amdhsa_float_round_mode_32 0
		.amdhsa_float_round_mode_16_64 0
		.amdhsa_float_denorm_mode_32 3
		.amdhsa_float_denorm_mode_16_64 3
		.amdhsa_dx10_clamp 1
		.amdhsa_ieee_mode 1
		.amdhsa_fp16_overflow 0
		.amdhsa_exception_fp_ieee_invalid_op 0
		.amdhsa_exception_fp_denorm_src 0
		.amdhsa_exception_fp_ieee_div_zero 0
		.amdhsa_exception_fp_ieee_overflow 0
		.amdhsa_exception_fp_ieee_underflow 0
		.amdhsa_exception_fp_ieee_inexact 0
		.amdhsa_exception_int_div_zero 0
	.end_amdhsa_kernel
	.section	.text._ZN2at6native32elementwise_kernel_manual_unrollILi128ELi4EZNS0_15gpu_kernel_implINS0_13BUnaryFunctorIlllZZZNS0_18rshift_kernel_cudaERNS_18TensorIteratorBaseEENKUlvE_clEvENKUlvE2_clEvEUlllE_EEEEvS5_RKT_EUlibE0_EEviT1_,"axG",@progbits,_ZN2at6native32elementwise_kernel_manual_unrollILi128ELi4EZNS0_15gpu_kernel_implINS0_13BUnaryFunctorIlllZZZNS0_18rshift_kernel_cudaERNS_18TensorIteratorBaseEENKUlvE_clEvENKUlvE2_clEvEUlllE_EEEEvS5_RKT_EUlibE0_EEviT1_,comdat
.Lfunc_end207:
	.size	_ZN2at6native32elementwise_kernel_manual_unrollILi128ELi4EZNS0_15gpu_kernel_implINS0_13BUnaryFunctorIlllZZZNS0_18rshift_kernel_cudaERNS_18TensorIteratorBaseEENKUlvE_clEvENKUlvE2_clEvEUlllE_EEEEvS5_RKT_EUlibE0_EEviT1_, .Lfunc_end207-_ZN2at6native32elementwise_kernel_manual_unrollILi128ELi4EZNS0_15gpu_kernel_implINS0_13BUnaryFunctorIlllZZZNS0_18rshift_kernel_cudaERNS_18TensorIteratorBaseEENKUlvE_clEvENKUlvE2_clEvEUlllE_EEEEvS5_RKT_EUlibE0_EEviT1_
                                        ; -- End function
	.set _ZN2at6native32elementwise_kernel_manual_unrollILi128ELi4EZNS0_15gpu_kernel_implINS0_13BUnaryFunctorIlllZZZNS0_18rshift_kernel_cudaERNS_18TensorIteratorBaseEENKUlvE_clEvENKUlvE2_clEvEUlllE_EEEEvS5_RKT_EUlibE0_EEviT1_.num_vgpr, 21
	.set _ZN2at6native32elementwise_kernel_manual_unrollILi128ELi4EZNS0_15gpu_kernel_implINS0_13BUnaryFunctorIlllZZZNS0_18rshift_kernel_cudaERNS_18TensorIteratorBaseEENKUlvE_clEvENKUlvE2_clEvEUlllE_EEEEvS5_RKT_EUlibE0_EEviT1_.num_agpr, 0
	.set _ZN2at6native32elementwise_kernel_manual_unrollILi128ELi4EZNS0_15gpu_kernel_implINS0_13BUnaryFunctorIlllZZZNS0_18rshift_kernel_cudaERNS_18TensorIteratorBaseEENKUlvE_clEvENKUlvE2_clEvEUlllE_EEEEvS5_RKT_EUlibE0_EEviT1_.numbered_sgpr, 79
	.set _ZN2at6native32elementwise_kernel_manual_unrollILi128ELi4EZNS0_15gpu_kernel_implINS0_13BUnaryFunctorIlllZZZNS0_18rshift_kernel_cudaERNS_18TensorIteratorBaseEENKUlvE_clEvENKUlvE2_clEvEUlllE_EEEEvS5_RKT_EUlibE0_EEviT1_.num_named_barrier, 0
	.set _ZN2at6native32elementwise_kernel_manual_unrollILi128ELi4EZNS0_15gpu_kernel_implINS0_13BUnaryFunctorIlllZZZNS0_18rshift_kernel_cudaERNS_18TensorIteratorBaseEENKUlvE_clEvENKUlvE2_clEvEUlllE_EEEEvS5_RKT_EUlibE0_EEviT1_.private_seg_size, 0
	.set _ZN2at6native32elementwise_kernel_manual_unrollILi128ELi4EZNS0_15gpu_kernel_implINS0_13BUnaryFunctorIlllZZZNS0_18rshift_kernel_cudaERNS_18TensorIteratorBaseEENKUlvE_clEvENKUlvE2_clEvEUlllE_EEEEvS5_RKT_EUlibE0_EEviT1_.uses_vcc, 1
	.set _ZN2at6native32elementwise_kernel_manual_unrollILi128ELi4EZNS0_15gpu_kernel_implINS0_13BUnaryFunctorIlllZZZNS0_18rshift_kernel_cudaERNS_18TensorIteratorBaseEENKUlvE_clEvENKUlvE2_clEvEUlllE_EEEEvS5_RKT_EUlibE0_EEviT1_.uses_flat_scratch, 0
	.set _ZN2at6native32elementwise_kernel_manual_unrollILi128ELi4EZNS0_15gpu_kernel_implINS0_13BUnaryFunctorIlllZZZNS0_18rshift_kernel_cudaERNS_18TensorIteratorBaseEENKUlvE_clEvENKUlvE2_clEvEUlllE_EEEEvS5_RKT_EUlibE0_EEviT1_.has_dyn_sized_stack, 0
	.set _ZN2at6native32elementwise_kernel_manual_unrollILi128ELi4EZNS0_15gpu_kernel_implINS0_13BUnaryFunctorIlllZZZNS0_18rshift_kernel_cudaERNS_18TensorIteratorBaseEENKUlvE_clEvENKUlvE2_clEvEUlllE_EEEEvS5_RKT_EUlibE0_EEviT1_.has_recursion, 0
	.set _ZN2at6native32elementwise_kernel_manual_unrollILi128ELi4EZNS0_15gpu_kernel_implINS0_13BUnaryFunctorIlllZZZNS0_18rshift_kernel_cudaERNS_18TensorIteratorBaseEENKUlvE_clEvENKUlvE2_clEvEUlllE_EEEEvS5_RKT_EUlibE0_EEviT1_.has_indirect_call, 0
	.section	.AMDGPU.csdata,"",@progbits
; Kernel info:
; codeLenInByte = 45240
; TotalNumSgprs: 83
; NumVgprs: 21
; ScratchSize: 0
; MemoryBound: 1
; FloatMode: 240
; IeeeMode: 1
; LDSByteSize: 0 bytes/workgroup (compile time only)
; SGPRBlocks: 10
; VGPRBlocks: 5
; NumSGPRsForWavesPerEU: 83
; NumVGPRsForWavesPerEU: 21
; Occupancy: 9
; WaveLimiterHint : 1
; COMPUTE_PGM_RSRC2:SCRATCH_EN: 0
; COMPUTE_PGM_RSRC2:USER_SGPR: 6
; COMPUTE_PGM_RSRC2:TRAP_HANDLER: 0
; COMPUTE_PGM_RSRC2:TGID_X_EN: 1
; COMPUTE_PGM_RSRC2:TGID_Y_EN: 0
; COMPUTE_PGM_RSRC2:TGID_Z_EN: 0
; COMPUTE_PGM_RSRC2:TIDIG_COMP_CNT: 0
	.section	.text._ZN2at6native29vectorized_elementwise_kernelILi16ENS0_13BinaryFunctorIlllZZZNS0_18rshift_kernel_cudaERNS_18TensorIteratorBaseEENKUlvE_clEvENKUlvE2_clEvEUlllE_EESt5arrayIPcLm3EEEEviT0_T1_,"axG",@progbits,_ZN2at6native29vectorized_elementwise_kernelILi16ENS0_13BinaryFunctorIlllZZZNS0_18rshift_kernel_cudaERNS_18TensorIteratorBaseEENKUlvE_clEvENKUlvE2_clEvEUlllE_EESt5arrayIPcLm3EEEEviT0_T1_,comdat
	.globl	_ZN2at6native29vectorized_elementwise_kernelILi16ENS0_13BinaryFunctorIlllZZZNS0_18rshift_kernel_cudaERNS_18TensorIteratorBaseEENKUlvE_clEvENKUlvE2_clEvEUlllE_EESt5arrayIPcLm3EEEEviT0_T1_ ; -- Begin function _ZN2at6native29vectorized_elementwise_kernelILi16ENS0_13BinaryFunctorIlllZZZNS0_18rshift_kernel_cudaERNS_18TensorIteratorBaseEENKUlvE_clEvENKUlvE2_clEvEUlllE_EESt5arrayIPcLm3EEEEviT0_T1_
	.p2align	8
	.type	_ZN2at6native29vectorized_elementwise_kernelILi16ENS0_13BinaryFunctorIlllZZZNS0_18rshift_kernel_cudaERNS_18TensorIteratorBaseEENKUlvE_clEvENKUlvE2_clEvEUlllE_EESt5arrayIPcLm3EEEEviT0_T1_,@function
_ZN2at6native29vectorized_elementwise_kernelILi16ENS0_13BinaryFunctorIlllZZZNS0_18rshift_kernel_cudaERNS_18TensorIteratorBaseEENKUlvE_clEvENKUlvE2_clEvEUlllE_EESt5arrayIPcLm3EEEEviT0_T1_: ; @_ZN2at6native29vectorized_elementwise_kernelILi16ENS0_13BinaryFunctorIlllZZZNS0_18rshift_kernel_cudaERNS_18TensorIteratorBaseEENKUlvE_clEvENKUlvE2_clEvEUlllE_EESt5arrayIPcLm3EEEEviT0_T1_
; %bb.0:
	s_load_dword s0, s[4:5], 0x0
	s_load_dwordx4 s[8:11], s[4:5], 0x8
	s_load_dwordx2 s[12:13], s[4:5], 0x18
	s_lshl_b32 s2, s6, 10
	s_waitcnt lgkmcnt(0)
	s_sub_i32 s6, s0, s2
	s_cmpk_gt_i32 s6, 0x3ff
	s_mov_b64 s[0:1], -1
	s_cbranch_scc0 .LBB208_2
; %bb.1:
	s_ashr_i32 s3, s2, 31
	s_lshl_b64 s[0:1], s[2:3], 3
	s_add_u32 s4, s10, s0
	s_addc_u32 s5, s11, s1
	s_add_u32 s14, s12, s0
	v_lshlrev_b32_e32 v17, 5, v0
	s_addc_u32 s15, s13, s1
	global_load_dwordx4 v[1:4], v17, s[14:15]
	global_load_dwordx4 v[5:8], v17, s[14:15] offset:16
	global_load_dwordx4 v[9:12], v17, s[4:5]
	global_load_dwordx4 v[13:16], v17, s[4:5] offset:16
	s_add_u32 s0, s8, s0
	s_addc_u32 s1, s9, s1
	s_waitcnt vmcnt(3)
	v_cmp_gt_u64_e32 vcc, 63, v[1:2]
	v_cndmask_b32_e32 v1, 63, v1, vcc
	v_cmp_gt_u64_e32 vcc, 63, v[3:4]
	s_waitcnt vmcnt(1)
	v_ashrrev_i64 v[1:2], v1, v[9:10]
	v_cndmask_b32_e32 v3, 63, v3, vcc
	v_cmp_gt_u64_e32 vcc, 63, v[5:6]
	v_ashrrev_i64 v[3:4], v3, v[11:12]
	v_cndmask_b32_e32 v5, 63, v5, vcc
	v_cmp_gt_u64_e32 vcc, 63, v[7:8]
	s_waitcnt vmcnt(0)
	v_ashrrev_i64 v[5:6], v5, v[13:14]
	v_cndmask_b32_e32 v7, 63, v7, vcc
	v_ashrrev_i64 v[7:8], v7, v[15:16]
	global_store_dwordx4 v17, v[1:4], s[0:1]
	global_store_dwordx4 v17, v[5:8], s[0:1] offset:16
	s_mov_b64 s[0:1], 0
.LBB208_2:
	s_andn2_b64 vcc, exec, s[0:1]
	s_cbranch_vccnz .LBB208_14
; %bb.3:
	v_mov_b32_e32 v3, 0
	v_mov_b32_e32 v5, 0
	v_cmp_gt_i32_e32 vcc, s6, v0
	v_mov_b32_e32 v4, 0
	v_or_b32_e32 v1, s2, v0
	v_mov_b32_e32 v6, 0
	v_mov_b32_e32 v7, 0
	;; [unrolled: 1-line block ×4, first 2 shown]
	s_and_saveexec_b64 s[4:5], vcc
	s_cbranch_execz .LBB208_5
; %bb.4:
	v_mov_b32_e32 v2, 0
	v_lshlrev_b64 v[5:6], 3, v[1:2]
	v_mov_b32_e32 v2, s13
	v_add_co_u32_e64 v7, s[0:1], s12, v5
	v_addc_co_u32_e64 v8, s[0:1], v2, v6, s[0:1]
	global_load_dwordx2 v[7:8], v[7:8], off
	v_mov_b32_e32 v2, s11
	v_add_co_u32_e64 v5, s[0:1], s10, v5
	v_addc_co_u32_e64 v6, s[0:1], v2, v6, s[0:1]
	global_load_dwordx2 v[5:6], v[5:6], off
	v_or_b32_e32 v2, 0x100, v0
	s_waitcnt vmcnt(1)
	v_cmp_gt_u64_e64 s[0:1], 63, v[7:8]
	v_cndmask_b32_e64 v7, 63, v7, s[0:1]
.LBB208_5:
	s_or_b64 exec, exec, s[4:5]
	v_mov_b32_e32 v10, 0
	v_cmp_gt_i32_e64 s[0:1], s6, v2
	v_mov_b32_e32 v11, 0
	s_and_saveexec_b64 s[4:5], s[0:1]
	s_cbranch_execz .LBB208_7
; %bb.6:
	v_add_u32_e32 v3, s2, v2
	v_mov_b32_e32 v4, 0
	v_lshlrev_b64 v[3:4], 3, v[3:4]
	v_mov_b32_e32 v9, s13
	v_add_co_u32_e64 v8, s[0:1], s12, v3
	v_addc_co_u32_e64 v9, s[0:1], v9, v4, s[0:1]
	global_load_dwordx2 v[8:9], v[8:9], off
	v_mov_b32_e32 v10, s11
	v_add_co_u32_e64 v3, s[0:1], s10, v3
	v_addc_co_u32_e64 v4, s[0:1], v10, v4, s[0:1]
	global_load_dwordx2 v[3:4], v[3:4], off
	v_add_u32_e32 v2, 0x100, v2
	s_waitcnt vmcnt(1)
	v_cmp_gt_u64_e64 s[0:1], 63, v[8:9]
	v_cndmask_b32_e64 v10, 63, v8, s[0:1]
.LBB208_7:
	s_or_b64 exec, exec, s[4:5]
	v_mov_b32_e32 v8, 0
	v_mov_b32_e32 v11, 0
	;; [unrolled: 1-line block ×5, first 2 shown]
	v_cmp_gt_i32_e64 s[0:1], s6, v2
	v_mov_b32_e32 v14, 0
	s_and_saveexec_b64 s[4:5], s[0:1]
	s_cbranch_execnz .LBB208_15
; %bb.8:
	s_or_b64 exec, exec, s[4:5]
	v_cmp_gt_i32_e64 s[0:1], s6, v2
	s_and_saveexec_b64 s[4:5], s[0:1]
	s_cbranch_execnz .LBB208_16
.LBB208_9:
	s_or_b64 exec, exec, s[4:5]
	s_and_saveexec_b64 s[0:1], vcc
	s_cbranch_execnz .LBB208_17
.LBB208_10:
	s_or_b64 exec, exec, s[0:1]
	v_cmp_gt_i32_e32 vcc, s6, v0
	s_and_saveexec_b64 s[0:1], vcc
	s_cbranch_execnz .LBB208_18
.LBB208_11:
	s_or_b64 exec, exec, s[0:1]
	v_cmp_gt_i32_e32 vcc, s6, v0
	s_and_saveexec_b64 s[0:1], vcc
	s_cbranch_execnz .LBB208_19
.LBB208_12:
	s_or_b64 exec, exec, s[0:1]
	v_cmp_gt_i32_e32 vcc, s6, v0
	s_and_saveexec_b64 s[0:1], vcc
	s_cbranch_execz .LBB208_14
.LBB208_13:
	v_add_u32_e32 v0, s2, v0
	v_mov_b32_e32 v1, 0
	v_lshlrev_b64 v[0:1], 3, v[0:1]
	v_mov_b32_e32 v2, s9
	v_add_co_u32_e32 v0, vcc, s8, v0
	v_addc_co_u32_e32 v1, vcc, v2, v1, vcc
	global_store_dwordx2 v[0:1], v[8:9], off
.LBB208_14:
	s_endpgm
.LBB208_15:
	v_add_u32_e32 v11, s2, v2
	v_mov_b32_e32 v12, 0
	v_lshlrev_b64 v[11:12], 3, v[11:12]
	v_mov_b32_e32 v14, s13
	v_add_co_u32_e64 v13, s[0:1], s12, v11
	v_addc_co_u32_e64 v14, s[0:1], v14, v12, s[0:1]
	global_load_dwordx2 v[13:14], v[13:14], off
	v_mov_b32_e32 v15, s11
	v_add_co_u32_e64 v11, s[0:1], s10, v11
	v_addc_co_u32_e64 v12, s[0:1], v15, v12, s[0:1]
	global_load_dwordx2 v[11:12], v[11:12], off
	v_add_u32_e32 v2, 0x100, v2
	s_waitcnt vmcnt(1)
	v_cmp_gt_u64_e64 s[0:1], 63, v[13:14]
	v_cndmask_b32_e64 v13, 63, v13, s[0:1]
	s_or_b64 exec, exec, s[4:5]
	v_cmp_gt_i32_e64 s[0:1], s6, v2
	s_and_saveexec_b64 s[4:5], s[0:1]
	s_cbranch_execz .LBB208_9
.LBB208_16:
	v_add_u32_e32 v8, s2, v2
	v_mov_b32_e32 v9, 0
	v_lshlrev_b64 v[8:9], 3, v[8:9]
	v_mov_b32_e32 v2, s13
	v_add_co_u32_e64 v14, s[0:1], s12, v8
	v_addc_co_u32_e64 v15, s[0:1], v2, v9, s[0:1]
	global_load_dwordx2 v[14:15], v[14:15], off
	v_mov_b32_e32 v2, s11
	v_add_co_u32_e64 v8, s[0:1], s10, v8
	v_addc_co_u32_e64 v9, s[0:1], v2, v9, s[0:1]
	global_load_dwordx2 v[8:9], v[8:9], off
	s_waitcnt vmcnt(1)
	v_cmp_gt_u64_e64 s[0:1], 63, v[14:15]
	v_cndmask_b32_e64 v2, 63, v14, s[0:1]
	s_waitcnt vmcnt(0)
	v_ashrrev_i64 v[8:9], v2, v[8:9]
	s_or_b64 exec, exec, s[4:5]
	s_and_saveexec_b64 s[0:1], vcc
	s_cbranch_execz .LBB208_10
.LBB208_17:
	v_mov_b32_e32 v2, 0
	v_lshlrev_b64 v[1:2], 3, v[1:2]
	s_waitcnt vmcnt(0)
	v_ashrrev_i64 v[5:6], v7, v[5:6]
	v_mov_b32_e32 v7, s9
	v_add_co_u32_e32 v1, vcc, s8, v1
	v_or_b32_e32 v0, 0x100, v0
	v_addc_co_u32_e32 v2, vcc, v7, v2, vcc
	global_store_dwordx2 v[1:2], v[5:6], off
	s_or_b64 exec, exec, s[0:1]
	v_cmp_gt_i32_e32 vcc, s6, v0
	s_and_saveexec_b64 s[0:1], vcc
	s_cbranch_execz .LBB208_11
.LBB208_18:
	s_waitcnt vmcnt(0)
	v_ashrrev_i64 v[1:2], v10, v[3:4]
	v_add_u32_e32 v3, s2, v0
	v_mov_b32_e32 v4, 0
	v_lshlrev_b64 v[3:4], 3, v[3:4]
	v_mov_b32_e32 v5, s9
	v_add_co_u32_e32 v3, vcc, s8, v3
	v_addc_co_u32_e32 v4, vcc, v5, v4, vcc
	v_add_u32_e32 v0, 0x100, v0
	global_store_dwordx2 v[3:4], v[1:2], off
	s_or_b64 exec, exec, s[0:1]
	v_cmp_gt_i32_e32 vcc, s6, v0
	s_and_saveexec_b64 s[0:1], vcc
	s_cbranch_execz .LBB208_12
.LBB208_19:
	s_waitcnt vmcnt(0)
	v_add_u32_e32 v3, s2, v0
	v_mov_b32_e32 v4, 0
	v_lshlrev_b64 v[3:4], 3, v[3:4]
	v_ashrrev_i64 v[1:2], v13, v[11:12]
	v_mov_b32_e32 v5, s9
	v_add_co_u32_e32 v3, vcc, s8, v3
	v_addc_co_u32_e32 v4, vcc, v5, v4, vcc
	v_add_u32_e32 v0, 0x100, v0
	global_store_dwordx2 v[3:4], v[1:2], off
	s_or_b64 exec, exec, s[0:1]
	v_cmp_gt_i32_e32 vcc, s6, v0
	s_and_saveexec_b64 s[0:1], vcc
	s_cbranch_execnz .LBB208_13
	s_branch .LBB208_14
	.section	.rodata,"a",@progbits
	.p2align	6, 0x0
	.amdhsa_kernel _ZN2at6native29vectorized_elementwise_kernelILi16ENS0_13BinaryFunctorIlllZZZNS0_18rshift_kernel_cudaERNS_18TensorIteratorBaseEENKUlvE_clEvENKUlvE2_clEvEUlllE_EESt5arrayIPcLm3EEEEviT0_T1_
		.amdhsa_group_segment_fixed_size 0
		.amdhsa_private_segment_fixed_size 0
		.amdhsa_kernarg_size 32
		.amdhsa_user_sgpr_count 6
		.amdhsa_user_sgpr_private_segment_buffer 1
		.amdhsa_user_sgpr_dispatch_ptr 0
		.amdhsa_user_sgpr_queue_ptr 0
		.amdhsa_user_sgpr_kernarg_segment_ptr 1
		.amdhsa_user_sgpr_dispatch_id 0
		.amdhsa_user_sgpr_flat_scratch_init 0
		.amdhsa_user_sgpr_private_segment_size 0
		.amdhsa_uses_dynamic_stack 0
		.amdhsa_system_sgpr_private_segment_wavefront_offset 0
		.amdhsa_system_sgpr_workgroup_id_x 1
		.amdhsa_system_sgpr_workgroup_id_y 0
		.amdhsa_system_sgpr_workgroup_id_z 0
		.amdhsa_system_sgpr_workgroup_info 0
		.amdhsa_system_vgpr_workitem_id 0
		.amdhsa_next_free_vgpr 18
		.amdhsa_next_free_sgpr 16
		.amdhsa_reserve_vcc 1
		.amdhsa_reserve_flat_scratch 0
		.amdhsa_float_round_mode_32 0
		.amdhsa_float_round_mode_16_64 0
		.amdhsa_float_denorm_mode_32 3
		.amdhsa_float_denorm_mode_16_64 3
		.amdhsa_dx10_clamp 1
		.amdhsa_ieee_mode 1
		.amdhsa_fp16_overflow 0
		.amdhsa_exception_fp_ieee_invalid_op 0
		.amdhsa_exception_fp_denorm_src 0
		.amdhsa_exception_fp_ieee_div_zero 0
		.amdhsa_exception_fp_ieee_overflow 0
		.amdhsa_exception_fp_ieee_underflow 0
		.amdhsa_exception_fp_ieee_inexact 0
		.amdhsa_exception_int_div_zero 0
	.end_amdhsa_kernel
	.section	.text._ZN2at6native29vectorized_elementwise_kernelILi16ENS0_13BinaryFunctorIlllZZZNS0_18rshift_kernel_cudaERNS_18TensorIteratorBaseEENKUlvE_clEvENKUlvE2_clEvEUlllE_EESt5arrayIPcLm3EEEEviT0_T1_,"axG",@progbits,_ZN2at6native29vectorized_elementwise_kernelILi16ENS0_13BinaryFunctorIlllZZZNS0_18rshift_kernel_cudaERNS_18TensorIteratorBaseEENKUlvE_clEvENKUlvE2_clEvEUlllE_EESt5arrayIPcLm3EEEEviT0_T1_,comdat
.Lfunc_end208:
	.size	_ZN2at6native29vectorized_elementwise_kernelILi16ENS0_13BinaryFunctorIlllZZZNS0_18rshift_kernel_cudaERNS_18TensorIteratorBaseEENKUlvE_clEvENKUlvE2_clEvEUlllE_EESt5arrayIPcLm3EEEEviT0_T1_, .Lfunc_end208-_ZN2at6native29vectorized_elementwise_kernelILi16ENS0_13BinaryFunctorIlllZZZNS0_18rshift_kernel_cudaERNS_18TensorIteratorBaseEENKUlvE_clEvENKUlvE2_clEvEUlllE_EESt5arrayIPcLm3EEEEviT0_T1_
                                        ; -- End function
	.set _ZN2at6native29vectorized_elementwise_kernelILi16ENS0_13BinaryFunctorIlllZZZNS0_18rshift_kernel_cudaERNS_18TensorIteratorBaseEENKUlvE_clEvENKUlvE2_clEvEUlllE_EESt5arrayIPcLm3EEEEviT0_T1_.num_vgpr, 18
	.set _ZN2at6native29vectorized_elementwise_kernelILi16ENS0_13BinaryFunctorIlllZZZNS0_18rshift_kernel_cudaERNS_18TensorIteratorBaseEENKUlvE_clEvENKUlvE2_clEvEUlllE_EESt5arrayIPcLm3EEEEviT0_T1_.num_agpr, 0
	.set _ZN2at6native29vectorized_elementwise_kernelILi16ENS0_13BinaryFunctorIlllZZZNS0_18rshift_kernel_cudaERNS_18TensorIteratorBaseEENKUlvE_clEvENKUlvE2_clEvEUlllE_EESt5arrayIPcLm3EEEEviT0_T1_.numbered_sgpr, 16
	.set _ZN2at6native29vectorized_elementwise_kernelILi16ENS0_13BinaryFunctorIlllZZZNS0_18rshift_kernel_cudaERNS_18TensorIteratorBaseEENKUlvE_clEvENKUlvE2_clEvEUlllE_EESt5arrayIPcLm3EEEEviT0_T1_.num_named_barrier, 0
	.set _ZN2at6native29vectorized_elementwise_kernelILi16ENS0_13BinaryFunctorIlllZZZNS0_18rshift_kernel_cudaERNS_18TensorIteratorBaseEENKUlvE_clEvENKUlvE2_clEvEUlllE_EESt5arrayIPcLm3EEEEviT0_T1_.private_seg_size, 0
	.set _ZN2at6native29vectorized_elementwise_kernelILi16ENS0_13BinaryFunctorIlllZZZNS0_18rshift_kernel_cudaERNS_18TensorIteratorBaseEENKUlvE_clEvENKUlvE2_clEvEUlllE_EESt5arrayIPcLm3EEEEviT0_T1_.uses_vcc, 1
	.set _ZN2at6native29vectorized_elementwise_kernelILi16ENS0_13BinaryFunctorIlllZZZNS0_18rshift_kernel_cudaERNS_18TensorIteratorBaseEENKUlvE_clEvENKUlvE2_clEvEUlllE_EESt5arrayIPcLm3EEEEviT0_T1_.uses_flat_scratch, 0
	.set _ZN2at6native29vectorized_elementwise_kernelILi16ENS0_13BinaryFunctorIlllZZZNS0_18rshift_kernel_cudaERNS_18TensorIteratorBaseEENKUlvE_clEvENKUlvE2_clEvEUlllE_EESt5arrayIPcLm3EEEEviT0_T1_.has_dyn_sized_stack, 0
	.set _ZN2at6native29vectorized_elementwise_kernelILi16ENS0_13BinaryFunctorIlllZZZNS0_18rshift_kernel_cudaERNS_18TensorIteratorBaseEENKUlvE_clEvENKUlvE2_clEvEUlllE_EESt5arrayIPcLm3EEEEviT0_T1_.has_recursion, 0
	.set _ZN2at6native29vectorized_elementwise_kernelILi16ENS0_13BinaryFunctorIlllZZZNS0_18rshift_kernel_cudaERNS_18TensorIteratorBaseEENKUlvE_clEvENKUlvE2_clEvEUlllE_EESt5arrayIPcLm3EEEEviT0_T1_.has_indirect_call, 0
	.section	.AMDGPU.csdata,"",@progbits
; Kernel info:
; codeLenInByte = 1104
; TotalNumSgprs: 20
; NumVgprs: 18
; ScratchSize: 0
; MemoryBound: 0
; FloatMode: 240
; IeeeMode: 1
; LDSByteSize: 0 bytes/workgroup (compile time only)
; SGPRBlocks: 2
; VGPRBlocks: 4
; NumSGPRsForWavesPerEU: 20
; NumVGPRsForWavesPerEU: 18
; Occupancy: 10
; WaveLimiterHint : 0
; COMPUTE_PGM_RSRC2:SCRATCH_EN: 0
; COMPUTE_PGM_RSRC2:USER_SGPR: 6
; COMPUTE_PGM_RSRC2:TRAP_HANDLER: 0
; COMPUTE_PGM_RSRC2:TGID_X_EN: 1
; COMPUTE_PGM_RSRC2:TGID_Y_EN: 0
; COMPUTE_PGM_RSRC2:TGID_Z_EN: 0
; COMPUTE_PGM_RSRC2:TIDIG_COMP_CNT: 0
	.section	.text._ZN2at6native29vectorized_elementwise_kernelILi8ENS0_13BinaryFunctorIlllZZZNS0_18rshift_kernel_cudaERNS_18TensorIteratorBaseEENKUlvE_clEvENKUlvE2_clEvEUlllE_EESt5arrayIPcLm3EEEEviT0_T1_,"axG",@progbits,_ZN2at6native29vectorized_elementwise_kernelILi8ENS0_13BinaryFunctorIlllZZZNS0_18rshift_kernel_cudaERNS_18TensorIteratorBaseEENKUlvE_clEvENKUlvE2_clEvEUlllE_EESt5arrayIPcLm3EEEEviT0_T1_,comdat
	.globl	_ZN2at6native29vectorized_elementwise_kernelILi8ENS0_13BinaryFunctorIlllZZZNS0_18rshift_kernel_cudaERNS_18TensorIteratorBaseEENKUlvE_clEvENKUlvE2_clEvEUlllE_EESt5arrayIPcLm3EEEEviT0_T1_ ; -- Begin function _ZN2at6native29vectorized_elementwise_kernelILi8ENS0_13BinaryFunctorIlllZZZNS0_18rshift_kernel_cudaERNS_18TensorIteratorBaseEENKUlvE_clEvENKUlvE2_clEvEUlllE_EESt5arrayIPcLm3EEEEviT0_T1_
	.p2align	8
	.type	_ZN2at6native29vectorized_elementwise_kernelILi8ENS0_13BinaryFunctorIlllZZZNS0_18rshift_kernel_cudaERNS_18TensorIteratorBaseEENKUlvE_clEvENKUlvE2_clEvEUlllE_EESt5arrayIPcLm3EEEEviT0_T1_,@function
_ZN2at6native29vectorized_elementwise_kernelILi8ENS0_13BinaryFunctorIlllZZZNS0_18rshift_kernel_cudaERNS_18TensorIteratorBaseEENKUlvE_clEvENKUlvE2_clEvEUlllE_EESt5arrayIPcLm3EEEEviT0_T1_: ; @_ZN2at6native29vectorized_elementwise_kernelILi8ENS0_13BinaryFunctorIlllZZZNS0_18rshift_kernel_cudaERNS_18TensorIteratorBaseEENKUlvE_clEvENKUlvE2_clEvEUlllE_EESt5arrayIPcLm3EEEEviT0_T1_
; %bb.0:
	s_load_dword s0, s[4:5], 0x0
	s_load_dwordx4 s[8:11], s[4:5], 0x8
	s_load_dwordx2 s[12:13], s[4:5], 0x18
	s_lshl_b32 s2, s6, 10
	s_waitcnt lgkmcnt(0)
	s_sub_i32 s6, s0, s2
	s_cmpk_gt_i32 s6, 0x3ff
	s_mov_b64 s[0:1], -1
	s_cbranch_scc0 .LBB209_2
; %bb.1:
	s_ashr_i32 s3, s2, 31
	s_lshl_b64 s[0:1], s[2:3], 3
	s_add_u32 s4, s10, s0
	s_addc_u32 s5, s11, s1
	s_add_u32 s14, s12, s0
	v_lshlrev_b32_e32 v17, 5, v0
	s_addc_u32 s15, s13, s1
	global_load_dwordx4 v[1:4], v17, s[14:15]
	global_load_dwordx4 v[5:8], v17, s[14:15] offset:16
	global_load_dwordx4 v[9:12], v17, s[4:5]
	global_load_dwordx4 v[13:16], v17, s[4:5] offset:16
	s_add_u32 s0, s8, s0
	s_addc_u32 s1, s9, s1
	s_waitcnt vmcnt(3)
	v_cmp_gt_u64_e32 vcc, 63, v[1:2]
	v_cndmask_b32_e32 v1, 63, v1, vcc
	v_cmp_gt_u64_e32 vcc, 63, v[3:4]
	s_waitcnt vmcnt(1)
	v_ashrrev_i64 v[1:2], v1, v[9:10]
	v_cndmask_b32_e32 v3, 63, v3, vcc
	v_cmp_gt_u64_e32 vcc, 63, v[5:6]
	v_ashrrev_i64 v[3:4], v3, v[11:12]
	v_cndmask_b32_e32 v5, 63, v5, vcc
	v_cmp_gt_u64_e32 vcc, 63, v[7:8]
	s_waitcnt vmcnt(0)
	v_ashrrev_i64 v[5:6], v5, v[13:14]
	v_cndmask_b32_e32 v7, 63, v7, vcc
	v_ashrrev_i64 v[7:8], v7, v[15:16]
	global_store_dwordx4 v17, v[1:4], s[0:1]
	global_store_dwordx4 v17, v[5:8], s[0:1] offset:16
	s_mov_b64 s[0:1], 0
.LBB209_2:
	s_andn2_b64 vcc, exec, s[0:1]
	s_cbranch_vccnz .LBB209_14
; %bb.3:
	v_mov_b32_e32 v3, 0
	v_mov_b32_e32 v5, 0
	v_cmp_gt_i32_e32 vcc, s6, v0
	v_mov_b32_e32 v4, 0
	v_or_b32_e32 v1, s2, v0
	v_mov_b32_e32 v6, 0
	v_mov_b32_e32 v7, 0
	;; [unrolled: 1-line block ×4, first 2 shown]
	s_and_saveexec_b64 s[4:5], vcc
	s_cbranch_execz .LBB209_5
; %bb.4:
	v_mov_b32_e32 v2, 0
	v_lshlrev_b64 v[5:6], 3, v[1:2]
	v_mov_b32_e32 v2, s13
	v_add_co_u32_e64 v7, s[0:1], s12, v5
	v_addc_co_u32_e64 v8, s[0:1], v2, v6, s[0:1]
	global_load_dwordx2 v[7:8], v[7:8], off
	v_mov_b32_e32 v2, s11
	v_add_co_u32_e64 v5, s[0:1], s10, v5
	v_addc_co_u32_e64 v6, s[0:1], v2, v6, s[0:1]
	global_load_dwordx2 v[5:6], v[5:6], off
	v_or_b32_e32 v2, 0x100, v0
	s_waitcnt vmcnt(1)
	v_cmp_gt_u64_e64 s[0:1], 63, v[7:8]
	v_cndmask_b32_e64 v7, 63, v7, s[0:1]
.LBB209_5:
	s_or_b64 exec, exec, s[4:5]
	v_mov_b32_e32 v10, 0
	v_cmp_gt_i32_e64 s[0:1], s6, v2
	v_mov_b32_e32 v11, 0
	s_and_saveexec_b64 s[4:5], s[0:1]
	s_cbranch_execz .LBB209_7
; %bb.6:
	v_add_u32_e32 v3, s2, v2
	v_mov_b32_e32 v4, 0
	v_lshlrev_b64 v[3:4], 3, v[3:4]
	v_mov_b32_e32 v9, s13
	v_add_co_u32_e64 v8, s[0:1], s12, v3
	v_addc_co_u32_e64 v9, s[0:1], v9, v4, s[0:1]
	global_load_dwordx2 v[8:9], v[8:9], off
	v_mov_b32_e32 v10, s11
	v_add_co_u32_e64 v3, s[0:1], s10, v3
	v_addc_co_u32_e64 v4, s[0:1], v10, v4, s[0:1]
	global_load_dwordx2 v[3:4], v[3:4], off
	v_add_u32_e32 v2, 0x100, v2
	s_waitcnt vmcnt(1)
	v_cmp_gt_u64_e64 s[0:1], 63, v[8:9]
	v_cndmask_b32_e64 v10, 63, v8, s[0:1]
.LBB209_7:
	s_or_b64 exec, exec, s[4:5]
	v_mov_b32_e32 v8, 0
	v_mov_b32_e32 v11, 0
	;; [unrolled: 1-line block ×5, first 2 shown]
	v_cmp_gt_i32_e64 s[0:1], s6, v2
	v_mov_b32_e32 v14, 0
	s_and_saveexec_b64 s[4:5], s[0:1]
	s_cbranch_execnz .LBB209_15
; %bb.8:
	s_or_b64 exec, exec, s[4:5]
	v_cmp_gt_i32_e64 s[0:1], s6, v2
	s_and_saveexec_b64 s[4:5], s[0:1]
	s_cbranch_execnz .LBB209_16
.LBB209_9:
	s_or_b64 exec, exec, s[4:5]
	s_and_saveexec_b64 s[0:1], vcc
	s_cbranch_execnz .LBB209_17
.LBB209_10:
	s_or_b64 exec, exec, s[0:1]
	v_cmp_gt_i32_e32 vcc, s6, v0
	s_and_saveexec_b64 s[0:1], vcc
	s_cbranch_execnz .LBB209_18
.LBB209_11:
	s_or_b64 exec, exec, s[0:1]
	v_cmp_gt_i32_e32 vcc, s6, v0
	s_and_saveexec_b64 s[0:1], vcc
	s_cbranch_execnz .LBB209_19
.LBB209_12:
	s_or_b64 exec, exec, s[0:1]
	v_cmp_gt_i32_e32 vcc, s6, v0
	s_and_saveexec_b64 s[0:1], vcc
	s_cbranch_execz .LBB209_14
.LBB209_13:
	v_add_u32_e32 v0, s2, v0
	v_mov_b32_e32 v1, 0
	v_lshlrev_b64 v[0:1], 3, v[0:1]
	v_mov_b32_e32 v2, s9
	v_add_co_u32_e32 v0, vcc, s8, v0
	v_addc_co_u32_e32 v1, vcc, v2, v1, vcc
	global_store_dwordx2 v[0:1], v[8:9], off
.LBB209_14:
	s_endpgm
.LBB209_15:
	v_add_u32_e32 v11, s2, v2
	v_mov_b32_e32 v12, 0
	v_lshlrev_b64 v[11:12], 3, v[11:12]
	v_mov_b32_e32 v14, s13
	v_add_co_u32_e64 v13, s[0:1], s12, v11
	v_addc_co_u32_e64 v14, s[0:1], v14, v12, s[0:1]
	global_load_dwordx2 v[13:14], v[13:14], off
	v_mov_b32_e32 v15, s11
	v_add_co_u32_e64 v11, s[0:1], s10, v11
	v_addc_co_u32_e64 v12, s[0:1], v15, v12, s[0:1]
	global_load_dwordx2 v[11:12], v[11:12], off
	v_add_u32_e32 v2, 0x100, v2
	s_waitcnt vmcnt(1)
	v_cmp_gt_u64_e64 s[0:1], 63, v[13:14]
	v_cndmask_b32_e64 v13, 63, v13, s[0:1]
	s_or_b64 exec, exec, s[4:5]
	v_cmp_gt_i32_e64 s[0:1], s6, v2
	s_and_saveexec_b64 s[4:5], s[0:1]
	s_cbranch_execz .LBB209_9
.LBB209_16:
	v_add_u32_e32 v8, s2, v2
	v_mov_b32_e32 v9, 0
	v_lshlrev_b64 v[8:9], 3, v[8:9]
	v_mov_b32_e32 v2, s13
	v_add_co_u32_e64 v14, s[0:1], s12, v8
	v_addc_co_u32_e64 v15, s[0:1], v2, v9, s[0:1]
	global_load_dwordx2 v[14:15], v[14:15], off
	v_mov_b32_e32 v2, s11
	v_add_co_u32_e64 v8, s[0:1], s10, v8
	v_addc_co_u32_e64 v9, s[0:1], v2, v9, s[0:1]
	global_load_dwordx2 v[8:9], v[8:9], off
	s_waitcnt vmcnt(1)
	v_cmp_gt_u64_e64 s[0:1], 63, v[14:15]
	v_cndmask_b32_e64 v2, 63, v14, s[0:1]
	s_waitcnt vmcnt(0)
	v_ashrrev_i64 v[8:9], v2, v[8:9]
	s_or_b64 exec, exec, s[4:5]
	s_and_saveexec_b64 s[0:1], vcc
	s_cbranch_execz .LBB209_10
.LBB209_17:
	v_mov_b32_e32 v2, 0
	v_lshlrev_b64 v[1:2], 3, v[1:2]
	s_waitcnt vmcnt(0)
	v_ashrrev_i64 v[5:6], v7, v[5:6]
	v_mov_b32_e32 v7, s9
	v_add_co_u32_e32 v1, vcc, s8, v1
	v_or_b32_e32 v0, 0x100, v0
	v_addc_co_u32_e32 v2, vcc, v7, v2, vcc
	global_store_dwordx2 v[1:2], v[5:6], off
	s_or_b64 exec, exec, s[0:1]
	v_cmp_gt_i32_e32 vcc, s6, v0
	s_and_saveexec_b64 s[0:1], vcc
	s_cbranch_execz .LBB209_11
.LBB209_18:
	s_waitcnt vmcnt(0)
	v_ashrrev_i64 v[1:2], v10, v[3:4]
	v_add_u32_e32 v3, s2, v0
	v_mov_b32_e32 v4, 0
	v_lshlrev_b64 v[3:4], 3, v[3:4]
	v_mov_b32_e32 v5, s9
	v_add_co_u32_e32 v3, vcc, s8, v3
	v_addc_co_u32_e32 v4, vcc, v5, v4, vcc
	v_add_u32_e32 v0, 0x100, v0
	global_store_dwordx2 v[3:4], v[1:2], off
	s_or_b64 exec, exec, s[0:1]
	v_cmp_gt_i32_e32 vcc, s6, v0
	s_and_saveexec_b64 s[0:1], vcc
	s_cbranch_execz .LBB209_12
.LBB209_19:
	s_waitcnt vmcnt(0)
	v_add_u32_e32 v3, s2, v0
	v_mov_b32_e32 v4, 0
	v_lshlrev_b64 v[3:4], 3, v[3:4]
	v_ashrrev_i64 v[1:2], v13, v[11:12]
	v_mov_b32_e32 v5, s9
	v_add_co_u32_e32 v3, vcc, s8, v3
	v_addc_co_u32_e32 v4, vcc, v5, v4, vcc
	v_add_u32_e32 v0, 0x100, v0
	global_store_dwordx2 v[3:4], v[1:2], off
	s_or_b64 exec, exec, s[0:1]
	v_cmp_gt_i32_e32 vcc, s6, v0
	s_and_saveexec_b64 s[0:1], vcc
	s_cbranch_execnz .LBB209_13
	s_branch .LBB209_14
	.section	.rodata,"a",@progbits
	.p2align	6, 0x0
	.amdhsa_kernel _ZN2at6native29vectorized_elementwise_kernelILi8ENS0_13BinaryFunctorIlllZZZNS0_18rshift_kernel_cudaERNS_18TensorIteratorBaseEENKUlvE_clEvENKUlvE2_clEvEUlllE_EESt5arrayIPcLm3EEEEviT0_T1_
		.amdhsa_group_segment_fixed_size 0
		.amdhsa_private_segment_fixed_size 0
		.amdhsa_kernarg_size 32
		.amdhsa_user_sgpr_count 6
		.amdhsa_user_sgpr_private_segment_buffer 1
		.amdhsa_user_sgpr_dispatch_ptr 0
		.amdhsa_user_sgpr_queue_ptr 0
		.amdhsa_user_sgpr_kernarg_segment_ptr 1
		.amdhsa_user_sgpr_dispatch_id 0
		.amdhsa_user_sgpr_flat_scratch_init 0
		.amdhsa_user_sgpr_private_segment_size 0
		.amdhsa_uses_dynamic_stack 0
		.amdhsa_system_sgpr_private_segment_wavefront_offset 0
		.amdhsa_system_sgpr_workgroup_id_x 1
		.amdhsa_system_sgpr_workgroup_id_y 0
		.amdhsa_system_sgpr_workgroup_id_z 0
		.amdhsa_system_sgpr_workgroup_info 0
		.amdhsa_system_vgpr_workitem_id 0
		.amdhsa_next_free_vgpr 18
		.amdhsa_next_free_sgpr 16
		.amdhsa_reserve_vcc 1
		.amdhsa_reserve_flat_scratch 0
		.amdhsa_float_round_mode_32 0
		.amdhsa_float_round_mode_16_64 0
		.amdhsa_float_denorm_mode_32 3
		.amdhsa_float_denorm_mode_16_64 3
		.amdhsa_dx10_clamp 1
		.amdhsa_ieee_mode 1
		.amdhsa_fp16_overflow 0
		.amdhsa_exception_fp_ieee_invalid_op 0
		.amdhsa_exception_fp_denorm_src 0
		.amdhsa_exception_fp_ieee_div_zero 0
		.amdhsa_exception_fp_ieee_overflow 0
		.amdhsa_exception_fp_ieee_underflow 0
		.amdhsa_exception_fp_ieee_inexact 0
		.amdhsa_exception_int_div_zero 0
	.end_amdhsa_kernel
	.section	.text._ZN2at6native29vectorized_elementwise_kernelILi8ENS0_13BinaryFunctorIlllZZZNS0_18rshift_kernel_cudaERNS_18TensorIteratorBaseEENKUlvE_clEvENKUlvE2_clEvEUlllE_EESt5arrayIPcLm3EEEEviT0_T1_,"axG",@progbits,_ZN2at6native29vectorized_elementwise_kernelILi8ENS0_13BinaryFunctorIlllZZZNS0_18rshift_kernel_cudaERNS_18TensorIteratorBaseEENKUlvE_clEvENKUlvE2_clEvEUlllE_EESt5arrayIPcLm3EEEEviT0_T1_,comdat
.Lfunc_end209:
	.size	_ZN2at6native29vectorized_elementwise_kernelILi8ENS0_13BinaryFunctorIlllZZZNS0_18rshift_kernel_cudaERNS_18TensorIteratorBaseEENKUlvE_clEvENKUlvE2_clEvEUlllE_EESt5arrayIPcLm3EEEEviT0_T1_, .Lfunc_end209-_ZN2at6native29vectorized_elementwise_kernelILi8ENS0_13BinaryFunctorIlllZZZNS0_18rshift_kernel_cudaERNS_18TensorIteratorBaseEENKUlvE_clEvENKUlvE2_clEvEUlllE_EESt5arrayIPcLm3EEEEviT0_T1_
                                        ; -- End function
	.set _ZN2at6native29vectorized_elementwise_kernelILi8ENS0_13BinaryFunctorIlllZZZNS0_18rshift_kernel_cudaERNS_18TensorIteratorBaseEENKUlvE_clEvENKUlvE2_clEvEUlllE_EESt5arrayIPcLm3EEEEviT0_T1_.num_vgpr, 18
	.set _ZN2at6native29vectorized_elementwise_kernelILi8ENS0_13BinaryFunctorIlllZZZNS0_18rshift_kernel_cudaERNS_18TensorIteratorBaseEENKUlvE_clEvENKUlvE2_clEvEUlllE_EESt5arrayIPcLm3EEEEviT0_T1_.num_agpr, 0
	.set _ZN2at6native29vectorized_elementwise_kernelILi8ENS0_13BinaryFunctorIlllZZZNS0_18rshift_kernel_cudaERNS_18TensorIteratorBaseEENKUlvE_clEvENKUlvE2_clEvEUlllE_EESt5arrayIPcLm3EEEEviT0_T1_.numbered_sgpr, 16
	.set _ZN2at6native29vectorized_elementwise_kernelILi8ENS0_13BinaryFunctorIlllZZZNS0_18rshift_kernel_cudaERNS_18TensorIteratorBaseEENKUlvE_clEvENKUlvE2_clEvEUlllE_EESt5arrayIPcLm3EEEEviT0_T1_.num_named_barrier, 0
	.set _ZN2at6native29vectorized_elementwise_kernelILi8ENS0_13BinaryFunctorIlllZZZNS0_18rshift_kernel_cudaERNS_18TensorIteratorBaseEENKUlvE_clEvENKUlvE2_clEvEUlllE_EESt5arrayIPcLm3EEEEviT0_T1_.private_seg_size, 0
	.set _ZN2at6native29vectorized_elementwise_kernelILi8ENS0_13BinaryFunctorIlllZZZNS0_18rshift_kernel_cudaERNS_18TensorIteratorBaseEENKUlvE_clEvENKUlvE2_clEvEUlllE_EESt5arrayIPcLm3EEEEviT0_T1_.uses_vcc, 1
	.set _ZN2at6native29vectorized_elementwise_kernelILi8ENS0_13BinaryFunctorIlllZZZNS0_18rshift_kernel_cudaERNS_18TensorIteratorBaseEENKUlvE_clEvENKUlvE2_clEvEUlllE_EESt5arrayIPcLm3EEEEviT0_T1_.uses_flat_scratch, 0
	.set _ZN2at6native29vectorized_elementwise_kernelILi8ENS0_13BinaryFunctorIlllZZZNS0_18rshift_kernel_cudaERNS_18TensorIteratorBaseEENKUlvE_clEvENKUlvE2_clEvEUlllE_EESt5arrayIPcLm3EEEEviT0_T1_.has_dyn_sized_stack, 0
	.set _ZN2at6native29vectorized_elementwise_kernelILi8ENS0_13BinaryFunctorIlllZZZNS0_18rshift_kernel_cudaERNS_18TensorIteratorBaseEENKUlvE_clEvENKUlvE2_clEvEUlllE_EESt5arrayIPcLm3EEEEviT0_T1_.has_recursion, 0
	.set _ZN2at6native29vectorized_elementwise_kernelILi8ENS0_13BinaryFunctorIlllZZZNS0_18rshift_kernel_cudaERNS_18TensorIteratorBaseEENKUlvE_clEvENKUlvE2_clEvEUlllE_EESt5arrayIPcLm3EEEEviT0_T1_.has_indirect_call, 0
	.section	.AMDGPU.csdata,"",@progbits
; Kernel info:
; codeLenInByte = 1104
; TotalNumSgprs: 20
; NumVgprs: 18
; ScratchSize: 0
; MemoryBound: 0
; FloatMode: 240
; IeeeMode: 1
; LDSByteSize: 0 bytes/workgroup (compile time only)
; SGPRBlocks: 2
; VGPRBlocks: 4
; NumSGPRsForWavesPerEU: 20
; NumVGPRsForWavesPerEU: 18
; Occupancy: 10
; WaveLimiterHint : 0
; COMPUTE_PGM_RSRC2:SCRATCH_EN: 0
; COMPUTE_PGM_RSRC2:USER_SGPR: 6
; COMPUTE_PGM_RSRC2:TRAP_HANDLER: 0
; COMPUTE_PGM_RSRC2:TGID_X_EN: 1
; COMPUTE_PGM_RSRC2:TGID_Y_EN: 0
; COMPUTE_PGM_RSRC2:TGID_Z_EN: 0
; COMPUTE_PGM_RSRC2:TIDIG_COMP_CNT: 0
	.section	.text._ZN2at6native29vectorized_elementwise_kernelILi4ENS0_13BinaryFunctorIlllZZZNS0_18rshift_kernel_cudaERNS_18TensorIteratorBaseEENKUlvE_clEvENKUlvE2_clEvEUlllE_EESt5arrayIPcLm3EEEEviT0_T1_,"axG",@progbits,_ZN2at6native29vectorized_elementwise_kernelILi4ENS0_13BinaryFunctorIlllZZZNS0_18rshift_kernel_cudaERNS_18TensorIteratorBaseEENKUlvE_clEvENKUlvE2_clEvEUlllE_EESt5arrayIPcLm3EEEEviT0_T1_,comdat
	.globl	_ZN2at6native29vectorized_elementwise_kernelILi4ENS0_13BinaryFunctorIlllZZZNS0_18rshift_kernel_cudaERNS_18TensorIteratorBaseEENKUlvE_clEvENKUlvE2_clEvEUlllE_EESt5arrayIPcLm3EEEEviT0_T1_ ; -- Begin function _ZN2at6native29vectorized_elementwise_kernelILi4ENS0_13BinaryFunctorIlllZZZNS0_18rshift_kernel_cudaERNS_18TensorIteratorBaseEENKUlvE_clEvENKUlvE2_clEvEUlllE_EESt5arrayIPcLm3EEEEviT0_T1_
	.p2align	8
	.type	_ZN2at6native29vectorized_elementwise_kernelILi4ENS0_13BinaryFunctorIlllZZZNS0_18rshift_kernel_cudaERNS_18TensorIteratorBaseEENKUlvE_clEvENKUlvE2_clEvEUlllE_EESt5arrayIPcLm3EEEEviT0_T1_,@function
_ZN2at6native29vectorized_elementwise_kernelILi4ENS0_13BinaryFunctorIlllZZZNS0_18rshift_kernel_cudaERNS_18TensorIteratorBaseEENKUlvE_clEvENKUlvE2_clEvEUlllE_EESt5arrayIPcLm3EEEEviT0_T1_: ; @_ZN2at6native29vectorized_elementwise_kernelILi4ENS0_13BinaryFunctorIlllZZZNS0_18rshift_kernel_cudaERNS_18TensorIteratorBaseEENKUlvE_clEvENKUlvE2_clEvEUlllE_EESt5arrayIPcLm3EEEEviT0_T1_
; %bb.0:
	s_load_dword s0, s[4:5], 0x0
	s_load_dwordx4 s[8:11], s[4:5], 0x8
	s_load_dwordx2 s[12:13], s[4:5], 0x18
	s_lshl_b32 s2, s6, 10
	s_waitcnt lgkmcnt(0)
	s_sub_i32 s6, s0, s2
	s_cmpk_gt_i32 s6, 0x3ff
	s_mov_b64 s[0:1], -1
	s_cbranch_scc0 .LBB210_2
; %bb.1:
	s_ashr_i32 s3, s2, 31
	s_lshl_b64 s[0:1], s[2:3], 3
	s_add_u32 s4, s10, s0
	s_addc_u32 s5, s11, s1
	s_add_u32 s14, s12, s0
	v_lshlrev_b32_e32 v17, 5, v0
	s_addc_u32 s15, s13, s1
	global_load_dwordx4 v[1:4], v17, s[14:15]
	global_load_dwordx4 v[5:8], v17, s[14:15] offset:16
	global_load_dwordx4 v[9:12], v17, s[4:5]
	global_load_dwordx4 v[13:16], v17, s[4:5] offset:16
	s_add_u32 s0, s8, s0
	s_addc_u32 s1, s9, s1
	s_waitcnt vmcnt(3)
	v_cmp_gt_u64_e32 vcc, 63, v[1:2]
	v_cndmask_b32_e32 v1, 63, v1, vcc
	v_cmp_gt_u64_e32 vcc, 63, v[3:4]
	s_waitcnt vmcnt(1)
	v_ashrrev_i64 v[1:2], v1, v[9:10]
	v_cndmask_b32_e32 v3, 63, v3, vcc
	v_cmp_gt_u64_e32 vcc, 63, v[5:6]
	v_ashrrev_i64 v[3:4], v3, v[11:12]
	v_cndmask_b32_e32 v5, 63, v5, vcc
	v_cmp_gt_u64_e32 vcc, 63, v[7:8]
	s_waitcnt vmcnt(0)
	v_ashrrev_i64 v[5:6], v5, v[13:14]
	v_cndmask_b32_e32 v7, 63, v7, vcc
	v_ashrrev_i64 v[7:8], v7, v[15:16]
	global_store_dwordx4 v17, v[1:4], s[0:1]
	global_store_dwordx4 v17, v[5:8], s[0:1] offset:16
	s_mov_b64 s[0:1], 0
.LBB210_2:
	s_andn2_b64 vcc, exec, s[0:1]
	s_cbranch_vccnz .LBB210_14
; %bb.3:
	v_mov_b32_e32 v3, 0
	v_mov_b32_e32 v5, 0
	v_cmp_gt_i32_e32 vcc, s6, v0
	v_mov_b32_e32 v4, 0
	v_or_b32_e32 v1, s2, v0
	v_mov_b32_e32 v6, 0
	v_mov_b32_e32 v7, 0
	;; [unrolled: 1-line block ×4, first 2 shown]
	s_and_saveexec_b64 s[4:5], vcc
	s_cbranch_execz .LBB210_5
; %bb.4:
	v_mov_b32_e32 v2, 0
	v_lshlrev_b64 v[5:6], 3, v[1:2]
	v_mov_b32_e32 v2, s13
	v_add_co_u32_e64 v7, s[0:1], s12, v5
	v_addc_co_u32_e64 v8, s[0:1], v2, v6, s[0:1]
	global_load_dwordx2 v[7:8], v[7:8], off
	v_mov_b32_e32 v2, s11
	v_add_co_u32_e64 v5, s[0:1], s10, v5
	v_addc_co_u32_e64 v6, s[0:1], v2, v6, s[0:1]
	global_load_dwordx2 v[5:6], v[5:6], off
	v_or_b32_e32 v2, 0x100, v0
	s_waitcnt vmcnt(1)
	v_cmp_gt_u64_e64 s[0:1], 63, v[7:8]
	v_cndmask_b32_e64 v7, 63, v7, s[0:1]
.LBB210_5:
	s_or_b64 exec, exec, s[4:5]
	v_mov_b32_e32 v10, 0
	v_cmp_gt_i32_e64 s[0:1], s6, v2
	v_mov_b32_e32 v11, 0
	s_and_saveexec_b64 s[4:5], s[0:1]
	s_cbranch_execz .LBB210_7
; %bb.6:
	v_add_u32_e32 v3, s2, v2
	v_mov_b32_e32 v4, 0
	v_lshlrev_b64 v[3:4], 3, v[3:4]
	v_mov_b32_e32 v9, s13
	v_add_co_u32_e64 v8, s[0:1], s12, v3
	v_addc_co_u32_e64 v9, s[0:1], v9, v4, s[0:1]
	global_load_dwordx2 v[8:9], v[8:9], off
	v_mov_b32_e32 v10, s11
	v_add_co_u32_e64 v3, s[0:1], s10, v3
	v_addc_co_u32_e64 v4, s[0:1], v10, v4, s[0:1]
	global_load_dwordx2 v[3:4], v[3:4], off
	v_add_u32_e32 v2, 0x100, v2
	s_waitcnt vmcnt(1)
	v_cmp_gt_u64_e64 s[0:1], 63, v[8:9]
	v_cndmask_b32_e64 v10, 63, v8, s[0:1]
.LBB210_7:
	s_or_b64 exec, exec, s[4:5]
	v_mov_b32_e32 v8, 0
	v_mov_b32_e32 v11, 0
	v_mov_b32_e32 v9, 0
	v_mov_b32_e32 v12, 0
	v_mov_b32_e32 v13, 0
	v_cmp_gt_i32_e64 s[0:1], s6, v2
	v_mov_b32_e32 v14, 0
	s_and_saveexec_b64 s[4:5], s[0:1]
	s_cbranch_execnz .LBB210_15
; %bb.8:
	s_or_b64 exec, exec, s[4:5]
	v_cmp_gt_i32_e64 s[0:1], s6, v2
	s_and_saveexec_b64 s[4:5], s[0:1]
	s_cbranch_execnz .LBB210_16
.LBB210_9:
	s_or_b64 exec, exec, s[4:5]
	s_and_saveexec_b64 s[0:1], vcc
	s_cbranch_execnz .LBB210_17
.LBB210_10:
	s_or_b64 exec, exec, s[0:1]
	v_cmp_gt_i32_e32 vcc, s6, v0
	s_and_saveexec_b64 s[0:1], vcc
	s_cbranch_execnz .LBB210_18
.LBB210_11:
	s_or_b64 exec, exec, s[0:1]
	v_cmp_gt_i32_e32 vcc, s6, v0
	s_and_saveexec_b64 s[0:1], vcc
	s_cbranch_execnz .LBB210_19
.LBB210_12:
	s_or_b64 exec, exec, s[0:1]
	v_cmp_gt_i32_e32 vcc, s6, v0
	s_and_saveexec_b64 s[0:1], vcc
	s_cbranch_execz .LBB210_14
.LBB210_13:
	v_add_u32_e32 v0, s2, v0
	v_mov_b32_e32 v1, 0
	v_lshlrev_b64 v[0:1], 3, v[0:1]
	v_mov_b32_e32 v2, s9
	v_add_co_u32_e32 v0, vcc, s8, v0
	v_addc_co_u32_e32 v1, vcc, v2, v1, vcc
	global_store_dwordx2 v[0:1], v[8:9], off
.LBB210_14:
	s_endpgm
.LBB210_15:
	v_add_u32_e32 v11, s2, v2
	v_mov_b32_e32 v12, 0
	v_lshlrev_b64 v[11:12], 3, v[11:12]
	v_mov_b32_e32 v14, s13
	v_add_co_u32_e64 v13, s[0:1], s12, v11
	v_addc_co_u32_e64 v14, s[0:1], v14, v12, s[0:1]
	global_load_dwordx2 v[13:14], v[13:14], off
	v_mov_b32_e32 v15, s11
	v_add_co_u32_e64 v11, s[0:1], s10, v11
	v_addc_co_u32_e64 v12, s[0:1], v15, v12, s[0:1]
	global_load_dwordx2 v[11:12], v[11:12], off
	v_add_u32_e32 v2, 0x100, v2
	s_waitcnt vmcnt(1)
	v_cmp_gt_u64_e64 s[0:1], 63, v[13:14]
	v_cndmask_b32_e64 v13, 63, v13, s[0:1]
	s_or_b64 exec, exec, s[4:5]
	v_cmp_gt_i32_e64 s[0:1], s6, v2
	s_and_saveexec_b64 s[4:5], s[0:1]
	s_cbranch_execz .LBB210_9
.LBB210_16:
	v_add_u32_e32 v8, s2, v2
	v_mov_b32_e32 v9, 0
	v_lshlrev_b64 v[8:9], 3, v[8:9]
	v_mov_b32_e32 v2, s13
	v_add_co_u32_e64 v14, s[0:1], s12, v8
	v_addc_co_u32_e64 v15, s[0:1], v2, v9, s[0:1]
	global_load_dwordx2 v[14:15], v[14:15], off
	v_mov_b32_e32 v2, s11
	v_add_co_u32_e64 v8, s[0:1], s10, v8
	v_addc_co_u32_e64 v9, s[0:1], v2, v9, s[0:1]
	global_load_dwordx2 v[8:9], v[8:9], off
	s_waitcnt vmcnt(1)
	v_cmp_gt_u64_e64 s[0:1], 63, v[14:15]
	v_cndmask_b32_e64 v2, 63, v14, s[0:1]
	s_waitcnt vmcnt(0)
	v_ashrrev_i64 v[8:9], v2, v[8:9]
	s_or_b64 exec, exec, s[4:5]
	s_and_saveexec_b64 s[0:1], vcc
	s_cbranch_execz .LBB210_10
.LBB210_17:
	v_mov_b32_e32 v2, 0
	v_lshlrev_b64 v[1:2], 3, v[1:2]
	s_waitcnt vmcnt(0)
	v_ashrrev_i64 v[5:6], v7, v[5:6]
	v_mov_b32_e32 v7, s9
	v_add_co_u32_e32 v1, vcc, s8, v1
	v_or_b32_e32 v0, 0x100, v0
	v_addc_co_u32_e32 v2, vcc, v7, v2, vcc
	global_store_dwordx2 v[1:2], v[5:6], off
	s_or_b64 exec, exec, s[0:1]
	v_cmp_gt_i32_e32 vcc, s6, v0
	s_and_saveexec_b64 s[0:1], vcc
	s_cbranch_execz .LBB210_11
.LBB210_18:
	s_waitcnt vmcnt(0)
	v_ashrrev_i64 v[1:2], v10, v[3:4]
	v_add_u32_e32 v3, s2, v0
	v_mov_b32_e32 v4, 0
	v_lshlrev_b64 v[3:4], 3, v[3:4]
	v_mov_b32_e32 v5, s9
	v_add_co_u32_e32 v3, vcc, s8, v3
	v_addc_co_u32_e32 v4, vcc, v5, v4, vcc
	v_add_u32_e32 v0, 0x100, v0
	global_store_dwordx2 v[3:4], v[1:2], off
	s_or_b64 exec, exec, s[0:1]
	v_cmp_gt_i32_e32 vcc, s6, v0
	s_and_saveexec_b64 s[0:1], vcc
	s_cbranch_execz .LBB210_12
.LBB210_19:
	s_waitcnt vmcnt(0)
	v_add_u32_e32 v3, s2, v0
	v_mov_b32_e32 v4, 0
	v_lshlrev_b64 v[3:4], 3, v[3:4]
	v_ashrrev_i64 v[1:2], v13, v[11:12]
	v_mov_b32_e32 v5, s9
	v_add_co_u32_e32 v3, vcc, s8, v3
	v_addc_co_u32_e32 v4, vcc, v5, v4, vcc
	v_add_u32_e32 v0, 0x100, v0
	global_store_dwordx2 v[3:4], v[1:2], off
	s_or_b64 exec, exec, s[0:1]
	v_cmp_gt_i32_e32 vcc, s6, v0
	s_and_saveexec_b64 s[0:1], vcc
	s_cbranch_execnz .LBB210_13
	s_branch .LBB210_14
	.section	.rodata,"a",@progbits
	.p2align	6, 0x0
	.amdhsa_kernel _ZN2at6native29vectorized_elementwise_kernelILi4ENS0_13BinaryFunctorIlllZZZNS0_18rshift_kernel_cudaERNS_18TensorIteratorBaseEENKUlvE_clEvENKUlvE2_clEvEUlllE_EESt5arrayIPcLm3EEEEviT0_T1_
		.amdhsa_group_segment_fixed_size 0
		.amdhsa_private_segment_fixed_size 0
		.amdhsa_kernarg_size 32
		.amdhsa_user_sgpr_count 6
		.amdhsa_user_sgpr_private_segment_buffer 1
		.amdhsa_user_sgpr_dispatch_ptr 0
		.amdhsa_user_sgpr_queue_ptr 0
		.amdhsa_user_sgpr_kernarg_segment_ptr 1
		.amdhsa_user_sgpr_dispatch_id 0
		.amdhsa_user_sgpr_flat_scratch_init 0
		.amdhsa_user_sgpr_private_segment_size 0
		.amdhsa_uses_dynamic_stack 0
		.amdhsa_system_sgpr_private_segment_wavefront_offset 0
		.amdhsa_system_sgpr_workgroup_id_x 1
		.amdhsa_system_sgpr_workgroup_id_y 0
		.amdhsa_system_sgpr_workgroup_id_z 0
		.amdhsa_system_sgpr_workgroup_info 0
		.amdhsa_system_vgpr_workitem_id 0
		.amdhsa_next_free_vgpr 18
		.amdhsa_next_free_sgpr 16
		.amdhsa_reserve_vcc 1
		.amdhsa_reserve_flat_scratch 0
		.amdhsa_float_round_mode_32 0
		.amdhsa_float_round_mode_16_64 0
		.amdhsa_float_denorm_mode_32 3
		.amdhsa_float_denorm_mode_16_64 3
		.amdhsa_dx10_clamp 1
		.amdhsa_ieee_mode 1
		.amdhsa_fp16_overflow 0
		.amdhsa_exception_fp_ieee_invalid_op 0
		.amdhsa_exception_fp_denorm_src 0
		.amdhsa_exception_fp_ieee_div_zero 0
		.amdhsa_exception_fp_ieee_overflow 0
		.amdhsa_exception_fp_ieee_underflow 0
		.amdhsa_exception_fp_ieee_inexact 0
		.amdhsa_exception_int_div_zero 0
	.end_amdhsa_kernel
	.section	.text._ZN2at6native29vectorized_elementwise_kernelILi4ENS0_13BinaryFunctorIlllZZZNS0_18rshift_kernel_cudaERNS_18TensorIteratorBaseEENKUlvE_clEvENKUlvE2_clEvEUlllE_EESt5arrayIPcLm3EEEEviT0_T1_,"axG",@progbits,_ZN2at6native29vectorized_elementwise_kernelILi4ENS0_13BinaryFunctorIlllZZZNS0_18rshift_kernel_cudaERNS_18TensorIteratorBaseEENKUlvE_clEvENKUlvE2_clEvEUlllE_EESt5arrayIPcLm3EEEEviT0_T1_,comdat
.Lfunc_end210:
	.size	_ZN2at6native29vectorized_elementwise_kernelILi4ENS0_13BinaryFunctorIlllZZZNS0_18rshift_kernel_cudaERNS_18TensorIteratorBaseEENKUlvE_clEvENKUlvE2_clEvEUlllE_EESt5arrayIPcLm3EEEEviT0_T1_, .Lfunc_end210-_ZN2at6native29vectorized_elementwise_kernelILi4ENS0_13BinaryFunctorIlllZZZNS0_18rshift_kernel_cudaERNS_18TensorIteratorBaseEENKUlvE_clEvENKUlvE2_clEvEUlllE_EESt5arrayIPcLm3EEEEviT0_T1_
                                        ; -- End function
	.set _ZN2at6native29vectorized_elementwise_kernelILi4ENS0_13BinaryFunctorIlllZZZNS0_18rshift_kernel_cudaERNS_18TensorIteratorBaseEENKUlvE_clEvENKUlvE2_clEvEUlllE_EESt5arrayIPcLm3EEEEviT0_T1_.num_vgpr, 18
	.set _ZN2at6native29vectorized_elementwise_kernelILi4ENS0_13BinaryFunctorIlllZZZNS0_18rshift_kernel_cudaERNS_18TensorIteratorBaseEENKUlvE_clEvENKUlvE2_clEvEUlllE_EESt5arrayIPcLm3EEEEviT0_T1_.num_agpr, 0
	.set _ZN2at6native29vectorized_elementwise_kernelILi4ENS0_13BinaryFunctorIlllZZZNS0_18rshift_kernel_cudaERNS_18TensorIteratorBaseEENKUlvE_clEvENKUlvE2_clEvEUlllE_EESt5arrayIPcLm3EEEEviT0_T1_.numbered_sgpr, 16
	.set _ZN2at6native29vectorized_elementwise_kernelILi4ENS0_13BinaryFunctorIlllZZZNS0_18rshift_kernel_cudaERNS_18TensorIteratorBaseEENKUlvE_clEvENKUlvE2_clEvEUlllE_EESt5arrayIPcLm3EEEEviT0_T1_.num_named_barrier, 0
	.set _ZN2at6native29vectorized_elementwise_kernelILi4ENS0_13BinaryFunctorIlllZZZNS0_18rshift_kernel_cudaERNS_18TensorIteratorBaseEENKUlvE_clEvENKUlvE2_clEvEUlllE_EESt5arrayIPcLm3EEEEviT0_T1_.private_seg_size, 0
	.set _ZN2at6native29vectorized_elementwise_kernelILi4ENS0_13BinaryFunctorIlllZZZNS0_18rshift_kernel_cudaERNS_18TensorIteratorBaseEENKUlvE_clEvENKUlvE2_clEvEUlllE_EESt5arrayIPcLm3EEEEviT0_T1_.uses_vcc, 1
	.set _ZN2at6native29vectorized_elementwise_kernelILi4ENS0_13BinaryFunctorIlllZZZNS0_18rshift_kernel_cudaERNS_18TensorIteratorBaseEENKUlvE_clEvENKUlvE2_clEvEUlllE_EESt5arrayIPcLm3EEEEviT0_T1_.uses_flat_scratch, 0
	.set _ZN2at6native29vectorized_elementwise_kernelILi4ENS0_13BinaryFunctorIlllZZZNS0_18rshift_kernel_cudaERNS_18TensorIteratorBaseEENKUlvE_clEvENKUlvE2_clEvEUlllE_EESt5arrayIPcLm3EEEEviT0_T1_.has_dyn_sized_stack, 0
	.set _ZN2at6native29vectorized_elementwise_kernelILi4ENS0_13BinaryFunctorIlllZZZNS0_18rshift_kernel_cudaERNS_18TensorIteratorBaseEENKUlvE_clEvENKUlvE2_clEvEUlllE_EESt5arrayIPcLm3EEEEviT0_T1_.has_recursion, 0
	.set _ZN2at6native29vectorized_elementwise_kernelILi4ENS0_13BinaryFunctorIlllZZZNS0_18rshift_kernel_cudaERNS_18TensorIteratorBaseEENKUlvE_clEvENKUlvE2_clEvEUlllE_EESt5arrayIPcLm3EEEEviT0_T1_.has_indirect_call, 0
	.section	.AMDGPU.csdata,"",@progbits
; Kernel info:
; codeLenInByte = 1104
; TotalNumSgprs: 20
; NumVgprs: 18
; ScratchSize: 0
; MemoryBound: 0
; FloatMode: 240
; IeeeMode: 1
; LDSByteSize: 0 bytes/workgroup (compile time only)
; SGPRBlocks: 2
; VGPRBlocks: 4
; NumSGPRsForWavesPerEU: 20
; NumVGPRsForWavesPerEU: 18
; Occupancy: 10
; WaveLimiterHint : 0
; COMPUTE_PGM_RSRC2:SCRATCH_EN: 0
; COMPUTE_PGM_RSRC2:USER_SGPR: 6
; COMPUTE_PGM_RSRC2:TRAP_HANDLER: 0
; COMPUTE_PGM_RSRC2:TGID_X_EN: 1
; COMPUTE_PGM_RSRC2:TGID_Y_EN: 0
; COMPUTE_PGM_RSRC2:TGID_Z_EN: 0
; COMPUTE_PGM_RSRC2:TIDIG_COMP_CNT: 0
	.section	.text._ZN2at6native29vectorized_elementwise_kernelILi2ENS0_13BinaryFunctorIlllZZZNS0_18rshift_kernel_cudaERNS_18TensorIteratorBaseEENKUlvE_clEvENKUlvE2_clEvEUlllE_EESt5arrayIPcLm3EEEEviT0_T1_,"axG",@progbits,_ZN2at6native29vectorized_elementwise_kernelILi2ENS0_13BinaryFunctorIlllZZZNS0_18rshift_kernel_cudaERNS_18TensorIteratorBaseEENKUlvE_clEvENKUlvE2_clEvEUlllE_EESt5arrayIPcLm3EEEEviT0_T1_,comdat
	.globl	_ZN2at6native29vectorized_elementwise_kernelILi2ENS0_13BinaryFunctorIlllZZZNS0_18rshift_kernel_cudaERNS_18TensorIteratorBaseEENKUlvE_clEvENKUlvE2_clEvEUlllE_EESt5arrayIPcLm3EEEEviT0_T1_ ; -- Begin function _ZN2at6native29vectorized_elementwise_kernelILi2ENS0_13BinaryFunctorIlllZZZNS0_18rshift_kernel_cudaERNS_18TensorIteratorBaseEENKUlvE_clEvENKUlvE2_clEvEUlllE_EESt5arrayIPcLm3EEEEviT0_T1_
	.p2align	8
	.type	_ZN2at6native29vectorized_elementwise_kernelILi2ENS0_13BinaryFunctorIlllZZZNS0_18rshift_kernel_cudaERNS_18TensorIteratorBaseEENKUlvE_clEvENKUlvE2_clEvEUlllE_EESt5arrayIPcLm3EEEEviT0_T1_,@function
_ZN2at6native29vectorized_elementwise_kernelILi2ENS0_13BinaryFunctorIlllZZZNS0_18rshift_kernel_cudaERNS_18TensorIteratorBaseEENKUlvE_clEvENKUlvE2_clEvEUlllE_EESt5arrayIPcLm3EEEEviT0_T1_: ; @_ZN2at6native29vectorized_elementwise_kernelILi2ENS0_13BinaryFunctorIlllZZZNS0_18rshift_kernel_cudaERNS_18TensorIteratorBaseEENKUlvE_clEvENKUlvE2_clEvEUlllE_EESt5arrayIPcLm3EEEEviT0_T1_
; %bb.0:
	s_load_dword s0, s[4:5], 0x0
	s_load_dwordx4 s[8:11], s[4:5], 0x8
	s_load_dwordx2 s[12:13], s[4:5], 0x18
	s_lshl_b32 s2, s6, 10
	s_waitcnt lgkmcnt(0)
	s_sub_i32 s6, s0, s2
	s_cmpk_gt_i32 s6, 0x3ff
	s_mov_b64 s[0:1], -1
	s_cbranch_scc0 .LBB211_2
; %bb.1:
	s_ashr_i32 s3, s2, 31
	s_lshl_b64 s[4:5], s[2:3], 3
	s_add_u32 s0, s10, s4
	s_addc_u32 s1, s11, s5
	v_lshlrev_b32_e32 v19, 4, v0
	v_mov_b32_e32 v1, s1
	v_add_co_u32_e32 v9, vcc, s0, v19
	s_add_u32 s14, s12, s4
	v_addc_co_u32_e32 v14, vcc, 0, v1, vcc
	s_addc_u32 s15, s13, s5
	global_load_dwordx4 v[1:4], v19, s[0:1]
	global_load_dwordx4 v[5:8], v19, s[14:15]
	v_add_co_u32_e32 v13, vcc, 0x1000, v9
	v_mov_b32_e32 v9, s15
	v_add_co_u32_e64 v10, s[0:1], s14, v19
	s_movk_i32 s3, 0x1000
	v_addc_co_u32_e64 v11, s[0:1], 0, v9, s[0:1]
	s_mov_b64 s[0:1], vcc
	v_add_co_u32_e32 v9, vcc, s3, v10
	v_addc_co_u32_e32 v10, vcc, 0, v11, vcc
	global_load_dwordx4 v[9:12], v[9:10], off
	v_addc_co_u32_e64 v14, vcc, 0, v14, s[0:1]
	global_load_dwordx4 v[13:16], v[13:14], off
	s_add_u32 s0, s8, s4
	s_addc_u32 s1, s9, s5
	v_mov_b32_e32 v17, s1
	s_waitcnt vmcnt(2)
	v_cmp_gt_u64_e32 vcc, 63, v[5:6]
	v_cndmask_b32_e32 v5, 63, v5, vcc
	v_cmp_gt_u64_e32 vcc, 63, v[7:8]
	v_ashrrev_i64 v[1:2], v5, v[1:2]
	v_cndmask_b32_e32 v6, 63, v7, vcc
	v_add_co_u32_e32 v5, vcc, s0, v19
	v_ashrrev_i64 v[3:4], v6, v[3:4]
	v_addc_co_u32_e32 v6, vcc, 0, v17, vcc
	v_add_co_u32_e32 v17, vcc, 0x1000, v5
	v_addc_co_u32_e32 v18, vcc, 0, v6, vcc
	s_waitcnt vmcnt(1)
	v_cmp_gt_u64_e32 vcc, 63, v[9:10]
	v_cndmask_b32_e32 v5, 63, v9, vcc
	v_cmp_gt_u64_e32 vcc, 63, v[11:12]
	s_waitcnt vmcnt(0)
	v_ashrrev_i64 v[5:6], v5, v[13:14]
	v_cndmask_b32_e32 v7, 63, v11, vcc
	v_ashrrev_i64 v[7:8], v7, v[15:16]
	global_store_dwordx4 v19, v[1:4], s[0:1]
	global_store_dwordx4 v[17:18], v[5:8], off
	s_mov_b64 s[0:1], 0
.LBB211_2:
	s_andn2_b64 vcc, exec, s[0:1]
	s_cbranch_vccnz .LBB211_14
; %bb.3:
	v_mov_b32_e32 v3, 0
	v_mov_b32_e32 v5, 0
	v_cmp_gt_i32_e32 vcc, s6, v0
	v_mov_b32_e32 v4, 0
	v_or_b32_e32 v1, s2, v0
	v_mov_b32_e32 v6, 0
	v_mov_b32_e32 v7, 0
	;; [unrolled: 1-line block ×4, first 2 shown]
	s_and_saveexec_b64 s[4:5], vcc
	s_cbranch_execz .LBB211_5
; %bb.4:
	v_mov_b32_e32 v2, 0
	v_lshlrev_b64 v[5:6], 3, v[1:2]
	v_mov_b32_e32 v2, s13
	v_add_co_u32_e64 v7, s[0:1], s12, v5
	v_addc_co_u32_e64 v8, s[0:1], v2, v6, s[0:1]
	global_load_dwordx2 v[7:8], v[7:8], off
	v_mov_b32_e32 v2, s11
	v_add_co_u32_e64 v5, s[0:1], s10, v5
	v_addc_co_u32_e64 v6, s[0:1], v2, v6, s[0:1]
	global_load_dwordx2 v[5:6], v[5:6], off
	v_or_b32_e32 v2, 0x100, v0
	s_waitcnt vmcnt(1)
	v_cmp_gt_u64_e64 s[0:1], 63, v[7:8]
	v_cndmask_b32_e64 v7, 63, v7, s[0:1]
.LBB211_5:
	s_or_b64 exec, exec, s[4:5]
	v_mov_b32_e32 v10, 0
	v_cmp_gt_i32_e64 s[0:1], s6, v2
	v_mov_b32_e32 v11, 0
	s_and_saveexec_b64 s[4:5], s[0:1]
	s_cbranch_execz .LBB211_7
; %bb.6:
	v_add_u32_e32 v3, s2, v2
	v_mov_b32_e32 v4, 0
	v_lshlrev_b64 v[3:4], 3, v[3:4]
	v_mov_b32_e32 v9, s13
	v_add_co_u32_e64 v8, s[0:1], s12, v3
	v_addc_co_u32_e64 v9, s[0:1], v9, v4, s[0:1]
	global_load_dwordx2 v[8:9], v[8:9], off
	v_mov_b32_e32 v10, s11
	v_add_co_u32_e64 v3, s[0:1], s10, v3
	v_addc_co_u32_e64 v4, s[0:1], v10, v4, s[0:1]
	global_load_dwordx2 v[3:4], v[3:4], off
	v_add_u32_e32 v2, 0x100, v2
	s_waitcnt vmcnt(1)
	v_cmp_gt_u64_e64 s[0:1], 63, v[8:9]
	v_cndmask_b32_e64 v10, 63, v8, s[0:1]
.LBB211_7:
	s_or_b64 exec, exec, s[4:5]
	v_mov_b32_e32 v8, 0
	v_mov_b32_e32 v11, 0
	;; [unrolled: 1-line block ×5, first 2 shown]
	v_cmp_gt_i32_e64 s[0:1], s6, v2
	v_mov_b32_e32 v14, 0
	s_and_saveexec_b64 s[4:5], s[0:1]
	s_cbranch_execnz .LBB211_15
; %bb.8:
	s_or_b64 exec, exec, s[4:5]
	v_cmp_gt_i32_e64 s[0:1], s6, v2
	s_and_saveexec_b64 s[4:5], s[0:1]
	s_cbranch_execnz .LBB211_16
.LBB211_9:
	s_or_b64 exec, exec, s[4:5]
	s_and_saveexec_b64 s[0:1], vcc
	s_cbranch_execnz .LBB211_17
.LBB211_10:
	s_or_b64 exec, exec, s[0:1]
	v_cmp_gt_i32_e32 vcc, s6, v0
	s_and_saveexec_b64 s[0:1], vcc
	s_cbranch_execnz .LBB211_18
.LBB211_11:
	s_or_b64 exec, exec, s[0:1]
	v_cmp_gt_i32_e32 vcc, s6, v0
	s_and_saveexec_b64 s[0:1], vcc
	s_cbranch_execnz .LBB211_19
.LBB211_12:
	s_or_b64 exec, exec, s[0:1]
	v_cmp_gt_i32_e32 vcc, s6, v0
	s_and_saveexec_b64 s[0:1], vcc
	s_cbranch_execz .LBB211_14
.LBB211_13:
	v_add_u32_e32 v0, s2, v0
	v_mov_b32_e32 v1, 0
	v_lshlrev_b64 v[0:1], 3, v[0:1]
	v_mov_b32_e32 v2, s9
	v_add_co_u32_e32 v0, vcc, s8, v0
	v_addc_co_u32_e32 v1, vcc, v2, v1, vcc
	global_store_dwordx2 v[0:1], v[8:9], off
.LBB211_14:
	s_endpgm
.LBB211_15:
	v_add_u32_e32 v11, s2, v2
	v_mov_b32_e32 v12, 0
	v_lshlrev_b64 v[11:12], 3, v[11:12]
	v_mov_b32_e32 v14, s13
	v_add_co_u32_e64 v13, s[0:1], s12, v11
	v_addc_co_u32_e64 v14, s[0:1], v14, v12, s[0:1]
	global_load_dwordx2 v[13:14], v[13:14], off
	v_mov_b32_e32 v15, s11
	v_add_co_u32_e64 v11, s[0:1], s10, v11
	v_addc_co_u32_e64 v12, s[0:1], v15, v12, s[0:1]
	global_load_dwordx2 v[11:12], v[11:12], off
	v_add_u32_e32 v2, 0x100, v2
	s_waitcnt vmcnt(1)
	v_cmp_gt_u64_e64 s[0:1], 63, v[13:14]
	v_cndmask_b32_e64 v13, 63, v13, s[0:1]
	s_or_b64 exec, exec, s[4:5]
	v_cmp_gt_i32_e64 s[0:1], s6, v2
	s_and_saveexec_b64 s[4:5], s[0:1]
	s_cbranch_execz .LBB211_9
.LBB211_16:
	v_add_u32_e32 v8, s2, v2
	v_mov_b32_e32 v9, 0
	v_lshlrev_b64 v[8:9], 3, v[8:9]
	v_mov_b32_e32 v2, s13
	v_add_co_u32_e64 v14, s[0:1], s12, v8
	v_addc_co_u32_e64 v15, s[0:1], v2, v9, s[0:1]
	global_load_dwordx2 v[14:15], v[14:15], off
	v_mov_b32_e32 v2, s11
	v_add_co_u32_e64 v8, s[0:1], s10, v8
	v_addc_co_u32_e64 v9, s[0:1], v2, v9, s[0:1]
	global_load_dwordx2 v[8:9], v[8:9], off
	s_waitcnt vmcnt(1)
	v_cmp_gt_u64_e64 s[0:1], 63, v[14:15]
	v_cndmask_b32_e64 v2, 63, v14, s[0:1]
	s_waitcnt vmcnt(0)
	v_ashrrev_i64 v[8:9], v2, v[8:9]
	s_or_b64 exec, exec, s[4:5]
	s_and_saveexec_b64 s[0:1], vcc
	s_cbranch_execz .LBB211_10
.LBB211_17:
	v_mov_b32_e32 v2, 0
	v_lshlrev_b64 v[1:2], 3, v[1:2]
	s_waitcnt vmcnt(0)
	v_ashrrev_i64 v[5:6], v7, v[5:6]
	v_mov_b32_e32 v7, s9
	v_add_co_u32_e32 v1, vcc, s8, v1
	v_or_b32_e32 v0, 0x100, v0
	v_addc_co_u32_e32 v2, vcc, v7, v2, vcc
	global_store_dwordx2 v[1:2], v[5:6], off
	s_or_b64 exec, exec, s[0:1]
	v_cmp_gt_i32_e32 vcc, s6, v0
	s_and_saveexec_b64 s[0:1], vcc
	s_cbranch_execz .LBB211_11
.LBB211_18:
	s_waitcnt vmcnt(0)
	v_ashrrev_i64 v[1:2], v10, v[3:4]
	v_add_u32_e32 v3, s2, v0
	v_mov_b32_e32 v4, 0
	v_lshlrev_b64 v[3:4], 3, v[3:4]
	v_mov_b32_e32 v5, s9
	v_add_co_u32_e32 v3, vcc, s8, v3
	v_addc_co_u32_e32 v4, vcc, v5, v4, vcc
	v_add_u32_e32 v0, 0x100, v0
	global_store_dwordx2 v[3:4], v[1:2], off
	s_or_b64 exec, exec, s[0:1]
	v_cmp_gt_i32_e32 vcc, s6, v0
	s_and_saveexec_b64 s[0:1], vcc
	s_cbranch_execz .LBB211_12
.LBB211_19:
	s_waitcnt vmcnt(0)
	v_add_u32_e32 v3, s2, v0
	v_mov_b32_e32 v4, 0
	v_lshlrev_b64 v[3:4], 3, v[3:4]
	v_ashrrev_i64 v[1:2], v13, v[11:12]
	v_mov_b32_e32 v5, s9
	v_add_co_u32_e32 v3, vcc, s8, v3
	v_addc_co_u32_e32 v4, vcc, v5, v4, vcc
	v_add_u32_e32 v0, 0x100, v0
	global_store_dwordx2 v[3:4], v[1:2], off
	s_or_b64 exec, exec, s[0:1]
	v_cmp_gt_i32_e32 vcc, s6, v0
	s_and_saveexec_b64 s[0:1], vcc
	s_cbranch_execnz .LBB211_13
	s_branch .LBB211_14
	.section	.rodata,"a",@progbits
	.p2align	6, 0x0
	.amdhsa_kernel _ZN2at6native29vectorized_elementwise_kernelILi2ENS0_13BinaryFunctorIlllZZZNS0_18rshift_kernel_cudaERNS_18TensorIteratorBaseEENKUlvE_clEvENKUlvE2_clEvEUlllE_EESt5arrayIPcLm3EEEEviT0_T1_
		.amdhsa_group_segment_fixed_size 0
		.amdhsa_private_segment_fixed_size 0
		.amdhsa_kernarg_size 32
		.amdhsa_user_sgpr_count 6
		.amdhsa_user_sgpr_private_segment_buffer 1
		.amdhsa_user_sgpr_dispatch_ptr 0
		.amdhsa_user_sgpr_queue_ptr 0
		.amdhsa_user_sgpr_kernarg_segment_ptr 1
		.amdhsa_user_sgpr_dispatch_id 0
		.amdhsa_user_sgpr_flat_scratch_init 0
		.amdhsa_user_sgpr_private_segment_size 0
		.amdhsa_uses_dynamic_stack 0
		.amdhsa_system_sgpr_private_segment_wavefront_offset 0
		.amdhsa_system_sgpr_workgroup_id_x 1
		.amdhsa_system_sgpr_workgroup_id_y 0
		.amdhsa_system_sgpr_workgroup_id_z 0
		.amdhsa_system_sgpr_workgroup_info 0
		.amdhsa_system_vgpr_workitem_id 0
		.amdhsa_next_free_vgpr 20
		.amdhsa_next_free_sgpr 16
		.amdhsa_reserve_vcc 1
		.amdhsa_reserve_flat_scratch 0
		.amdhsa_float_round_mode_32 0
		.amdhsa_float_round_mode_16_64 0
		.amdhsa_float_denorm_mode_32 3
		.amdhsa_float_denorm_mode_16_64 3
		.amdhsa_dx10_clamp 1
		.amdhsa_ieee_mode 1
		.amdhsa_fp16_overflow 0
		.amdhsa_exception_fp_ieee_invalid_op 0
		.amdhsa_exception_fp_denorm_src 0
		.amdhsa_exception_fp_ieee_div_zero 0
		.amdhsa_exception_fp_ieee_overflow 0
		.amdhsa_exception_fp_ieee_underflow 0
		.amdhsa_exception_fp_ieee_inexact 0
		.amdhsa_exception_int_div_zero 0
	.end_amdhsa_kernel
	.section	.text._ZN2at6native29vectorized_elementwise_kernelILi2ENS0_13BinaryFunctorIlllZZZNS0_18rshift_kernel_cudaERNS_18TensorIteratorBaseEENKUlvE_clEvENKUlvE2_clEvEUlllE_EESt5arrayIPcLm3EEEEviT0_T1_,"axG",@progbits,_ZN2at6native29vectorized_elementwise_kernelILi2ENS0_13BinaryFunctorIlllZZZNS0_18rshift_kernel_cudaERNS_18TensorIteratorBaseEENKUlvE_clEvENKUlvE2_clEvEUlllE_EESt5arrayIPcLm3EEEEviT0_T1_,comdat
.Lfunc_end211:
	.size	_ZN2at6native29vectorized_elementwise_kernelILi2ENS0_13BinaryFunctorIlllZZZNS0_18rshift_kernel_cudaERNS_18TensorIteratorBaseEENKUlvE_clEvENKUlvE2_clEvEUlllE_EESt5arrayIPcLm3EEEEviT0_T1_, .Lfunc_end211-_ZN2at6native29vectorized_elementwise_kernelILi2ENS0_13BinaryFunctorIlllZZZNS0_18rshift_kernel_cudaERNS_18TensorIteratorBaseEENKUlvE_clEvENKUlvE2_clEvEUlllE_EESt5arrayIPcLm3EEEEviT0_T1_
                                        ; -- End function
	.set _ZN2at6native29vectorized_elementwise_kernelILi2ENS0_13BinaryFunctorIlllZZZNS0_18rshift_kernel_cudaERNS_18TensorIteratorBaseEENKUlvE_clEvENKUlvE2_clEvEUlllE_EESt5arrayIPcLm3EEEEviT0_T1_.num_vgpr, 20
	.set _ZN2at6native29vectorized_elementwise_kernelILi2ENS0_13BinaryFunctorIlllZZZNS0_18rshift_kernel_cudaERNS_18TensorIteratorBaseEENKUlvE_clEvENKUlvE2_clEvEUlllE_EESt5arrayIPcLm3EEEEviT0_T1_.num_agpr, 0
	.set _ZN2at6native29vectorized_elementwise_kernelILi2ENS0_13BinaryFunctorIlllZZZNS0_18rshift_kernel_cudaERNS_18TensorIteratorBaseEENKUlvE_clEvENKUlvE2_clEvEUlllE_EESt5arrayIPcLm3EEEEviT0_T1_.numbered_sgpr, 16
	.set _ZN2at6native29vectorized_elementwise_kernelILi2ENS0_13BinaryFunctorIlllZZZNS0_18rshift_kernel_cudaERNS_18TensorIteratorBaseEENKUlvE_clEvENKUlvE2_clEvEUlllE_EESt5arrayIPcLm3EEEEviT0_T1_.num_named_barrier, 0
	.set _ZN2at6native29vectorized_elementwise_kernelILi2ENS0_13BinaryFunctorIlllZZZNS0_18rshift_kernel_cudaERNS_18TensorIteratorBaseEENKUlvE_clEvENKUlvE2_clEvEUlllE_EESt5arrayIPcLm3EEEEviT0_T1_.private_seg_size, 0
	.set _ZN2at6native29vectorized_elementwise_kernelILi2ENS0_13BinaryFunctorIlllZZZNS0_18rshift_kernel_cudaERNS_18TensorIteratorBaseEENKUlvE_clEvENKUlvE2_clEvEUlllE_EESt5arrayIPcLm3EEEEviT0_T1_.uses_vcc, 1
	.set _ZN2at6native29vectorized_elementwise_kernelILi2ENS0_13BinaryFunctorIlllZZZNS0_18rshift_kernel_cudaERNS_18TensorIteratorBaseEENKUlvE_clEvENKUlvE2_clEvEUlllE_EESt5arrayIPcLm3EEEEviT0_T1_.uses_flat_scratch, 0
	.set _ZN2at6native29vectorized_elementwise_kernelILi2ENS0_13BinaryFunctorIlllZZZNS0_18rshift_kernel_cudaERNS_18TensorIteratorBaseEENKUlvE_clEvENKUlvE2_clEvEUlllE_EESt5arrayIPcLm3EEEEviT0_T1_.has_dyn_sized_stack, 0
	.set _ZN2at6native29vectorized_elementwise_kernelILi2ENS0_13BinaryFunctorIlllZZZNS0_18rshift_kernel_cudaERNS_18TensorIteratorBaseEENKUlvE_clEvENKUlvE2_clEvEUlllE_EESt5arrayIPcLm3EEEEviT0_T1_.has_recursion, 0
	.set _ZN2at6native29vectorized_elementwise_kernelILi2ENS0_13BinaryFunctorIlllZZZNS0_18rshift_kernel_cudaERNS_18TensorIteratorBaseEENKUlvE_clEvENKUlvE2_clEvEUlllE_EESt5arrayIPcLm3EEEEviT0_T1_.has_indirect_call, 0
	.section	.AMDGPU.csdata,"",@progbits
; Kernel info:
; codeLenInByte = 1192
; TotalNumSgprs: 20
; NumVgprs: 20
; ScratchSize: 0
; MemoryBound: 0
; FloatMode: 240
; IeeeMode: 1
; LDSByteSize: 0 bytes/workgroup (compile time only)
; SGPRBlocks: 2
; VGPRBlocks: 4
; NumSGPRsForWavesPerEU: 20
; NumVGPRsForWavesPerEU: 20
; Occupancy: 10
; WaveLimiterHint : 1
; COMPUTE_PGM_RSRC2:SCRATCH_EN: 0
; COMPUTE_PGM_RSRC2:USER_SGPR: 6
; COMPUTE_PGM_RSRC2:TRAP_HANDLER: 0
; COMPUTE_PGM_RSRC2:TGID_X_EN: 1
; COMPUTE_PGM_RSRC2:TGID_Y_EN: 0
; COMPUTE_PGM_RSRC2:TGID_Z_EN: 0
; COMPUTE_PGM_RSRC2:TIDIG_COMP_CNT: 0
	.section	.text._ZN2at6native27unrolled_elementwise_kernelINS0_13BinaryFunctorIlllZZZNS0_18rshift_kernel_cudaERNS_18TensorIteratorBaseEENKUlvE_clEvENKUlvE2_clEvEUlllE_EESt5arrayIPcLm3EELi4E23TrivialOffsetCalculatorILi2EjESC_ILi1EjENS0_6memory15LoadWithoutCastENSF_16StoreWithoutCastEEEviT_T0_T2_T3_T4_T5_,"axG",@progbits,_ZN2at6native27unrolled_elementwise_kernelINS0_13BinaryFunctorIlllZZZNS0_18rshift_kernel_cudaERNS_18TensorIteratorBaseEENKUlvE_clEvENKUlvE2_clEvEUlllE_EESt5arrayIPcLm3EELi4E23TrivialOffsetCalculatorILi2EjESC_ILi1EjENS0_6memory15LoadWithoutCastENSF_16StoreWithoutCastEEEviT_T0_T2_T3_T4_T5_,comdat
	.globl	_ZN2at6native27unrolled_elementwise_kernelINS0_13BinaryFunctorIlllZZZNS0_18rshift_kernel_cudaERNS_18TensorIteratorBaseEENKUlvE_clEvENKUlvE2_clEvEUlllE_EESt5arrayIPcLm3EELi4E23TrivialOffsetCalculatorILi2EjESC_ILi1EjENS0_6memory15LoadWithoutCastENSF_16StoreWithoutCastEEEviT_T0_T2_T3_T4_T5_ ; -- Begin function _ZN2at6native27unrolled_elementwise_kernelINS0_13BinaryFunctorIlllZZZNS0_18rshift_kernel_cudaERNS_18TensorIteratorBaseEENKUlvE_clEvENKUlvE2_clEvEUlllE_EESt5arrayIPcLm3EELi4E23TrivialOffsetCalculatorILi2EjESC_ILi1EjENS0_6memory15LoadWithoutCastENSF_16StoreWithoutCastEEEviT_T0_T2_T3_T4_T5_
	.p2align	8
	.type	_ZN2at6native27unrolled_elementwise_kernelINS0_13BinaryFunctorIlllZZZNS0_18rshift_kernel_cudaERNS_18TensorIteratorBaseEENKUlvE_clEvENKUlvE2_clEvEUlllE_EESt5arrayIPcLm3EELi4E23TrivialOffsetCalculatorILi2EjESC_ILi1EjENS0_6memory15LoadWithoutCastENSF_16StoreWithoutCastEEEviT_T0_T2_T3_T4_T5_,@function
_ZN2at6native27unrolled_elementwise_kernelINS0_13BinaryFunctorIlllZZZNS0_18rshift_kernel_cudaERNS_18TensorIteratorBaseEENKUlvE_clEvENKUlvE2_clEvEUlllE_EESt5arrayIPcLm3EELi4E23TrivialOffsetCalculatorILi2EjESC_ILi1EjENS0_6memory15LoadWithoutCastENSF_16StoreWithoutCastEEEviT_T0_T2_T3_T4_T5_: ; @_ZN2at6native27unrolled_elementwise_kernelINS0_13BinaryFunctorIlllZZZNS0_18rshift_kernel_cudaERNS_18TensorIteratorBaseEENKUlvE_clEvENKUlvE2_clEvEUlllE_EESt5arrayIPcLm3EELi4E23TrivialOffsetCalculatorILi2EjESC_ILi1EjENS0_6memory15LoadWithoutCastENSF_16StoreWithoutCastEEEviT_T0_T2_T3_T4_T5_
; %bb.0:
	s_load_dword s0, s[4:5], 0x0
	s_load_dwordx4 s[8:11], s[4:5], 0x8
	s_load_dwordx2 s[2:3], s[4:5], 0x18
	s_lshl_b32 s6, s6, 10
	v_mov_b32_e32 v1, 0
	s_waitcnt lgkmcnt(0)
	s_sub_i32 s7, s0, s6
	v_mov_b32_e32 v5, 0
	v_cmp_gt_i32_e32 vcc, s7, v0
	v_mov_b32_e32 v2, 0
	v_or_b32_e32 v3, s6, v0
	v_mov_b32_e32 v6, 0
	v_mov_b32_e32 v7, 0
	;; [unrolled: 1-line block ×4, first 2 shown]
	s_and_saveexec_b64 s[4:5], vcc
	s_cbranch_execz .LBB212_2
; %bb.1:
	v_mov_b32_e32 v4, 0
	v_lshlrev_b64 v[4:5], 3, v[3:4]
	v_mov_b32_e32 v7, s3
	v_add_co_u32_e64 v6, s[0:1], s2, v4
	v_addc_co_u32_e64 v7, s[0:1], v7, v5, s[0:1]
	global_load_dwordx2 v[7:8], v[6:7], off
	v_mov_b32_e32 v9, s11
	v_add_co_u32_e64 v4, s[0:1], s10, v4
	v_addc_co_u32_e64 v5, s[0:1], v9, v5, s[0:1]
	global_load_dwordx2 v[5:6], v[4:5], off
	v_or_b32_e32 v4, 0x100, v0
	s_waitcnt vmcnt(1)
	v_cmp_gt_u64_e64 s[0:1], 63, v[7:8]
	v_cndmask_b32_e64 v7, 63, v7, s[0:1]
.LBB212_2:
	s_or_b64 exec, exec, s[4:5]
	v_mov_b32_e32 v10, 0
	v_cmp_gt_i32_e64 s[0:1], s7, v4
	v_mov_b32_e32 v11, 0
	s_and_saveexec_b64 s[4:5], s[0:1]
	s_cbranch_execz .LBB212_4
; %bb.3:
	v_add_u32_e32 v1, s6, v4
	v_mov_b32_e32 v2, 0
	v_lshlrev_b64 v[1:2], 3, v[1:2]
	v_mov_b32_e32 v9, s3
	v_add_co_u32_e64 v8, s[0:1], s2, v1
	v_addc_co_u32_e64 v9, s[0:1], v9, v2, s[0:1]
	global_load_dwordx2 v[8:9], v[8:9], off
	v_mov_b32_e32 v10, s11
	v_add_co_u32_e64 v1, s[0:1], s10, v1
	v_addc_co_u32_e64 v2, s[0:1], v10, v2, s[0:1]
	global_load_dwordx2 v[1:2], v[1:2], off
	v_add_u32_e32 v4, 0x100, v4
	s_waitcnt vmcnt(1)
	v_cmp_gt_u64_e64 s[0:1], 63, v[8:9]
	v_cndmask_b32_e64 v10, 63, v8, s[0:1]
.LBB212_4:
	s_or_b64 exec, exec, s[4:5]
	v_mov_b32_e32 v8, 0
	v_mov_b32_e32 v11, 0
	;; [unrolled: 1-line block ×5, first 2 shown]
	v_cmp_gt_i32_e64 s[0:1], s7, v4
	v_mov_b32_e32 v14, 0
	s_and_saveexec_b64 s[4:5], s[0:1]
	s_cbranch_execnz .LBB212_11
; %bb.5:
	s_or_b64 exec, exec, s[4:5]
	v_cmp_gt_i32_e64 s[0:1], s7, v4
	s_and_saveexec_b64 s[4:5], s[0:1]
	s_cbranch_execnz .LBB212_12
.LBB212_6:
	s_or_b64 exec, exec, s[4:5]
	s_and_saveexec_b64 s[0:1], vcc
	s_cbranch_execnz .LBB212_13
.LBB212_7:
	s_or_b64 exec, exec, s[0:1]
	v_cmp_gt_i32_e32 vcc, s7, v0
	s_and_saveexec_b64 s[0:1], vcc
	s_cbranch_execnz .LBB212_14
.LBB212_8:
	s_or_b64 exec, exec, s[0:1]
	v_cmp_gt_i32_e32 vcc, s7, v0
	s_and_saveexec_b64 s[0:1], vcc
	s_cbranch_execnz .LBB212_15
.LBB212_9:
	s_or_b64 exec, exec, s[0:1]
	v_cmp_gt_i32_e32 vcc, s7, v0
	s_and_saveexec_b64 s[0:1], vcc
	s_cbranch_execnz .LBB212_16
.LBB212_10:
	s_endpgm
.LBB212_11:
	v_add_u32_e32 v11, s6, v4
	v_mov_b32_e32 v12, 0
	v_lshlrev_b64 v[11:12], 3, v[11:12]
	v_mov_b32_e32 v14, s3
	v_add_co_u32_e64 v13, s[0:1], s2, v11
	v_addc_co_u32_e64 v14, s[0:1], v14, v12, s[0:1]
	global_load_dwordx2 v[13:14], v[13:14], off
	v_mov_b32_e32 v15, s11
	v_add_co_u32_e64 v11, s[0:1], s10, v11
	v_addc_co_u32_e64 v12, s[0:1], v15, v12, s[0:1]
	global_load_dwordx2 v[11:12], v[11:12], off
	v_add_u32_e32 v4, 0x100, v4
	s_waitcnt vmcnt(1)
	v_cmp_gt_u64_e64 s[0:1], 63, v[13:14]
	v_cndmask_b32_e64 v13, 63, v13, s[0:1]
	s_or_b64 exec, exec, s[4:5]
	v_cmp_gt_i32_e64 s[0:1], s7, v4
	s_and_saveexec_b64 s[4:5], s[0:1]
	s_cbranch_execz .LBB212_6
.LBB212_12:
	v_add_u32_e32 v8, s6, v4
	v_mov_b32_e32 v9, 0
	v_lshlrev_b64 v[8:9], 3, v[8:9]
	v_mov_b32_e32 v15, s3
	v_add_co_u32_e64 v14, s[0:1], s2, v8
	v_addc_co_u32_e64 v15, s[0:1], v15, v9, s[0:1]
	global_load_dwordx2 v[14:15], v[14:15], off
	v_mov_b32_e32 v4, s11
	v_add_co_u32_e64 v8, s[0:1], s10, v8
	v_addc_co_u32_e64 v9, s[0:1], v4, v9, s[0:1]
	global_load_dwordx2 v[8:9], v[8:9], off
	s_waitcnt vmcnt(1)
	v_cmp_gt_u64_e64 s[0:1], 63, v[14:15]
	v_cndmask_b32_e64 v4, 63, v14, s[0:1]
	s_waitcnt vmcnt(0)
	v_ashrrev_i64 v[8:9], v4, v[8:9]
	s_or_b64 exec, exec, s[4:5]
	s_and_saveexec_b64 s[0:1], vcc
	s_cbranch_execz .LBB212_7
.LBB212_13:
	v_mov_b32_e32 v4, 0
	v_lshlrev_b64 v[3:4], 3, v[3:4]
	v_mov_b32_e32 v14, s9
	s_waitcnt vmcnt(0)
	v_ashrrev_i64 v[5:6], v7, v[5:6]
	v_add_co_u32_e32 v3, vcc, s8, v3
	v_or_b32_e32 v0, 0x100, v0
	v_addc_co_u32_e32 v4, vcc, v14, v4, vcc
	global_store_dwordx2 v[3:4], v[5:6], off
	s_or_b64 exec, exec, s[0:1]
	v_cmp_gt_i32_e32 vcc, s7, v0
	s_and_saveexec_b64 s[0:1], vcc
	s_cbranch_execz .LBB212_8
.LBB212_14:
	v_add_u32_e32 v3, s6, v0
	v_mov_b32_e32 v4, 0
	v_lshlrev_b64 v[3:4], 3, v[3:4]
	s_waitcnt vmcnt(0)
	v_ashrrev_i64 v[1:2], v10, v[1:2]
	v_add_u32_e32 v5, 0x100, v0
	v_mov_b32_e32 v0, s9
	v_add_co_u32_e32 v3, vcc, s8, v3
	v_addc_co_u32_e32 v4, vcc, v0, v4, vcc
	v_mov_b32_e32 v0, v5
	global_store_dwordx2 v[3:4], v[1:2], off
	s_or_b64 exec, exec, s[0:1]
	v_cmp_gt_i32_e32 vcc, s7, v0
	s_and_saveexec_b64 s[0:1], vcc
	s_cbranch_execz .LBB212_9
.LBB212_15:
	v_add_u32_e32 v3, s6, v0
	v_mov_b32_e32 v4, 0
	v_lshlrev_b64 v[3:4], 3, v[3:4]
	s_waitcnt vmcnt(0)
	v_ashrrev_i64 v[1:2], v13, v[11:12]
	v_add_u32_e32 v5, 0x100, v0
	v_mov_b32_e32 v0, s9
	v_add_co_u32_e32 v3, vcc, s8, v3
	v_addc_co_u32_e32 v4, vcc, v0, v4, vcc
	v_mov_b32_e32 v0, v5
	global_store_dwordx2 v[3:4], v[1:2], off
	s_or_b64 exec, exec, s[0:1]
	v_cmp_gt_i32_e32 vcc, s7, v0
	s_and_saveexec_b64 s[0:1], vcc
	s_cbranch_execz .LBB212_10
.LBB212_16:
	v_add_u32_e32 v0, s6, v0
	s_waitcnt vmcnt(0)
	v_mov_b32_e32 v1, 0
	v_lshlrev_b64 v[0:1], 3, v[0:1]
	v_mov_b32_e32 v2, s9
	v_add_co_u32_e32 v0, vcc, s8, v0
	v_addc_co_u32_e32 v1, vcc, v2, v1, vcc
	global_store_dwordx2 v[0:1], v[8:9], off
	s_endpgm
	.section	.rodata,"a",@progbits
	.p2align	6, 0x0
	.amdhsa_kernel _ZN2at6native27unrolled_elementwise_kernelINS0_13BinaryFunctorIlllZZZNS0_18rshift_kernel_cudaERNS_18TensorIteratorBaseEENKUlvE_clEvENKUlvE2_clEvEUlllE_EESt5arrayIPcLm3EELi4E23TrivialOffsetCalculatorILi2EjESC_ILi1EjENS0_6memory15LoadWithoutCastENSF_16StoreWithoutCastEEEviT_T0_T2_T3_T4_T5_
		.amdhsa_group_segment_fixed_size 0
		.amdhsa_private_segment_fixed_size 0
		.amdhsa_kernarg_size 36
		.amdhsa_user_sgpr_count 6
		.amdhsa_user_sgpr_private_segment_buffer 1
		.amdhsa_user_sgpr_dispatch_ptr 0
		.amdhsa_user_sgpr_queue_ptr 0
		.amdhsa_user_sgpr_kernarg_segment_ptr 1
		.amdhsa_user_sgpr_dispatch_id 0
		.amdhsa_user_sgpr_flat_scratch_init 0
		.amdhsa_user_sgpr_private_segment_size 0
		.amdhsa_uses_dynamic_stack 0
		.amdhsa_system_sgpr_private_segment_wavefront_offset 0
		.amdhsa_system_sgpr_workgroup_id_x 1
		.amdhsa_system_sgpr_workgroup_id_y 0
		.amdhsa_system_sgpr_workgroup_id_z 0
		.amdhsa_system_sgpr_workgroup_info 0
		.amdhsa_system_vgpr_workitem_id 0
		.amdhsa_next_free_vgpr 16
		.amdhsa_next_free_sgpr 12
		.amdhsa_reserve_vcc 1
		.amdhsa_reserve_flat_scratch 0
		.amdhsa_float_round_mode_32 0
		.amdhsa_float_round_mode_16_64 0
		.amdhsa_float_denorm_mode_32 3
		.amdhsa_float_denorm_mode_16_64 3
		.amdhsa_dx10_clamp 1
		.amdhsa_ieee_mode 1
		.amdhsa_fp16_overflow 0
		.amdhsa_exception_fp_ieee_invalid_op 0
		.amdhsa_exception_fp_denorm_src 0
		.amdhsa_exception_fp_ieee_div_zero 0
		.amdhsa_exception_fp_ieee_overflow 0
		.amdhsa_exception_fp_ieee_underflow 0
		.amdhsa_exception_fp_ieee_inexact 0
		.amdhsa_exception_int_div_zero 0
	.end_amdhsa_kernel
	.section	.text._ZN2at6native27unrolled_elementwise_kernelINS0_13BinaryFunctorIlllZZZNS0_18rshift_kernel_cudaERNS_18TensorIteratorBaseEENKUlvE_clEvENKUlvE2_clEvEUlllE_EESt5arrayIPcLm3EELi4E23TrivialOffsetCalculatorILi2EjESC_ILi1EjENS0_6memory15LoadWithoutCastENSF_16StoreWithoutCastEEEviT_T0_T2_T3_T4_T5_,"axG",@progbits,_ZN2at6native27unrolled_elementwise_kernelINS0_13BinaryFunctorIlllZZZNS0_18rshift_kernel_cudaERNS_18TensorIteratorBaseEENKUlvE_clEvENKUlvE2_clEvEUlllE_EESt5arrayIPcLm3EELi4E23TrivialOffsetCalculatorILi2EjESC_ILi1EjENS0_6memory15LoadWithoutCastENSF_16StoreWithoutCastEEEviT_T0_T2_T3_T4_T5_,comdat
.Lfunc_end212:
	.size	_ZN2at6native27unrolled_elementwise_kernelINS0_13BinaryFunctorIlllZZZNS0_18rshift_kernel_cudaERNS_18TensorIteratorBaseEENKUlvE_clEvENKUlvE2_clEvEUlllE_EESt5arrayIPcLm3EELi4E23TrivialOffsetCalculatorILi2EjESC_ILi1EjENS0_6memory15LoadWithoutCastENSF_16StoreWithoutCastEEEviT_T0_T2_T3_T4_T5_, .Lfunc_end212-_ZN2at6native27unrolled_elementwise_kernelINS0_13BinaryFunctorIlllZZZNS0_18rshift_kernel_cudaERNS_18TensorIteratorBaseEENKUlvE_clEvENKUlvE2_clEvEUlllE_EESt5arrayIPcLm3EELi4E23TrivialOffsetCalculatorILi2EjESC_ILi1EjENS0_6memory15LoadWithoutCastENSF_16StoreWithoutCastEEEviT_T0_T2_T3_T4_T5_
                                        ; -- End function
	.set _ZN2at6native27unrolled_elementwise_kernelINS0_13BinaryFunctorIlllZZZNS0_18rshift_kernel_cudaERNS_18TensorIteratorBaseEENKUlvE_clEvENKUlvE2_clEvEUlllE_EESt5arrayIPcLm3EELi4E23TrivialOffsetCalculatorILi2EjESC_ILi1EjENS0_6memory15LoadWithoutCastENSF_16StoreWithoutCastEEEviT_T0_T2_T3_T4_T5_.num_vgpr, 16
	.set _ZN2at6native27unrolled_elementwise_kernelINS0_13BinaryFunctorIlllZZZNS0_18rshift_kernel_cudaERNS_18TensorIteratorBaseEENKUlvE_clEvENKUlvE2_clEvEUlllE_EESt5arrayIPcLm3EELi4E23TrivialOffsetCalculatorILi2EjESC_ILi1EjENS0_6memory15LoadWithoutCastENSF_16StoreWithoutCastEEEviT_T0_T2_T3_T4_T5_.num_agpr, 0
	.set _ZN2at6native27unrolled_elementwise_kernelINS0_13BinaryFunctorIlllZZZNS0_18rshift_kernel_cudaERNS_18TensorIteratorBaseEENKUlvE_clEvENKUlvE2_clEvEUlllE_EESt5arrayIPcLm3EELi4E23TrivialOffsetCalculatorILi2EjESC_ILi1EjENS0_6memory15LoadWithoutCastENSF_16StoreWithoutCastEEEviT_T0_T2_T3_T4_T5_.numbered_sgpr, 12
	.set _ZN2at6native27unrolled_elementwise_kernelINS0_13BinaryFunctorIlllZZZNS0_18rshift_kernel_cudaERNS_18TensorIteratorBaseEENKUlvE_clEvENKUlvE2_clEvEUlllE_EESt5arrayIPcLm3EELi4E23TrivialOffsetCalculatorILi2EjESC_ILi1EjENS0_6memory15LoadWithoutCastENSF_16StoreWithoutCastEEEviT_T0_T2_T3_T4_T5_.num_named_barrier, 0
	.set _ZN2at6native27unrolled_elementwise_kernelINS0_13BinaryFunctorIlllZZZNS0_18rshift_kernel_cudaERNS_18TensorIteratorBaseEENKUlvE_clEvENKUlvE2_clEvEUlllE_EESt5arrayIPcLm3EELi4E23TrivialOffsetCalculatorILi2EjESC_ILi1EjENS0_6memory15LoadWithoutCastENSF_16StoreWithoutCastEEEviT_T0_T2_T3_T4_T5_.private_seg_size, 0
	.set _ZN2at6native27unrolled_elementwise_kernelINS0_13BinaryFunctorIlllZZZNS0_18rshift_kernel_cudaERNS_18TensorIteratorBaseEENKUlvE_clEvENKUlvE2_clEvEUlllE_EESt5arrayIPcLm3EELi4E23TrivialOffsetCalculatorILi2EjESC_ILi1EjENS0_6memory15LoadWithoutCastENSF_16StoreWithoutCastEEEviT_T0_T2_T3_T4_T5_.uses_vcc, 1
	.set _ZN2at6native27unrolled_elementwise_kernelINS0_13BinaryFunctorIlllZZZNS0_18rshift_kernel_cudaERNS_18TensorIteratorBaseEENKUlvE_clEvENKUlvE2_clEvEUlllE_EESt5arrayIPcLm3EELi4E23TrivialOffsetCalculatorILi2EjESC_ILi1EjENS0_6memory15LoadWithoutCastENSF_16StoreWithoutCastEEEviT_T0_T2_T3_T4_T5_.uses_flat_scratch, 0
	.set _ZN2at6native27unrolled_elementwise_kernelINS0_13BinaryFunctorIlllZZZNS0_18rshift_kernel_cudaERNS_18TensorIteratorBaseEENKUlvE_clEvENKUlvE2_clEvEUlllE_EESt5arrayIPcLm3EELi4E23TrivialOffsetCalculatorILi2EjESC_ILi1EjENS0_6memory15LoadWithoutCastENSF_16StoreWithoutCastEEEviT_T0_T2_T3_T4_T5_.has_dyn_sized_stack, 0
	.set _ZN2at6native27unrolled_elementwise_kernelINS0_13BinaryFunctorIlllZZZNS0_18rshift_kernel_cudaERNS_18TensorIteratorBaseEENKUlvE_clEvENKUlvE2_clEvEUlllE_EESt5arrayIPcLm3EELi4E23TrivialOffsetCalculatorILi2EjESC_ILi1EjENS0_6memory15LoadWithoutCastENSF_16StoreWithoutCastEEEviT_T0_T2_T3_T4_T5_.has_recursion, 0
	.set _ZN2at6native27unrolled_elementwise_kernelINS0_13BinaryFunctorIlllZZZNS0_18rshift_kernel_cudaERNS_18TensorIteratorBaseEENKUlvE_clEvENKUlvE2_clEvEUlllE_EESt5arrayIPcLm3EELi4E23TrivialOffsetCalculatorILi2EjESC_ILi1EjENS0_6memory15LoadWithoutCastENSF_16StoreWithoutCastEEEviT_T0_T2_T3_T4_T5_.has_indirect_call, 0
	.section	.AMDGPU.csdata,"",@progbits
; Kernel info:
; codeLenInByte = 932
; TotalNumSgprs: 16
; NumVgprs: 16
; ScratchSize: 0
; MemoryBound: 0
; FloatMode: 240
; IeeeMode: 1
; LDSByteSize: 0 bytes/workgroup (compile time only)
; SGPRBlocks: 1
; VGPRBlocks: 3
; NumSGPRsForWavesPerEU: 16
; NumVGPRsForWavesPerEU: 16
; Occupancy: 10
; WaveLimiterHint : 0
; COMPUTE_PGM_RSRC2:SCRATCH_EN: 0
; COMPUTE_PGM_RSRC2:USER_SGPR: 6
; COMPUTE_PGM_RSRC2:TRAP_HANDLER: 0
; COMPUTE_PGM_RSRC2:TGID_X_EN: 1
; COMPUTE_PGM_RSRC2:TGID_Y_EN: 0
; COMPUTE_PGM_RSRC2:TGID_Z_EN: 0
; COMPUTE_PGM_RSRC2:TIDIG_COMP_CNT: 0
	.section	.text._ZN2at6native32elementwise_kernel_manual_unrollILi128ELi4EZNS0_22gpu_kernel_impl_nocastINS0_13BinaryFunctorIlllZZZNS0_18rshift_kernel_cudaERNS_18TensorIteratorBaseEENKUlvE_clEvENKUlvE2_clEvEUlllE_EEEEvS5_RKT_EUlibE_EEviT1_,"axG",@progbits,_ZN2at6native32elementwise_kernel_manual_unrollILi128ELi4EZNS0_22gpu_kernel_impl_nocastINS0_13BinaryFunctorIlllZZZNS0_18rshift_kernel_cudaERNS_18TensorIteratorBaseEENKUlvE_clEvENKUlvE2_clEvEUlllE_EEEEvS5_RKT_EUlibE_EEviT1_,comdat
	.globl	_ZN2at6native32elementwise_kernel_manual_unrollILi128ELi4EZNS0_22gpu_kernel_impl_nocastINS0_13BinaryFunctorIlllZZZNS0_18rshift_kernel_cudaERNS_18TensorIteratorBaseEENKUlvE_clEvENKUlvE2_clEvEUlllE_EEEEvS5_RKT_EUlibE_EEviT1_ ; -- Begin function _ZN2at6native32elementwise_kernel_manual_unrollILi128ELi4EZNS0_22gpu_kernel_impl_nocastINS0_13BinaryFunctorIlllZZZNS0_18rshift_kernel_cudaERNS_18TensorIteratorBaseEENKUlvE_clEvENKUlvE2_clEvEUlllE_EEEEvS5_RKT_EUlibE_EEviT1_
	.p2align	8
	.type	_ZN2at6native32elementwise_kernel_manual_unrollILi128ELi4EZNS0_22gpu_kernel_impl_nocastINS0_13BinaryFunctorIlllZZZNS0_18rshift_kernel_cudaERNS_18TensorIteratorBaseEENKUlvE_clEvENKUlvE2_clEvEUlllE_EEEEvS5_RKT_EUlibE_EEviT1_,@function
_ZN2at6native32elementwise_kernel_manual_unrollILi128ELi4EZNS0_22gpu_kernel_impl_nocastINS0_13BinaryFunctorIlllZZZNS0_18rshift_kernel_cudaERNS_18TensorIteratorBaseEENKUlvE_clEvENKUlvE2_clEvEUlllE_EEEEvS5_RKT_EUlibE_EEviT1_: ; @_ZN2at6native32elementwise_kernel_manual_unrollILi128ELi4EZNS0_22gpu_kernel_impl_nocastINS0_13BinaryFunctorIlllZZZNS0_18rshift_kernel_cudaERNS_18TensorIteratorBaseEENKUlvE_clEvENKUlvE2_clEvEUlllE_EEEEvS5_RKT_EUlibE_EEviT1_
; %bb.0:
	s_load_dword s36, s[4:5], 0x0
	s_load_dword s33, s[4:5], 0x8
	s_add_u32 s12, s4, 8
	s_addc_u32 s13, s5, 0
	v_lshl_or_b32 v11, s6, 9, v0
	v_or_b32_e32 v21, 0x180, v11
	s_waitcnt lgkmcnt(0)
	s_add_i32 s34, s33, -1
	s_cmp_gt_u32 s34, 1
	v_cmp_le_i32_e32 vcc, s36, v21
	s_cselect_b64 s[14:15], -1, 0
	s_and_saveexec_b64 s[0:1], vcc
	s_xor_b64 s[16:17], exec, s[0:1]
	s_cbranch_execz .LBB213_54
; %bb.1:
	s_load_dwordx4 s[8:11], s[12:13], 0x4
	s_load_dwordx2 s[22:23], s[12:13], 0x14
	s_load_dwordx4 s[4:7], s[12:13], 0xc4
	s_load_dwordx2 s[20:21], s[12:13], 0xd4
	s_load_dwordx2 s[18:19], s[12:13], 0x198
	s_load_dwordx4 s[0:3], s[12:13], 0x188
	s_cmp_lg_u32 s33, 0
	s_cselect_b64 s[26:27], -1, 0
	s_min_u32 s35, s34, 15
	s_cmp_gt_u32 s33, 1
	s_cselect_b64 s[24:25], -1, 0
	v_cmp_gt_i32_e32 vcc, s36, v11
	s_and_saveexec_b64 s[28:29], vcc
	s_cbranch_execnz .LBB213_5
; %bb.2:
	s_or_b64 exec, exec, s[28:29]
	v_cmp_gt_i32_e32 vcc, s36, v11
	s_and_saveexec_b64 s[28:29], vcc
	s_cbranch_execnz .LBB213_17
.LBB213_3:
	s_or_b64 exec, exec, s[28:29]
	v_cmp_gt_i32_e32 vcc, s36, v11
	s_and_saveexec_b64 s[28:29], vcc
	s_cbranch_execnz .LBB213_29
.LBB213_4:
	s_or_b64 exec, exec, s[28:29]
	v_cmp_gt_i32_e32 vcc, s36, v11
	s_and_saveexec_b64 s[28:29], vcc
	s_cbranch_execnz .LBB213_41
	s_branch .LBB213_53
.LBB213_5:
	s_andn2_b64 vcc, exec, s[14:15]
	s_cbranch_vccnz .LBB213_11
; %bb.6:
	s_andn2_b64 vcc, exec, s[26:27]
	s_cbranch_vccnz .LBB213_12
; %bb.7:
	s_add_i32 s30, s35, 1
	s_and_b32 s37, s30, 30
	s_add_u32 s30, s12, 0xffffffe8
	s_addc_u32 s31, s13, -1
	v_mov_b32_e32 v2, 0
	v_mov_b32_e32 v4, 0
	;; [unrolled: 1-line block ×4, first 2 shown]
.LBB213_8:                              ; =>This Inner Loop Header: Depth=1
	s_load_dwordx4 s[40:43], s[30:31], 0x1c
	s_load_dwordx2 s[38:39], s[30:31], 0x2c
	s_load_dwordx2 s[48:49], s[30:31], 0xec
	s_load_dwordx4 s[44:47], s[30:31], 0xdc
	s_add_u32 s30, s30, 24
	s_waitcnt lgkmcnt(0)
	v_mul_hi_u32 v3, s41, v1
	s_addc_u32 s31, s31, 0
	s_add_i32 s37, s37, -2
	s_cmp_lg_u32 s37, 0
	v_add_u32_e32 v3, v1, v3
	v_lshrrev_b32_e32 v3, s42, v3
	v_mul_lo_u32 v5, v3, s40
	v_mul_hi_u32 v6, s38, v3
	v_sub_u32_e32 v5, v1, v5
	v_add_u32_e32 v1, v3, v6
	v_lshrrev_b32_e32 v1, s39, v1
	v_mul_lo_u32 v8, v1, s43
	v_mul_lo_u32 v6, v5, s44
	;; [unrolled: 1-line block ×4, first 2 shown]
	v_sub_u32_e32 v3, v3, v8
	v_mul_lo_u32 v8, v3, s47
	v_mul_lo_u32 v9, v3, s48
	;; [unrolled: 1-line block ×3, first 2 shown]
	v_add3_u32 v0, v6, v0, v8
	v_add3_u32 v4, v7, v4, v9
	v_add3_u32 v2, v5, v2, v3
	s_cbranch_scc1 .LBB213_8
; %bb.9:
	s_bitcmp1_b32 s35, 0
	s_cselect_b64 s[38:39], -1, 0
	s_and_b64 vcc, exec, s[38:39]
	s_cbranch_vccnz .LBB213_13
; %bb.10:
	s_load_dwordx2 s[38:39], s[30:31], 0x1c
	s_load_dword s37, s[30:31], 0x24
	s_load_dwordx2 s[40:41], s[30:31], 0xdc
	s_waitcnt lgkmcnt(0)
	v_mul_hi_u32 v3, s39, v1
	v_add_u32_e32 v3, v1, v3
	v_lshrrev_b32_e32 v3, s37, v3
	v_mul_lo_u32 v3, v3, s38
	s_load_dword s37, s[30:31], 0xe4
	v_sub_u32_e32 v3, v1, v3
	v_mad_u64_u32 v[0:1], s[30:31], v3, s40, v[0:1]
	v_mad_u64_u32 v[4:5], s[30:31], v3, s41, v[4:5]
	s_waitcnt lgkmcnt(0)
	v_mad_u64_u32 v[2:3], s[30:31], v3, s37, v[2:3]
	s_cbranch_execz .LBB213_14
	s_branch .LBB213_16
.LBB213_11:
                                        ; implicit-def: $vgpr0
                                        ; implicit-def: $vgpr4
                                        ; implicit-def: $vgpr2
	s_branch .LBB213_14
.LBB213_12:
	v_mov_b32_e32 v0, 0
	v_mov_b32_e32 v4, 0
	;; [unrolled: 1-line block ×3, first 2 shown]
.LBB213_13:
	s_cbranch_execnz .LBB213_16
.LBB213_14:
	s_waitcnt lgkmcnt(0)
	v_mul_hi_u32 v0, s9, v11
	s_andn2_b64 vcc, exec, s[24:25]
	v_add_u32_e32 v0, v11, v0
	v_lshrrev_b32_e32 v1, s10, v0
	v_mul_lo_u32 v0, v1, s8
	v_sub_u32_e32 v2, v11, v0
	v_mul_lo_u32 v0, v2, s4
	v_mul_lo_u32 v4, v2, s5
	;; [unrolled: 1-line block ×3, first 2 shown]
	s_cbranch_vccnz .LBB213_16
; %bb.15:
	v_mul_hi_u32 v3, s22, v1
	v_add_u32_e32 v3, v1, v3
	v_lshrrev_b32_e32 v3, s23, v3
	v_mul_lo_u32 v3, v3, s11
	v_sub_u32_e32 v3, v1, v3
	v_mad_u64_u32 v[0:1], s[30:31], v3, s7, v[0:1]
	v_mad_u64_u32 v[4:5], s[30:31], v3, s20, v[4:5]
	v_mad_u64_u32 v[2:3], s[30:31], v3, s21, v[2:3]
.LBB213_16:
	s_waitcnt lgkmcnt(0)
	global_load_dwordx2 v[5:6], v2, s[18:19]
	global_load_dwordx2 v[7:8], v4, s[2:3]
	v_add_u32_e32 v11, 0x80, v11
	s_waitcnt vmcnt(1)
	v_cmp_gt_u64_e32 vcc, 63, v[5:6]
	v_cndmask_b32_e32 v1, 63, v5, vcc
	s_waitcnt vmcnt(0)
	v_ashrrev_i64 v[1:2], v1, v[7:8]
	global_store_dwordx2 v0, v[1:2], s[0:1]
	s_or_b64 exec, exec, s[28:29]
	v_cmp_gt_i32_e32 vcc, s36, v11
	s_and_saveexec_b64 s[28:29], vcc
	s_cbranch_execz .LBB213_3
.LBB213_17:
	s_andn2_b64 vcc, exec, s[14:15]
	s_cbranch_vccnz .LBB213_23
; %bb.18:
	s_andn2_b64 vcc, exec, s[26:27]
	s_cbranch_vccnz .LBB213_24
; %bb.19:
	s_add_i32 s30, s35, 1
	s_and_b32 s37, s30, 30
	s_add_u32 s30, s12, 0xffffffe8
	s_addc_u32 s31, s13, -1
	v_mov_b32_e32 v2, 0
	v_mov_b32_e32 v4, 0
	;; [unrolled: 1-line block ×4, first 2 shown]
.LBB213_20:                             ; =>This Inner Loop Header: Depth=1
	s_load_dwordx4 s[40:43], s[30:31], 0x1c
	s_load_dwordx2 s[38:39], s[30:31], 0x2c
	s_load_dwordx2 s[48:49], s[30:31], 0xec
	s_load_dwordx4 s[44:47], s[30:31], 0xdc
	s_add_u32 s30, s30, 24
	s_waitcnt lgkmcnt(0)
	v_mul_hi_u32 v3, s41, v1
	s_addc_u32 s31, s31, 0
	s_add_i32 s37, s37, -2
	s_cmp_eq_u32 s37, 0
	v_add_u32_e32 v3, v1, v3
	v_lshrrev_b32_e32 v3, s42, v3
	v_mul_lo_u32 v5, v3, s40
	v_mul_hi_u32 v6, s38, v3
	v_sub_u32_e32 v5, v1, v5
	v_add_u32_e32 v1, v3, v6
	v_lshrrev_b32_e32 v1, s39, v1
	v_mul_lo_u32 v8, v1, s43
	v_mul_lo_u32 v6, v5, s44
	v_mul_lo_u32 v7, v5, s45
	v_mul_lo_u32 v5, v5, s46
	v_sub_u32_e32 v3, v3, v8
	v_mul_lo_u32 v8, v3, s47
	v_mul_lo_u32 v9, v3, s48
	;; [unrolled: 1-line block ×3, first 2 shown]
	v_add3_u32 v0, v6, v0, v8
	v_add3_u32 v4, v7, v4, v9
	;; [unrolled: 1-line block ×3, first 2 shown]
	s_cbranch_scc0 .LBB213_20
; %bb.21:
	s_bitcmp1_b32 s35, 0
	s_cselect_b64 s[38:39], -1, 0
	s_and_b64 vcc, exec, s[38:39]
	s_cbranch_vccnz .LBB213_25
; %bb.22:
	s_load_dwordx2 s[38:39], s[30:31], 0x1c
	s_load_dword s37, s[30:31], 0x24
	s_load_dwordx2 s[40:41], s[30:31], 0xdc
	s_waitcnt lgkmcnt(0)
	v_mul_hi_u32 v3, s39, v1
	v_add_u32_e32 v3, v1, v3
	v_lshrrev_b32_e32 v3, s37, v3
	v_mul_lo_u32 v3, v3, s38
	s_load_dword s37, s[30:31], 0xe4
	v_sub_u32_e32 v3, v1, v3
	v_mad_u64_u32 v[0:1], s[30:31], v3, s40, v[0:1]
	v_mad_u64_u32 v[4:5], s[30:31], v3, s41, v[4:5]
	s_waitcnt lgkmcnt(0)
	v_mad_u64_u32 v[2:3], s[30:31], v3, s37, v[2:3]
	s_branch .LBB213_25
.LBB213_23:
                                        ; implicit-def: $vgpr0
                                        ; implicit-def: $vgpr4
                                        ; implicit-def: $vgpr2
	s_branch .LBB213_26
.LBB213_24:
	v_mov_b32_e32 v0, 0
	v_mov_b32_e32 v4, 0
	;; [unrolled: 1-line block ×3, first 2 shown]
.LBB213_25:
	s_cbranch_execnz .LBB213_28
.LBB213_26:
	s_waitcnt lgkmcnt(0)
	v_mul_hi_u32 v0, s9, v11
	s_andn2_b64 vcc, exec, s[24:25]
	v_add_u32_e32 v0, v11, v0
	v_lshrrev_b32_e32 v1, s10, v0
	v_mul_lo_u32 v0, v1, s8
	v_sub_u32_e32 v2, v11, v0
	v_mul_lo_u32 v0, v2, s4
	v_mul_lo_u32 v4, v2, s5
	;; [unrolled: 1-line block ×3, first 2 shown]
	s_cbranch_vccnz .LBB213_28
; %bb.27:
	v_mul_hi_u32 v3, s22, v1
	v_add_u32_e32 v3, v1, v3
	v_lshrrev_b32_e32 v3, s23, v3
	v_mul_lo_u32 v3, v3, s11
	v_sub_u32_e32 v3, v1, v3
	v_mad_u64_u32 v[0:1], s[30:31], v3, s7, v[0:1]
	v_mad_u64_u32 v[4:5], s[30:31], v3, s20, v[4:5]
	;; [unrolled: 1-line block ×3, first 2 shown]
.LBB213_28:
	s_waitcnt lgkmcnt(0)
	global_load_dwordx2 v[5:6], v2, s[18:19]
	global_load_dwordx2 v[7:8], v4, s[2:3]
	v_add_u32_e32 v11, 0x80, v11
	s_waitcnt vmcnt(1)
	v_cmp_gt_u64_e32 vcc, 63, v[5:6]
	v_cndmask_b32_e32 v1, 63, v5, vcc
	s_waitcnt vmcnt(0)
	v_ashrrev_i64 v[1:2], v1, v[7:8]
	global_store_dwordx2 v0, v[1:2], s[0:1]
	s_or_b64 exec, exec, s[28:29]
	v_cmp_gt_i32_e32 vcc, s36, v11
	s_and_saveexec_b64 s[28:29], vcc
	s_cbranch_execz .LBB213_4
.LBB213_29:
	s_andn2_b64 vcc, exec, s[14:15]
	s_cbranch_vccnz .LBB213_35
; %bb.30:
	s_andn2_b64 vcc, exec, s[26:27]
	s_cbranch_vccnz .LBB213_36
; %bb.31:
	s_add_i32 s30, s35, 1
	s_and_b32 s37, s30, 30
	s_add_u32 s30, s12, 0xffffffe8
	s_addc_u32 s31, s13, -1
	v_mov_b32_e32 v2, 0
	v_mov_b32_e32 v4, 0
	;; [unrolled: 1-line block ×4, first 2 shown]
.LBB213_32:                             ; =>This Inner Loop Header: Depth=1
	s_load_dwordx4 s[40:43], s[30:31], 0x1c
	s_load_dwordx2 s[38:39], s[30:31], 0x2c
	s_load_dwordx2 s[48:49], s[30:31], 0xec
	s_load_dwordx4 s[44:47], s[30:31], 0xdc
	s_add_u32 s30, s30, 24
	s_waitcnt lgkmcnt(0)
	v_mul_hi_u32 v3, s41, v1
	s_addc_u32 s31, s31, 0
	s_add_i32 s37, s37, -2
	s_cmp_eq_u32 s37, 0
	v_add_u32_e32 v3, v1, v3
	v_lshrrev_b32_e32 v3, s42, v3
	v_mul_lo_u32 v5, v3, s40
	v_mul_hi_u32 v6, s38, v3
	v_sub_u32_e32 v5, v1, v5
	v_add_u32_e32 v1, v3, v6
	v_lshrrev_b32_e32 v1, s39, v1
	v_mul_lo_u32 v8, v1, s43
	v_mul_lo_u32 v6, v5, s44
	v_mul_lo_u32 v7, v5, s45
	v_mul_lo_u32 v5, v5, s46
	v_sub_u32_e32 v3, v3, v8
	v_mul_lo_u32 v8, v3, s47
	v_mul_lo_u32 v9, v3, s48
	;; [unrolled: 1-line block ×3, first 2 shown]
	v_add3_u32 v0, v6, v0, v8
	v_add3_u32 v4, v7, v4, v9
	;; [unrolled: 1-line block ×3, first 2 shown]
	s_cbranch_scc0 .LBB213_32
; %bb.33:
	s_bitcmp1_b32 s35, 0
	s_cselect_b64 s[38:39], -1, 0
	s_and_b64 vcc, exec, s[38:39]
	s_cbranch_vccnz .LBB213_37
; %bb.34:
	s_load_dwordx2 s[38:39], s[30:31], 0x1c
	s_load_dword s37, s[30:31], 0x24
	s_load_dwordx2 s[40:41], s[30:31], 0xdc
	s_waitcnt lgkmcnt(0)
	v_mul_hi_u32 v3, s39, v1
	v_add_u32_e32 v3, v1, v3
	v_lshrrev_b32_e32 v3, s37, v3
	v_mul_lo_u32 v3, v3, s38
	s_load_dword s37, s[30:31], 0xe4
	v_sub_u32_e32 v3, v1, v3
	v_mad_u64_u32 v[0:1], s[30:31], v3, s40, v[0:1]
	v_mad_u64_u32 v[4:5], s[30:31], v3, s41, v[4:5]
	s_waitcnt lgkmcnt(0)
	v_mad_u64_u32 v[2:3], s[30:31], v3, s37, v[2:3]
	s_branch .LBB213_37
.LBB213_35:
                                        ; implicit-def: $vgpr0
                                        ; implicit-def: $vgpr4
                                        ; implicit-def: $vgpr2
	s_branch .LBB213_38
.LBB213_36:
	v_mov_b32_e32 v0, 0
	v_mov_b32_e32 v4, 0
	;; [unrolled: 1-line block ×3, first 2 shown]
.LBB213_37:
	s_cbranch_execnz .LBB213_40
.LBB213_38:
	s_waitcnt lgkmcnt(0)
	v_mul_hi_u32 v0, s9, v11
	s_andn2_b64 vcc, exec, s[24:25]
	v_add_u32_e32 v0, v11, v0
	v_lshrrev_b32_e32 v1, s10, v0
	v_mul_lo_u32 v0, v1, s8
	v_sub_u32_e32 v2, v11, v0
	v_mul_lo_u32 v0, v2, s4
	v_mul_lo_u32 v4, v2, s5
	v_mul_lo_u32 v2, v2, s6
	s_cbranch_vccnz .LBB213_40
; %bb.39:
	v_mul_hi_u32 v3, s22, v1
	v_add_u32_e32 v3, v1, v3
	v_lshrrev_b32_e32 v3, s23, v3
	v_mul_lo_u32 v3, v3, s11
	v_sub_u32_e32 v3, v1, v3
	v_mad_u64_u32 v[0:1], s[30:31], v3, s7, v[0:1]
	v_mad_u64_u32 v[4:5], s[30:31], v3, s20, v[4:5]
	;; [unrolled: 1-line block ×3, first 2 shown]
.LBB213_40:
	s_waitcnt lgkmcnt(0)
	global_load_dwordx2 v[5:6], v2, s[18:19]
	global_load_dwordx2 v[7:8], v4, s[2:3]
	v_add_u32_e32 v11, 0x80, v11
	s_waitcnt vmcnt(1)
	v_cmp_gt_u64_e32 vcc, 63, v[5:6]
	v_cndmask_b32_e32 v1, 63, v5, vcc
	s_waitcnt vmcnt(0)
	v_ashrrev_i64 v[1:2], v1, v[7:8]
	global_store_dwordx2 v0, v[1:2], s[0:1]
	s_or_b64 exec, exec, s[28:29]
	v_cmp_gt_i32_e32 vcc, s36, v11
	s_and_saveexec_b64 s[28:29], vcc
	s_cbranch_execz .LBB213_53
.LBB213_41:
	s_andn2_b64 vcc, exec, s[14:15]
	s_cbranch_vccnz .LBB213_47
; %bb.42:
	s_andn2_b64 vcc, exec, s[26:27]
	s_cbranch_vccnz .LBB213_48
; %bb.43:
	s_add_i32 s26, s35, 1
	s_and_b32 s30, s26, 30
	s_add_u32 s26, s12, 0xffffffe8
	s_addc_u32 s27, s13, -1
	v_mov_b32_e32 v2, 0
	v_mov_b32_e32 v4, 0
	;; [unrolled: 1-line block ×4, first 2 shown]
.LBB213_44:                             ; =>This Inner Loop Header: Depth=1
	s_load_dwordx4 s[36:39], s[26:27], 0x1c
	s_load_dwordx2 s[44:45], s[26:27], 0x2c
	s_load_dwordx2 s[46:47], s[26:27], 0xec
	s_load_dwordx4 s[40:43], s[26:27], 0xdc
	s_add_u32 s26, s26, 24
	s_waitcnt lgkmcnt(0)
	v_mul_hi_u32 v3, s37, v1
	s_addc_u32 s27, s27, 0
	s_add_i32 s30, s30, -2
	s_cmp_eq_u32 s30, 0
	v_add_u32_e32 v3, v1, v3
	v_lshrrev_b32_e32 v3, s38, v3
	v_mul_lo_u32 v5, v3, s36
	v_mul_hi_u32 v6, s44, v3
	v_sub_u32_e32 v5, v1, v5
	v_add_u32_e32 v1, v3, v6
	v_lshrrev_b32_e32 v1, s45, v1
	v_mul_lo_u32 v8, v1, s39
	v_mul_lo_u32 v6, v5, s40
	v_mul_lo_u32 v7, v5, s41
	v_mul_lo_u32 v5, v5, s42
	v_sub_u32_e32 v3, v3, v8
	v_mul_lo_u32 v8, v3, s43
	v_mul_lo_u32 v9, v3, s46
	;; [unrolled: 1-line block ×3, first 2 shown]
	v_add3_u32 v0, v6, v0, v8
	v_add3_u32 v4, v7, v4, v9
	;; [unrolled: 1-line block ×3, first 2 shown]
	s_cbranch_scc0 .LBB213_44
; %bb.45:
	s_bitcmp1_b32 s35, 0
	s_cselect_b64 s[30:31], -1, 0
	s_and_b64 vcc, exec, s[30:31]
	s_cbranch_vccnz .LBB213_49
; %bb.46:
	s_load_dwordx2 s[30:31], s[26:27], 0x1c
	s_load_dword s35, s[26:27], 0x24
	s_load_dwordx2 s[36:37], s[26:27], 0xdc
	s_waitcnt lgkmcnt(0)
	v_mul_hi_u32 v3, s31, v1
	v_add_u32_e32 v3, v1, v3
	v_lshrrev_b32_e32 v3, s35, v3
	v_mul_lo_u32 v3, v3, s30
	s_load_dword s30, s[26:27], 0xe4
	v_sub_u32_e32 v3, v1, v3
	v_mad_u64_u32 v[0:1], s[26:27], v3, s36, v[0:1]
	v_mad_u64_u32 v[4:5], s[26:27], v3, s37, v[4:5]
	s_waitcnt lgkmcnt(0)
	v_mad_u64_u32 v[2:3], s[26:27], v3, s30, v[2:3]
	s_branch .LBB213_49
.LBB213_47:
                                        ; implicit-def: $vgpr0
                                        ; implicit-def: $vgpr4
                                        ; implicit-def: $vgpr2
	s_branch .LBB213_50
.LBB213_48:
	v_mov_b32_e32 v0, 0
	v_mov_b32_e32 v4, 0
	;; [unrolled: 1-line block ×3, first 2 shown]
.LBB213_49:
	s_cbranch_execnz .LBB213_52
.LBB213_50:
	s_waitcnt lgkmcnt(0)
	v_mul_hi_u32 v0, s9, v11
	s_andn2_b64 vcc, exec, s[24:25]
	v_add_u32_e32 v0, v11, v0
	v_lshrrev_b32_e32 v1, s10, v0
	v_mul_lo_u32 v0, v1, s8
	v_sub_u32_e32 v2, v11, v0
	v_mul_lo_u32 v0, v2, s4
	v_mul_lo_u32 v4, v2, s5
	;; [unrolled: 1-line block ×3, first 2 shown]
	s_cbranch_vccnz .LBB213_52
; %bb.51:
	v_mul_hi_u32 v3, s22, v1
	v_add_u32_e32 v3, v1, v3
	v_lshrrev_b32_e32 v3, s23, v3
	v_mul_lo_u32 v3, v3, s11
	v_sub_u32_e32 v3, v1, v3
	v_mad_u64_u32 v[0:1], s[4:5], v3, s7, v[0:1]
	v_mad_u64_u32 v[4:5], s[4:5], v3, s20, v[4:5]
	;; [unrolled: 1-line block ×3, first 2 shown]
.LBB213_52:
	s_waitcnt lgkmcnt(0)
	global_load_dwordx2 v[5:6], v2, s[18:19]
	global_load_dwordx2 v[7:8], v4, s[2:3]
	s_waitcnt vmcnt(1)
	v_cmp_gt_u64_e32 vcc, 63, v[5:6]
	v_cndmask_b32_e32 v1, 63, v5, vcc
	s_waitcnt vmcnt(0)
	v_ashrrev_i64 v[1:2], v1, v[7:8]
	global_store_dwordx2 v0, v[1:2], s[0:1]
.LBB213_53:
	s_or_b64 exec, exec, s[28:29]
                                        ; implicit-def: $vgpr21
                                        ; implicit-def: $vgpr11
.LBB213_54:
	s_waitcnt lgkmcnt(0)
	s_andn2_saveexec_b64 s[0:1], s[16:17]
	s_cbranch_execz .LBB213_61
; %bb.55:
	v_cndmask_b32_e64 v0, 0, 1, s[14:15]
	v_cmp_ne_u32_e64 s[0:1], 1, v0
	s_andn2_b64 vcc, exec, s[14:15]
	s_cbranch_vccnz .LBB213_62
; %bb.56:
	s_cmp_lg_u32 s33, 0
	s_cbranch_scc0 .LBB213_63
; %bb.57:
	s_min_u32 s4, s34, 15
	s_add_i32 s2, s4, 1
	s_and_b32 s5, s2, 30
	s_add_u32 s2, s12, 0xffffffe8
	s_addc_u32 s3, s13, -1
	v_mov_b32_e32 v4, 0
	v_mov_b32_e32 v2, 0
	;; [unrolled: 1-line block ×4, first 2 shown]
.LBB213_58:                             ; =>This Inner Loop Header: Depth=1
	s_load_dwordx4 s[8:11], s[2:3], 0x1c
	s_load_dwordx2 s[6:7], s[2:3], 0x2c
	s_load_dwordx2 s[14:15], s[2:3], 0xec
	s_load_dwordx4 s[16:19], s[2:3], 0xdc
	s_add_u32 s2, s2, 24
	s_waitcnt lgkmcnt(0)
	v_mul_hi_u32 v3, s9, v1
	s_addc_u32 s3, s3, 0
	s_add_i32 s5, s5, -2
	s_cmp_lg_u32 s5, 0
	v_add_u32_e32 v3, v1, v3
	v_lshrrev_b32_e32 v3, s10, v3
	v_mul_lo_u32 v5, v3, s8
	v_mul_hi_u32 v6, s6, v3
	v_sub_u32_e32 v5, v1, v5
	v_add_u32_e32 v1, v3, v6
	v_lshrrev_b32_e32 v1, s7, v1
	v_mul_lo_u32 v8, v1, s11
	v_mul_lo_u32 v6, v5, s16
	;; [unrolled: 1-line block ×4, first 2 shown]
	v_sub_u32_e32 v3, v3, v8
	v_mul_lo_u32 v8, v3, s19
	v_mul_lo_u32 v9, v3, s14
	;; [unrolled: 1-line block ×3, first 2 shown]
	v_add3_u32 v0, v6, v0, v8
	v_add3_u32 v2, v7, v2, v9
	;; [unrolled: 1-line block ×3, first 2 shown]
	s_cbranch_scc1 .LBB213_58
; %bb.59:
	s_bitcmp1_b32 s4, 0
	s_cselect_b64 s[4:5], -1, 0
	s_and_b64 vcc, exec, s[4:5]
	s_cbranch_vccnz .LBB213_64
; %bb.60:
	s_load_dwordx2 s[4:5], s[2:3], 0x1c
	s_load_dword s8, s[2:3], 0x24
	s_load_dwordx2 s[6:7], s[2:3], 0xdc
	s_waitcnt lgkmcnt(0)
	v_mul_hi_u32 v3, s5, v1
	v_add_u32_e32 v3, v1, v3
	v_lshrrev_b32_e32 v3, s8, v3
	v_mul_lo_u32 v3, v3, s4
	s_load_dword s4, s[2:3], 0xe4
	v_sub_u32_e32 v5, v1, v3
	v_mad_u64_u32 v[0:1], s[2:3], v5, s6, v[0:1]
	v_mad_u64_u32 v[2:3], s[2:3], v5, s7, v[2:3]
	s_waitcnt lgkmcnt(0)
	v_mad_u64_u32 v[4:5], s[2:3], v5, s4, v[4:5]
	s_cbranch_execz .LBB213_65
	s_branch .LBB213_67
.LBB213_61:
	s_endpgm
.LBB213_62:
                                        ; implicit-def: $vgpr0
                                        ; implicit-def: $vgpr2
                                        ; implicit-def: $vgpr4
	s_branch .LBB213_65
.LBB213_63:
	v_mov_b32_e32 v0, 0
	v_mov_b32_e32 v2, 0
	;; [unrolled: 1-line block ×3, first 2 shown]
.LBB213_64:
	s_cbranch_execnz .LBB213_67
.LBB213_65:
	s_load_dwordx4 s[4:7], s[12:13], 0x4
	s_load_dwordx4 s[8:11], s[12:13], 0xc4
	s_cmp_lt_u32 s33, 2
	s_waitcnt lgkmcnt(0)
	v_mul_hi_u32 v0, s5, v11
	v_add_u32_e32 v0, v11, v0
	v_lshrrev_b32_e32 v1, s6, v0
	v_mul_lo_u32 v0, v1, s4
	v_sub_u32_e32 v3, v11, v0
	v_mul_lo_u32 v0, v3, s8
	v_mul_lo_u32 v2, v3, s9
	;; [unrolled: 1-line block ×3, first 2 shown]
	s_cbranch_scc1 .LBB213_67
; %bb.66:
	s_load_dwordx4 s[4:7], s[12:13], 0x10
	s_load_dwordx4 s[8:11], s[12:13], 0xd0
	s_waitcnt lgkmcnt(0)
	v_mul_hi_u32 v3, s5, v1
	v_add_u32_e32 v3, v1, v3
	v_lshrrev_b32_e32 v3, s6, v3
	v_mul_lo_u32 v3, v3, s4
	v_sub_u32_e32 v5, v1, v3
	v_mad_u64_u32 v[0:1], s[2:3], v5, s8, v[0:1]
	v_mad_u64_u32 v[2:3], s[2:3], v5, s9, v[2:3]
	;; [unrolled: 1-line block ×3, first 2 shown]
.LBB213_67:
	s_and_b64 vcc, exec, s[0:1]
	v_add_u32_e32 v1, 0x80, v11
	s_cbranch_vccnz .LBB213_73
; %bb.68:
	s_cmp_lg_u32 s33, 0
	s_cbranch_scc0 .LBB213_74
; %bb.69:
	s_min_u32 s4, s34, 15
	s_add_i32 s2, s4, 1
	s_and_b32 s5, s2, 30
	s_add_u32 s2, s12, 0xffffffe8
	s_addc_u32 s3, s13, -1
	v_mov_b32_e32 v9, 0
	v_mov_b32_e32 v7, 0
	;; [unrolled: 1-line block ×4, first 2 shown]
.LBB213_70:                             ; =>This Inner Loop Header: Depth=1
	s_load_dwordx4 s[8:11], s[2:3], 0x1c
	s_load_dwordx2 s[6:7], s[2:3], 0x2c
	s_load_dwordx2 s[14:15], s[2:3], 0xec
	s_load_dwordx4 s[16:19], s[2:3], 0xdc
	s_add_u32 s2, s2, 24
	s_waitcnt lgkmcnt(0)
	v_mul_hi_u32 v6, s9, v3
	s_addc_u32 s3, s3, 0
	s_add_i32 s5, s5, -2
	s_cmp_lg_u32 s5, 0
	v_add_u32_e32 v6, v3, v6
	v_lshrrev_b32_e32 v6, s10, v6
	v_mul_lo_u32 v8, v6, s8
	v_mul_hi_u32 v10, s6, v6
	v_sub_u32_e32 v8, v3, v8
	v_add_u32_e32 v3, v6, v10
	v_lshrrev_b32_e32 v3, s7, v3
	v_mul_lo_u32 v13, v3, s11
	v_mul_lo_u32 v10, v8, s16
	;; [unrolled: 1-line block ×4, first 2 shown]
	v_sub_u32_e32 v6, v6, v13
	v_mul_lo_u32 v13, v6, s19
	v_mul_lo_u32 v14, v6, s14
	;; [unrolled: 1-line block ×3, first 2 shown]
	v_add3_u32 v5, v10, v5, v13
	v_add3_u32 v7, v12, v7, v14
	;; [unrolled: 1-line block ×3, first 2 shown]
	s_cbranch_scc1 .LBB213_70
; %bb.71:
	s_bitcmp1_b32 s4, 0
	s_cselect_b64 s[4:5], -1, 0
	s_and_b64 vcc, exec, s[4:5]
	s_cbranch_vccnz .LBB213_75
; %bb.72:
	s_load_dwordx2 s[4:5], s[2:3], 0x1c
	s_load_dword s8, s[2:3], 0x24
	s_load_dwordx2 s[6:7], s[2:3], 0xdc
	s_waitcnt lgkmcnt(0)
	v_mul_hi_u32 v6, s5, v3
	v_add_u32_e32 v6, v3, v6
	v_lshrrev_b32_e32 v6, s8, v6
	v_mul_lo_u32 v6, v6, s4
	s_load_dword s4, s[2:3], 0xe4
	v_sub_u32_e32 v3, v3, v6
	v_mad_u64_u32 v[5:6], s[2:3], v3, s6, v[5:6]
	v_mad_u64_u32 v[7:8], s[2:3], v3, s7, v[7:8]
	s_waitcnt lgkmcnt(0)
	v_mad_u64_u32 v[9:10], s[2:3], v3, s4, v[9:10]
	s_cbranch_execz .LBB213_76
	s_branch .LBB213_78
.LBB213_73:
                                        ; implicit-def: $vgpr5
                                        ; implicit-def: $vgpr7
                                        ; implicit-def: $vgpr9
	s_branch .LBB213_76
.LBB213_74:
	v_mov_b32_e32 v5, 0
	v_mov_b32_e32 v7, 0
	v_mov_b32_e32 v9, 0
.LBB213_75:
	s_cbranch_execnz .LBB213_78
.LBB213_76:
	s_load_dwordx4 s[4:7], s[12:13], 0x4
	s_load_dwordx4 s[8:11], s[12:13], 0xc4
	s_cmp_lt_u32 s33, 2
	s_waitcnt lgkmcnt(0)
	v_mul_hi_u32 v3, s5, v1
	v_add_u32_e32 v3, v1, v3
	v_lshrrev_b32_e32 v3, s6, v3
	v_mul_lo_u32 v5, v3, s4
	v_sub_u32_e32 v1, v1, v5
	v_mul_lo_u32 v5, v1, s8
	v_mul_lo_u32 v7, v1, s9
	;; [unrolled: 1-line block ×3, first 2 shown]
	s_cbranch_scc1 .LBB213_78
; %bb.77:
	s_load_dwordx4 s[4:7], s[12:13], 0x10
	s_load_dwordx4 s[8:11], s[12:13], 0xd0
	s_waitcnt lgkmcnt(0)
	v_mul_hi_u32 v1, s5, v3
	v_add_u32_e32 v1, v3, v1
	v_lshrrev_b32_e32 v1, s6, v1
	v_mul_lo_u32 v1, v1, s4
	v_sub_u32_e32 v1, v3, v1
	v_mad_u64_u32 v[5:6], s[2:3], v1, s8, v[5:6]
	v_mad_u64_u32 v[7:8], s[2:3], v1, s9, v[7:8]
	;; [unrolled: 1-line block ×3, first 2 shown]
.LBB213_78:
	s_and_b64 vcc, exec, s[0:1]
	v_add_u32_e32 v1, 0x100, v11
	s_cbranch_vccnz .LBB213_84
; %bb.79:
	s_cmp_lg_u32 s33, 0
	s_cbranch_scc0 .LBB213_85
; %bb.80:
	s_min_u32 s4, s34, 15
	s_add_i32 s2, s4, 1
	s_and_b32 s5, s2, 30
	s_add_u32 s2, s12, 0xffffffe8
	s_addc_u32 s3, s13, -1
	v_mov_b32_e32 v14, 0
	v_mov_b32_e32 v12, 0
	v_mov_b32_e32 v10, 0
	v_mov_b32_e32 v3, v1
.LBB213_81:                             ; =>This Inner Loop Header: Depth=1
	s_load_dwordx4 s[8:11], s[2:3], 0x1c
	s_load_dwordx2 s[6:7], s[2:3], 0x2c
	s_load_dwordx2 s[14:15], s[2:3], 0xec
	s_load_dwordx4 s[16:19], s[2:3], 0xdc
	s_add_u32 s2, s2, 24
	s_waitcnt lgkmcnt(0)
	v_mul_hi_u32 v6, s9, v3
	s_addc_u32 s3, s3, 0
	s_add_i32 s5, s5, -2
	s_cmp_lg_u32 s5, 0
	v_add_u32_e32 v6, v3, v6
	v_lshrrev_b32_e32 v6, s10, v6
	v_mul_lo_u32 v8, v6, s8
	v_mul_hi_u32 v11, s6, v6
	v_sub_u32_e32 v8, v3, v8
	v_add_u32_e32 v3, v6, v11
	v_lshrrev_b32_e32 v3, s7, v3
	v_mul_lo_u32 v15, v3, s11
	v_mul_lo_u32 v11, v8, s16
	;; [unrolled: 1-line block ×4, first 2 shown]
	v_sub_u32_e32 v6, v6, v15
	v_mul_lo_u32 v15, v6, s19
	v_mul_lo_u32 v16, v6, s14
	;; [unrolled: 1-line block ×3, first 2 shown]
	v_add3_u32 v10, v11, v10, v15
	v_add3_u32 v12, v13, v12, v16
	;; [unrolled: 1-line block ×3, first 2 shown]
	s_cbranch_scc1 .LBB213_81
; %bb.82:
	s_bitcmp1_b32 s4, 0
	s_cselect_b64 s[4:5], -1, 0
	s_and_b64 vcc, exec, s[4:5]
	s_cbranch_vccnz .LBB213_86
; %bb.83:
	s_load_dwordx2 s[4:5], s[2:3], 0x1c
	s_load_dword s8, s[2:3], 0x24
	s_load_dwordx2 s[6:7], s[2:3], 0xdc
	s_waitcnt lgkmcnt(0)
	v_mul_hi_u32 v6, s5, v3
	v_add_u32_e32 v6, v3, v6
	v_lshrrev_b32_e32 v6, s8, v6
	v_mul_lo_u32 v6, v6, s4
	s_load_dword s4, s[2:3], 0xe4
	v_sub_u32_e32 v3, v3, v6
	v_mad_u64_u32 v[10:11], s[2:3], v3, s6, v[10:11]
	v_mad_u64_u32 v[12:13], s[2:3], v3, s7, v[12:13]
	s_waitcnt lgkmcnt(0)
	v_mad_u64_u32 v[14:15], s[2:3], v3, s4, v[14:15]
	s_cbranch_execz .LBB213_87
	s_branch .LBB213_89
.LBB213_84:
                                        ; implicit-def: $vgpr10
                                        ; implicit-def: $vgpr12
                                        ; implicit-def: $vgpr14
	s_branch .LBB213_87
.LBB213_85:
	v_mov_b32_e32 v10, 0
	v_mov_b32_e32 v12, 0
	;; [unrolled: 1-line block ×3, first 2 shown]
.LBB213_86:
	s_cbranch_execnz .LBB213_89
.LBB213_87:
	s_load_dwordx4 s[4:7], s[12:13], 0x4
	s_load_dwordx4 s[8:11], s[12:13], 0xc4
	s_cmp_lt_u32 s33, 2
	s_waitcnt lgkmcnt(0)
	v_mul_hi_u32 v3, s5, v1
	v_add_u32_e32 v3, v1, v3
	v_lshrrev_b32_e32 v3, s6, v3
	v_mul_lo_u32 v6, v3, s4
	v_sub_u32_e32 v1, v1, v6
	v_mul_lo_u32 v10, v1, s8
	v_mul_lo_u32 v12, v1, s9
	;; [unrolled: 1-line block ×3, first 2 shown]
	s_cbranch_scc1 .LBB213_89
; %bb.88:
	s_load_dwordx4 s[4:7], s[12:13], 0x10
	s_load_dwordx4 s[8:11], s[12:13], 0xd0
	s_waitcnt lgkmcnt(0)
	v_mul_hi_u32 v1, s5, v3
	v_add_u32_e32 v1, v3, v1
	v_lshrrev_b32_e32 v1, s6, v1
	v_mul_lo_u32 v1, v1, s4
	v_sub_u32_e32 v1, v3, v1
	v_mad_u64_u32 v[10:11], s[2:3], v1, s8, v[10:11]
	v_mad_u64_u32 v[12:13], s[2:3], v1, s9, v[12:13]
	;; [unrolled: 1-line block ×3, first 2 shown]
.LBB213_89:
	s_and_b64 vcc, exec, s[0:1]
	s_cbranch_vccnz .LBB213_95
; %bb.90:
	s_cmp_lg_u32 s33, 0
	s_cbranch_scc0 .LBB213_96
; %bb.91:
	s_min_u32 s2, s34, 15
	s_add_i32 s0, s2, 1
	s_and_b32 s3, s0, 30
	s_add_u32 s0, s12, 0xffffffe8
	s_addc_u32 s1, s13, -1
	v_mov_b32_e32 v19, 0
	v_mov_b32_e32 v17, 0
	;; [unrolled: 1-line block ×4, first 2 shown]
.LBB213_92:                             ; =>This Inner Loop Header: Depth=1
	s_load_dwordx4 s[4:7], s[0:1], 0x1c
	s_load_dwordx2 s[14:15], s[0:1], 0x2c
	s_load_dwordx2 s[16:17], s[0:1], 0xec
	s_load_dwordx4 s[8:11], s[0:1], 0xdc
	s_add_u32 s0, s0, 24
	s_waitcnt lgkmcnt(0)
	v_mul_hi_u32 v3, s5, v1
	s_addc_u32 s1, s1, 0
	s_add_i32 s3, s3, -2
	s_cmp_lg_u32 s3, 0
	v_add_u32_e32 v3, v1, v3
	v_lshrrev_b32_e32 v3, s6, v3
	v_mul_lo_u32 v6, v3, s4
	v_mul_hi_u32 v8, s14, v3
	v_sub_u32_e32 v6, v1, v6
	v_add_u32_e32 v1, v3, v8
	v_lshrrev_b32_e32 v1, s15, v1
	v_mul_lo_u32 v13, v1, s7
	v_mul_lo_u32 v8, v6, s8
	;; [unrolled: 1-line block ×4, first 2 shown]
	v_sub_u32_e32 v3, v3, v13
	v_mul_lo_u32 v13, v3, s11
	v_mul_lo_u32 v16, v3, s16
	;; [unrolled: 1-line block ×3, first 2 shown]
	v_add3_u32 v15, v8, v15, v13
	v_add3_u32 v17, v11, v17, v16
	v_add3_u32 v19, v6, v19, v3
	s_cbranch_scc1 .LBB213_92
; %bb.93:
	s_bitcmp1_b32 s2, 0
	s_cselect_b64 s[2:3], -1, 0
	s_and_b64 vcc, exec, s[2:3]
	s_cbranch_vccnz .LBB213_97
; %bb.94:
	s_load_dwordx2 s[2:3], s[0:1], 0x1c
	s_load_dword s6, s[0:1], 0x24
	s_load_dwordx2 s[4:5], s[0:1], 0xdc
	s_waitcnt lgkmcnt(0)
	v_mul_hi_u32 v3, s3, v1
	v_add_u32_e32 v3, v1, v3
	v_lshrrev_b32_e32 v3, s6, v3
	v_mul_lo_u32 v3, v3, s2
	s_load_dword s2, s[0:1], 0xe4
	v_sub_u32_e32 v1, v1, v3
	v_mad_u64_u32 v[15:16], s[0:1], v1, s4, v[15:16]
	v_mad_u64_u32 v[17:18], s[0:1], v1, s5, v[17:18]
	s_waitcnt lgkmcnt(0)
	v_mad_u64_u32 v[19:20], s[0:1], v1, s2, v[19:20]
	s_cbranch_execz .LBB213_98
	s_branch .LBB213_100
.LBB213_95:
                                        ; implicit-def: $vgpr15
                                        ; implicit-def: $vgpr17
                                        ; implicit-def: $vgpr19
	s_branch .LBB213_98
.LBB213_96:
	v_mov_b32_e32 v15, 0
	v_mov_b32_e32 v17, 0
	;; [unrolled: 1-line block ×3, first 2 shown]
.LBB213_97:
	s_cbranch_execnz .LBB213_100
.LBB213_98:
	s_load_dwordx4 s[0:3], s[12:13], 0x4
	s_load_dwordx4 s[4:7], s[12:13], 0xc4
	s_cmp_lt_u32 s33, 2
	s_waitcnt lgkmcnt(0)
	v_mul_hi_u32 v1, s1, v21
	v_add_u32_e32 v1, v21, v1
	v_lshrrev_b32_e32 v1, s2, v1
	v_mul_lo_u32 v3, v1, s0
	v_sub_u32_e32 v3, v21, v3
	v_mul_lo_u32 v15, v3, s4
	v_mul_lo_u32 v17, v3, s5
	;; [unrolled: 1-line block ×3, first 2 shown]
	s_cbranch_scc1 .LBB213_100
; %bb.99:
	s_load_dwordx4 s[0:3], s[12:13], 0x10
	s_load_dwordx4 s[4:7], s[12:13], 0xd0
	s_waitcnt lgkmcnt(0)
	v_mul_hi_u32 v3, s1, v1
	v_add_u32_e32 v3, v1, v3
	v_lshrrev_b32_e32 v3, s2, v3
	v_mul_lo_u32 v3, v3, s0
	v_sub_u32_e32 v1, v1, v3
	v_mad_u64_u32 v[15:16], s[0:1], v1, s4, v[15:16]
	v_mad_u64_u32 v[17:18], s[0:1], v1, s5, v[17:18]
	;; [unrolled: 1-line block ×3, first 2 shown]
.LBB213_100:
	s_load_dwordx2 s[0:1], s[12:13], 0x198
	s_waitcnt lgkmcnt(0)
	s_nop 2
	global_load_dwordx2 v[3:4], v4, s[0:1]
	s_waitcnt vmcnt(0)
	v_cmp_gt_u64_e32 vcc, 63, v[3:4]
	v_cndmask_b32_e32 v1, 63, v3, vcc
	global_load_dwordx2 v[3:4], v9, s[0:1]
	s_waitcnt vmcnt(0)
	v_cmp_gt_u64_e32 vcc, 63, v[3:4]
	v_cndmask_b32_e32 v6, 63, v3, vcc
	;; [unrolled: 4-line block ×3, first 2 shown]
	global_load_dwordx2 v[3:4], v19, s[0:1]
	s_load_dwordx4 s[0:3], s[12:13], 0x188
	s_waitcnt vmcnt(0)
	v_cmp_gt_u64_e32 vcc, 63, v[3:4]
	v_cndmask_b32_e32 v16, 63, v3, vcc
	s_waitcnt lgkmcnt(0)
	global_load_dwordx2 v[3:4], v2, s[2:3]
	global_load_dwordx2 v[8:9], v7, s[2:3]
	;; [unrolled: 1-line block ×4, first 2 shown]
	s_waitcnt vmcnt(3)
	v_ashrrev_i64 v[1:2], v1, v[3:4]
	s_waitcnt vmcnt(2)
	v_ashrrev_i64 v[3:4], v6, v[8:9]
	s_waitcnt vmcnt(1)
	v_ashrrev_i64 v[6:7], v11, v[13:14]
	s_waitcnt vmcnt(0)
	v_ashrrev_i64 v[8:9], v16, v[18:19]
	global_store_dwordx2 v0, v[1:2], s[0:1]
	global_store_dwordx2 v5, v[3:4], s[0:1]
	;; [unrolled: 1-line block ×4, first 2 shown]
	s_endpgm
	.section	.rodata,"a",@progbits
	.p2align	6, 0x0
	.amdhsa_kernel _ZN2at6native32elementwise_kernel_manual_unrollILi128ELi4EZNS0_22gpu_kernel_impl_nocastINS0_13BinaryFunctorIlllZZZNS0_18rshift_kernel_cudaERNS_18TensorIteratorBaseEENKUlvE_clEvENKUlvE2_clEvEUlllE_EEEEvS5_RKT_EUlibE_EEviT1_
		.amdhsa_group_segment_fixed_size 0
		.amdhsa_private_segment_fixed_size 0
		.amdhsa_kernarg_size 432
		.amdhsa_user_sgpr_count 6
		.amdhsa_user_sgpr_private_segment_buffer 1
		.amdhsa_user_sgpr_dispatch_ptr 0
		.amdhsa_user_sgpr_queue_ptr 0
		.amdhsa_user_sgpr_kernarg_segment_ptr 1
		.amdhsa_user_sgpr_dispatch_id 0
		.amdhsa_user_sgpr_flat_scratch_init 0
		.amdhsa_user_sgpr_private_segment_size 0
		.amdhsa_uses_dynamic_stack 0
		.amdhsa_system_sgpr_private_segment_wavefront_offset 0
		.amdhsa_system_sgpr_workgroup_id_x 1
		.amdhsa_system_sgpr_workgroup_id_y 0
		.amdhsa_system_sgpr_workgroup_id_z 0
		.amdhsa_system_sgpr_workgroup_info 0
		.amdhsa_system_vgpr_workitem_id 0
		.amdhsa_next_free_vgpr 22
		.amdhsa_next_free_sgpr 50
		.amdhsa_reserve_vcc 1
		.amdhsa_reserve_flat_scratch 0
		.amdhsa_float_round_mode_32 0
		.amdhsa_float_round_mode_16_64 0
		.amdhsa_float_denorm_mode_32 3
		.amdhsa_float_denorm_mode_16_64 3
		.amdhsa_dx10_clamp 1
		.amdhsa_ieee_mode 1
		.amdhsa_fp16_overflow 0
		.amdhsa_exception_fp_ieee_invalid_op 0
		.amdhsa_exception_fp_denorm_src 0
		.amdhsa_exception_fp_ieee_div_zero 0
		.amdhsa_exception_fp_ieee_overflow 0
		.amdhsa_exception_fp_ieee_underflow 0
		.amdhsa_exception_fp_ieee_inexact 0
		.amdhsa_exception_int_div_zero 0
	.end_amdhsa_kernel
	.section	.text._ZN2at6native32elementwise_kernel_manual_unrollILi128ELi4EZNS0_22gpu_kernel_impl_nocastINS0_13BinaryFunctorIlllZZZNS0_18rshift_kernel_cudaERNS_18TensorIteratorBaseEENKUlvE_clEvENKUlvE2_clEvEUlllE_EEEEvS5_RKT_EUlibE_EEviT1_,"axG",@progbits,_ZN2at6native32elementwise_kernel_manual_unrollILi128ELi4EZNS0_22gpu_kernel_impl_nocastINS0_13BinaryFunctorIlllZZZNS0_18rshift_kernel_cudaERNS_18TensorIteratorBaseEENKUlvE_clEvENKUlvE2_clEvEUlllE_EEEEvS5_RKT_EUlibE_EEviT1_,comdat
.Lfunc_end213:
	.size	_ZN2at6native32elementwise_kernel_manual_unrollILi128ELi4EZNS0_22gpu_kernel_impl_nocastINS0_13BinaryFunctorIlllZZZNS0_18rshift_kernel_cudaERNS_18TensorIteratorBaseEENKUlvE_clEvENKUlvE2_clEvEUlllE_EEEEvS5_RKT_EUlibE_EEviT1_, .Lfunc_end213-_ZN2at6native32elementwise_kernel_manual_unrollILi128ELi4EZNS0_22gpu_kernel_impl_nocastINS0_13BinaryFunctorIlllZZZNS0_18rshift_kernel_cudaERNS_18TensorIteratorBaseEENKUlvE_clEvENKUlvE2_clEvEUlllE_EEEEvS5_RKT_EUlibE_EEviT1_
                                        ; -- End function
	.set _ZN2at6native32elementwise_kernel_manual_unrollILi128ELi4EZNS0_22gpu_kernel_impl_nocastINS0_13BinaryFunctorIlllZZZNS0_18rshift_kernel_cudaERNS_18TensorIteratorBaseEENKUlvE_clEvENKUlvE2_clEvEUlllE_EEEEvS5_RKT_EUlibE_EEviT1_.num_vgpr, 22
	.set _ZN2at6native32elementwise_kernel_manual_unrollILi128ELi4EZNS0_22gpu_kernel_impl_nocastINS0_13BinaryFunctorIlllZZZNS0_18rshift_kernel_cudaERNS_18TensorIteratorBaseEENKUlvE_clEvENKUlvE2_clEvEUlllE_EEEEvS5_RKT_EUlibE_EEviT1_.num_agpr, 0
	.set _ZN2at6native32elementwise_kernel_manual_unrollILi128ELi4EZNS0_22gpu_kernel_impl_nocastINS0_13BinaryFunctorIlllZZZNS0_18rshift_kernel_cudaERNS_18TensorIteratorBaseEENKUlvE_clEvENKUlvE2_clEvEUlllE_EEEEvS5_RKT_EUlibE_EEviT1_.numbered_sgpr, 50
	.set _ZN2at6native32elementwise_kernel_manual_unrollILi128ELi4EZNS0_22gpu_kernel_impl_nocastINS0_13BinaryFunctorIlllZZZNS0_18rshift_kernel_cudaERNS_18TensorIteratorBaseEENKUlvE_clEvENKUlvE2_clEvEUlllE_EEEEvS5_RKT_EUlibE_EEviT1_.num_named_barrier, 0
	.set _ZN2at6native32elementwise_kernel_manual_unrollILi128ELi4EZNS0_22gpu_kernel_impl_nocastINS0_13BinaryFunctorIlllZZZNS0_18rshift_kernel_cudaERNS_18TensorIteratorBaseEENKUlvE_clEvENKUlvE2_clEvEUlllE_EEEEvS5_RKT_EUlibE_EEviT1_.private_seg_size, 0
	.set _ZN2at6native32elementwise_kernel_manual_unrollILi128ELi4EZNS0_22gpu_kernel_impl_nocastINS0_13BinaryFunctorIlllZZZNS0_18rshift_kernel_cudaERNS_18TensorIteratorBaseEENKUlvE_clEvENKUlvE2_clEvEUlllE_EEEEvS5_RKT_EUlibE_EEviT1_.uses_vcc, 1
	.set _ZN2at6native32elementwise_kernel_manual_unrollILi128ELi4EZNS0_22gpu_kernel_impl_nocastINS0_13BinaryFunctorIlllZZZNS0_18rshift_kernel_cudaERNS_18TensorIteratorBaseEENKUlvE_clEvENKUlvE2_clEvEUlllE_EEEEvS5_RKT_EUlibE_EEviT1_.uses_flat_scratch, 0
	.set _ZN2at6native32elementwise_kernel_manual_unrollILi128ELi4EZNS0_22gpu_kernel_impl_nocastINS0_13BinaryFunctorIlllZZZNS0_18rshift_kernel_cudaERNS_18TensorIteratorBaseEENKUlvE_clEvENKUlvE2_clEvEUlllE_EEEEvS5_RKT_EUlibE_EEviT1_.has_dyn_sized_stack, 0
	.set _ZN2at6native32elementwise_kernel_manual_unrollILi128ELi4EZNS0_22gpu_kernel_impl_nocastINS0_13BinaryFunctorIlllZZZNS0_18rshift_kernel_cudaERNS_18TensorIteratorBaseEENKUlvE_clEvENKUlvE2_clEvEUlllE_EEEEvS5_RKT_EUlibE_EEviT1_.has_recursion, 0
	.set _ZN2at6native32elementwise_kernel_manual_unrollILi128ELi4EZNS0_22gpu_kernel_impl_nocastINS0_13BinaryFunctorIlllZZZNS0_18rshift_kernel_cudaERNS_18TensorIteratorBaseEENKUlvE_clEvENKUlvE2_clEvEUlllE_EEEEvS5_RKT_EUlibE_EEviT1_.has_indirect_call, 0
	.section	.AMDGPU.csdata,"",@progbits
; Kernel info:
; codeLenInByte = 4812
; TotalNumSgprs: 54
; NumVgprs: 22
; ScratchSize: 0
; MemoryBound: 0
; FloatMode: 240
; IeeeMode: 1
; LDSByteSize: 0 bytes/workgroup (compile time only)
; SGPRBlocks: 6
; VGPRBlocks: 5
; NumSGPRsForWavesPerEU: 54
; NumVGPRsForWavesPerEU: 22
; Occupancy: 10
; WaveLimiterHint : 1
; COMPUTE_PGM_RSRC2:SCRATCH_EN: 0
; COMPUTE_PGM_RSRC2:USER_SGPR: 6
; COMPUTE_PGM_RSRC2:TRAP_HANDLER: 0
; COMPUTE_PGM_RSRC2:TGID_X_EN: 1
; COMPUTE_PGM_RSRC2:TGID_Y_EN: 0
; COMPUTE_PGM_RSRC2:TGID_Z_EN: 0
; COMPUTE_PGM_RSRC2:TIDIG_COMP_CNT: 0
	.section	.text._ZN2at6native32elementwise_kernel_manual_unrollILi128ELi4EZNS0_15gpu_kernel_implINS0_13BinaryFunctorIlllZZZNS0_18rshift_kernel_cudaERNS_18TensorIteratorBaseEENKUlvE_clEvENKUlvE2_clEvEUlllE_EEEEvS5_RKT_EUlibE_EEviT1_,"axG",@progbits,_ZN2at6native32elementwise_kernel_manual_unrollILi128ELi4EZNS0_15gpu_kernel_implINS0_13BinaryFunctorIlllZZZNS0_18rshift_kernel_cudaERNS_18TensorIteratorBaseEENKUlvE_clEvENKUlvE2_clEvEUlllE_EEEEvS5_RKT_EUlibE_EEviT1_,comdat
	.globl	_ZN2at6native32elementwise_kernel_manual_unrollILi128ELi4EZNS0_15gpu_kernel_implINS0_13BinaryFunctorIlllZZZNS0_18rshift_kernel_cudaERNS_18TensorIteratorBaseEENKUlvE_clEvENKUlvE2_clEvEUlllE_EEEEvS5_RKT_EUlibE_EEviT1_ ; -- Begin function _ZN2at6native32elementwise_kernel_manual_unrollILi128ELi4EZNS0_15gpu_kernel_implINS0_13BinaryFunctorIlllZZZNS0_18rshift_kernel_cudaERNS_18TensorIteratorBaseEENKUlvE_clEvENKUlvE2_clEvEUlllE_EEEEvS5_RKT_EUlibE_EEviT1_
	.p2align	8
	.type	_ZN2at6native32elementwise_kernel_manual_unrollILi128ELi4EZNS0_15gpu_kernel_implINS0_13BinaryFunctorIlllZZZNS0_18rshift_kernel_cudaERNS_18TensorIteratorBaseEENKUlvE_clEvENKUlvE2_clEvEUlllE_EEEEvS5_RKT_EUlibE_EEviT1_,@function
_ZN2at6native32elementwise_kernel_manual_unrollILi128ELi4EZNS0_15gpu_kernel_implINS0_13BinaryFunctorIlllZZZNS0_18rshift_kernel_cudaERNS_18TensorIteratorBaseEENKUlvE_clEvENKUlvE2_clEvEUlllE_EEEEvS5_RKT_EUlibE_EEviT1_: ; @_ZN2at6native32elementwise_kernel_manual_unrollILi128ELi4EZNS0_15gpu_kernel_implINS0_13BinaryFunctorIlllZZZNS0_18rshift_kernel_cudaERNS_18TensorIteratorBaseEENKUlvE_clEvENKUlvE2_clEvEUlllE_EEEEvS5_RKT_EUlibE_EEviT1_
; %bb.0:
	v_mov_b32_e32 v1, 0
	global_load_ushort v2, v1, s[4:5] offset:45
	global_load_sbyte v3, v1, s[4:5] offset:47
	s_load_dword s48, s[4:5], 0x0
	s_load_dwordx4 s[8:11], s[4:5], 0x8
	s_load_dwordx2 s[2:3], s[4:5], 0x18
	s_load_dwordx4 s[12:15], s[4:5], 0x20
	v_lshl_or_b32 v18, s6, 9, v0
	v_or_b32_e32 v0, 0x180, v18
	s_mov_b64 s[16:17], 0
	s_waitcnt lgkmcnt(0)
	v_cmp_le_i32_e32 vcc, s48, v0
	s_mov_b64 s[6:7], 0
	s_waitcnt vmcnt(1)
	v_readfirstlane_b32 s33, v2
	s_waitcnt vmcnt(0)
	v_readfirstlane_b32 s15, v3
	s_lshr_b32 s54, s33, 8
	s_and_saveexec_b64 s[0:1], vcc
	s_xor_b64 s[4:5], exec, s[0:1]
	s_cbranch_execz .LBB214_1512
; %bb.1:
	v_cmp_gt_i32_e32 vcc, s48, v18
	s_mov_b64 s[0:1], -1
	s_mov_b64 s[26:27], 0
	s_mov_b64 s[20:21], 0
	;; [unrolled: 1-line block ×3, first 2 shown]
	s_and_saveexec_b64 s[22:23], vcc
	s_cbranch_execz .LBB214_375
; %bb.2:
	v_mul_lo_u32 v0, v18, s13
	v_mov_b32_e32 v1, s11
	s_and_b32 s18, s54, 0xff
	s_cmp_lt_i32 s18, 11
	v_ashrrev_i32_e32 v3, 31, v0
	v_add_co_u32_e32 v2, vcc, s10, v0
	v_addc_co_u32_e32 v3, vcc, v1, v3, vcc
	s_cbranch_scc1 .LBB214_9
; %bb.3:
	s_and_b32 s19, 0xffff, s18
	s_cmp_gt_i32 s19, 25
	s_cbranch_scc0 .LBB214_18
; %bb.4:
	s_cmp_gt_i32 s19, 28
	s_cbranch_scc0 .LBB214_28
; %bb.5:
	;; [unrolled: 3-line block ×4, first 2 shown]
	s_cmp_eq_u32 s19, 46
	s_cbranch_scc0 .LBB214_37
; %bb.8:
	global_load_dword v0, v[2:3], off
	s_mov_b32 s0, 0x2f800000
	s_mov_b32 s1, 0xcf800000
	s_waitcnt vmcnt(0)
	v_lshlrev_b32_e32 v0, 16, v0
	v_trunc_f32_e32 v0, v0
	v_mul_f32_e64 v1, |v0|, s0
	v_floor_f32_e32 v1, v1
	v_fma_f32 v4, v1, s1, |v0|
	v_cvt_u32_f32_e32 v4, v4
	v_cvt_u32_f32_e32 v1, v1
	v_ashrrev_i32_e32 v5, 31, v0
	s_mov_b64 s[0:1], -1
	v_xor_b32_e32 v0, v4, v5
	v_xor_b32_e32 v1, v1, v5
	v_sub_co_u32_e32 v0, vcc, v0, v5
	v_subb_co_u32_e32 v1, vcc, v1, v5, vcc
	s_branch .LBB214_39
.LBB214_9:
                                        ; implicit-def: $vgpr0_vgpr1
	s_mov_b64 s[0:1], 0
	s_cbranch_execnz .LBB214_101
.LBB214_10:
	s_andn2_b64 vcc, exec, s[0:1]
	s_cbranch_vccnz .LBB214_148
.LBB214_11:
	v_mul_lo_u32 v2, v18, s14
	v_mov_b32_e32 v3, s3
	s_and_b32 s24, s15, 0xff
	s_cmp_lt_i32 s24, 11
	v_ashrrev_i32_e32 v4, 31, v2
	v_add_co_u32_e32 v2, vcc, s2, v2
	v_addc_co_u32_e32 v3, vcc, v3, v4, vcc
	s_cbranch_scc1 .LBB214_19
; %bb.12:
	s_and_b32 s25, 0xffff, s24
	s_cmp_gt_i32 s25, 25
	s_cbranch_scc0 .LBB214_29
; %bb.13:
	s_cmp_gt_i32 s25, 28
	s_cbranch_scc0 .LBB214_32
; %bb.14:
	;; [unrolled: 3-line block ×4, first 2 shown]
	s_cmp_eq_u32 s25, 46
	s_mov_b64 s[6:7], 0
	s_cbranch_scc0 .LBB214_149
; %bb.17:
	global_load_dword v4, v[2:3], off
	s_mov_b32 s0, 0x2f800000
	s_mov_b32 s1, 0xcf800000
	s_mov_b64 s[18:19], 0
	s_waitcnt vmcnt(0)
	v_lshlrev_b32_e32 v4, 16, v4
	v_trunc_f32_e32 v4, v4
	v_mul_f32_e64 v5, |v4|, s0
	v_floor_f32_e32 v5, v5
	v_fma_f32 v6, v5, s1, |v4|
	v_cvt_u32_f32_e32 v6, v6
	v_cvt_u32_f32_e32 v5, v5
	v_ashrrev_i32_e32 v7, 31, v4
	s_mov_b64 s[0:1], -1
	v_xor_b32_e32 v4, v6, v7
	v_xor_b32_e32 v5, v5, v7
	v_sub_co_u32_e32 v4, vcc, v4, v7
	v_subb_co_u32_e32 v5, vcc, v5, v7, vcc
	s_branch .LBB214_151
.LBB214_18:
	s_mov_b64 s[0:1], 0
                                        ; implicit-def: $vgpr0_vgpr1
	s_cbranch_execnz .LBB214_70
	s_branch .LBB214_100
.LBB214_19:
	s_mov_b64 s[18:19], 0
                                        ; implicit-def: $vgpr4_vgpr5
	s_mov_b64 s[0:1], 0
	s_cbranch_execnz .LBB214_324
.LBB214_20:
	s_andn2_b64 vcc, exec, s[0:1]
	s_cbranch_vccnz .LBB214_372
.LBB214_21:
	v_mul_lo_u32 v2, v18, s12
	s_waitcnt vmcnt(0)
	v_cmp_gt_u64_e32 vcc, 63, v[4:5]
	s_and_b32 s30, s33, 0xff
	v_cndmask_b32_e32 v3, 63, v4, vcc
	v_ashrrev_i64 v[0:1], v3, v[0:1]
	v_ashrrev_i32_e32 v3, 31, v2
	v_mov_b32_e32 v4, s9
	v_add_co_u32_e32 v2, vcc, s8, v2
	s_cmp_lt_i32 s30, 11
	v_addc_co_u32_e32 v3, vcc, v4, v3, vcc
	s_cbranch_scc1 .LBB214_30
; %bb.22:
	s_and_b32 s31, 0xffff, s30
	s_cmp_gt_i32 s31, 25
	s_cbranch_scc0 .LBB214_33
; %bb.23:
	s_cmp_gt_i32 s31, 28
	s_cbranch_scc0 .LBB214_36
; %bb.24:
	;; [unrolled: 3-line block ×4, first 2 shown]
	s_mov_b64 s[24:25], 0
	s_mov_b64 s[0:1], -1
	s_cmp_eq_u32 s31, 46
	s_mov_b64 s[6:7], 0
	s_cbranch_scc0 .LBB214_155
; %bb.27:
	v_xor_b32_e32 v5, v0, v1
	v_ffbh_i32_e32 v4, v1
	v_ashrrev_i32_e32 v5, 31, v5
	v_add_u32_e32 v4, -1, v4
	v_add_u32_e32 v5, 32, v5
	v_min_u32_e32 v6, v4, v5
	v_lshlrev_b64 v[4:5], v6, v[0:1]
	s_movk_i32 s0, 0x7fff
	v_min_u32_e32 v4, 1, v4
	v_or_b32_e32 v4, v5, v4
	v_cvt_f32_i32_e32 v4, v4
	v_sub_u32_e32 v5, 32, v6
	s_mov_b64 s[6:7], -1
	v_ldexp_f32 v4, v4, v5
	v_bfe_u32 v5, v4, 16, 1
	v_add3_u32 v4, v4, v5, s0
	v_lshrrev_b32_e32 v4, 16, v4
	global_store_dword v[2:3], v4, off
	s_mov_b64 s[0:1], 0
	s_branch .LBB214_155
.LBB214_28:
	s_mov_b64 s[6:7], -1
	s_mov_b64 s[0:1], 0
                                        ; implicit-def: $vgpr0_vgpr1
	s_branch .LBB214_51
.LBB214_29:
	s_mov_b64 s[6:7], -1
	s_mov_b64 s[18:19], 0
	s_mov_b64 s[0:1], 0
                                        ; implicit-def: $vgpr4_vgpr5
	s_branch .LBB214_292
.LBB214_30:
	s_mov_b64 s[24:25], -1
	s_mov_b64 s[0:1], 0
	s_mov_b64 s[6:7], 0
	s_branch .LBB214_224
.LBB214_31:
	s_mov_b64 s[6:7], -1
	s_mov_b64 s[0:1], 0
                                        ; implicit-def: $vgpr0_vgpr1
	s_branch .LBB214_46
.LBB214_32:
	s_mov_b64 s[6:7], -1
	s_mov_b64 s[18:19], 0
	s_mov_b64 s[0:1], 0
                                        ; implicit-def: $vgpr4_vgpr5
	s_branch .LBB214_273
.LBB214_33:
	s_mov_b64 s[24:25], -1
	s_mov_b64 s[0:1], 0
	s_mov_b64 s[6:7], 0
	s_branch .LBB214_182
.LBB214_34:
	s_mov_b64 s[6:7], -1
	s_branch .LBB214_38
.LBB214_35:
	s_mov_b64 s[6:7], -1
	s_mov_b64 s[18:19], 0
	s_mov_b64 s[0:1], 0
                                        ; implicit-def: $vgpr4_vgpr5
	s_branch .LBB214_268
.LBB214_36:
	s_mov_b64 s[24:25], -1
	s_mov_b64 s[0:1], 0
	s_mov_b64 s[6:7], 0
	s_branch .LBB214_165
.LBB214_37:
	s_mov_b64 s[20:21], -1
.LBB214_38:
	s_mov_b64 s[0:1], 0
                                        ; implicit-def: $vgpr0_vgpr1
.LBB214_39:
	s_and_b64 vcc, exec, s[6:7]
	s_cbranch_vccz .LBB214_45
; %bb.40:
	s_cmp_eq_u32 s19, 44
	s_cbranch_scc0 .LBB214_44
; %bb.41:
	global_load_ubyte v0, v[2:3], off
	s_mov_b32 s0, 0x2f800000
	s_mov_b32 s1, 0xcf800000
	s_mov_b64 s[20:21], 0
	s_waitcnt vmcnt(0)
	v_lshlrev_b32_e32 v1, 23, v0
	v_trunc_f32_e32 v1, v1
	v_mul_f32_e64 v4, |v1|, s0
	v_floor_f32_e32 v4, v4
	v_fma_f32 v5, v4, s1, |v1|
	v_cvt_u32_f32_e32 v5, v5
	v_cvt_u32_f32_e32 v4, v4
	v_ashrrev_i32_e32 v1, 31, v1
	s_mov_b64 s[0:1], -1
	v_xor_b32_e32 v5, v5, v1
	v_xor_b32_e32 v4, v4, v1
	v_sub_co_u32_e32 v5, vcc, v5, v1
	v_subb_co_u32_e32 v1, vcc, v4, v1, vcc
	v_cmp_ne_u32_e32 vcc, 0, v0
	v_cndmask_b32_e32 v1, 0, v1, vcc
	v_cndmask_b32_e32 v0, 0, v5, vcc
	s_branch .LBB214_45
.LBB214_42:
	s_mov_b64 s[6:7], -1
	s_mov_b64 s[18:19], 0
	s_branch .LBB214_150
.LBB214_43:
	s_mov_b64 s[24:25], -1
	s_mov_b64 s[0:1], 0
	s_mov_b64 s[6:7], 0
	s_branch .LBB214_161
.LBB214_44:
	s_mov_b64 s[20:21], -1
                                        ; implicit-def: $vgpr0_vgpr1
.LBB214_45:
	s_mov_b64 s[6:7], 0
.LBB214_46:
	s_and_b64 vcc, exec, s[6:7]
	s_cbranch_vccz .LBB214_50
; %bb.47:
	s_cmp_eq_u32 s19, 29
	s_cbranch_scc0 .LBB214_49
; %bb.48:
	global_load_dwordx2 v[0:1], v[2:3], off
	s_mov_b64 s[0:1], -1
	s_mov_b64 s[20:21], 0
	s_branch .LBB214_50
.LBB214_49:
	s_mov_b64 s[20:21], -1
                                        ; implicit-def: $vgpr0_vgpr1
.LBB214_50:
	s_mov_b64 s[6:7], 0
.LBB214_51:
	s_and_b64 vcc, exec, s[6:7]
	s_cbranch_vccz .LBB214_69
; %bb.52:
	s_cmp_lt_i32 s19, 27
	s_cbranch_scc1 .LBB214_55
; %bb.53:
	s_cmp_gt_i32 s19, 27
	s_cbranch_scc0 .LBB214_56
; %bb.54:
	global_load_dword v0, v[2:3], off
	s_waitcnt vmcnt(1)
	v_mov_b32_e32 v1, 0
	s_mov_b64 s[0:1], 0
	s_branch .LBB214_57
.LBB214_55:
	s_mov_b64 s[0:1], -1
                                        ; implicit-def: $vgpr0_vgpr1
	s_branch .LBB214_60
.LBB214_56:
	s_mov_b64 s[0:1], -1
                                        ; implicit-def: $vgpr0_vgpr1
.LBB214_57:
	s_andn2_b64 vcc, exec, s[0:1]
	s_cbranch_vccnz .LBB214_59
; %bb.58:
	global_load_ushort v0, v[2:3], off
	s_mov_b32 s0, 0
	s_waitcnt vmcnt(1)
	v_mov_b32_e32 v1, s0
	s_waitcnt vmcnt(0)
	v_and_b32_e32 v0, 0xffff, v0
.LBB214_59:
	s_mov_b64 s[0:1], 0
.LBB214_60:
	s_andn2_b64 vcc, exec, s[0:1]
	s_cbranch_vccnz .LBB214_68
; %bb.61:
	global_load_ubyte v4, v[2:3], off
	s_movk_i32 s0, 0x7f
	s_mov_b64 s[6:7], 0
	s_waitcnt vmcnt(0)
	v_cmp_lt_i16_e32 vcc, s0, v4
	s_and_saveexec_b64 s[0:1], vcc
	s_xor_b64 s[0:1], exec, s[0:1]
; %bb.62:
	s_movk_i32 s6, 0x80
	v_cmp_ne_u16_e32 vcc, s6, v4
	s_and_b64 s[6:7], vcc, exec
; %bb.63:
	s_andn2_saveexec_b64 s[0:1], s[0:1]
; %bb.64:
	v_cmp_ne_u16_e32 vcc, 0, v4
	s_andn2_b64 s[6:7], s[6:7], exec
	s_and_b64 s[24:25], vcc, exec
	s_or_b64 s[6:7], s[6:7], s[24:25]
; %bb.65:
	s_or_b64 exec, exec, s[0:1]
	v_mov_b32_e32 v0, 0
	v_mov_b32_e32 v1, 0
	s_and_saveexec_b64 s[0:1], s[6:7]
	s_cbranch_execz .LBB214_67
; %bb.66:
	v_and_b32_e32 v1, 0xffff, v4
	v_lshlrev_b32_e32 v0, 24, v4
	v_and_b32_e32 v4, 7, v1
	v_ffbh_u32_e32 v6, v4
	v_min_u32_e32 v6, 32, v6
	v_subrev_u32_e32 v7, 28, v6
	v_bfe_u32 v5, v1, 3, 4
	v_lshlrev_b32_e32 v1, v7, v1
	v_sub_u32_e32 v6, 29, v6
	v_and_b32_e32 v1, 7, v1
	v_cmp_eq_u32_e32 vcc, 0, v5
	v_cndmask_b32_e32 v5, v5, v6, vcc
	v_cndmask_b32_e32 v1, v4, v1, vcc
	v_mov_b32_e32 v4, 0x3b800000
	v_lshlrev_b32_e32 v1, 20, v1
	v_and_b32_e32 v0, 0x80000000, v0
	v_lshl_add_u32 v4, v5, 23, v4
	v_or3_b32 v0, v0, v4, v1
	v_trunc_f32_e32 v0, v0
	s_mov_b32 s6, 0x2f800000
	v_mul_f32_e64 v1, |v0|, s6
	v_floor_f32_e32 v1, v1
	s_mov_b32 s6, 0xcf800000
	v_fma_f32 v4, v1, s6, |v0|
	v_cvt_u32_f32_e32 v4, v4
	v_cvt_u32_f32_e32 v1, v1
	v_ashrrev_i32_e32 v5, 31, v0
	v_xor_b32_e32 v0, v4, v5
	v_xor_b32_e32 v1, v1, v5
	v_sub_co_u32_e32 v0, vcc, v0, v5
	v_subb_co_u32_e32 v1, vcc, v1, v5, vcc
.LBB214_67:
	s_or_b64 exec, exec, s[0:1]
.LBB214_68:
	s_mov_b64 s[0:1], -1
.LBB214_69:
	s_branch .LBB214_100
.LBB214_70:
	s_cmp_gt_i32 s19, 22
	s_cbranch_scc0 .LBB214_80
; %bb.71:
	s_cmp_lt_i32 s19, 24
	s_cbranch_scc1 .LBB214_81
; %bb.72:
	s_cmp_gt_i32 s19, 24
	s_cbranch_scc0 .LBB214_82
; %bb.73:
	global_load_ubyte v4, v[2:3], off
	s_movk_i32 s0, 0x7f
	s_mov_b64 s[6:7], 0
	s_waitcnt vmcnt(0)
	v_cmp_lt_i16_e32 vcc, s0, v4
	s_and_saveexec_b64 s[0:1], vcc
	s_xor_b64 s[0:1], exec, s[0:1]
; %bb.74:
	s_movk_i32 s6, 0x80
	v_cmp_ne_u16_e32 vcc, s6, v4
	s_and_b64 s[6:7], vcc, exec
; %bb.75:
	s_andn2_saveexec_b64 s[0:1], s[0:1]
; %bb.76:
	v_cmp_ne_u16_e32 vcc, 0, v4
	s_andn2_b64 s[6:7], s[6:7], exec
	s_and_b64 s[24:25], vcc, exec
	s_or_b64 s[6:7], s[6:7], s[24:25]
; %bb.77:
	s_or_b64 exec, exec, s[0:1]
	v_mov_b32_e32 v0, 0
	v_mov_b32_e32 v1, 0
	s_and_saveexec_b64 s[0:1], s[6:7]
	s_cbranch_execz .LBB214_79
; %bb.78:
	v_and_b32_e32 v1, 0xffff, v4
	v_lshlrev_b32_e32 v0, 24, v4
	v_and_b32_e32 v4, 3, v1
	v_ffbh_u32_e32 v6, v4
	v_min_u32_e32 v6, 32, v6
	v_subrev_u32_e32 v7, 29, v6
	v_bfe_u32 v5, v1, 2, 5
	v_lshlrev_b32_e32 v1, v7, v1
	v_sub_u32_e32 v6, 30, v6
	v_and_b32_e32 v1, 3, v1
	v_cmp_eq_u32_e32 vcc, 0, v5
	v_cndmask_b32_e32 v5, v5, v6, vcc
	v_cndmask_b32_e32 v1, v4, v1, vcc
	v_mov_b32_e32 v4, 0x37800000
	v_lshlrev_b32_e32 v1, 21, v1
	v_and_b32_e32 v0, 0x80000000, v0
	v_lshl_add_u32 v4, v5, 23, v4
	v_or3_b32 v0, v0, v4, v1
	v_trunc_f32_e32 v0, v0
	s_mov_b32 s6, 0x2f800000
	v_mul_f32_e64 v1, |v0|, s6
	v_floor_f32_e32 v1, v1
	s_mov_b32 s6, 0xcf800000
	v_fma_f32 v4, v1, s6, |v0|
	v_cvt_u32_f32_e32 v4, v4
	v_cvt_u32_f32_e32 v1, v1
	v_ashrrev_i32_e32 v5, 31, v0
	v_xor_b32_e32 v0, v4, v5
	v_xor_b32_e32 v1, v1, v5
	v_sub_co_u32_e32 v0, vcc, v0, v5
	v_subb_co_u32_e32 v1, vcc, v1, v5, vcc
.LBB214_79:
	s_or_b64 exec, exec, s[0:1]
	s_mov_b64 s[0:1], 0
	s_branch .LBB214_83
.LBB214_80:
	s_mov_b64 s[6:7], -1
                                        ; implicit-def: $vgpr0_vgpr1
	s_branch .LBB214_89
.LBB214_81:
	s_mov_b64 s[0:1], -1
                                        ; implicit-def: $vgpr0_vgpr1
	s_branch .LBB214_86
.LBB214_82:
	s_mov_b64 s[0:1], -1
                                        ; implicit-def: $vgpr0_vgpr1
.LBB214_83:
	s_and_b64 vcc, exec, s[0:1]
	s_cbranch_vccz .LBB214_85
; %bb.84:
	global_load_ubyte v0, v[2:3], off
	s_mov_b32 s0, 0x7f800000
	s_brev_b32 s1, 1
	s_mov_b32 s6, 0x2f800000
	s_mov_b32 s7, 0xcf800000
	s_waitcnt vmcnt(0)
	v_lshlrev_b32_e32 v0, 24, v0
	v_and_b32_e32 v1, 0x7f000000, v0
	v_ffbh_u32_e32 v4, v1
	v_min_u32_e32 v4, 32, v4
	v_sub_u32_e64 v4, v4, 4 clamp
	v_lshlrev_b32_e32 v6, v4, v1
	v_lshlrev_b32_e32 v4, 23, v4
	v_lshrrev_b32_e32 v6, 4, v6
	v_add_u32_e32 v5, 0x1000000, v1
	v_sub_u32_e32 v4, v6, v4
	v_ashrrev_i32_e32 v5, 8, v5
	v_add_u32_e32 v4, 0x3c000000, v4
	v_and_or_b32 v4, v5, s0, v4
	v_cmp_ne_u32_e32 vcc, 0, v1
	v_cndmask_b32_e32 v1, 0, v4, vcc
	v_and_or_b32 v0, v0, s1, v1
	v_trunc_f32_e32 v0, v0
	v_mul_f32_e64 v1, |v0|, s6
	v_floor_f32_e32 v1, v1
	v_fma_f32 v4, v1, s7, |v0|
	v_cvt_u32_f32_e32 v4, v4
	v_cvt_u32_f32_e32 v1, v1
	v_ashrrev_i32_e32 v5, 31, v0
	v_xor_b32_e32 v0, v4, v5
	v_xor_b32_e32 v1, v1, v5
	v_sub_co_u32_e32 v0, vcc, v0, v5
	v_subb_co_u32_e32 v1, vcc, v1, v5, vcc
.LBB214_85:
	s_mov_b64 s[0:1], 0
.LBB214_86:
	s_andn2_b64 vcc, exec, s[0:1]
	s_cbranch_vccnz .LBB214_88
; %bb.87:
	global_load_ubyte v0, v[2:3], off
	s_movk_i32 s0, 0x7f00
	s_brev_b32 s1, 16
	s_brev_b32 s6, 1
	s_mov_b32 s7, 0x2f800000
	s_mov_b32 s24, 0xcf800000
	s_waitcnt vmcnt(0)
	v_lshlrev_b16_e32 v1, 8, v0
	v_lshlrev_b32_e32 v0, 25, v0
	v_lshrrev_b32_e32 v4, 4, v0
	v_and_or_b32 v5, v1, s0, 0.5
	v_or_b32_e32 v4, 0x70000000, v4
	v_add_f32_e32 v5, -0.5, v5
	v_mul_f32_e32 v4, 0x7800000, v4
	v_cmp_gt_u32_e32 vcc, s1, v0
	v_bfe_i32 v1, v1, 0, 16
	v_cndmask_b32_e32 v0, v4, v5, vcc
	v_and_or_b32 v0, v1, s6, v0
	v_trunc_f32_e32 v0, v0
	v_mul_f32_e64 v1, |v0|, s7
	v_floor_f32_e32 v1, v1
	v_fma_f32 v4, v1, s24, |v0|
	v_cvt_u32_f32_e32 v4, v4
	v_cvt_u32_f32_e32 v1, v1
	v_ashrrev_i32_e32 v5, 31, v0
	v_xor_b32_e32 v0, v4, v5
	v_xor_b32_e32 v1, v1, v5
	v_sub_co_u32_e32 v0, vcc, v0, v5
	v_subb_co_u32_e32 v1, vcc, v1, v5, vcc
.LBB214_88:
	s_mov_b64 s[6:7], 0
	s_mov_b64 s[0:1], -1
.LBB214_89:
	s_andn2_b64 vcc, exec, s[6:7]
	s_cbranch_vccnz .LBB214_100
; %bb.90:
	s_cmp_gt_i32 s19, 14
	s_cbranch_scc0 .LBB214_93
; %bb.91:
	s_cmp_eq_u32 s19, 15
	s_cbranch_scc0 .LBB214_94
; %bb.92:
	global_load_ushort v0, v[2:3], off
	s_mov_b32 s0, 0x2f800000
	s_mov_b32 s1, 0xcf800000
	s_mov_b64 s[20:21], 0
	s_waitcnt vmcnt(0)
	v_lshlrev_b32_e32 v0, 16, v0
	v_trunc_f32_e32 v0, v0
	v_mul_f32_e64 v1, |v0|, s0
	v_floor_f32_e32 v1, v1
	v_fma_f32 v4, v1, s1, |v0|
	v_cvt_u32_f32_e32 v4, v4
	v_cvt_u32_f32_e32 v1, v1
	v_ashrrev_i32_e32 v5, 31, v0
	s_mov_b64 s[0:1], -1
	v_xor_b32_e32 v0, v4, v5
	v_xor_b32_e32 v1, v1, v5
	v_sub_co_u32_e32 v0, vcc, v0, v5
	v_subb_co_u32_e32 v1, vcc, v1, v5, vcc
	s_branch .LBB214_95
.LBB214_93:
	s_mov_b64 s[6:7], -1
                                        ; implicit-def: $vgpr0_vgpr1
	s_branch .LBB214_96
.LBB214_94:
	s_mov_b64 s[20:21], -1
                                        ; implicit-def: $vgpr0_vgpr1
.LBB214_95:
	s_mov_b64 s[6:7], 0
.LBB214_96:
	s_and_b64 vcc, exec, s[6:7]
	s_cbranch_vccz .LBB214_100
; %bb.97:
	s_cmp_eq_u32 s19, 11
	s_cbranch_scc0 .LBB214_99
; %bb.98:
	global_load_ubyte v0, v[2:3], off
	s_mov_b32 s6, 0
	s_mov_b64 s[0:1], -1
	s_waitcnt vmcnt(1)
	v_mov_b32_e32 v1, s6
	s_mov_b64 s[20:21], 0
	s_waitcnt vmcnt(0)
	v_cmp_ne_u16_e32 vcc, 0, v0
	v_cndmask_b32_e64 v0, 0, 1, vcc
	s_branch .LBB214_100
.LBB214_99:
	s_mov_b64 s[20:21], -1
                                        ; implicit-def: $vgpr0_vgpr1
.LBB214_100:
	s_branch .LBB214_10
.LBB214_101:
	s_and_b32 s6, 0xffff, s18
	s_cmp_lt_i32 s6, 5
	s_cbranch_scc1 .LBB214_106
; %bb.102:
	s_cmp_lt_i32 s6, 8
	s_cbranch_scc1 .LBB214_107
; %bb.103:
	;; [unrolled: 3-line block ×3, first 2 shown]
	s_cmp_gt_i32 s6, 9
	s_cbranch_scc0 .LBB214_109
; %bb.105:
	global_load_dwordx2 v[0:1], v[2:3], off
	s_movk_i32 s0, 0xffe0
	s_waitcnt vmcnt(0)
	v_trunc_f64_e32 v[0:1], v[0:1]
	v_ldexp_f64 v[4:5], v[0:1], s0
	s_mov_b32 s0, 0
	s_mov_b32 s1, 0xc1f00000
	v_floor_f64_e32 v[4:5], v[4:5]
	v_fma_f64 v[6:7], v[4:5], s[0:1], v[0:1]
	v_cvt_i32_f64_e32 v1, v[4:5]
	s_mov_b64 s[0:1], 0
	v_cvt_u32_f64_e32 v0, v[6:7]
	s_branch .LBB214_110
.LBB214_106:
                                        ; implicit-def: $vgpr0_vgpr1
	s_branch .LBB214_128
.LBB214_107:
	s_mov_b64 s[0:1], -1
                                        ; implicit-def: $vgpr0_vgpr1
	s_branch .LBB214_116
.LBB214_108:
	s_mov_b64 s[0:1], -1
                                        ; implicit-def: $vgpr0_vgpr1
	s_branch .LBB214_113
.LBB214_109:
	s_mov_b64 s[0:1], -1
                                        ; implicit-def: $vgpr0_vgpr1
.LBB214_110:
	s_andn2_b64 vcc, exec, s[0:1]
	s_cbranch_vccnz .LBB214_112
; %bb.111:
	global_load_dword v0, v[2:3], off
	s_mov_b32 s0, 0x2f800000
	s_mov_b32 s1, 0xcf800000
	s_waitcnt vmcnt(0)
	v_trunc_f32_e32 v0, v0
	v_mul_f32_e64 v1, |v0|, s0
	v_floor_f32_e32 v1, v1
	v_cvt_u32_f32_e32 v4, v1
	v_fma_f32 v1, v1, s1, |v0|
	v_cvt_u32_f32_e32 v1, v1
	v_ashrrev_i32_e32 v5, 31, v0
	v_xor_b32_e32 v4, v4, v5
	v_xor_b32_e32 v0, v1, v5
	v_sub_co_u32_e32 v0, vcc, v0, v5
	v_subb_co_u32_e32 v1, vcc, v4, v5, vcc
.LBB214_112:
	s_mov_b64 s[0:1], 0
.LBB214_113:
	s_andn2_b64 vcc, exec, s[0:1]
	s_cbranch_vccnz .LBB214_115
; %bb.114:
	global_load_dword v0, v[2:3], off
	s_waitcnt vmcnt(0)
	v_cvt_f32_f16_e32 v0, v0
	v_cvt_i32_f32_e32 v0, v0
	v_ashrrev_i32_e32 v1, 31, v0
.LBB214_115:
	s_mov_b64 s[0:1], 0
.LBB214_116:
	s_andn2_b64 vcc, exec, s[0:1]
	s_cbranch_vccnz .LBB214_127
; %bb.117:
	s_cmp_lt_i32 s6, 6
	s_cbranch_scc1 .LBB214_120
; %bb.118:
	s_cmp_gt_i32 s6, 6
	s_cbranch_scc0 .LBB214_121
; %bb.119:
	global_load_dwordx2 v[0:1], v[2:3], off
	s_movk_i32 s0, 0xffe0
	s_waitcnt vmcnt(0)
	v_trunc_f64_e32 v[0:1], v[0:1]
	v_ldexp_f64 v[4:5], v[0:1], s0
	s_mov_b32 s0, 0
	s_mov_b32 s1, 0xc1f00000
	v_floor_f64_e32 v[4:5], v[4:5]
	v_fma_f64 v[6:7], v[4:5], s[0:1], v[0:1]
	v_cvt_i32_f64_e32 v1, v[4:5]
	s_mov_b64 s[0:1], 0
	v_cvt_u32_f64_e32 v0, v[6:7]
	s_branch .LBB214_122
.LBB214_120:
	s_mov_b64 s[0:1], -1
                                        ; implicit-def: $vgpr0_vgpr1
	s_branch .LBB214_125
.LBB214_121:
	s_mov_b64 s[0:1], -1
                                        ; implicit-def: $vgpr0_vgpr1
.LBB214_122:
	s_andn2_b64 vcc, exec, s[0:1]
	s_cbranch_vccnz .LBB214_124
; %bb.123:
	global_load_dword v0, v[2:3], off
	s_mov_b32 s0, 0x2f800000
	s_mov_b32 s1, 0xcf800000
	s_waitcnt vmcnt(0)
	v_trunc_f32_e32 v0, v0
	v_mul_f32_e64 v1, |v0|, s0
	v_floor_f32_e32 v1, v1
	v_cvt_u32_f32_e32 v4, v1
	v_fma_f32 v1, v1, s1, |v0|
	v_cvt_u32_f32_e32 v1, v1
	v_ashrrev_i32_e32 v5, 31, v0
	v_xor_b32_e32 v4, v4, v5
	v_xor_b32_e32 v0, v1, v5
	v_sub_co_u32_e32 v0, vcc, v0, v5
	v_subb_co_u32_e32 v1, vcc, v4, v5, vcc
.LBB214_124:
	s_mov_b64 s[0:1], 0
.LBB214_125:
	s_andn2_b64 vcc, exec, s[0:1]
	s_cbranch_vccnz .LBB214_127
; %bb.126:
	global_load_ushort v0, v[2:3], off
	s_waitcnt vmcnt(0)
	v_cvt_f32_f16_e32 v0, v0
	v_cvt_i32_f32_e32 v0, v0
	v_ashrrev_i32_e32 v1, 31, v0
.LBB214_127:
	s_cbranch_execnz .LBB214_147
.LBB214_128:
	s_cmp_lt_i32 s6, 2
	s_cbranch_scc1 .LBB214_132
; %bb.129:
	s_cmp_lt_i32 s6, 3
	s_cbranch_scc1 .LBB214_133
; %bb.130:
	s_cmp_gt_i32 s6, 3
	s_cbranch_scc0 .LBB214_134
; %bb.131:
	global_load_dwordx2 v[0:1], v[2:3], off
	s_mov_b64 s[0:1], 0
	s_branch .LBB214_135
.LBB214_132:
	s_mov_b64 s[0:1], -1
                                        ; implicit-def: $vgpr0_vgpr1
	s_branch .LBB214_141
.LBB214_133:
	s_mov_b64 s[0:1], -1
                                        ; implicit-def: $vgpr0_vgpr1
	s_branch .LBB214_138
.LBB214_134:
	s_mov_b64 s[0:1], -1
                                        ; implicit-def: $vgpr0_vgpr1
.LBB214_135:
	s_andn2_b64 vcc, exec, s[0:1]
	s_cbranch_vccnz .LBB214_137
; %bb.136:
	global_load_dword v0, v[2:3], off
	s_waitcnt vmcnt(0)
	v_ashrrev_i32_e32 v1, 31, v0
.LBB214_137:
	s_mov_b64 s[0:1], 0
.LBB214_138:
	s_andn2_b64 vcc, exec, s[0:1]
	s_cbranch_vccnz .LBB214_140
; %bb.139:
	global_load_ushort v0, v[2:3], off
	s_waitcnt vmcnt(0)
	v_bfe_i32 v0, v0, 0, 16
	v_ashrrev_i32_e32 v1, 31, v0
.LBB214_140:
	s_mov_b64 s[0:1], 0
.LBB214_141:
	s_andn2_b64 vcc, exec, s[0:1]
	s_cbranch_vccnz .LBB214_147
; %bb.142:
	s_cmp_gt_i32 s6, 0
	s_cbranch_scc0 .LBB214_144
; %bb.143:
	global_load_sbyte v0, v[2:3], off
	s_mov_b64 s[0:1], 0
	s_waitcnt vmcnt(0)
	v_bfe_i32 v0, v0, 0, 16
	v_ashrrev_i32_e32 v1, 31, v0
	s_branch .LBB214_145
.LBB214_144:
	s_mov_b64 s[0:1], -1
                                        ; implicit-def: $vgpr0_vgpr1
.LBB214_145:
	s_andn2_b64 vcc, exec, s[0:1]
	s_cbranch_vccnz .LBB214_147
; %bb.146:
	global_load_ubyte v0, v[2:3], off
	s_mov_b32 s0, 0
	s_waitcnt vmcnt(1)
	v_mov_b32_e32 v1, s0
	s_waitcnt vmcnt(0)
	v_and_b32_e32 v0, 0xffff, v0
.LBB214_147:
	s_branch .LBB214_11
.LBB214_148:
	s_mov_b64 s[0:1], 0
	s_mov_b64 s[18:19], 0
	s_branch .LBB214_373
.LBB214_149:
	s_mov_b64 s[18:19], -1
.LBB214_150:
	s_mov_b64 s[0:1], 0
                                        ; implicit-def: $vgpr4_vgpr5
.LBB214_151:
	s_and_b64 vcc, exec, s[6:7]
	s_cbranch_vccz .LBB214_267
; %bb.152:
	s_cmp_eq_u32 s25, 44
	s_cbranch_scc0 .LBB214_266
; %bb.153:
	global_load_ubyte v4, v[2:3], off
	s_mov_b32 s0, 0x2f800000
	s_mov_b32 s1, 0xcf800000
	s_mov_b64 s[18:19], 0
	s_waitcnt vmcnt(0)
	v_lshlrev_b32_e32 v5, 23, v4
	v_trunc_f32_e32 v5, v5
	v_mul_f32_e64 v6, |v5|, s0
	v_floor_f32_e32 v6, v6
	v_fma_f32 v7, v6, s1, |v5|
	v_cvt_u32_f32_e32 v7, v7
	v_cvt_u32_f32_e32 v6, v6
	v_ashrrev_i32_e32 v5, 31, v5
	s_mov_b64 s[0:1], -1
	v_xor_b32_e32 v7, v7, v5
	v_xor_b32_e32 v6, v6, v5
	v_sub_co_u32_e32 v7, vcc, v7, v5
	v_subb_co_u32_e32 v5, vcc, v6, v5, vcc
	v_cmp_ne_u32_e32 vcc, 0, v4
	v_cndmask_b32_e32 v5, 0, v5, vcc
	v_cndmask_b32_e32 v4, 0, v7, vcc
	s_branch .LBB214_267
.LBB214_154:
	s_mov_b64 s[24:25], -1
	s_mov_b64 s[0:1], 0
	s_mov_b64 s[6:7], 0
.LBB214_155:
	s_and_b64 vcc, exec, s[24:25]
	s_cbranch_vccz .LBB214_160
; %bb.156:
	s_cmp_eq_u32 s31, 44
	s_mov_b64 s[0:1], -1
	s_cbranch_scc0 .LBB214_160
; %bb.157:
	v_xor_b32_e32 v5, v0, v1
	v_ffbh_i32_e32 v4, v1
	v_ashrrev_i32_e32 v5, 31, v5
	v_add_u32_e32 v4, -1, v4
	v_add_u32_e32 v5, 32, v5
	v_min_u32_e32 v6, v4, v5
	v_lshlrev_b64 v[4:5], v6, v[0:1]
	s_movk_i32 s0, 0xff
	v_min_u32_e32 v4, 1, v4
	v_or_b32_e32 v4, v5, v4
	v_cvt_f32_i32_e32 v4, v4
	v_sub_u32_e32 v5, 32, v6
	v_mov_b32_e32 v6, 0xff
	v_ldexp_f32 v4, v4, v5
	v_bfe_u32 v5, v4, 23, 8
	v_cmp_ne_u32_e32 vcc, s0, v5
	s_and_saveexec_b64 s[6:7], vcc
; %bb.158:
	s_mov_b32 s0, 0x3fffff
	v_lshrrev_b32_e32 v6, 23, v4
	v_and_b32_e32 v7, 0x400000, v4
	v_and_or_b32 v4, v4, s0, v5
	v_cmp_ne_u32_e32 vcc, 0, v7
	v_cmp_ne_u32_e64 s[0:1], 0, v4
	s_and_b64 s[0:1], vcc, s[0:1]
	v_cndmask_b32_e64 v4, 0, 1, s[0:1]
	v_add_u32_e32 v6, v6, v4
; %bb.159:
	s_or_b64 exec, exec, s[6:7]
	s_mov_b64 s[6:7], -1
	s_mov_b64 s[0:1], 0
	global_store_byte v[2:3], v6, off
.LBB214_160:
	s_mov_b64 s[24:25], 0
.LBB214_161:
	s_and_b64 vcc, exec, s[24:25]
	s_cbranch_vccz .LBB214_164
; %bb.162:
	s_cmp_eq_u32 s31, 29
	s_mov_b64 s[0:1], -1
	s_cbranch_scc0 .LBB214_164
; %bb.163:
	global_store_dwordx2 v[2:3], v[0:1], off
	s_mov_b64 s[6:7], -1
	s_mov_b64 s[0:1], 0
.LBB214_164:
	s_mov_b64 s[24:25], 0
.LBB214_165:
	s_and_b64 vcc, exec, s[24:25]
	s_cbranch_vccz .LBB214_181
; %bb.166:
	s_cmp_lt_i32 s31, 27
	s_mov_b64 s[6:7], -1
	s_cbranch_scc1 .LBB214_172
; %bb.167:
	s_cmp_gt_i32 s31, 27
	s_cbranch_scc0 .LBB214_169
; %bb.168:
	s_mov_b64 s[6:7], 0
	global_store_dword v[2:3], v0, off
.LBB214_169:
	s_andn2_b64 vcc, exec, s[6:7]
	s_cbranch_vccnz .LBB214_171
; %bb.170:
	global_store_short v[2:3], v0, off
.LBB214_171:
	s_mov_b64 s[6:7], 0
.LBB214_172:
	s_andn2_b64 vcc, exec, s[6:7]
	s_cbranch_vccnz .LBB214_180
; %bb.173:
	v_xor_b32_e32 v5, v0, v1
	v_ffbh_i32_e32 v4, v1
	v_ashrrev_i32_e32 v5, 31, v5
	v_add_u32_e32 v4, -1, v4
	v_add_u32_e32 v5, 32, v5
	v_min_u32_e32 v6, v4, v5
	v_lshlrev_b64 v[4:5], v6, v[0:1]
	s_mov_b32 s6, 0x43800000
	v_min_u32_e32 v4, 1, v4
	v_or_b32_e32 v4, v5, v4
	v_cvt_f32_i32_e32 v4, v4
	v_sub_u32_e32 v5, 32, v6
	v_mov_b32_e32 v6, 0x80
	v_ldexp_f32 v4, v4, v5
	v_and_b32_e32 v5, 0x7fffffff, v4
	v_cmp_gt_u32_e32 vcc, s6, v5
	s_and_saveexec_b64 s[6:7], vcc
	s_cbranch_execz .LBB214_179
; %bb.174:
	s_mov_b32 s24, 0x3bffffff
	v_cmp_lt_u32_e32 vcc, s24, v5
	s_mov_b64 s[24:25], 0
                                        ; implicit-def: $vgpr5
	s_and_saveexec_b64 s[28:29], vcc
	s_xor_b64 s[28:29], exec, s[28:29]
	s_cbranch_execz .LBB214_404
; %bb.175:
	v_bfe_u32 v5, v4, 20, 1
	s_mov_b32 s34, 0x487ffff
	v_add3_u32 v5, v4, v5, s34
	s_mov_b64 s[24:25], exec
	v_lshrrev_b32_e32 v5, 20, v5
	s_andn2_saveexec_b64 s[28:29], s[28:29]
	s_cbranch_execnz .LBB214_405
.LBB214_176:
	s_or_b64 exec, exec, s[28:29]
	v_mov_b32_e32 v6, 0
	s_and_saveexec_b64 s[28:29], s[24:25]
.LBB214_177:
	v_lshrrev_b32_e32 v4, 24, v4
	s_movk_i32 s24, 0x80
	v_and_or_b32 v6, v4, s24, v5
.LBB214_178:
	s_or_b64 exec, exec, s[28:29]
.LBB214_179:
	s_or_b64 exec, exec, s[6:7]
	global_store_byte v[2:3], v6, off
.LBB214_180:
	s_mov_b64 s[6:7], -1
.LBB214_181:
	s_mov_b64 s[24:25], 0
.LBB214_182:
	s_and_b64 vcc, exec, s[24:25]
	s_cbranch_vccz .LBB214_223
; %bb.183:
	s_cmp_gt_i32 s31, 22
	s_mov_b64 s[24:25], -1
	s_cbranch_scc0 .LBB214_215
; %bb.184:
	s_cmp_lt_i32 s31, 24
	s_mov_b64 s[6:7], -1
	s_cbranch_scc1 .LBB214_204
; %bb.185:
	s_cmp_gt_i32 s31, 24
	s_cbranch_scc0 .LBB214_193
; %bb.186:
	v_xor_b32_e32 v5, v0, v1
	v_ffbh_i32_e32 v4, v1
	v_ashrrev_i32_e32 v5, 31, v5
	v_add_u32_e32 v4, -1, v4
	v_add_u32_e32 v5, 32, v5
	v_min_u32_e32 v6, v4, v5
	v_lshlrev_b64 v[4:5], v6, v[0:1]
	s_mov_b32 s6, 0x47800000
	v_min_u32_e32 v4, 1, v4
	v_or_b32_e32 v4, v5, v4
	v_cvt_f32_i32_e32 v4, v4
	v_sub_u32_e32 v5, 32, v6
	v_mov_b32_e32 v6, 0x80
	v_ldexp_f32 v4, v4, v5
	v_and_b32_e32 v5, 0x7fffffff, v4
	v_cmp_gt_u32_e32 vcc, s6, v5
	s_and_saveexec_b64 s[6:7], vcc
	s_cbranch_execz .LBB214_192
; %bb.187:
	s_mov_b32 s24, 0x37ffffff
	v_cmp_lt_u32_e32 vcc, s24, v5
	s_mov_b64 s[24:25], 0
                                        ; implicit-def: $vgpr5
	s_and_saveexec_b64 s[28:29], vcc
	s_xor_b64 s[28:29], exec, s[28:29]
	s_cbranch_execz .LBB214_519
; %bb.188:
	v_bfe_u32 v5, v4, 21, 1
	s_mov_b32 s34, 0x88fffff
	v_add3_u32 v5, v4, v5, s34
	s_mov_b64 s[24:25], exec
	v_lshrrev_b32_e32 v5, 21, v5
	s_andn2_saveexec_b64 s[28:29], s[28:29]
	s_cbranch_execnz .LBB214_520
.LBB214_189:
	s_or_b64 exec, exec, s[28:29]
	v_mov_b32_e32 v6, 0
	s_and_saveexec_b64 s[28:29], s[24:25]
.LBB214_190:
	v_lshrrev_b32_e32 v4, 24, v4
	s_movk_i32 s24, 0x80
	v_and_or_b32 v6, v4, s24, v5
.LBB214_191:
	s_or_b64 exec, exec, s[28:29]
.LBB214_192:
	s_or_b64 exec, exec, s[6:7]
	s_mov_b64 s[6:7], 0
	global_store_byte v[2:3], v6, off
.LBB214_193:
	s_and_b64 vcc, exec, s[6:7]
	s_cbranch_vccz .LBB214_203
; %bb.194:
	v_xor_b32_e32 v5, v0, v1
	v_ffbh_i32_e32 v4, v1
	v_ashrrev_i32_e32 v5, 31, v5
	v_add_u32_e32 v4, -1, v4
	v_add_u32_e32 v5, 32, v5
	v_min_u32_e32 v6, v4, v5
	v_lshlrev_b64 v[4:5], v6, v[0:1]
	s_mov_b32 s6, 0x43f00000
	v_min_u32_e32 v4, 1, v4
	v_or_b32_e32 v4, v5, v4
	v_cvt_f32_i32_e32 v4, v4
	v_sub_u32_e32 v5, 32, v6
	v_ldexp_f32 v4, v4, v5
	v_and_b32_e32 v6, 0x7fffffff, v4
	v_cmp_gt_u32_e32 vcc, s6, v6
                                        ; implicit-def: $vgpr5
	s_and_saveexec_b64 s[6:7], vcc
	s_xor_b64 s[6:7], exec, s[6:7]
	s_cbranch_execz .LBB214_200
; %bb.195:
	s_mov_b32 s24, 0x3c7fffff
	v_cmp_lt_u32_e32 vcc, s24, v6
                                        ; implicit-def: $vgpr5
	s_and_saveexec_b64 s[24:25], vcc
	s_xor_b64 s[24:25], exec, s[24:25]
; %bb.196:
	v_bfe_u32 v5, v4, 20, 1
	s_mov_b32 s28, 0x407ffff
	v_add3_u32 v5, v4, v5, s28
	v_lshrrev_b32_e32 v6, 20, v5
	v_and_b32_e32 v5, 0xff00000, v5
	s_mov_b32 s28, 0x7f00000
	v_mov_b32_e32 v7, 0x7e
	v_cmp_ne_u32_e32 vcc, s28, v5
	v_cndmask_b32_e32 v5, v7, v6, vcc
; %bb.197:
	s_andn2_saveexec_b64 s[24:25], s[24:25]
; %bb.198:
	s_mov_b32 s28, 0x46800000
	v_add_f32_e64 v5, |v4|, s28
; %bb.199:
	s_or_b64 exec, exec, s[24:25]
                                        ; implicit-def: $vgpr6
.LBB214_200:
	s_andn2_saveexec_b64 s[6:7], s[6:7]
; %bb.201:
	s_mov_b32 s24, 0x7f800000
	v_mov_b32_e32 v5, 0x7e
	v_mov_b32_e32 v7, 0x7f
	v_cmp_lt_u32_e32 vcc, s24, v6
	v_cndmask_b32_e32 v5, v5, v7, vcc
; %bb.202:
	s_or_b64 exec, exec, s[6:7]
	v_lshrrev_b32_e32 v4, 24, v4
	s_movk_i32 s6, 0x80
	v_and_or_b32 v4, v4, s6, v5
	global_store_byte v[2:3], v4, off
.LBB214_203:
	s_mov_b64 s[6:7], 0
.LBB214_204:
	s_andn2_b64 vcc, exec, s[6:7]
	s_cbranch_vccnz .LBB214_214
; %bb.205:
	v_xor_b32_e32 v5, v0, v1
	v_ffbh_i32_e32 v4, v1
	v_ashrrev_i32_e32 v5, 31, v5
	v_add_u32_e32 v4, -1, v4
	v_add_u32_e32 v5, 32, v5
	v_min_u32_e32 v6, v4, v5
	v_lshlrev_b64 v[4:5], v6, v[0:1]
	s_mov_b32 s6, 0x47800000
	v_min_u32_e32 v4, 1, v4
	v_or_b32_e32 v4, v5, v4
	v_cvt_f32_i32_e32 v4, v4
	v_sub_u32_e32 v5, 32, v6
	v_ldexp_f32 v4, v4, v5
	v_and_b32_e32 v6, 0x7fffffff, v4
	v_cmp_gt_u32_e32 vcc, s6, v6
                                        ; implicit-def: $vgpr5
	s_and_saveexec_b64 s[6:7], vcc
	s_xor_b64 s[6:7], exec, s[6:7]
	s_cbranch_execz .LBB214_211
; %bb.206:
	s_mov_b32 s24, 0x387fffff
	v_cmp_lt_u32_e32 vcc, s24, v6
                                        ; implicit-def: $vgpr5
	s_and_saveexec_b64 s[24:25], vcc
	s_xor_b64 s[24:25], exec, s[24:25]
; %bb.207:
	v_bfe_u32 v5, v4, 21, 1
	s_mov_b32 s28, 0x80fffff
	v_add3_u32 v5, v4, v5, s28
	v_lshrrev_b32_e32 v5, 21, v5
; %bb.208:
	s_andn2_saveexec_b64 s[24:25], s[24:25]
; %bb.209:
	s_mov_b32 s28, 0x43000000
	v_add_f32_e64 v5, |v4|, s28
; %bb.210:
	s_or_b64 exec, exec, s[24:25]
                                        ; implicit-def: $vgpr6
.LBB214_211:
	s_andn2_saveexec_b64 s[6:7], s[6:7]
; %bb.212:
	s_mov_b32 s24, 0x7f800000
	v_mov_b32_e32 v5, 0x7c
	v_mov_b32_e32 v7, 0x7f
	v_cmp_lt_u32_e32 vcc, s24, v6
	v_cndmask_b32_e32 v5, v5, v7, vcc
; %bb.213:
	s_or_b64 exec, exec, s[6:7]
	v_lshrrev_b32_e32 v4, 24, v4
	s_movk_i32 s6, 0x80
	v_and_or_b32 v4, v4, s6, v5
	global_store_byte v[2:3], v4, off
.LBB214_214:
	s_mov_b64 s[24:25], 0
	s_mov_b64 s[6:7], -1
.LBB214_215:
	s_andn2_b64 vcc, exec, s[24:25]
	s_cbranch_vccnz .LBB214_223
; %bb.216:
	s_cmp_gt_i32 s31, 14
	s_mov_b64 s[24:25], -1
	s_cbranch_scc0 .LBB214_220
; %bb.217:
	s_cmp_eq_u32 s31, 15
	s_mov_b64 s[0:1], -1
	s_cbranch_scc0 .LBB214_219
; %bb.218:
	v_xor_b32_e32 v5, v0, v1
	v_ffbh_i32_e32 v4, v1
	v_ashrrev_i32_e32 v5, 31, v5
	v_add_u32_e32 v4, -1, v4
	v_add_u32_e32 v5, 32, v5
	v_min_u32_e32 v6, v4, v5
	v_lshlrev_b64 v[4:5], v6, v[0:1]
	s_movk_i32 s0, 0x7fff
	v_min_u32_e32 v4, 1, v4
	v_or_b32_e32 v4, v5, v4
	v_cvt_f32_i32_e32 v4, v4
	v_sub_u32_e32 v5, 32, v6
	s_mov_b64 s[6:7], -1
	v_ldexp_f32 v4, v4, v5
	v_bfe_u32 v5, v4, 16, 1
	v_add3_u32 v4, v4, v5, s0
	global_store_short_d16_hi v[2:3], v4, off
	s_mov_b64 s[0:1], 0
.LBB214_219:
	s_mov_b64 s[24:25], 0
.LBB214_220:
	s_and_b64 vcc, exec, s[24:25]
	s_cbranch_vccz .LBB214_223
; %bb.221:
	s_cmp_eq_u32 s31, 11
	s_mov_b64 s[0:1], -1
	s_cbranch_scc0 .LBB214_223
; %bb.222:
	v_cmp_ne_u64_e32 vcc, 0, v[0:1]
	s_mov_b64 s[0:1], 0
	v_cndmask_b32_e64 v4, 0, 1, vcc
	s_mov_b64 s[6:7], -1
	global_store_byte v[2:3], v4, off
.LBB214_223:
	s_mov_b64 s[24:25], 0
.LBB214_224:
	s_and_b64 vcc, exec, s[24:25]
	s_cbranch_vccz .LBB214_263
; %bb.225:
	s_and_b32 s24, 0xffff, s30
	s_cmp_lt_i32 s24, 5
	s_mov_b64 s[6:7], -1
	s_cbranch_scc1 .LBB214_246
; %bb.226:
	s_cmp_lt_i32 s24, 8
	s_cbranch_scc1 .LBB214_236
; %bb.227:
	s_cmp_lt_i32 s24, 9
	s_cbranch_scc1 .LBB214_233
; %bb.228:
	s_cmp_gt_i32 s24, 9
	s_cbranch_scc0 .LBB214_230
; %bb.229:
	v_cvt_f64_i32_e32 v[4:5], v1
	v_cvt_f64_u32_e32 v[6:7], v0
	s_mov_b64 s[6:7], 0
	v_ldexp_f64 v[4:5], v[4:5], 32
	v_add_f64 v[4:5], v[4:5], v[6:7]
	v_mov_b32_e32 v6, 0
	v_mov_b32_e32 v7, v6
	global_store_dwordx4 v[2:3], v[4:7], off
.LBB214_230:
	s_andn2_b64 vcc, exec, s[6:7]
	s_cbranch_vccnz .LBB214_232
; %bb.231:
	v_xor_b32_e32 v5, v0, v1
	v_ffbh_i32_e32 v4, v1
	v_ashrrev_i32_e32 v5, 31, v5
	v_add_u32_e32 v4, -1, v4
	v_add_u32_e32 v5, 32, v5
	v_min_u32_e32 v6, v4, v5
	v_lshlrev_b64 v[4:5], v6, v[0:1]
	v_min_u32_e32 v4, 1, v4
	v_or_b32_e32 v4, v5, v4
	v_cvt_f32_i32_e32 v4, v4
	v_sub_u32_e32 v5, 32, v6
	v_ldexp_f32 v4, v4, v5
	v_mov_b32_e32 v5, 0
	global_store_dwordx2 v[2:3], v[4:5], off
.LBB214_232:
	s_mov_b64 s[6:7], 0
.LBB214_233:
	s_andn2_b64 vcc, exec, s[6:7]
	s_cbranch_vccnz .LBB214_235
; %bb.234:
	v_xor_b32_e32 v5, v0, v1
	v_ffbh_i32_e32 v4, v1
	v_ashrrev_i32_e32 v5, 31, v5
	v_add_u32_e32 v4, -1, v4
	v_add_u32_e32 v5, 32, v5
	v_min_u32_e32 v6, v4, v5
	v_lshlrev_b64 v[4:5], v6, v[0:1]
	v_min_u32_e32 v4, 1, v4
	v_or_b32_e32 v4, v5, v4
	v_cvt_f32_i32_e32 v4, v4
	v_sub_u32_e32 v5, 32, v6
	v_ldexp_f32 v4, v4, v5
	v_cvt_f16_f32_e32 v4, v4
	global_store_dword v[2:3], v4, off
.LBB214_235:
	s_mov_b64 s[6:7], 0
.LBB214_236:
	s_andn2_b64 vcc, exec, s[6:7]
	s_cbranch_vccnz .LBB214_245
; %bb.237:
	s_cmp_lt_i32 s24, 6
	s_mov_b64 s[6:7], -1
	s_cbranch_scc1 .LBB214_243
; %bb.238:
	s_cmp_gt_i32 s24, 6
	s_cbranch_scc0 .LBB214_240
; %bb.239:
	v_cvt_f64_i32_e32 v[4:5], v1
	v_cvt_f64_u32_e32 v[6:7], v0
	s_mov_b64 s[6:7], 0
	v_ldexp_f64 v[4:5], v[4:5], 32
	v_add_f64 v[4:5], v[4:5], v[6:7]
	global_store_dwordx2 v[2:3], v[4:5], off
.LBB214_240:
	s_andn2_b64 vcc, exec, s[6:7]
	s_cbranch_vccnz .LBB214_242
; %bb.241:
	v_xor_b32_e32 v5, v0, v1
	v_ffbh_i32_e32 v4, v1
	v_ashrrev_i32_e32 v5, 31, v5
	v_add_u32_e32 v4, -1, v4
	v_add_u32_e32 v5, 32, v5
	v_min_u32_e32 v6, v4, v5
	v_lshlrev_b64 v[4:5], v6, v[0:1]
	v_min_u32_e32 v4, 1, v4
	v_or_b32_e32 v4, v5, v4
	v_cvt_f32_i32_e32 v4, v4
	v_sub_u32_e32 v5, 32, v6
	v_ldexp_f32 v4, v4, v5
	global_store_dword v[2:3], v4, off
.LBB214_242:
	s_mov_b64 s[6:7], 0
.LBB214_243:
	s_andn2_b64 vcc, exec, s[6:7]
	s_cbranch_vccnz .LBB214_245
; %bb.244:
	v_xor_b32_e32 v5, v0, v1
	v_ffbh_i32_e32 v4, v1
	v_ashrrev_i32_e32 v5, 31, v5
	v_add_u32_e32 v4, -1, v4
	v_add_u32_e32 v5, 32, v5
	v_min_u32_e32 v6, v4, v5
	v_lshlrev_b64 v[4:5], v6, v[0:1]
	v_min_u32_e32 v4, 1, v4
	v_or_b32_e32 v4, v5, v4
	v_cvt_f32_i32_e32 v4, v4
	v_sub_u32_e32 v5, 32, v6
	v_ldexp_f32 v4, v4, v5
	v_cvt_f16_f32_e32 v4, v4
	global_store_short v[2:3], v4, off
.LBB214_245:
	s_mov_b64 s[6:7], 0
.LBB214_246:
	s_andn2_b64 vcc, exec, s[6:7]
	s_cbranch_vccnz .LBB214_262
; %bb.247:
	s_cmp_lt_i32 s24, 2
	s_mov_b64 s[6:7], -1
	s_cbranch_scc1 .LBB214_257
; %bb.248:
	s_cmp_lt_i32 s24, 3
	s_cbranch_scc1 .LBB214_254
; %bb.249:
	s_cmp_gt_i32 s24, 3
	s_cbranch_scc0 .LBB214_251
; %bb.250:
	global_store_dwordx2 v[2:3], v[0:1], off
	s_mov_b64 s[6:7], 0
.LBB214_251:
	s_andn2_b64 vcc, exec, s[6:7]
	s_cbranch_vccnz .LBB214_253
; %bb.252:
	global_store_dword v[2:3], v0, off
.LBB214_253:
	s_mov_b64 s[6:7], 0
.LBB214_254:
	s_andn2_b64 vcc, exec, s[6:7]
	s_cbranch_vccnz .LBB214_256
; %bb.255:
	global_store_short v[2:3], v0, off
.LBB214_256:
	s_mov_b64 s[6:7], 0
.LBB214_257:
	s_andn2_b64 vcc, exec, s[6:7]
	s_cbranch_vccnz .LBB214_262
; %bb.258:
	s_cmp_gt_i32 s24, 0
	s_mov_b64 s[6:7], -1
	s_cbranch_scc0 .LBB214_260
; %bb.259:
	global_store_byte v[2:3], v0, off
	s_mov_b64 s[6:7], 0
.LBB214_260:
	s_andn2_b64 vcc, exec, s[6:7]
	s_cbranch_vccnz .LBB214_262
; %bb.261:
	global_store_byte v[2:3], v0, off
.LBB214_262:
	s_mov_b64 s[6:7], -1
.LBB214_263:
	s_andn2_b64 vcc, exec, s[6:7]
	s_cbranch_vccnz .LBB214_265
; %bb.264:
	v_add_u32_e32 v18, 0x80, v18
	s_mov_b64 s[24:25], -1
	s_branch .LBB214_374
.LBB214_265:
	s_mov_b64 s[24:25], 0
                                        ; implicit-def: $vgpr18
	s_branch .LBB214_374
.LBB214_266:
	s_mov_b64 s[18:19], -1
                                        ; implicit-def: $vgpr4_vgpr5
.LBB214_267:
	s_mov_b64 s[6:7], 0
.LBB214_268:
	s_and_b64 vcc, exec, s[6:7]
	s_cbranch_vccz .LBB214_272
; %bb.269:
	s_cmp_eq_u32 s25, 29
	s_cbranch_scc0 .LBB214_271
; %bb.270:
	global_load_dwordx2 v[4:5], v[2:3], off
	s_mov_b64 s[0:1], -1
	s_mov_b64 s[18:19], 0
	s_branch .LBB214_272
.LBB214_271:
	s_mov_b64 s[18:19], -1
                                        ; implicit-def: $vgpr4_vgpr5
.LBB214_272:
	s_mov_b64 s[6:7], 0
.LBB214_273:
	s_and_b64 vcc, exec, s[6:7]
	s_cbranch_vccz .LBB214_291
; %bb.274:
	s_cmp_lt_i32 s25, 27
	s_cbranch_scc1 .LBB214_277
; %bb.275:
	s_cmp_gt_i32 s25, 27
	s_cbranch_scc0 .LBB214_278
; %bb.276:
	global_load_dword v4, v[2:3], off
	s_waitcnt vmcnt(1)
	v_mov_b32_e32 v5, 0
	s_mov_b64 s[0:1], 0
	s_branch .LBB214_279
.LBB214_277:
	s_mov_b64 s[0:1], -1
                                        ; implicit-def: $vgpr4_vgpr5
	s_branch .LBB214_282
.LBB214_278:
	s_mov_b64 s[0:1], -1
                                        ; implicit-def: $vgpr4_vgpr5
.LBB214_279:
	s_andn2_b64 vcc, exec, s[0:1]
	s_cbranch_vccnz .LBB214_281
; %bb.280:
	global_load_ushort v4, v[2:3], off
	s_mov_b32 s0, 0
	s_waitcnt vmcnt(1)
	v_mov_b32_e32 v5, s0
	s_waitcnt vmcnt(0)
	v_and_b32_e32 v4, 0xffff, v4
.LBB214_281:
	s_mov_b64 s[0:1], 0
.LBB214_282:
	s_andn2_b64 vcc, exec, s[0:1]
	s_cbranch_vccnz .LBB214_290
; %bb.283:
	global_load_ubyte v6, v[2:3], off
	s_movk_i32 s0, 0x7f
	s_mov_b64 s[6:7], 0
	s_waitcnt vmcnt(0)
	v_cmp_lt_i16_e32 vcc, s0, v6
	s_and_saveexec_b64 s[0:1], vcc
	s_xor_b64 s[0:1], exec, s[0:1]
; %bb.284:
	s_movk_i32 s6, 0x80
	v_cmp_ne_u16_e32 vcc, s6, v6
	s_and_b64 s[6:7], vcc, exec
; %bb.285:
	s_andn2_saveexec_b64 s[0:1], s[0:1]
; %bb.286:
	v_cmp_ne_u16_e32 vcc, 0, v6
	s_andn2_b64 s[6:7], s[6:7], exec
	s_and_b64 s[28:29], vcc, exec
	s_or_b64 s[6:7], s[6:7], s[28:29]
; %bb.287:
	s_or_b64 exec, exec, s[0:1]
	v_mov_b32_e32 v4, 0
	v_mov_b32_e32 v5, 0
	s_and_saveexec_b64 s[0:1], s[6:7]
	s_cbranch_execz .LBB214_289
; %bb.288:
	v_and_b32_e32 v5, 0xffff, v6
	v_lshlrev_b32_e32 v4, 24, v6
	v_and_b32_e32 v6, 7, v5
	v_ffbh_u32_e32 v8, v6
	v_min_u32_e32 v8, 32, v8
	v_subrev_u32_e32 v9, 28, v8
	v_bfe_u32 v7, v5, 3, 4
	v_lshlrev_b32_e32 v5, v9, v5
	v_sub_u32_e32 v8, 29, v8
	v_and_b32_e32 v5, 7, v5
	v_cmp_eq_u32_e32 vcc, 0, v7
	v_cndmask_b32_e32 v7, v7, v8, vcc
	v_cndmask_b32_e32 v5, v6, v5, vcc
	v_mov_b32_e32 v6, 0x3b800000
	v_lshlrev_b32_e32 v5, 20, v5
	v_and_b32_e32 v4, 0x80000000, v4
	v_lshl_add_u32 v6, v7, 23, v6
	v_or3_b32 v4, v4, v6, v5
	v_trunc_f32_e32 v4, v4
	s_mov_b32 s6, 0x2f800000
	v_mul_f32_e64 v5, |v4|, s6
	v_floor_f32_e32 v5, v5
	s_mov_b32 s6, 0xcf800000
	v_fma_f32 v6, v5, s6, |v4|
	v_cvt_u32_f32_e32 v6, v6
	v_cvt_u32_f32_e32 v5, v5
	v_ashrrev_i32_e32 v7, 31, v4
	v_xor_b32_e32 v4, v6, v7
	v_xor_b32_e32 v5, v5, v7
	v_sub_co_u32_e32 v4, vcc, v4, v7
	v_subb_co_u32_e32 v5, vcc, v5, v7, vcc
.LBB214_289:
	s_or_b64 exec, exec, s[0:1]
.LBB214_290:
	s_mov_b64 s[0:1], -1
.LBB214_291:
	s_mov_b64 s[6:7], 0
.LBB214_292:
	s_and_b64 vcc, exec, s[6:7]
	s_cbranch_vccz .LBB214_323
; %bb.293:
	s_cmp_gt_i32 s25, 22
	s_cbranch_scc0 .LBB214_303
; %bb.294:
	s_cmp_lt_i32 s25, 24
	s_cbranch_scc1 .LBB214_304
; %bb.295:
	s_cmp_gt_i32 s25, 24
	s_cbranch_scc0 .LBB214_305
; %bb.296:
	global_load_ubyte v6, v[2:3], off
	s_movk_i32 s0, 0x7f
	s_mov_b64 s[6:7], 0
	s_waitcnt vmcnt(0)
	v_cmp_lt_i16_e32 vcc, s0, v6
	s_and_saveexec_b64 s[0:1], vcc
	s_xor_b64 s[0:1], exec, s[0:1]
; %bb.297:
	s_movk_i32 s6, 0x80
	v_cmp_ne_u16_e32 vcc, s6, v6
	s_and_b64 s[6:7], vcc, exec
; %bb.298:
	s_andn2_saveexec_b64 s[0:1], s[0:1]
; %bb.299:
	v_cmp_ne_u16_e32 vcc, 0, v6
	s_andn2_b64 s[6:7], s[6:7], exec
	s_and_b64 s[28:29], vcc, exec
	s_or_b64 s[6:7], s[6:7], s[28:29]
; %bb.300:
	s_or_b64 exec, exec, s[0:1]
	v_mov_b32_e32 v4, 0
	v_mov_b32_e32 v5, 0
	s_and_saveexec_b64 s[0:1], s[6:7]
	s_cbranch_execz .LBB214_302
; %bb.301:
	v_and_b32_e32 v5, 0xffff, v6
	v_lshlrev_b32_e32 v4, 24, v6
	v_and_b32_e32 v6, 3, v5
	v_ffbh_u32_e32 v8, v6
	v_min_u32_e32 v8, 32, v8
	v_subrev_u32_e32 v9, 29, v8
	v_bfe_u32 v7, v5, 2, 5
	v_lshlrev_b32_e32 v5, v9, v5
	v_sub_u32_e32 v8, 30, v8
	v_and_b32_e32 v5, 3, v5
	v_cmp_eq_u32_e32 vcc, 0, v7
	v_cndmask_b32_e32 v7, v7, v8, vcc
	v_cndmask_b32_e32 v5, v6, v5, vcc
	v_mov_b32_e32 v6, 0x37800000
	v_lshlrev_b32_e32 v5, 21, v5
	v_and_b32_e32 v4, 0x80000000, v4
	v_lshl_add_u32 v6, v7, 23, v6
	v_or3_b32 v4, v4, v6, v5
	v_trunc_f32_e32 v4, v4
	s_mov_b32 s6, 0x2f800000
	v_mul_f32_e64 v5, |v4|, s6
	v_floor_f32_e32 v5, v5
	s_mov_b32 s6, 0xcf800000
	v_fma_f32 v6, v5, s6, |v4|
	v_cvt_u32_f32_e32 v6, v6
	v_cvt_u32_f32_e32 v5, v5
	v_ashrrev_i32_e32 v7, 31, v4
	v_xor_b32_e32 v4, v6, v7
	v_xor_b32_e32 v5, v5, v7
	v_sub_co_u32_e32 v4, vcc, v4, v7
	v_subb_co_u32_e32 v5, vcc, v5, v7, vcc
.LBB214_302:
	s_or_b64 exec, exec, s[0:1]
	s_mov_b64 s[0:1], 0
	s_branch .LBB214_306
.LBB214_303:
	s_mov_b64 s[6:7], -1
                                        ; implicit-def: $vgpr4_vgpr5
	s_branch .LBB214_312
.LBB214_304:
	s_mov_b64 s[0:1], -1
                                        ; implicit-def: $vgpr4_vgpr5
	s_branch .LBB214_309
.LBB214_305:
	s_mov_b64 s[0:1], -1
                                        ; implicit-def: $vgpr4_vgpr5
.LBB214_306:
	s_and_b64 vcc, exec, s[0:1]
	s_cbranch_vccz .LBB214_308
; %bb.307:
	global_load_ubyte v4, v[2:3], off
	s_mov_b32 s0, 0x7f800000
	s_brev_b32 s1, 1
	s_mov_b32 s6, 0x2f800000
	s_mov_b32 s7, 0xcf800000
	s_waitcnt vmcnt(0)
	v_lshlrev_b32_e32 v4, 24, v4
	v_and_b32_e32 v5, 0x7f000000, v4
	v_ffbh_u32_e32 v6, v5
	v_min_u32_e32 v6, 32, v6
	v_sub_u32_e64 v6, v6, 4 clamp
	v_lshlrev_b32_e32 v8, v6, v5
	v_lshlrev_b32_e32 v6, 23, v6
	v_lshrrev_b32_e32 v8, 4, v8
	v_add_u32_e32 v7, 0x1000000, v5
	v_sub_u32_e32 v6, v8, v6
	v_ashrrev_i32_e32 v7, 8, v7
	v_add_u32_e32 v6, 0x3c000000, v6
	v_and_or_b32 v6, v7, s0, v6
	v_cmp_ne_u32_e32 vcc, 0, v5
	v_cndmask_b32_e32 v5, 0, v6, vcc
	v_and_or_b32 v4, v4, s1, v5
	v_trunc_f32_e32 v4, v4
	v_mul_f32_e64 v5, |v4|, s6
	v_floor_f32_e32 v5, v5
	v_fma_f32 v6, v5, s7, |v4|
	v_cvt_u32_f32_e32 v6, v6
	v_cvt_u32_f32_e32 v5, v5
	v_ashrrev_i32_e32 v7, 31, v4
	v_xor_b32_e32 v4, v6, v7
	v_xor_b32_e32 v5, v5, v7
	v_sub_co_u32_e32 v4, vcc, v4, v7
	v_subb_co_u32_e32 v5, vcc, v5, v7, vcc
.LBB214_308:
	s_mov_b64 s[0:1], 0
.LBB214_309:
	s_andn2_b64 vcc, exec, s[0:1]
	s_cbranch_vccnz .LBB214_311
; %bb.310:
	global_load_ubyte v4, v[2:3], off
	s_movk_i32 s0, 0x7f00
	s_brev_b32 s1, 16
	s_brev_b32 s6, 1
	s_mov_b32 s7, 0x2f800000
	s_mov_b32 s28, 0xcf800000
	s_waitcnt vmcnt(0)
	v_lshlrev_b16_e32 v5, 8, v4
	v_lshlrev_b32_e32 v4, 25, v4
	v_lshrrev_b32_e32 v6, 4, v4
	v_and_or_b32 v7, v5, s0, 0.5
	v_or_b32_e32 v6, 0x70000000, v6
	v_add_f32_e32 v7, -0.5, v7
	v_mul_f32_e32 v6, 0x7800000, v6
	v_cmp_gt_u32_e32 vcc, s1, v4
	v_bfe_i32 v5, v5, 0, 16
	v_cndmask_b32_e32 v4, v6, v7, vcc
	v_and_or_b32 v4, v5, s6, v4
	v_trunc_f32_e32 v4, v4
	v_mul_f32_e64 v5, |v4|, s7
	v_floor_f32_e32 v5, v5
	v_fma_f32 v6, v5, s28, |v4|
	v_cvt_u32_f32_e32 v6, v6
	v_cvt_u32_f32_e32 v5, v5
	v_ashrrev_i32_e32 v7, 31, v4
	v_xor_b32_e32 v4, v6, v7
	v_xor_b32_e32 v5, v5, v7
	v_sub_co_u32_e32 v4, vcc, v4, v7
	v_subb_co_u32_e32 v5, vcc, v5, v7, vcc
.LBB214_311:
	s_mov_b64 s[6:7], 0
	s_mov_b64 s[0:1], -1
.LBB214_312:
	s_andn2_b64 vcc, exec, s[6:7]
	s_cbranch_vccnz .LBB214_323
; %bb.313:
	s_cmp_gt_i32 s25, 14
	s_cbranch_scc0 .LBB214_316
; %bb.314:
	s_cmp_eq_u32 s25, 15
	s_cbranch_scc0 .LBB214_317
; %bb.315:
	global_load_ushort v4, v[2:3], off
	s_mov_b32 s0, 0x2f800000
	s_mov_b32 s1, 0xcf800000
	s_mov_b64 s[18:19], 0
	s_waitcnt vmcnt(0)
	v_lshlrev_b32_e32 v4, 16, v4
	v_trunc_f32_e32 v4, v4
	v_mul_f32_e64 v5, |v4|, s0
	v_floor_f32_e32 v5, v5
	v_fma_f32 v6, v5, s1, |v4|
	v_cvt_u32_f32_e32 v6, v6
	v_cvt_u32_f32_e32 v5, v5
	v_ashrrev_i32_e32 v7, 31, v4
	s_mov_b64 s[0:1], -1
	v_xor_b32_e32 v4, v6, v7
	v_xor_b32_e32 v5, v5, v7
	v_sub_co_u32_e32 v4, vcc, v4, v7
	v_subb_co_u32_e32 v5, vcc, v5, v7, vcc
	s_branch .LBB214_318
.LBB214_316:
	s_mov_b64 s[6:7], -1
                                        ; implicit-def: $vgpr4_vgpr5
	s_branch .LBB214_319
.LBB214_317:
	s_mov_b64 s[18:19], -1
                                        ; implicit-def: $vgpr4_vgpr5
.LBB214_318:
	s_mov_b64 s[6:7], 0
.LBB214_319:
	s_and_b64 vcc, exec, s[6:7]
	s_cbranch_vccz .LBB214_323
; %bb.320:
	s_cmp_eq_u32 s25, 11
	s_cbranch_scc0 .LBB214_322
; %bb.321:
	global_load_ubyte v4, v[2:3], off
	s_mov_b32 s6, 0
	s_mov_b64 s[0:1], -1
	s_waitcnt vmcnt(1)
	v_mov_b32_e32 v5, s6
	s_mov_b64 s[18:19], 0
	s_waitcnt vmcnt(0)
	v_cmp_ne_u16_e32 vcc, 0, v4
	v_cndmask_b32_e64 v4, 0, 1, vcc
	s_branch .LBB214_323
.LBB214_322:
	s_mov_b64 s[18:19], -1
                                        ; implicit-def: $vgpr4_vgpr5
.LBB214_323:
	s_branch .LBB214_20
.LBB214_324:
	s_and_b32 s6, 0xffff, s24
	s_cmp_lt_i32 s6, 5
	s_cbranch_scc1 .LBB214_329
; %bb.325:
	s_cmp_lt_i32 s6, 8
	s_cbranch_scc1 .LBB214_330
; %bb.326:
	;; [unrolled: 3-line block ×3, first 2 shown]
	s_cmp_gt_i32 s6, 9
	s_cbranch_scc0 .LBB214_332
; %bb.328:
	global_load_dwordx2 v[4:5], v[2:3], off
	s_movk_i32 s0, 0xffe0
	s_waitcnt vmcnt(0)
	v_trunc_f64_e32 v[4:5], v[4:5]
	v_ldexp_f64 v[6:7], v[4:5], s0
	s_mov_b32 s0, 0
	s_mov_b32 s1, 0xc1f00000
	v_floor_f64_e32 v[6:7], v[6:7]
	v_fma_f64 v[8:9], v[6:7], s[0:1], v[4:5]
	v_cvt_i32_f64_e32 v5, v[6:7]
	s_mov_b64 s[0:1], 0
	v_cvt_u32_f64_e32 v4, v[8:9]
	s_branch .LBB214_333
.LBB214_329:
	s_mov_b64 s[0:1], -1
                                        ; implicit-def: $vgpr4_vgpr5
	s_branch .LBB214_351
.LBB214_330:
	s_mov_b64 s[0:1], -1
                                        ; implicit-def: $vgpr4_vgpr5
	s_branch .LBB214_339
.LBB214_331:
	s_mov_b64 s[0:1], -1
                                        ; implicit-def: $vgpr4_vgpr5
	s_branch .LBB214_336
.LBB214_332:
	s_mov_b64 s[0:1], -1
                                        ; implicit-def: $vgpr4_vgpr5
.LBB214_333:
	s_andn2_b64 vcc, exec, s[0:1]
	s_cbranch_vccnz .LBB214_335
; %bb.334:
	global_load_dword v4, v[2:3], off
	s_mov_b32 s0, 0x2f800000
	s_mov_b32 s1, 0xcf800000
	s_waitcnt vmcnt(0)
	v_trunc_f32_e32 v4, v4
	v_mul_f32_e64 v5, |v4|, s0
	v_floor_f32_e32 v5, v5
	v_cvt_u32_f32_e32 v6, v5
	v_fma_f32 v5, v5, s1, |v4|
	v_cvt_u32_f32_e32 v5, v5
	v_ashrrev_i32_e32 v7, 31, v4
	v_xor_b32_e32 v6, v6, v7
	v_xor_b32_e32 v4, v5, v7
	v_sub_co_u32_e32 v4, vcc, v4, v7
	v_subb_co_u32_e32 v5, vcc, v6, v7, vcc
.LBB214_335:
	s_mov_b64 s[0:1], 0
.LBB214_336:
	s_andn2_b64 vcc, exec, s[0:1]
	s_cbranch_vccnz .LBB214_338
; %bb.337:
	global_load_dword v4, v[2:3], off
	s_waitcnt vmcnt(0)
	v_cvt_f32_f16_e32 v4, v4
	v_cvt_i32_f32_e32 v4, v4
	v_ashrrev_i32_e32 v5, 31, v4
.LBB214_338:
	s_mov_b64 s[0:1], 0
.LBB214_339:
	s_andn2_b64 vcc, exec, s[0:1]
	s_cbranch_vccnz .LBB214_350
; %bb.340:
	s_cmp_lt_i32 s6, 6
	s_cbranch_scc1 .LBB214_343
; %bb.341:
	s_cmp_gt_i32 s6, 6
	s_cbranch_scc0 .LBB214_344
; %bb.342:
	global_load_dwordx2 v[4:5], v[2:3], off
	s_movk_i32 s0, 0xffe0
	s_waitcnt vmcnt(0)
	v_trunc_f64_e32 v[4:5], v[4:5]
	v_ldexp_f64 v[6:7], v[4:5], s0
	s_mov_b32 s0, 0
	s_mov_b32 s1, 0xc1f00000
	v_floor_f64_e32 v[6:7], v[6:7]
	v_fma_f64 v[8:9], v[6:7], s[0:1], v[4:5]
	v_cvt_i32_f64_e32 v5, v[6:7]
	s_mov_b64 s[0:1], 0
	v_cvt_u32_f64_e32 v4, v[8:9]
	s_branch .LBB214_345
.LBB214_343:
	s_mov_b64 s[0:1], -1
                                        ; implicit-def: $vgpr4_vgpr5
	s_branch .LBB214_348
.LBB214_344:
	s_mov_b64 s[0:1], -1
                                        ; implicit-def: $vgpr4_vgpr5
.LBB214_345:
	s_andn2_b64 vcc, exec, s[0:1]
	s_cbranch_vccnz .LBB214_347
; %bb.346:
	global_load_dword v4, v[2:3], off
	s_mov_b32 s0, 0x2f800000
	s_mov_b32 s1, 0xcf800000
	s_waitcnt vmcnt(0)
	v_trunc_f32_e32 v4, v4
	v_mul_f32_e64 v5, |v4|, s0
	v_floor_f32_e32 v5, v5
	v_cvt_u32_f32_e32 v6, v5
	v_fma_f32 v5, v5, s1, |v4|
	v_cvt_u32_f32_e32 v5, v5
	v_ashrrev_i32_e32 v7, 31, v4
	v_xor_b32_e32 v6, v6, v7
	v_xor_b32_e32 v4, v5, v7
	v_sub_co_u32_e32 v4, vcc, v4, v7
	v_subb_co_u32_e32 v5, vcc, v6, v7, vcc
.LBB214_347:
	s_mov_b64 s[0:1], 0
.LBB214_348:
	s_andn2_b64 vcc, exec, s[0:1]
	s_cbranch_vccnz .LBB214_350
; %bb.349:
	global_load_ushort v4, v[2:3], off
	s_waitcnt vmcnt(0)
	v_cvt_f32_f16_e32 v4, v4
	v_cvt_i32_f32_e32 v4, v4
	v_ashrrev_i32_e32 v5, 31, v4
.LBB214_350:
	s_mov_b64 s[0:1], 0
.LBB214_351:
	s_andn2_b64 vcc, exec, s[0:1]
	s_cbranch_vccnz .LBB214_371
; %bb.352:
	s_cmp_lt_i32 s6, 2
	s_cbranch_scc1 .LBB214_356
; %bb.353:
	s_cmp_lt_i32 s6, 3
	s_cbranch_scc1 .LBB214_357
; %bb.354:
	s_cmp_gt_i32 s6, 3
	s_cbranch_scc0 .LBB214_358
; %bb.355:
	global_load_dwordx2 v[4:5], v[2:3], off
	s_mov_b64 s[0:1], 0
	s_branch .LBB214_359
.LBB214_356:
	s_mov_b64 s[0:1], -1
                                        ; implicit-def: $vgpr4_vgpr5
	s_branch .LBB214_365
.LBB214_357:
	s_mov_b64 s[0:1], -1
                                        ; implicit-def: $vgpr4_vgpr5
	s_branch .LBB214_362
.LBB214_358:
	s_mov_b64 s[0:1], -1
                                        ; implicit-def: $vgpr4_vgpr5
.LBB214_359:
	s_andn2_b64 vcc, exec, s[0:1]
	s_cbranch_vccnz .LBB214_361
; %bb.360:
	global_load_dword v4, v[2:3], off
	s_waitcnt vmcnt(0)
	v_ashrrev_i32_e32 v5, 31, v4
.LBB214_361:
	s_mov_b64 s[0:1], 0
.LBB214_362:
	s_andn2_b64 vcc, exec, s[0:1]
	s_cbranch_vccnz .LBB214_364
; %bb.363:
	global_load_ushort v4, v[2:3], off
	s_waitcnt vmcnt(0)
	v_bfe_i32 v4, v4, 0, 16
	v_ashrrev_i32_e32 v5, 31, v4
.LBB214_364:
	s_mov_b64 s[0:1], 0
.LBB214_365:
	s_andn2_b64 vcc, exec, s[0:1]
	s_cbranch_vccnz .LBB214_371
; %bb.366:
	s_cmp_gt_i32 s6, 0
	s_cbranch_scc0 .LBB214_368
; %bb.367:
	global_load_sbyte v4, v[2:3], off
	s_mov_b64 s[0:1], 0
	s_waitcnt vmcnt(0)
	v_bfe_i32 v4, v4, 0, 16
	v_ashrrev_i32_e32 v5, 31, v4
	s_branch .LBB214_369
.LBB214_368:
	s_mov_b64 s[0:1], -1
                                        ; implicit-def: $vgpr4_vgpr5
.LBB214_369:
	s_andn2_b64 vcc, exec, s[0:1]
	s_cbranch_vccnz .LBB214_371
; %bb.370:
	global_load_ubyte v2, v[2:3], off
	s_mov_b32 s0, 0
	s_waitcnt vmcnt(1)
	v_mov_b32_e32 v5, s0
	s_waitcnt vmcnt(0)
	v_and_b32_e32 v4, 0xffff, v2
.LBB214_371:
	s_branch .LBB214_21
.LBB214_372:
	s_mov_b64 s[0:1], 0
.LBB214_373:
                                        ; implicit-def: $vgpr18
	s_mov_b64 s[24:25], 0
.LBB214_374:
	s_and_b64 s[6:7], s[0:1], exec
	s_and_b64 s[18:19], s[18:19], exec
	;; [unrolled: 1-line block ×3, first 2 shown]
	s_orn2_b64 s[0:1], s[24:25], exec
.LBB214_375:
	s_or_b64 exec, exec, s[22:23]
	s_mov_b64 s[30:31], 0
	s_mov_b64 s[28:29], 0
                                        ; implicit-def: $sgpr55
                                        ; implicit-def: $vgpr2_vgpr3
                                        ; implicit-def: $vgpr0_vgpr1
	s_and_saveexec_b64 s[22:23], s[0:1]
	s_cbranch_execz .LBB214_384
; %bb.376:
	v_cmp_gt_i32_e32 vcc, s48, v18
	s_mov_b64 s[0:1], -1
	s_mov_b64 s[24:25], s[20:21]
	s_mov_b64 s[26:27], s[18:19]
	s_mov_b64 s[28:29], s[6:7]
	s_and_saveexec_b64 s[30:31], vcc
	s_cbranch_execz .LBB214_757
; %bb.377:
	s_waitcnt vmcnt(0)
	v_mul_lo_u32 v0, v18, s13
	v_mov_b32_e32 v1, s11
	s_and_b32 s28, s54, 0xff
	s_cmp_lt_i32 s28, 11
	v_ashrrev_i32_e32 v3, 31, v0
	v_add_co_u32_e32 v2, vcc, s10, v0
	v_addc_co_u32_e32 v3, vcc, v1, v3, vcc
	s_cbranch_scc1 .LBB214_387
; %bb.378:
	s_and_b32 s29, 0xffff, s28
	s_cmp_gt_i32 s29, 25
	s_cbranch_scc0 .LBB214_396
; %bb.379:
	s_cmp_gt_i32 s29, 28
	s_cbranch_scc0 .LBB214_398
; %bb.380:
	s_cmp_gt_i32 s29, 43
	s_cbranch_scc0 .LBB214_400
; %bb.381:
	s_cmp_gt_i32 s29, 45
	s_cbranch_scc0 .LBB214_402
; %bb.382:
	s_cmp_eq_u32 s29, 46
	s_mov_b64 s[26:27], 0
	s_cbranch_scc0 .LBB214_406
; %bb.383:
	global_load_dword v0, v[2:3], off
	s_mov_b32 s0, 0x2f800000
	s_mov_b32 s1, 0xcf800000
	s_mov_b64 s[24:25], 0
	s_waitcnt vmcnt(0)
	v_lshlrev_b32_e32 v0, 16, v0
	v_trunc_f32_e32 v0, v0
	v_mul_f32_e64 v1, |v0|, s0
	v_floor_f32_e32 v1, v1
	v_fma_f32 v4, v1, s1, |v0|
	v_cvt_u32_f32_e32 v4, v4
	v_cvt_u32_f32_e32 v1, v1
	v_ashrrev_i32_e32 v5, 31, v0
	s_mov_b64 s[0:1], -1
	v_xor_b32_e32 v0, v4, v5
	v_xor_b32_e32 v1, v1, v5
	v_sub_co_u32_e32 v0, vcc, v0, v5
	v_subb_co_u32_e32 v1, vcc, v1, v5, vcc
	s_branch .LBB214_407
.LBB214_384:
	s_or_b64 exec, exec, s[22:23]
	s_mov_b64 s[22:23], 0
	s_and_saveexec_b64 s[0:1], s[20:21]
	s_cbranch_execnz .LBB214_1220
.LBB214_385:
	s_or_b64 exec, exec, s[0:1]
	s_and_saveexec_b64 s[0:1], s[26:27]
	s_xor_b64 s[0:1], exec, s[0:1]
	s_cbranch_execz .LBB214_1221
.LBB214_386:
	global_load_ubyte v0, v[2:3], off
	s_mov_b32 s20, 0
	s_waitcnt vmcnt(1)
	v_mov_b32_e32 v1, s20
	s_or_b64 s[28:29], s[28:29], exec
	s_waitcnt vmcnt(0)
	v_cmp_ne_u16_e32 vcc, 0, v0
	v_cndmask_b32_e64 v0, 0, 1, vcc
	s_or_b64 exec, exec, s[0:1]
	s_and_saveexec_b64 s[0:1], s[30:31]
	s_cbranch_execz .LBB214_1267
	s_branch .LBB214_1222
.LBB214_387:
	s_mov_b64 s[0:1], 0
                                        ; implicit-def: $vgpr0_vgpr1
	s_mov_b64 s[24:25], s[20:21]
	s_cbranch_execnz .LBB214_469
.LBB214_388:
	s_andn2_b64 vcc, exec, s[0:1]
	s_cbranch_vccnz .LBB214_517
.LBB214_389:
	v_mul_lo_u32 v2, v18, s14
	v_mov_b32_e32 v3, s3
	s_and_b32 s34, s15, 0xff
	s_cmp_lt_i32 s34, 11
	v_ashrrev_i32_e32 v4, 31, v2
	v_add_co_u32_e32 v2, vcc, s2, v2
	v_addc_co_u32_e32 v3, vcc, v3, v4, vcc
	s_cbranch_scc1 .LBB214_397
; %bb.390:
	s_and_b32 s35, 0xffff, s34
	s_cmp_gt_i32 s35, 25
	s_cbranch_scc0 .LBB214_399
; %bb.391:
	s_cmp_gt_i32 s35, 28
	s_cbranch_scc0 .LBB214_401
; %bb.392:
	;; [unrolled: 3-line block ×4, first 2 shown]
	s_cmp_eq_u32 s35, 46
	s_mov_b64 s[28:29], 0
	s_cbranch_scc0 .LBB214_521
; %bb.395:
	global_load_dword v4, v[2:3], off
	s_mov_b32 s0, 0x2f800000
	s_mov_b32 s1, 0xcf800000
	s_mov_b64 s[26:27], 0
	s_waitcnt vmcnt(0)
	v_lshlrev_b32_e32 v4, 16, v4
	v_trunc_f32_e32 v4, v4
	v_mul_f32_e64 v5, |v4|, s0
	v_floor_f32_e32 v5, v5
	v_fma_f32 v6, v5, s1, |v4|
	v_cvt_u32_f32_e32 v6, v6
	v_cvt_u32_f32_e32 v5, v5
	v_ashrrev_i32_e32 v7, 31, v4
	s_mov_b64 s[0:1], -1
	v_xor_b32_e32 v4, v6, v7
	v_xor_b32_e32 v5, v5, v7
	v_sub_co_u32_e32 v4, vcc, v4, v7
	v_subb_co_u32_e32 v5, vcc, v5, v7, vcc
	s_branch .LBB214_522
.LBB214_396:
	s_mov_b64 s[26:27], -1
	s_mov_b64 s[0:1], 0
	s_mov_b64 s[24:25], s[20:21]
                                        ; implicit-def: $vgpr0_vgpr1
	s_branch .LBB214_437
.LBB214_397:
	s_mov_b64 s[28:29], -1
	s_mov_b64 s[0:1], 0
                                        ; implicit-def: $vgpr4_vgpr5
	s_mov_b64 s[26:27], s[18:19]
	s_branch .LBB214_583
.LBB214_398:
	s_mov_b64 s[26:27], -1
	s_mov_b64 s[0:1], 0
	s_mov_b64 s[24:25], s[20:21]
                                        ; implicit-def: $vgpr0_vgpr1
	s_branch .LBB214_418
.LBB214_399:
	s_mov_b64 s[28:29], -1
	s_mov_b64 s[0:1], 0
	s_mov_b64 s[26:27], s[18:19]
                                        ; implicit-def: $vgpr4_vgpr5
	s_branch .LBB214_551
.LBB214_400:
	s_mov_b64 s[26:27], -1
	s_mov_b64 s[0:1], 0
	s_mov_b64 s[24:25], s[20:21]
                                        ; implicit-def: $vgpr0_vgpr1
	s_branch .LBB214_413
.LBB214_401:
	s_mov_b64 s[28:29], -1
	s_mov_b64 s[0:1], 0
	s_mov_b64 s[26:27], s[18:19]
                                        ; implicit-def: $vgpr4_vgpr5
	s_branch .LBB214_532
.LBB214_402:
	s_mov_b64 s[26:27], -1
	s_mov_b64 s[0:1], 0
	s_mov_b64 s[24:25], s[20:21]
                                        ; implicit-def: $vgpr0_vgpr1
	s_branch .LBB214_407
.LBB214_403:
	s_mov_b64 s[28:29], -1
	s_mov_b64 s[0:1], 0
	s_mov_b64 s[26:27], s[18:19]
                                        ; implicit-def: $vgpr4_vgpr5
	s_branch .LBB214_527
.LBB214_404:
	s_andn2_saveexec_b64 s[28:29], s[28:29]
	s_cbranch_execz .LBB214_176
.LBB214_405:
	s_mov_b32 s34, 0x46000000
	v_add_f32_e64 v5, |v4|, s34
	v_and_b32_e32 v5, 0xff, v5
	v_cmp_ne_u32_e32 vcc, 0, v5
	s_andn2_b64 s[24:25], s[24:25], exec
	s_and_b64 s[34:35], vcc, exec
	s_or_b64 s[24:25], s[24:25], s[34:35]
	s_or_b64 exec, exec, s[28:29]
	v_mov_b32_e32 v6, 0
	s_and_saveexec_b64 s[28:29], s[24:25]
	s_cbranch_execnz .LBB214_177
	s_branch .LBB214_178
.LBB214_406:
	s_mov_b64 s[24:25], -1
                                        ; implicit-def: $vgpr0_vgpr1
	s_mov_b64 s[0:1], 0
.LBB214_407:
	s_and_b64 vcc, exec, s[26:27]
	s_cbranch_vccz .LBB214_412
; %bb.408:
	s_cmp_eq_u32 s29, 44
	s_cbranch_scc0 .LBB214_411
; %bb.409:
	global_load_ubyte v0, v[2:3], off
	s_mov_b32 s0, 0x2f800000
	s_mov_b32 s1, 0xcf800000
	s_mov_b64 s[24:25], 0
	s_waitcnt vmcnt(0)
	v_lshlrev_b32_e32 v1, 23, v0
	v_trunc_f32_e32 v1, v1
	v_mul_f32_e64 v4, |v1|, s0
	v_floor_f32_e32 v4, v4
	v_fma_f32 v5, v4, s1, |v1|
	v_cvt_u32_f32_e32 v5, v5
	v_cvt_u32_f32_e32 v4, v4
	v_ashrrev_i32_e32 v1, 31, v1
	s_mov_b64 s[0:1], -1
	v_xor_b32_e32 v5, v5, v1
	v_xor_b32_e32 v4, v4, v1
	v_sub_co_u32_e32 v5, vcc, v5, v1
	v_subb_co_u32_e32 v1, vcc, v4, v1, vcc
	v_cmp_ne_u32_e32 vcc, 0, v0
	v_cndmask_b32_e32 v1, 0, v1, vcc
	v_cndmask_b32_e32 v0, 0, v5, vcc
	s_branch .LBB214_412
.LBB214_410:
	s_mov_b64 s[28:29], -1
	s_mov_b64 s[0:1], 0
	s_mov_b64 s[26:27], s[18:19]
                                        ; implicit-def: $vgpr4_vgpr5
	s_branch .LBB214_522
.LBB214_411:
	s_mov_b64 s[24:25], -1
                                        ; implicit-def: $vgpr0_vgpr1
.LBB214_412:
	s_mov_b64 s[26:27], 0
.LBB214_413:
	s_and_b64 vcc, exec, s[26:27]
	s_cbranch_vccz .LBB214_417
; %bb.414:
	s_cmp_eq_u32 s29, 29
	s_cbranch_scc0 .LBB214_416
; %bb.415:
	global_load_dwordx2 v[0:1], v[2:3], off
	s_mov_b64 s[0:1], -1
	s_mov_b64 s[24:25], 0
	s_branch .LBB214_417
.LBB214_416:
	s_mov_b64 s[24:25], -1
                                        ; implicit-def: $vgpr0_vgpr1
.LBB214_417:
	s_mov_b64 s[26:27], 0
.LBB214_418:
	s_and_b64 vcc, exec, s[26:27]
	s_cbranch_vccz .LBB214_436
; %bb.419:
	s_cmp_lt_i32 s29, 27
	s_cbranch_scc1 .LBB214_422
; %bb.420:
	s_cmp_gt_i32 s29, 27
	s_cbranch_scc0 .LBB214_423
; %bb.421:
	global_load_dword v0, v[2:3], off
	s_waitcnt vmcnt(1)
	v_mov_b32_e32 v1, 0
	s_mov_b64 s[0:1], 0
	s_branch .LBB214_424
.LBB214_422:
	s_mov_b64 s[0:1], -1
                                        ; implicit-def: $vgpr0_vgpr1
	s_branch .LBB214_427
.LBB214_423:
	s_mov_b64 s[0:1], -1
                                        ; implicit-def: $vgpr0_vgpr1
.LBB214_424:
	s_andn2_b64 vcc, exec, s[0:1]
	s_cbranch_vccnz .LBB214_426
; %bb.425:
	global_load_ushort v0, v[2:3], off
	s_mov_b32 s0, 0
	s_waitcnt vmcnt(1)
	v_mov_b32_e32 v1, s0
	s_waitcnt vmcnt(0)
	v_and_b32_e32 v0, 0xffff, v0
.LBB214_426:
	s_mov_b64 s[0:1], 0
.LBB214_427:
	s_andn2_b64 vcc, exec, s[0:1]
	s_cbranch_vccnz .LBB214_435
; %bb.428:
	global_load_ubyte v4, v[2:3], off
	s_movk_i32 s0, 0x7f
	s_mov_b64 s[26:27], 0
	s_waitcnt vmcnt(0)
	v_cmp_lt_i16_e32 vcc, s0, v4
	s_and_saveexec_b64 s[0:1], vcc
	s_xor_b64 s[0:1], exec, s[0:1]
; %bb.429:
	s_movk_i32 s26, 0x80
	v_cmp_ne_u16_e32 vcc, s26, v4
	s_and_b64 s[26:27], vcc, exec
; %bb.430:
	s_andn2_saveexec_b64 s[0:1], s[0:1]
; %bb.431:
	v_cmp_ne_u16_e32 vcc, 0, v4
	s_andn2_b64 s[26:27], s[26:27], exec
	s_and_b64 s[34:35], vcc, exec
	s_or_b64 s[26:27], s[26:27], s[34:35]
; %bb.432:
	s_or_b64 exec, exec, s[0:1]
	v_mov_b32_e32 v0, 0
	v_mov_b32_e32 v1, 0
	s_and_saveexec_b64 s[0:1], s[26:27]
	s_cbranch_execz .LBB214_434
; %bb.433:
	v_and_b32_e32 v1, 0xffff, v4
	v_lshlrev_b32_e32 v0, 24, v4
	v_and_b32_e32 v4, 7, v1
	v_ffbh_u32_e32 v6, v4
	v_min_u32_e32 v6, 32, v6
	v_subrev_u32_e32 v7, 28, v6
	v_bfe_u32 v5, v1, 3, 4
	v_lshlrev_b32_e32 v1, v7, v1
	v_sub_u32_e32 v6, 29, v6
	v_and_b32_e32 v1, 7, v1
	v_cmp_eq_u32_e32 vcc, 0, v5
	v_cndmask_b32_e32 v5, v5, v6, vcc
	v_cndmask_b32_e32 v1, v4, v1, vcc
	v_mov_b32_e32 v4, 0x3b800000
	v_lshlrev_b32_e32 v1, 20, v1
	v_and_b32_e32 v0, 0x80000000, v0
	v_lshl_add_u32 v4, v5, 23, v4
	v_or3_b32 v0, v0, v4, v1
	v_trunc_f32_e32 v0, v0
	s_mov_b32 s26, 0x2f800000
	v_mul_f32_e64 v1, |v0|, s26
	v_floor_f32_e32 v1, v1
	s_mov_b32 s26, 0xcf800000
	v_fma_f32 v4, v1, s26, |v0|
	v_cvt_u32_f32_e32 v4, v4
	v_cvt_u32_f32_e32 v1, v1
	v_ashrrev_i32_e32 v5, 31, v0
	v_xor_b32_e32 v0, v4, v5
	v_xor_b32_e32 v1, v1, v5
	v_sub_co_u32_e32 v0, vcc, v0, v5
	v_subb_co_u32_e32 v1, vcc, v1, v5, vcc
.LBB214_434:
	s_or_b64 exec, exec, s[0:1]
.LBB214_435:
	s_mov_b64 s[0:1], -1
.LBB214_436:
	s_mov_b64 s[26:27], 0
.LBB214_437:
	s_and_b64 vcc, exec, s[26:27]
	s_cbranch_vccz .LBB214_468
; %bb.438:
	s_cmp_gt_i32 s29, 22
	s_cbranch_scc0 .LBB214_448
; %bb.439:
	s_cmp_lt_i32 s29, 24
	s_cbranch_scc1 .LBB214_449
; %bb.440:
	s_cmp_gt_i32 s29, 24
	s_cbranch_scc0 .LBB214_450
; %bb.441:
	global_load_ubyte v4, v[2:3], off
	s_movk_i32 s0, 0x7f
	s_mov_b64 s[26:27], 0
	s_waitcnt vmcnt(0)
	v_cmp_lt_i16_e32 vcc, s0, v4
	s_and_saveexec_b64 s[0:1], vcc
	s_xor_b64 s[0:1], exec, s[0:1]
; %bb.442:
	s_movk_i32 s26, 0x80
	v_cmp_ne_u16_e32 vcc, s26, v4
	s_and_b64 s[26:27], vcc, exec
; %bb.443:
	s_andn2_saveexec_b64 s[0:1], s[0:1]
; %bb.444:
	v_cmp_ne_u16_e32 vcc, 0, v4
	s_andn2_b64 s[26:27], s[26:27], exec
	s_and_b64 s[34:35], vcc, exec
	s_or_b64 s[26:27], s[26:27], s[34:35]
; %bb.445:
	s_or_b64 exec, exec, s[0:1]
	v_mov_b32_e32 v0, 0
	v_mov_b32_e32 v1, 0
	s_and_saveexec_b64 s[0:1], s[26:27]
	s_cbranch_execz .LBB214_447
; %bb.446:
	v_and_b32_e32 v1, 0xffff, v4
	v_lshlrev_b32_e32 v0, 24, v4
	v_and_b32_e32 v4, 3, v1
	v_ffbh_u32_e32 v6, v4
	v_min_u32_e32 v6, 32, v6
	v_subrev_u32_e32 v7, 29, v6
	v_bfe_u32 v5, v1, 2, 5
	v_lshlrev_b32_e32 v1, v7, v1
	v_sub_u32_e32 v6, 30, v6
	v_and_b32_e32 v1, 3, v1
	v_cmp_eq_u32_e32 vcc, 0, v5
	v_cndmask_b32_e32 v5, v5, v6, vcc
	v_cndmask_b32_e32 v1, v4, v1, vcc
	v_mov_b32_e32 v4, 0x37800000
	v_lshlrev_b32_e32 v1, 21, v1
	v_and_b32_e32 v0, 0x80000000, v0
	v_lshl_add_u32 v4, v5, 23, v4
	v_or3_b32 v0, v0, v4, v1
	v_trunc_f32_e32 v0, v0
	s_mov_b32 s26, 0x2f800000
	v_mul_f32_e64 v1, |v0|, s26
	v_floor_f32_e32 v1, v1
	s_mov_b32 s26, 0xcf800000
	v_fma_f32 v4, v1, s26, |v0|
	v_cvt_u32_f32_e32 v4, v4
	v_cvt_u32_f32_e32 v1, v1
	v_ashrrev_i32_e32 v5, 31, v0
	v_xor_b32_e32 v0, v4, v5
	v_xor_b32_e32 v1, v1, v5
	v_sub_co_u32_e32 v0, vcc, v0, v5
	v_subb_co_u32_e32 v1, vcc, v1, v5, vcc
.LBB214_447:
	s_or_b64 exec, exec, s[0:1]
	s_mov_b64 s[0:1], 0
	s_branch .LBB214_451
.LBB214_448:
	s_mov_b64 s[26:27], -1
                                        ; implicit-def: $vgpr0_vgpr1
	s_branch .LBB214_457
.LBB214_449:
	s_mov_b64 s[0:1], -1
                                        ; implicit-def: $vgpr0_vgpr1
	s_branch .LBB214_454
.LBB214_450:
	s_mov_b64 s[0:1], -1
                                        ; implicit-def: $vgpr0_vgpr1
.LBB214_451:
	s_and_b64 vcc, exec, s[0:1]
	s_cbranch_vccz .LBB214_453
; %bb.452:
	global_load_ubyte v0, v[2:3], off
	s_mov_b32 s0, 0x7f800000
	s_brev_b32 s1, 1
	s_mov_b32 s26, 0x2f800000
	s_mov_b32 s27, 0xcf800000
	s_waitcnt vmcnt(0)
	v_lshlrev_b32_e32 v0, 24, v0
	v_and_b32_e32 v1, 0x7f000000, v0
	v_ffbh_u32_e32 v4, v1
	v_min_u32_e32 v4, 32, v4
	v_sub_u32_e64 v4, v4, 4 clamp
	v_lshlrev_b32_e32 v6, v4, v1
	v_lshlrev_b32_e32 v4, 23, v4
	v_lshrrev_b32_e32 v6, 4, v6
	v_add_u32_e32 v5, 0x1000000, v1
	v_sub_u32_e32 v4, v6, v4
	v_ashrrev_i32_e32 v5, 8, v5
	v_add_u32_e32 v4, 0x3c000000, v4
	v_and_or_b32 v4, v5, s0, v4
	v_cmp_ne_u32_e32 vcc, 0, v1
	v_cndmask_b32_e32 v1, 0, v4, vcc
	v_and_or_b32 v0, v0, s1, v1
	v_trunc_f32_e32 v0, v0
	v_mul_f32_e64 v1, |v0|, s26
	v_floor_f32_e32 v1, v1
	v_fma_f32 v4, v1, s27, |v0|
	v_cvt_u32_f32_e32 v4, v4
	v_cvt_u32_f32_e32 v1, v1
	v_ashrrev_i32_e32 v5, 31, v0
	v_xor_b32_e32 v0, v4, v5
	v_xor_b32_e32 v1, v1, v5
	v_sub_co_u32_e32 v0, vcc, v0, v5
	v_subb_co_u32_e32 v1, vcc, v1, v5, vcc
.LBB214_453:
	s_mov_b64 s[0:1], 0
.LBB214_454:
	s_andn2_b64 vcc, exec, s[0:1]
	s_cbranch_vccnz .LBB214_456
; %bb.455:
	global_load_ubyte v0, v[2:3], off
	s_movk_i32 s0, 0x7f00
	s_brev_b32 s1, 16
	s_brev_b32 s26, 1
	s_mov_b32 s27, 0x2f800000
	s_mov_b32 s34, 0xcf800000
	s_waitcnt vmcnt(0)
	v_lshlrev_b16_e32 v1, 8, v0
	v_lshlrev_b32_e32 v0, 25, v0
	v_lshrrev_b32_e32 v4, 4, v0
	v_and_or_b32 v5, v1, s0, 0.5
	v_or_b32_e32 v4, 0x70000000, v4
	v_add_f32_e32 v5, -0.5, v5
	v_mul_f32_e32 v4, 0x7800000, v4
	v_cmp_gt_u32_e32 vcc, s1, v0
	v_bfe_i32 v1, v1, 0, 16
	v_cndmask_b32_e32 v0, v4, v5, vcc
	v_and_or_b32 v0, v1, s26, v0
	v_trunc_f32_e32 v0, v0
	v_mul_f32_e64 v1, |v0|, s27
	v_floor_f32_e32 v1, v1
	v_fma_f32 v4, v1, s34, |v0|
	v_cvt_u32_f32_e32 v4, v4
	v_cvt_u32_f32_e32 v1, v1
	v_ashrrev_i32_e32 v5, 31, v0
	v_xor_b32_e32 v0, v4, v5
	v_xor_b32_e32 v1, v1, v5
	v_sub_co_u32_e32 v0, vcc, v0, v5
	v_subb_co_u32_e32 v1, vcc, v1, v5, vcc
.LBB214_456:
	s_mov_b64 s[26:27], 0
	s_mov_b64 s[0:1], -1
.LBB214_457:
	s_andn2_b64 vcc, exec, s[26:27]
	s_cbranch_vccnz .LBB214_468
; %bb.458:
	s_cmp_gt_i32 s29, 14
	s_cbranch_scc0 .LBB214_461
; %bb.459:
	s_cmp_eq_u32 s29, 15
	s_cbranch_scc0 .LBB214_462
; %bb.460:
	global_load_ushort v0, v[2:3], off
	s_mov_b32 s0, 0x2f800000
	s_mov_b32 s1, 0xcf800000
	s_mov_b64 s[24:25], 0
	s_waitcnt vmcnt(0)
	v_lshlrev_b32_e32 v0, 16, v0
	v_trunc_f32_e32 v0, v0
	v_mul_f32_e64 v1, |v0|, s0
	v_floor_f32_e32 v1, v1
	v_fma_f32 v4, v1, s1, |v0|
	v_cvt_u32_f32_e32 v4, v4
	v_cvt_u32_f32_e32 v1, v1
	v_ashrrev_i32_e32 v5, 31, v0
	s_mov_b64 s[0:1], -1
	v_xor_b32_e32 v0, v4, v5
	v_xor_b32_e32 v1, v1, v5
	v_sub_co_u32_e32 v0, vcc, v0, v5
	v_subb_co_u32_e32 v1, vcc, v1, v5, vcc
	s_branch .LBB214_463
.LBB214_461:
	s_mov_b64 s[26:27], -1
                                        ; implicit-def: $vgpr0_vgpr1
	s_branch .LBB214_464
.LBB214_462:
	s_mov_b64 s[24:25], -1
                                        ; implicit-def: $vgpr0_vgpr1
.LBB214_463:
	s_mov_b64 s[26:27], 0
.LBB214_464:
	s_and_b64 vcc, exec, s[26:27]
	s_cbranch_vccz .LBB214_468
; %bb.465:
	s_cmp_eq_u32 s29, 11
	s_cbranch_scc0 .LBB214_467
; %bb.466:
	global_load_ubyte v0, v[2:3], off
	s_mov_b32 s24, 0
	s_mov_b64 s[0:1], -1
	s_waitcnt vmcnt(1)
	v_mov_b32_e32 v1, s24
	s_mov_b64 s[24:25], 0
	s_waitcnt vmcnt(0)
	v_cmp_ne_u16_e32 vcc, 0, v0
	v_cndmask_b32_e64 v0, 0, 1, vcc
	s_branch .LBB214_468
.LBB214_467:
	s_mov_b64 s[24:25], -1
                                        ; implicit-def: $vgpr0_vgpr1
.LBB214_468:
	s_branch .LBB214_388
.LBB214_469:
	s_and_b32 s26, 0xffff, s28
	s_cmp_lt_i32 s26, 5
	s_cbranch_scc1 .LBB214_474
; %bb.470:
	s_cmp_lt_i32 s26, 8
	s_cbranch_scc1 .LBB214_475
; %bb.471:
	;; [unrolled: 3-line block ×3, first 2 shown]
	s_cmp_gt_i32 s26, 9
	s_cbranch_scc0 .LBB214_477
; %bb.473:
	global_load_dwordx2 v[0:1], v[2:3], off
	s_movk_i32 s0, 0xffe0
	s_waitcnt vmcnt(0)
	v_trunc_f64_e32 v[0:1], v[0:1]
	v_ldexp_f64 v[4:5], v[0:1], s0
	s_mov_b32 s0, 0
	s_mov_b32 s1, 0xc1f00000
	v_floor_f64_e32 v[4:5], v[4:5]
	v_fma_f64 v[6:7], v[4:5], s[0:1], v[0:1]
	v_cvt_i32_f64_e32 v1, v[4:5]
	s_mov_b64 s[0:1], 0
	v_cvt_u32_f64_e32 v0, v[6:7]
	s_branch .LBB214_478
.LBB214_474:
	s_mov_b64 s[0:1], -1
                                        ; implicit-def: $vgpr0_vgpr1
	s_branch .LBB214_496
.LBB214_475:
	s_mov_b64 s[0:1], -1
                                        ; implicit-def: $vgpr0_vgpr1
	s_branch .LBB214_484
.LBB214_476:
	s_mov_b64 s[0:1], -1
                                        ; implicit-def: $vgpr0_vgpr1
	s_branch .LBB214_481
.LBB214_477:
	s_mov_b64 s[0:1], -1
                                        ; implicit-def: $vgpr0_vgpr1
.LBB214_478:
	s_andn2_b64 vcc, exec, s[0:1]
	s_cbranch_vccnz .LBB214_480
; %bb.479:
	global_load_dword v0, v[2:3], off
	s_mov_b32 s0, 0x2f800000
	s_mov_b32 s1, 0xcf800000
	s_waitcnt vmcnt(0)
	v_trunc_f32_e32 v0, v0
	v_mul_f32_e64 v1, |v0|, s0
	v_floor_f32_e32 v1, v1
	v_cvt_u32_f32_e32 v4, v1
	v_fma_f32 v1, v1, s1, |v0|
	v_cvt_u32_f32_e32 v1, v1
	v_ashrrev_i32_e32 v5, 31, v0
	v_xor_b32_e32 v4, v4, v5
	v_xor_b32_e32 v0, v1, v5
	v_sub_co_u32_e32 v0, vcc, v0, v5
	v_subb_co_u32_e32 v1, vcc, v4, v5, vcc
.LBB214_480:
	s_mov_b64 s[0:1], 0
.LBB214_481:
	s_andn2_b64 vcc, exec, s[0:1]
	s_cbranch_vccnz .LBB214_483
; %bb.482:
	global_load_dword v0, v[2:3], off
	s_waitcnt vmcnt(0)
	v_cvt_f32_f16_e32 v0, v0
	v_cvt_i32_f32_e32 v0, v0
	v_ashrrev_i32_e32 v1, 31, v0
.LBB214_483:
	s_mov_b64 s[0:1], 0
.LBB214_484:
	s_andn2_b64 vcc, exec, s[0:1]
	s_cbranch_vccnz .LBB214_495
; %bb.485:
	s_cmp_lt_i32 s26, 6
	s_cbranch_scc1 .LBB214_488
; %bb.486:
	s_cmp_gt_i32 s26, 6
	s_cbranch_scc0 .LBB214_489
; %bb.487:
	global_load_dwordx2 v[0:1], v[2:3], off
	s_movk_i32 s0, 0xffe0
	s_waitcnt vmcnt(0)
	v_trunc_f64_e32 v[0:1], v[0:1]
	v_ldexp_f64 v[4:5], v[0:1], s0
	s_mov_b32 s0, 0
	s_mov_b32 s1, 0xc1f00000
	v_floor_f64_e32 v[4:5], v[4:5]
	v_fma_f64 v[6:7], v[4:5], s[0:1], v[0:1]
	v_cvt_i32_f64_e32 v1, v[4:5]
	s_mov_b64 s[0:1], 0
	v_cvt_u32_f64_e32 v0, v[6:7]
	s_branch .LBB214_490
.LBB214_488:
	s_mov_b64 s[0:1], -1
                                        ; implicit-def: $vgpr0_vgpr1
	s_branch .LBB214_493
.LBB214_489:
	s_mov_b64 s[0:1], -1
                                        ; implicit-def: $vgpr0_vgpr1
.LBB214_490:
	s_andn2_b64 vcc, exec, s[0:1]
	s_cbranch_vccnz .LBB214_492
; %bb.491:
	global_load_dword v0, v[2:3], off
	s_mov_b32 s0, 0x2f800000
	s_mov_b32 s1, 0xcf800000
	s_waitcnt vmcnt(0)
	v_trunc_f32_e32 v0, v0
	v_mul_f32_e64 v1, |v0|, s0
	v_floor_f32_e32 v1, v1
	v_cvt_u32_f32_e32 v4, v1
	v_fma_f32 v1, v1, s1, |v0|
	v_cvt_u32_f32_e32 v1, v1
	v_ashrrev_i32_e32 v5, 31, v0
	v_xor_b32_e32 v4, v4, v5
	v_xor_b32_e32 v0, v1, v5
	v_sub_co_u32_e32 v0, vcc, v0, v5
	v_subb_co_u32_e32 v1, vcc, v4, v5, vcc
.LBB214_492:
	s_mov_b64 s[0:1], 0
.LBB214_493:
	s_andn2_b64 vcc, exec, s[0:1]
	s_cbranch_vccnz .LBB214_495
; %bb.494:
	global_load_ushort v0, v[2:3], off
	s_waitcnt vmcnt(0)
	v_cvt_f32_f16_e32 v0, v0
	v_cvt_i32_f32_e32 v0, v0
	v_ashrrev_i32_e32 v1, 31, v0
.LBB214_495:
	s_mov_b64 s[0:1], 0
.LBB214_496:
	s_andn2_b64 vcc, exec, s[0:1]
	s_cbranch_vccnz .LBB214_516
; %bb.497:
	s_cmp_lt_i32 s26, 2
	s_cbranch_scc1 .LBB214_501
; %bb.498:
	s_cmp_lt_i32 s26, 3
	s_cbranch_scc1 .LBB214_502
; %bb.499:
	s_cmp_gt_i32 s26, 3
	s_cbranch_scc0 .LBB214_503
; %bb.500:
	global_load_dwordx2 v[0:1], v[2:3], off
	s_mov_b64 s[0:1], 0
	s_branch .LBB214_504
.LBB214_501:
	s_mov_b64 s[0:1], -1
                                        ; implicit-def: $vgpr0_vgpr1
	s_branch .LBB214_510
.LBB214_502:
	s_mov_b64 s[0:1], -1
                                        ; implicit-def: $vgpr0_vgpr1
	s_branch .LBB214_507
.LBB214_503:
	s_mov_b64 s[0:1], -1
                                        ; implicit-def: $vgpr0_vgpr1
.LBB214_504:
	s_andn2_b64 vcc, exec, s[0:1]
	s_cbranch_vccnz .LBB214_506
; %bb.505:
	global_load_dword v0, v[2:3], off
	s_waitcnt vmcnt(0)
	v_ashrrev_i32_e32 v1, 31, v0
.LBB214_506:
	s_mov_b64 s[0:1], 0
.LBB214_507:
	s_andn2_b64 vcc, exec, s[0:1]
	s_cbranch_vccnz .LBB214_509
; %bb.508:
	global_load_ushort v0, v[2:3], off
	s_waitcnt vmcnt(0)
	v_bfe_i32 v0, v0, 0, 16
	v_ashrrev_i32_e32 v1, 31, v0
.LBB214_509:
	s_mov_b64 s[0:1], 0
.LBB214_510:
	s_andn2_b64 vcc, exec, s[0:1]
	s_cbranch_vccnz .LBB214_516
; %bb.511:
	s_cmp_gt_i32 s26, 0
	s_cbranch_scc0 .LBB214_513
; %bb.512:
	global_load_sbyte v0, v[2:3], off
	s_mov_b64 s[0:1], 0
	s_waitcnt vmcnt(0)
	v_bfe_i32 v0, v0, 0, 16
	v_ashrrev_i32_e32 v1, 31, v0
	s_branch .LBB214_514
.LBB214_513:
	s_mov_b64 s[0:1], -1
                                        ; implicit-def: $vgpr0_vgpr1
.LBB214_514:
	s_andn2_b64 vcc, exec, s[0:1]
	s_cbranch_vccnz .LBB214_516
; %bb.515:
	global_load_ubyte v0, v[2:3], off
	s_mov_b32 s0, 0
	s_waitcnt vmcnt(1)
	v_mov_b32_e32 v1, s0
	s_waitcnt vmcnt(0)
	v_and_b32_e32 v0, 0xffff, v0
.LBB214_516:
	s_branch .LBB214_389
.LBB214_517:
	s_mov_b64 s[34:35], 0
	s_mov_b64 s[0:1], s[6:7]
	;; [unrolled: 1-line block ×3, first 2 shown]
.LBB214_518:
                                        ; implicit-def: $vgpr18
	s_branch .LBB214_756
.LBB214_519:
	s_andn2_saveexec_b64 s[28:29], s[28:29]
	s_cbranch_execz .LBB214_189
.LBB214_520:
	s_mov_b32 s34, 0x42800000
	v_add_f32_e64 v5, |v4|, s34
	v_and_b32_e32 v5, 0xff, v5
	v_cmp_ne_u32_e32 vcc, 0, v5
	s_andn2_b64 s[24:25], s[24:25], exec
	s_and_b64 s[34:35], vcc, exec
	s_or_b64 s[24:25], s[24:25], s[34:35]
	s_or_b64 exec, exec, s[28:29]
	v_mov_b32_e32 v6, 0
	s_and_saveexec_b64 s[28:29], s[24:25]
	s_cbranch_execnz .LBB214_190
	s_branch .LBB214_191
.LBB214_521:
	s_mov_b64 s[26:27], -1
                                        ; implicit-def: $vgpr4_vgpr5
	s_mov_b64 s[0:1], 0
.LBB214_522:
	s_and_b64 vcc, exec, s[28:29]
	s_cbranch_vccz .LBB214_526
; %bb.523:
	s_cmp_eq_u32 s35, 44
	s_cbranch_scc0 .LBB214_525
; %bb.524:
	global_load_ubyte v4, v[2:3], off
	s_mov_b32 s0, 0x2f800000
	s_mov_b32 s1, 0xcf800000
	s_mov_b64 s[26:27], 0
	s_waitcnt vmcnt(0)
	v_lshlrev_b32_e32 v5, 23, v4
	v_trunc_f32_e32 v5, v5
	v_mul_f32_e64 v6, |v5|, s0
	v_floor_f32_e32 v6, v6
	v_fma_f32 v7, v6, s1, |v5|
	v_cvt_u32_f32_e32 v7, v7
	v_cvt_u32_f32_e32 v6, v6
	v_ashrrev_i32_e32 v5, 31, v5
	s_mov_b64 s[0:1], -1
	v_xor_b32_e32 v7, v7, v5
	v_xor_b32_e32 v6, v6, v5
	v_sub_co_u32_e32 v7, vcc, v7, v5
	v_subb_co_u32_e32 v5, vcc, v6, v5, vcc
	v_cmp_ne_u32_e32 vcc, 0, v4
	v_cndmask_b32_e32 v5, 0, v5, vcc
	v_cndmask_b32_e32 v4, 0, v7, vcc
	s_branch .LBB214_526
.LBB214_525:
	s_mov_b64 s[26:27], -1
                                        ; implicit-def: $vgpr4_vgpr5
.LBB214_526:
	s_mov_b64 s[28:29], 0
.LBB214_527:
	s_and_b64 vcc, exec, s[28:29]
	s_cbranch_vccz .LBB214_531
; %bb.528:
	s_cmp_eq_u32 s35, 29
	s_cbranch_scc0 .LBB214_530
; %bb.529:
	global_load_dwordx2 v[4:5], v[2:3], off
	s_mov_b64 s[0:1], -1
	s_mov_b64 s[26:27], 0
	s_branch .LBB214_531
.LBB214_530:
	s_mov_b64 s[26:27], -1
                                        ; implicit-def: $vgpr4_vgpr5
.LBB214_531:
	s_mov_b64 s[28:29], 0
.LBB214_532:
	s_and_b64 vcc, exec, s[28:29]
	s_cbranch_vccz .LBB214_550
; %bb.533:
	s_cmp_lt_i32 s35, 27
	s_cbranch_scc1 .LBB214_536
; %bb.534:
	s_cmp_gt_i32 s35, 27
	s_cbranch_scc0 .LBB214_537
; %bb.535:
	global_load_dword v4, v[2:3], off
	s_waitcnt vmcnt(1)
	v_mov_b32_e32 v5, 0
	s_mov_b64 s[0:1], 0
	s_branch .LBB214_538
.LBB214_536:
	s_mov_b64 s[0:1], -1
                                        ; implicit-def: $vgpr4_vgpr5
	s_branch .LBB214_541
.LBB214_537:
	s_mov_b64 s[0:1], -1
                                        ; implicit-def: $vgpr4_vgpr5
.LBB214_538:
	s_andn2_b64 vcc, exec, s[0:1]
	s_cbranch_vccnz .LBB214_540
; %bb.539:
	global_load_ushort v4, v[2:3], off
	s_mov_b32 s0, 0
	s_waitcnt vmcnt(1)
	v_mov_b32_e32 v5, s0
	s_waitcnt vmcnt(0)
	v_and_b32_e32 v4, 0xffff, v4
.LBB214_540:
	s_mov_b64 s[0:1], 0
.LBB214_541:
	s_andn2_b64 vcc, exec, s[0:1]
	s_cbranch_vccnz .LBB214_549
; %bb.542:
	global_load_ubyte v6, v[2:3], off
	s_movk_i32 s0, 0x7f
	s_mov_b64 s[28:29], 0
	s_waitcnt vmcnt(0)
	v_cmp_lt_i16_e32 vcc, s0, v6
	s_and_saveexec_b64 s[0:1], vcc
	s_xor_b64 s[0:1], exec, s[0:1]
; %bb.543:
	s_movk_i32 s28, 0x80
	v_cmp_ne_u16_e32 vcc, s28, v6
	s_and_b64 s[28:29], vcc, exec
; %bb.544:
	s_andn2_saveexec_b64 s[0:1], s[0:1]
; %bb.545:
	v_cmp_ne_u16_e32 vcc, 0, v6
	s_andn2_b64 s[28:29], s[28:29], exec
	s_and_b64 s[36:37], vcc, exec
	s_or_b64 s[28:29], s[28:29], s[36:37]
; %bb.546:
	s_or_b64 exec, exec, s[0:1]
	v_mov_b32_e32 v4, 0
	v_mov_b32_e32 v5, 0
	s_and_saveexec_b64 s[0:1], s[28:29]
	s_cbranch_execz .LBB214_548
; %bb.547:
	v_and_b32_e32 v5, 0xffff, v6
	v_lshlrev_b32_e32 v4, 24, v6
	v_and_b32_e32 v6, 7, v5
	v_ffbh_u32_e32 v8, v6
	v_min_u32_e32 v8, 32, v8
	v_subrev_u32_e32 v9, 28, v8
	v_bfe_u32 v7, v5, 3, 4
	v_lshlrev_b32_e32 v5, v9, v5
	v_sub_u32_e32 v8, 29, v8
	v_and_b32_e32 v5, 7, v5
	v_cmp_eq_u32_e32 vcc, 0, v7
	v_cndmask_b32_e32 v7, v7, v8, vcc
	v_cndmask_b32_e32 v5, v6, v5, vcc
	v_mov_b32_e32 v6, 0x3b800000
	v_lshlrev_b32_e32 v5, 20, v5
	v_and_b32_e32 v4, 0x80000000, v4
	v_lshl_add_u32 v6, v7, 23, v6
	v_or3_b32 v4, v4, v6, v5
	v_trunc_f32_e32 v4, v4
	s_mov_b32 s28, 0x2f800000
	v_mul_f32_e64 v5, |v4|, s28
	v_floor_f32_e32 v5, v5
	s_mov_b32 s28, 0xcf800000
	v_fma_f32 v6, v5, s28, |v4|
	v_cvt_u32_f32_e32 v6, v6
	v_cvt_u32_f32_e32 v5, v5
	v_ashrrev_i32_e32 v7, 31, v4
	v_xor_b32_e32 v4, v6, v7
	v_xor_b32_e32 v5, v5, v7
	v_sub_co_u32_e32 v4, vcc, v4, v7
	v_subb_co_u32_e32 v5, vcc, v5, v7, vcc
.LBB214_548:
	s_or_b64 exec, exec, s[0:1]
.LBB214_549:
	s_mov_b64 s[0:1], -1
.LBB214_550:
	s_mov_b64 s[28:29], 0
.LBB214_551:
	s_and_b64 vcc, exec, s[28:29]
	s_cbranch_vccz .LBB214_582
; %bb.552:
	s_cmp_gt_i32 s35, 22
	s_cbranch_scc0 .LBB214_562
; %bb.553:
	s_cmp_lt_i32 s35, 24
	s_cbranch_scc1 .LBB214_563
; %bb.554:
	s_cmp_gt_i32 s35, 24
	s_cbranch_scc0 .LBB214_564
; %bb.555:
	global_load_ubyte v6, v[2:3], off
	s_movk_i32 s0, 0x7f
	s_mov_b64 s[28:29], 0
	s_waitcnt vmcnt(0)
	v_cmp_lt_i16_e32 vcc, s0, v6
	s_and_saveexec_b64 s[0:1], vcc
	s_xor_b64 s[0:1], exec, s[0:1]
; %bb.556:
	s_movk_i32 s28, 0x80
	v_cmp_ne_u16_e32 vcc, s28, v6
	s_and_b64 s[28:29], vcc, exec
; %bb.557:
	s_andn2_saveexec_b64 s[0:1], s[0:1]
; %bb.558:
	v_cmp_ne_u16_e32 vcc, 0, v6
	s_andn2_b64 s[28:29], s[28:29], exec
	s_and_b64 s[36:37], vcc, exec
	s_or_b64 s[28:29], s[28:29], s[36:37]
; %bb.559:
	s_or_b64 exec, exec, s[0:1]
	v_mov_b32_e32 v4, 0
	v_mov_b32_e32 v5, 0
	s_and_saveexec_b64 s[0:1], s[28:29]
	s_cbranch_execz .LBB214_561
; %bb.560:
	v_and_b32_e32 v5, 0xffff, v6
	v_lshlrev_b32_e32 v4, 24, v6
	v_and_b32_e32 v6, 3, v5
	v_ffbh_u32_e32 v8, v6
	v_min_u32_e32 v8, 32, v8
	v_subrev_u32_e32 v9, 29, v8
	v_bfe_u32 v7, v5, 2, 5
	v_lshlrev_b32_e32 v5, v9, v5
	v_sub_u32_e32 v8, 30, v8
	v_and_b32_e32 v5, 3, v5
	v_cmp_eq_u32_e32 vcc, 0, v7
	v_cndmask_b32_e32 v7, v7, v8, vcc
	v_cndmask_b32_e32 v5, v6, v5, vcc
	v_mov_b32_e32 v6, 0x37800000
	v_lshlrev_b32_e32 v5, 21, v5
	v_and_b32_e32 v4, 0x80000000, v4
	v_lshl_add_u32 v6, v7, 23, v6
	v_or3_b32 v4, v4, v6, v5
	v_trunc_f32_e32 v4, v4
	s_mov_b32 s28, 0x2f800000
	v_mul_f32_e64 v5, |v4|, s28
	v_floor_f32_e32 v5, v5
	s_mov_b32 s28, 0xcf800000
	v_fma_f32 v6, v5, s28, |v4|
	v_cvt_u32_f32_e32 v6, v6
	v_cvt_u32_f32_e32 v5, v5
	v_ashrrev_i32_e32 v7, 31, v4
	v_xor_b32_e32 v4, v6, v7
	v_xor_b32_e32 v5, v5, v7
	v_sub_co_u32_e32 v4, vcc, v4, v7
	v_subb_co_u32_e32 v5, vcc, v5, v7, vcc
.LBB214_561:
	s_or_b64 exec, exec, s[0:1]
	s_mov_b64 s[0:1], 0
	s_branch .LBB214_565
.LBB214_562:
	s_mov_b64 s[28:29], -1
                                        ; implicit-def: $vgpr4_vgpr5
	s_branch .LBB214_571
.LBB214_563:
	s_mov_b64 s[0:1], -1
                                        ; implicit-def: $vgpr4_vgpr5
	s_branch .LBB214_568
.LBB214_564:
	s_mov_b64 s[0:1], -1
                                        ; implicit-def: $vgpr4_vgpr5
.LBB214_565:
	s_and_b64 vcc, exec, s[0:1]
	s_cbranch_vccz .LBB214_567
; %bb.566:
	global_load_ubyte v4, v[2:3], off
	s_mov_b32 s0, 0x7f800000
	s_brev_b32 s1, 1
	s_mov_b32 s28, 0x2f800000
	s_mov_b32 s29, 0xcf800000
	s_waitcnt vmcnt(0)
	v_lshlrev_b32_e32 v4, 24, v4
	v_and_b32_e32 v5, 0x7f000000, v4
	v_ffbh_u32_e32 v6, v5
	v_min_u32_e32 v6, 32, v6
	v_sub_u32_e64 v6, v6, 4 clamp
	v_lshlrev_b32_e32 v8, v6, v5
	v_lshlrev_b32_e32 v6, 23, v6
	v_lshrrev_b32_e32 v8, 4, v8
	v_add_u32_e32 v7, 0x1000000, v5
	v_sub_u32_e32 v6, v8, v6
	v_ashrrev_i32_e32 v7, 8, v7
	v_add_u32_e32 v6, 0x3c000000, v6
	v_and_or_b32 v6, v7, s0, v6
	v_cmp_ne_u32_e32 vcc, 0, v5
	v_cndmask_b32_e32 v5, 0, v6, vcc
	v_and_or_b32 v4, v4, s1, v5
	v_trunc_f32_e32 v4, v4
	v_mul_f32_e64 v5, |v4|, s28
	v_floor_f32_e32 v5, v5
	v_fma_f32 v6, v5, s29, |v4|
	v_cvt_u32_f32_e32 v6, v6
	v_cvt_u32_f32_e32 v5, v5
	v_ashrrev_i32_e32 v7, 31, v4
	v_xor_b32_e32 v4, v6, v7
	v_xor_b32_e32 v5, v5, v7
	v_sub_co_u32_e32 v4, vcc, v4, v7
	v_subb_co_u32_e32 v5, vcc, v5, v7, vcc
.LBB214_567:
	s_mov_b64 s[0:1], 0
.LBB214_568:
	s_andn2_b64 vcc, exec, s[0:1]
	s_cbranch_vccnz .LBB214_570
; %bb.569:
	global_load_ubyte v4, v[2:3], off
	s_movk_i32 s0, 0x7f00
	s_brev_b32 s1, 16
	s_brev_b32 s28, 1
	s_mov_b32 s29, 0x2f800000
	s_mov_b32 s36, 0xcf800000
	s_waitcnt vmcnt(0)
	v_lshlrev_b16_e32 v5, 8, v4
	v_lshlrev_b32_e32 v4, 25, v4
	v_lshrrev_b32_e32 v6, 4, v4
	v_and_or_b32 v7, v5, s0, 0.5
	v_or_b32_e32 v6, 0x70000000, v6
	v_add_f32_e32 v7, -0.5, v7
	v_mul_f32_e32 v6, 0x7800000, v6
	v_cmp_gt_u32_e32 vcc, s1, v4
	v_bfe_i32 v5, v5, 0, 16
	v_cndmask_b32_e32 v4, v6, v7, vcc
	v_and_or_b32 v4, v5, s28, v4
	v_trunc_f32_e32 v4, v4
	v_mul_f32_e64 v5, |v4|, s29
	v_floor_f32_e32 v5, v5
	v_fma_f32 v6, v5, s36, |v4|
	v_cvt_u32_f32_e32 v6, v6
	v_cvt_u32_f32_e32 v5, v5
	v_ashrrev_i32_e32 v7, 31, v4
	v_xor_b32_e32 v4, v6, v7
	v_xor_b32_e32 v5, v5, v7
	v_sub_co_u32_e32 v4, vcc, v4, v7
	v_subb_co_u32_e32 v5, vcc, v5, v7, vcc
.LBB214_570:
	s_mov_b64 s[28:29], 0
	s_mov_b64 s[0:1], -1
.LBB214_571:
	s_andn2_b64 vcc, exec, s[28:29]
	s_cbranch_vccnz .LBB214_582
; %bb.572:
	s_cmp_gt_i32 s35, 14
	s_cbranch_scc0 .LBB214_575
; %bb.573:
	s_cmp_eq_u32 s35, 15
	s_cbranch_scc0 .LBB214_576
; %bb.574:
	global_load_ushort v4, v[2:3], off
	s_mov_b32 s0, 0x2f800000
	s_mov_b32 s1, 0xcf800000
	s_mov_b64 s[26:27], 0
	s_waitcnt vmcnt(0)
	v_lshlrev_b32_e32 v4, 16, v4
	v_trunc_f32_e32 v4, v4
	v_mul_f32_e64 v5, |v4|, s0
	v_floor_f32_e32 v5, v5
	v_fma_f32 v6, v5, s1, |v4|
	v_cvt_u32_f32_e32 v6, v6
	v_cvt_u32_f32_e32 v5, v5
	v_ashrrev_i32_e32 v7, 31, v4
	s_mov_b64 s[0:1], -1
	v_xor_b32_e32 v4, v6, v7
	v_xor_b32_e32 v5, v5, v7
	v_sub_co_u32_e32 v4, vcc, v4, v7
	v_subb_co_u32_e32 v5, vcc, v5, v7, vcc
	s_branch .LBB214_577
.LBB214_575:
	s_mov_b64 s[28:29], -1
                                        ; implicit-def: $vgpr4_vgpr5
	s_branch .LBB214_578
.LBB214_576:
	s_mov_b64 s[26:27], -1
                                        ; implicit-def: $vgpr4_vgpr5
.LBB214_577:
	s_mov_b64 s[28:29], 0
.LBB214_578:
	s_and_b64 vcc, exec, s[28:29]
	s_cbranch_vccz .LBB214_582
; %bb.579:
	s_cmp_eq_u32 s35, 11
	s_cbranch_scc0 .LBB214_581
; %bb.580:
	global_load_ubyte v4, v[2:3], off
	s_mov_b32 s26, 0
	s_mov_b64 s[0:1], -1
	s_waitcnt vmcnt(1)
	v_mov_b32_e32 v5, s26
	s_mov_b64 s[26:27], 0
	s_waitcnt vmcnt(0)
	v_cmp_ne_u16_e32 vcc, 0, v4
	v_cndmask_b32_e64 v4, 0, 1, vcc
	s_branch .LBB214_582
.LBB214_581:
	s_mov_b64 s[26:27], -1
                                        ; implicit-def: $vgpr4_vgpr5
.LBB214_582:
	s_mov_b64 s[28:29], 0
.LBB214_583:
	s_and_b64 vcc, exec, s[28:29]
	s_cbranch_vccz .LBB214_632
; %bb.584:
	s_and_b32 s28, 0xffff, s34
	s_cmp_lt_i32 s28, 5
	s_cbranch_scc1 .LBB214_589
; %bb.585:
	s_cmp_lt_i32 s28, 8
	s_cbranch_scc1 .LBB214_590
; %bb.586:
	;; [unrolled: 3-line block ×3, first 2 shown]
	s_cmp_gt_i32 s28, 9
	s_cbranch_scc0 .LBB214_592
; %bb.588:
	global_load_dwordx2 v[4:5], v[2:3], off
	s_movk_i32 s0, 0xffe0
	s_waitcnt vmcnt(0)
	v_trunc_f64_e32 v[4:5], v[4:5]
	v_ldexp_f64 v[6:7], v[4:5], s0
	s_mov_b32 s0, 0
	s_mov_b32 s1, 0xc1f00000
	v_floor_f64_e32 v[6:7], v[6:7]
	v_fma_f64 v[8:9], v[6:7], s[0:1], v[4:5]
	v_cvt_i32_f64_e32 v5, v[6:7]
	s_mov_b64 s[0:1], 0
	v_cvt_u32_f64_e32 v4, v[8:9]
	s_branch .LBB214_593
.LBB214_589:
	s_mov_b64 s[0:1], -1
                                        ; implicit-def: $vgpr4_vgpr5
	s_branch .LBB214_611
.LBB214_590:
	s_mov_b64 s[0:1], -1
                                        ; implicit-def: $vgpr4_vgpr5
	s_branch .LBB214_599
.LBB214_591:
	s_mov_b64 s[0:1], -1
                                        ; implicit-def: $vgpr4_vgpr5
	s_branch .LBB214_596
.LBB214_592:
	s_mov_b64 s[0:1], -1
                                        ; implicit-def: $vgpr4_vgpr5
.LBB214_593:
	s_andn2_b64 vcc, exec, s[0:1]
	s_cbranch_vccnz .LBB214_595
; %bb.594:
	global_load_dword v4, v[2:3], off
	s_mov_b32 s0, 0x2f800000
	s_mov_b32 s1, 0xcf800000
	s_waitcnt vmcnt(0)
	v_trunc_f32_e32 v4, v4
	v_mul_f32_e64 v5, |v4|, s0
	v_floor_f32_e32 v5, v5
	v_cvt_u32_f32_e32 v6, v5
	v_fma_f32 v5, v5, s1, |v4|
	v_cvt_u32_f32_e32 v5, v5
	v_ashrrev_i32_e32 v7, 31, v4
	v_xor_b32_e32 v6, v6, v7
	v_xor_b32_e32 v4, v5, v7
	v_sub_co_u32_e32 v4, vcc, v4, v7
	v_subb_co_u32_e32 v5, vcc, v6, v7, vcc
.LBB214_595:
	s_mov_b64 s[0:1], 0
.LBB214_596:
	s_andn2_b64 vcc, exec, s[0:1]
	s_cbranch_vccnz .LBB214_598
; %bb.597:
	global_load_dword v4, v[2:3], off
	s_waitcnt vmcnt(0)
	v_cvt_f32_f16_e32 v4, v4
	v_cvt_i32_f32_e32 v4, v4
	v_ashrrev_i32_e32 v5, 31, v4
.LBB214_598:
	s_mov_b64 s[0:1], 0
.LBB214_599:
	s_andn2_b64 vcc, exec, s[0:1]
	s_cbranch_vccnz .LBB214_610
; %bb.600:
	s_cmp_lt_i32 s28, 6
	s_cbranch_scc1 .LBB214_603
; %bb.601:
	s_cmp_gt_i32 s28, 6
	s_cbranch_scc0 .LBB214_604
; %bb.602:
	global_load_dwordx2 v[4:5], v[2:3], off
	s_movk_i32 s0, 0xffe0
	s_waitcnt vmcnt(0)
	v_trunc_f64_e32 v[4:5], v[4:5]
	v_ldexp_f64 v[6:7], v[4:5], s0
	s_mov_b32 s0, 0
	s_mov_b32 s1, 0xc1f00000
	v_floor_f64_e32 v[6:7], v[6:7]
	v_fma_f64 v[8:9], v[6:7], s[0:1], v[4:5]
	v_cvt_i32_f64_e32 v5, v[6:7]
	s_mov_b64 s[0:1], 0
	v_cvt_u32_f64_e32 v4, v[8:9]
	s_branch .LBB214_605
.LBB214_603:
	s_mov_b64 s[0:1], -1
                                        ; implicit-def: $vgpr4_vgpr5
	s_branch .LBB214_608
.LBB214_604:
	s_mov_b64 s[0:1], -1
                                        ; implicit-def: $vgpr4_vgpr5
.LBB214_605:
	s_andn2_b64 vcc, exec, s[0:1]
	s_cbranch_vccnz .LBB214_607
; %bb.606:
	global_load_dword v4, v[2:3], off
	s_mov_b32 s0, 0x2f800000
	s_mov_b32 s1, 0xcf800000
	s_waitcnt vmcnt(0)
	v_trunc_f32_e32 v4, v4
	v_mul_f32_e64 v5, |v4|, s0
	v_floor_f32_e32 v5, v5
	v_cvt_u32_f32_e32 v6, v5
	v_fma_f32 v5, v5, s1, |v4|
	v_cvt_u32_f32_e32 v5, v5
	v_ashrrev_i32_e32 v7, 31, v4
	v_xor_b32_e32 v6, v6, v7
	v_xor_b32_e32 v4, v5, v7
	v_sub_co_u32_e32 v4, vcc, v4, v7
	v_subb_co_u32_e32 v5, vcc, v6, v7, vcc
.LBB214_607:
	s_mov_b64 s[0:1], 0
.LBB214_608:
	s_andn2_b64 vcc, exec, s[0:1]
	s_cbranch_vccnz .LBB214_610
; %bb.609:
	global_load_ushort v4, v[2:3], off
	s_waitcnt vmcnt(0)
	v_cvt_f32_f16_e32 v4, v4
	v_cvt_i32_f32_e32 v4, v4
	v_ashrrev_i32_e32 v5, 31, v4
.LBB214_610:
	s_mov_b64 s[0:1], 0
.LBB214_611:
	s_andn2_b64 vcc, exec, s[0:1]
	s_cbranch_vccnz .LBB214_631
; %bb.612:
	s_cmp_lt_i32 s28, 2
	s_cbranch_scc1 .LBB214_616
; %bb.613:
	s_cmp_lt_i32 s28, 3
	s_cbranch_scc1 .LBB214_617
; %bb.614:
	s_cmp_gt_i32 s28, 3
	s_cbranch_scc0 .LBB214_618
; %bb.615:
	global_load_dwordx2 v[4:5], v[2:3], off
	s_mov_b64 s[0:1], 0
	s_branch .LBB214_619
.LBB214_616:
	s_mov_b64 s[0:1], -1
                                        ; implicit-def: $vgpr4_vgpr5
	s_branch .LBB214_625
.LBB214_617:
	s_mov_b64 s[0:1], -1
                                        ; implicit-def: $vgpr4_vgpr5
	s_branch .LBB214_622
.LBB214_618:
	s_mov_b64 s[0:1], -1
                                        ; implicit-def: $vgpr4_vgpr5
.LBB214_619:
	s_andn2_b64 vcc, exec, s[0:1]
	s_cbranch_vccnz .LBB214_621
; %bb.620:
	global_load_dword v4, v[2:3], off
	s_waitcnt vmcnt(0)
	v_ashrrev_i32_e32 v5, 31, v4
.LBB214_621:
	s_mov_b64 s[0:1], 0
.LBB214_622:
	s_andn2_b64 vcc, exec, s[0:1]
	s_cbranch_vccnz .LBB214_624
; %bb.623:
	global_load_ushort v4, v[2:3], off
	s_waitcnt vmcnt(0)
	v_bfe_i32 v4, v4, 0, 16
	v_ashrrev_i32_e32 v5, 31, v4
.LBB214_624:
	s_mov_b64 s[0:1], 0
.LBB214_625:
	s_andn2_b64 vcc, exec, s[0:1]
	s_cbranch_vccnz .LBB214_631
; %bb.626:
	s_cmp_gt_i32 s28, 0
	s_cbranch_scc0 .LBB214_628
; %bb.627:
	global_load_sbyte v4, v[2:3], off
	s_mov_b64 s[0:1], 0
	s_waitcnt vmcnt(0)
	v_bfe_i32 v4, v4, 0, 16
	v_ashrrev_i32_e32 v5, 31, v4
	s_branch .LBB214_629
.LBB214_628:
	s_mov_b64 s[0:1], -1
                                        ; implicit-def: $vgpr4_vgpr5
.LBB214_629:
	s_andn2_b64 vcc, exec, s[0:1]
	s_cbranch_vccnz .LBB214_631
; %bb.630:
	global_load_ubyte v2, v[2:3], off
	s_mov_b32 s0, 0
	s_waitcnt vmcnt(1)
	v_mov_b32_e32 v5, s0
	s_waitcnt vmcnt(0)
	v_and_b32_e32 v4, 0xffff, v2
.LBB214_631:
	s_mov_b64 s[0:1], -1
.LBB214_632:
	s_andn2_b64 vcc, exec, s[0:1]
	s_cbranch_vccnz .LBB214_640
; %bb.633:
	v_mul_lo_u32 v2, v18, s12
	s_waitcnt vmcnt(0)
	v_cmp_gt_u64_e32 vcc, 63, v[4:5]
	s_and_b32 s38, s33, 0xff
	v_cndmask_b32_e32 v3, 63, v4, vcc
	v_ashrrev_i64 v[0:1], v3, v[0:1]
	v_ashrrev_i32_e32 v3, 31, v2
	v_mov_b32_e32 v4, s9
	v_add_co_u32_e32 v2, vcc, s8, v2
	s_cmp_lt_i32 s38, 11
	v_addc_co_u32_e32 v3, vcc, v4, v3, vcc
	s_cbranch_scc1 .LBB214_641
; %bb.634:
	s_and_b32 s39, 0xffff, s38
	s_cmp_gt_i32 s39, 25
	s_cbranch_scc0 .LBB214_642
; %bb.635:
	s_cmp_gt_i32 s39, 28
	s_cbranch_scc0 .LBB214_643
; %bb.636:
	;; [unrolled: 3-line block ×4, first 2 shown]
	s_mov_b64 s[34:35], 0
	s_mov_b64 s[0:1], -1
	s_cmp_eq_u32 s39, 46
	s_mov_b64 s[28:29], 0
	s_cbranch_scc0 .LBB214_646
; %bb.639:
	v_xor_b32_e32 v5, v0, v1
	v_ffbh_i32_e32 v4, v1
	v_ashrrev_i32_e32 v5, 31, v5
	v_add_u32_e32 v4, -1, v4
	v_add_u32_e32 v5, 32, v5
	v_min_u32_e32 v6, v4, v5
	v_lshlrev_b64 v[4:5], v6, v[0:1]
	s_movk_i32 s0, 0x7fff
	v_min_u32_e32 v4, 1, v4
	v_or_b32_e32 v4, v5, v4
	v_cvt_f32_i32_e32 v4, v4
	v_sub_u32_e32 v5, 32, v6
	s_mov_b64 s[28:29], -1
	v_ldexp_f32 v4, v4, v5
	v_bfe_u32 v5, v4, 16, 1
	v_add3_u32 v4, v4, v5, s0
	v_lshrrev_b32_e32 v4, 16, v4
	global_store_dword v[2:3], v4, off
	s_mov_b64 s[0:1], 0
	s_branch .LBB214_646
.LBB214_640:
	s_mov_b64 s[34:35], 0
                                        ; implicit-def: $vgpr18
	s_mov_b64 s[0:1], s[6:7]
	s_branch .LBB214_756
.LBB214_641:
	s_mov_b64 s[34:35], -1
	s_mov_b64 s[28:29], 0
	s_mov_b64 s[0:1], s[6:7]
	s_branch .LBB214_715
.LBB214_642:
	s_mov_b64 s[34:35], -1
	s_mov_b64 s[28:29], 0
	s_mov_b64 s[0:1], s[6:7]
	s_branch .LBB214_673
.LBB214_643:
	s_mov_b64 s[34:35], -1
	s_mov_b64 s[28:29], 0
	s_mov_b64 s[0:1], s[6:7]
	s_branch .LBB214_656
.LBB214_644:
	s_mov_b64 s[34:35], -1
	s_mov_b64 s[28:29], 0
	s_mov_b64 s[0:1], s[6:7]
	s_branch .LBB214_652
.LBB214_645:
	s_mov_b64 s[34:35], -1
	s_mov_b64 s[28:29], 0
	s_mov_b64 s[0:1], s[6:7]
.LBB214_646:
	s_and_b64 vcc, exec, s[34:35]
	s_cbranch_vccz .LBB214_651
; %bb.647:
	s_cmp_eq_u32 s39, 44
	s_mov_b64 s[0:1], -1
	s_cbranch_scc0 .LBB214_651
; %bb.648:
	v_xor_b32_e32 v5, v0, v1
	v_ffbh_i32_e32 v4, v1
	v_ashrrev_i32_e32 v5, 31, v5
	v_add_u32_e32 v4, -1, v4
	v_add_u32_e32 v5, 32, v5
	v_min_u32_e32 v6, v4, v5
	v_lshlrev_b64 v[4:5], v6, v[0:1]
	s_movk_i32 s0, 0xff
	v_min_u32_e32 v4, 1, v4
	v_or_b32_e32 v4, v5, v4
	v_cvt_f32_i32_e32 v4, v4
	v_sub_u32_e32 v5, 32, v6
	v_mov_b32_e32 v6, 0xff
	v_ldexp_f32 v4, v4, v5
	v_bfe_u32 v5, v4, 23, 8
	v_cmp_ne_u32_e32 vcc, s0, v5
	s_and_saveexec_b64 s[28:29], vcc
; %bb.649:
	s_mov_b32 s0, 0x3fffff
	v_lshrrev_b32_e32 v6, 23, v4
	v_and_b32_e32 v7, 0x400000, v4
	v_and_or_b32 v4, v4, s0, v5
	v_cmp_ne_u32_e32 vcc, 0, v7
	v_cmp_ne_u32_e64 s[0:1], 0, v4
	s_and_b64 s[0:1], vcc, s[0:1]
	v_cndmask_b32_e64 v4, 0, 1, s[0:1]
	v_add_u32_e32 v6, v6, v4
; %bb.650:
	s_or_b64 exec, exec, s[28:29]
	s_mov_b64 s[28:29], -1
	s_mov_b64 s[0:1], 0
	global_store_byte v[2:3], v6, off
.LBB214_651:
	s_mov_b64 s[34:35], 0
.LBB214_652:
	s_and_b64 vcc, exec, s[34:35]
	s_cbranch_vccz .LBB214_655
; %bb.653:
	s_cmp_eq_u32 s39, 29
	s_mov_b64 s[0:1], -1
	s_cbranch_scc0 .LBB214_655
; %bb.654:
	global_store_dwordx2 v[2:3], v[0:1], off
	s_mov_b64 s[28:29], -1
	s_mov_b64 s[0:1], 0
.LBB214_655:
	s_mov_b64 s[34:35], 0
.LBB214_656:
	s_and_b64 vcc, exec, s[34:35]
	s_cbranch_vccz .LBB214_672
; %bb.657:
	s_cmp_lt_i32 s39, 27
	s_mov_b64 s[28:29], -1
	s_cbranch_scc1 .LBB214_663
; %bb.658:
	s_cmp_gt_i32 s39, 27
	s_cbranch_scc0 .LBB214_660
; %bb.659:
	s_mov_b64 s[28:29], 0
	global_store_dword v[2:3], v0, off
.LBB214_660:
	s_andn2_b64 vcc, exec, s[28:29]
	s_cbranch_vccnz .LBB214_662
; %bb.661:
	global_store_short v[2:3], v0, off
.LBB214_662:
	s_mov_b64 s[28:29], 0
.LBB214_663:
	s_andn2_b64 vcc, exec, s[28:29]
	s_cbranch_vccnz .LBB214_671
; %bb.664:
	v_xor_b32_e32 v5, v0, v1
	v_ffbh_i32_e32 v4, v1
	v_ashrrev_i32_e32 v5, 31, v5
	v_add_u32_e32 v4, -1, v4
	v_add_u32_e32 v5, 32, v5
	v_min_u32_e32 v6, v4, v5
	v_lshlrev_b64 v[4:5], v6, v[0:1]
	s_mov_b32 s28, 0x43800000
	v_min_u32_e32 v4, 1, v4
	v_or_b32_e32 v4, v5, v4
	v_cvt_f32_i32_e32 v4, v4
	v_sub_u32_e32 v5, 32, v6
	v_mov_b32_e32 v6, 0x80
	v_ldexp_f32 v4, v4, v5
	v_and_b32_e32 v5, 0x7fffffff, v4
	v_cmp_gt_u32_e32 vcc, s28, v5
	s_and_saveexec_b64 s[28:29], vcc
	s_cbranch_execz .LBB214_670
; %bb.665:
	s_mov_b32 s34, 0x3bffffff
	v_cmp_lt_u32_e32 vcc, s34, v5
	s_mov_b64 s[34:35], 0
                                        ; implicit-def: $vgpr5
	s_and_saveexec_b64 s[36:37], vcc
	s_xor_b64 s[36:37], exec, s[36:37]
	s_cbranch_execz .LBB214_772
; %bb.666:
	v_bfe_u32 v5, v4, 20, 1
	s_mov_b32 s40, 0x487ffff
	v_add3_u32 v5, v4, v5, s40
	s_mov_b64 s[34:35], exec
	v_lshrrev_b32_e32 v5, 20, v5
	s_andn2_saveexec_b64 s[36:37], s[36:37]
	s_cbranch_execnz .LBB214_773
.LBB214_667:
	s_or_b64 exec, exec, s[36:37]
	v_mov_b32_e32 v6, 0
	s_and_saveexec_b64 s[36:37], s[34:35]
.LBB214_668:
	v_lshrrev_b32_e32 v4, 24, v4
	s_movk_i32 s34, 0x80
	v_and_or_b32 v6, v4, s34, v5
.LBB214_669:
	s_or_b64 exec, exec, s[36:37]
.LBB214_670:
	s_or_b64 exec, exec, s[28:29]
	global_store_byte v[2:3], v6, off
.LBB214_671:
	s_mov_b64 s[28:29], -1
.LBB214_672:
	s_mov_b64 s[34:35], 0
.LBB214_673:
	s_and_b64 vcc, exec, s[34:35]
	s_cbranch_vccz .LBB214_714
; %bb.674:
	s_cmp_gt_i32 s39, 22
	s_mov_b64 s[34:35], -1
	s_cbranch_scc0 .LBB214_706
; %bb.675:
	s_cmp_lt_i32 s39, 24
	s_mov_b64 s[28:29], -1
	s_cbranch_scc1 .LBB214_695
; %bb.676:
	s_cmp_gt_i32 s39, 24
	s_cbranch_scc0 .LBB214_684
; %bb.677:
	v_xor_b32_e32 v5, v0, v1
	v_ffbh_i32_e32 v4, v1
	v_ashrrev_i32_e32 v5, 31, v5
	v_add_u32_e32 v4, -1, v4
	v_add_u32_e32 v5, 32, v5
	v_min_u32_e32 v6, v4, v5
	v_lshlrev_b64 v[4:5], v6, v[0:1]
	s_mov_b32 s28, 0x47800000
	v_min_u32_e32 v4, 1, v4
	v_or_b32_e32 v4, v5, v4
	v_cvt_f32_i32_e32 v4, v4
	v_sub_u32_e32 v5, 32, v6
	v_mov_b32_e32 v6, 0x80
	v_ldexp_f32 v4, v4, v5
	v_and_b32_e32 v5, 0x7fffffff, v4
	v_cmp_gt_u32_e32 vcc, s28, v5
	s_and_saveexec_b64 s[28:29], vcc
	s_cbranch_execz .LBB214_683
; %bb.678:
	s_mov_b32 s34, 0x37ffffff
	v_cmp_lt_u32_e32 vcc, s34, v5
	s_mov_b64 s[34:35], 0
                                        ; implicit-def: $vgpr5
	s_and_saveexec_b64 s[36:37], vcc
	s_xor_b64 s[36:37], exec, s[36:37]
	s_cbranch_execz .LBB214_900
; %bb.679:
	v_bfe_u32 v5, v4, 21, 1
	s_mov_b32 s40, 0x88fffff
	v_add3_u32 v5, v4, v5, s40
	s_mov_b64 s[34:35], exec
	v_lshrrev_b32_e32 v5, 21, v5
	s_andn2_saveexec_b64 s[36:37], s[36:37]
	s_cbranch_execnz .LBB214_901
.LBB214_680:
	s_or_b64 exec, exec, s[36:37]
	v_mov_b32_e32 v6, 0
	s_and_saveexec_b64 s[36:37], s[34:35]
.LBB214_681:
	v_lshrrev_b32_e32 v4, 24, v4
	s_movk_i32 s34, 0x80
	v_and_or_b32 v6, v4, s34, v5
.LBB214_682:
	s_or_b64 exec, exec, s[36:37]
.LBB214_683:
	s_or_b64 exec, exec, s[28:29]
	s_mov_b64 s[28:29], 0
	global_store_byte v[2:3], v6, off
.LBB214_684:
	s_and_b64 vcc, exec, s[28:29]
	s_cbranch_vccz .LBB214_694
; %bb.685:
	v_xor_b32_e32 v5, v0, v1
	v_ffbh_i32_e32 v4, v1
	v_ashrrev_i32_e32 v5, 31, v5
	v_add_u32_e32 v4, -1, v4
	v_add_u32_e32 v5, 32, v5
	v_min_u32_e32 v6, v4, v5
	v_lshlrev_b64 v[4:5], v6, v[0:1]
	s_mov_b32 s28, 0x43f00000
	v_min_u32_e32 v4, 1, v4
	v_or_b32_e32 v4, v5, v4
	v_cvt_f32_i32_e32 v4, v4
	v_sub_u32_e32 v5, 32, v6
	v_ldexp_f32 v4, v4, v5
	v_and_b32_e32 v6, 0x7fffffff, v4
	v_cmp_gt_u32_e32 vcc, s28, v6
                                        ; implicit-def: $vgpr5
	s_and_saveexec_b64 s[28:29], vcc
	s_xor_b64 s[28:29], exec, s[28:29]
	s_cbranch_execz .LBB214_691
; %bb.686:
	s_mov_b32 s34, 0x3c7fffff
	v_cmp_lt_u32_e32 vcc, s34, v6
                                        ; implicit-def: $vgpr5
	s_and_saveexec_b64 s[34:35], vcc
	s_xor_b64 s[34:35], exec, s[34:35]
; %bb.687:
	v_bfe_u32 v5, v4, 20, 1
	s_mov_b32 s36, 0x407ffff
	v_add3_u32 v5, v4, v5, s36
	v_lshrrev_b32_e32 v6, 20, v5
	v_and_b32_e32 v5, 0xff00000, v5
	s_mov_b32 s36, 0x7f00000
	v_mov_b32_e32 v7, 0x7e
	v_cmp_ne_u32_e32 vcc, s36, v5
	v_cndmask_b32_e32 v5, v7, v6, vcc
; %bb.688:
	s_andn2_saveexec_b64 s[34:35], s[34:35]
; %bb.689:
	s_mov_b32 s36, 0x46800000
	v_add_f32_e64 v5, |v4|, s36
; %bb.690:
	s_or_b64 exec, exec, s[34:35]
                                        ; implicit-def: $vgpr6
.LBB214_691:
	s_andn2_saveexec_b64 s[28:29], s[28:29]
; %bb.692:
	s_mov_b32 s34, 0x7f800000
	v_mov_b32_e32 v5, 0x7e
	v_mov_b32_e32 v7, 0x7f
	v_cmp_lt_u32_e32 vcc, s34, v6
	v_cndmask_b32_e32 v5, v5, v7, vcc
; %bb.693:
	s_or_b64 exec, exec, s[28:29]
	v_lshrrev_b32_e32 v4, 24, v4
	s_movk_i32 s28, 0x80
	v_and_or_b32 v4, v4, s28, v5
	global_store_byte v[2:3], v4, off
.LBB214_694:
	s_mov_b64 s[28:29], 0
.LBB214_695:
	s_andn2_b64 vcc, exec, s[28:29]
	s_cbranch_vccnz .LBB214_705
; %bb.696:
	v_xor_b32_e32 v5, v0, v1
	v_ffbh_i32_e32 v4, v1
	v_ashrrev_i32_e32 v5, 31, v5
	v_add_u32_e32 v4, -1, v4
	v_add_u32_e32 v5, 32, v5
	v_min_u32_e32 v6, v4, v5
	v_lshlrev_b64 v[4:5], v6, v[0:1]
	s_mov_b32 s28, 0x47800000
	v_min_u32_e32 v4, 1, v4
	v_or_b32_e32 v4, v5, v4
	v_cvt_f32_i32_e32 v4, v4
	v_sub_u32_e32 v5, 32, v6
	v_ldexp_f32 v4, v4, v5
	v_and_b32_e32 v6, 0x7fffffff, v4
	v_cmp_gt_u32_e32 vcc, s28, v6
                                        ; implicit-def: $vgpr5
	s_and_saveexec_b64 s[28:29], vcc
	s_xor_b64 s[28:29], exec, s[28:29]
	s_cbranch_execz .LBB214_702
; %bb.697:
	s_mov_b32 s34, 0x387fffff
	v_cmp_lt_u32_e32 vcc, s34, v6
                                        ; implicit-def: $vgpr5
	s_and_saveexec_b64 s[34:35], vcc
	s_xor_b64 s[34:35], exec, s[34:35]
; %bb.698:
	v_bfe_u32 v5, v4, 21, 1
	s_mov_b32 s36, 0x80fffff
	v_add3_u32 v5, v4, v5, s36
	v_lshrrev_b32_e32 v5, 21, v5
; %bb.699:
	s_andn2_saveexec_b64 s[34:35], s[34:35]
; %bb.700:
	s_mov_b32 s36, 0x43000000
	v_add_f32_e64 v5, |v4|, s36
; %bb.701:
	s_or_b64 exec, exec, s[34:35]
                                        ; implicit-def: $vgpr6
.LBB214_702:
	s_andn2_saveexec_b64 s[28:29], s[28:29]
; %bb.703:
	s_mov_b32 s34, 0x7f800000
	v_mov_b32_e32 v5, 0x7c
	v_mov_b32_e32 v7, 0x7f
	v_cmp_lt_u32_e32 vcc, s34, v6
	v_cndmask_b32_e32 v5, v5, v7, vcc
; %bb.704:
	s_or_b64 exec, exec, s[28:29]
	v_lshrrev_b32_e32 v4, 24, v4
	s_movk_i32 s28, 0x80
	v_and_or_b32 v4, v4, s28, v5
	global_store_byte v[2:3], v4, off
.LBB214_705:
	s_mov_b64 s[34:35], 0
	s_mov_b64 s[28:29], -1
.LBB214_706:
	s_andn2_b64 vcc, exec, s[34:35]
	s_cbranch_vccnz .LBB214_714
; %bb.707:
	s_cmp_gt_i32 s39, 14
	s_mov_b64 s[34:35], -1
	s_cbranch_scc0 .LBB214_711
; %bb.708:
	s_cmp_eq_u32 s39, 15
	s_mov_b64 s[0:1], -1
	s_cbranch_scc0 .LBB214_710
; %bb.709:
	v_xor_b32_e32 v5, v0, v1
	v_ffbh_i32_e32 v4, v1
	v_ashrrev_i32_e32 v5, 31, v5
	v_add_u32_e32 v4, -1, v4
	v_add_u32_e32 v5, 32, v5
	v_min_u32_e32 v6, v4, v5
	v_lshlrev_b64 v[4:5], v6, v[0:1]
	s_movk_i32 s0, 0x7fff
	v_min_u32_e32 v4, 1, v4
	v_or_b32_e32 v4, v5, v4
	v_cvt_f32_i32_e32 v4, v4
	v_sub_u32_e32 v5, 32, v6
	s_mov_b64 s[28:29], -1
	v_ldexp_f32 v4, v4, v5
	v_bfe_u32 v5, v4, 16, 1
	v_add3_u32 v4, v4, v5, s0
	global_store_short_d16_hi v[2:3], v4, off
	s_mov_b64 s[0:1], 0
.LBB214_710:
	s_mov_b64 s[34:35], 0
.LBB214_711:
	s_and_b64 vcc, exec, s[34:35]
	s_cbranch_vccz .LBB214_714
; %bb.712:
	s_cmp_eq_u32 s39, 11
	s_mov_b64 s[0:1], -1
	s_cbranch_scc0 .LBB214_714
; %bb.713:
	v_cmp_ne_u64_e32 vcc, 0, v[0:1]
	s_mov_b64 s[0:1], 0
	v_cndmask_b32_e64 v4, 0, 1, vcc
	s_mov_b64 s[28:29], -1
	global_store_byte v[2:3], v4, off
.LBB214_714:
	s_mov_b64 s[34:35], 0
.LBB214_715:
	s_and_b64 vcc, exec, s[34:35]
	s_cbranch_vccz .LBB214_754
; %bb.716:
	s_and_b32 s34, 0xffff, s38
	s_cmp_lt_i32 s34, 5
	s_mov_b64 s[28:29], -1
	s_cbranch_scc1 .LBB214_737
; %bb.717:
	s_cmp_lt_i32 s34, 8
	s_cbranch_scc1 .LBB214_727
; %bb.718:
	s_cmp_lt_i32 s34, 9
	s_cbranch_scc1 .LBB214_724
; %bb.719:
	s_cmp_gt_i32 s34, 9
	s_cbranch_scc0 .LBB214_721
; %bb.720:
	v_cvt_f64_i32_e32 v[4:5], v1
	v_cvt_f64_u32_e32 v[6:7], v0
	s_mov_b64 s[28:29], 0
	v_ldexp_f64 v[4:5], v[4:5], 32
	v_add_f64 v[4:5], v[4:5], v[6:7]
	v_mov_b32_e32 v6, 0
	v_mov_b32_e32 v7, v6
	global_store_dwordx4 v[2:3], v[4:7], off
.LBB214_721:
	s_andn2_b64 vcc, exec, s[28:29]
	s_cbranch_vccnz .LBB214_723
; %bb.722:
	v_xor_b32_e32 v5, v0, v1
	v_ffbh_i32_e32 v4, v1
	v_ashrrev_i32_e32 v5, 31, v5
	v_add_u32_e32 v4, -1, v4
	v_add_u32_e32 v5, 32, v5
	v_min_u32_e32 v6, v4, v5
	v_lshlrev_b64 v[4:5], v6, v[0:1]
	v_min_u32_e32 v4, 1, v4
	v_or_b32_e32 v4, v5, v4
	v_cvt_f32_i32_e32 v4, v4
	v_sub_u32_e32 v5, 32, v6
	v_ldexp_f32 v4, v4, v5
	v_mov_b32_e32 v5, 0
	global_store_dwordx2 v[2:3], v[4:5], off
.LBB214_723:
	s_mov_b64 s[28:29], 0
.LBB214_724:
	s_andn2_b64 vcc, exec, s[28:29]
	s_cbranch_vccnz .LBB214_726
; %bb.725:
	v_xor_b32_e32 v5, v0, v1
	v_ffbh_i32_e32 v4, v1
	v_ashrrev_i32_e32 v5, 31, v5
	v_add_u32_e32 v4, -1, v4
	v_add_u32_e32 v5, 32, v5
	v_min_u32_e32 v6, v4, v5
	v_lshlrev_b64 v[4:5], v6, v[0:1]
	v_min_u32_e32 v4, 1, v4
	v_or_b32_e32 v4, v5, v4
	v_cvt_f32_i32_e32 v4, v4
	v_sub_u32_e32 v5, 32, v6
	v_ldexp_f32 v4, v4, v5
	v_cvt_f16_f32_e32 v4, v4
	global_store_dword v[2:3], v4, off
.LBB214_726:
	s_mov_b64 s[28:29], 0
.LBB214_727:
	s_andn2_b64 vcc, exec, s[28:29]
	s_cbranch_vccnz .LBB214_736
; %bb.728:
	s_cmp_lt_i32 s34, 6
	s_mov_b64 s[28:29], -1
	s_cbranch_scc1 .LBB214_734
; %bb.729:
	s_cmp_gt_i32 s34, 6
	s_cbranch_scc0 .LBB214_731
; %bb.730:
	v_cvt_f64_i32_e32 v[4:5], v1
	v_cvt_f64_u32_e32 v[6:7], v0
	s_mov_b64 s[28:29], 0
	v_ldexp_f64 v[4:5], v[4:5], 32
	v_add_f64 v[4:5], v[4:5], v[6:7]
	global_store_dwordx2 v[2:3], v[4:5], off
.LBB214_731:
	s_andn2_b64 vcc, exec, s[28:29]
	s_cbranch_vccnz .LBB214_733
; %bb.732:
	v_xor_b32_e32 v5, v0, v1
	v_ffbh_i32_e32 v4, v1
	v_ashrrev_i32_e32 v5, 31, v5
	v_add_u32_e32 v4, -1, v4
	v_add_u32_e32 v5, 32, v5
	v_min_u32_e32 v6, v4, v5
	v_lshlrev_b64 v[4:5], v6, v[0:1]
	v_min_u32_e32 v4, 1, v4
	v_or_b32_e32 v4, v5, v4
	v_cvt_f32_i32_e32 v4, v4
	v_sub_u32_e32 v5, 32, v6
	v_ldexp_f32 v4, v4, v5
	global_store_dword v[2:3], v4, off
.LBB214_733:
	s_mov_b64 s[28:29], 0
.LBB214_734:
	s_andn2_b64 vcc, exec, s[28:29]
	s_cbranch_vccnz .LBB214_736
; %bb.735:
	v_xor_b32_e32 v5, v0, v1
	v_ffbh_i32_e32 v4, v1
	v_ashrrev_i32_e32 v5, 31, v5
	v_add_u32_e32 v4, -1, v4
	v_add_u32_e32 v5, 32, v5
	v_min_u32_e32 v6, v4, v5
	v_lshlrev_b64 v[4:5], v6, v[0:1]
	v_min_u32_e32 v4, 1, v4
	v_or_b32_e32 v4, v5, v4
	v_cvt_f32_i32_e32 v4, v4
	v_sub_u32_e32 v5, 32, v6
	v_ldexp_f32 v4, v4, v5
	v_cvt_f16_f32_e32 v4, v4
	global_store_short v[2:3], v4, off
.LBB214_736:
	s_mov_b64 s[28:29], 0
.LBB214_737:
	s_andn2_b64 vcc, exec, s[28:29]
	s_cbranch_vccnz .LBB214_753
; %bb.738:
	s_cmp_lt_i32 s34, 2
	s_mov_b64 s[28:29], -1
	s_cbranch_scc1 .LBB214_748
; %bb.739:
	s_cmp_lt_i32 s34, 3
	s_cbranch_scc1 .LBB214_745
; %bb.740:
	s_cmp_gt_i32 s34, 3
	s_cbranch_scc0 .LBB214_742
; %bb.741:
	s_mov_b64 s[28:29], 0
	global_store_dwordx2 v[2:3], v[0:1], off
.LBB214_742:
	s_andn2_b64 vcc, exec, s[28:29]
	s_cbranch_vccnz .LBB214_744
; %bb.743:
	global_store_dword v[2:3], v0, off
.LBB214_744:
	s_mov_b64 s[28:29], 0
.LBB214_745:
	s_andn2_b64 vcc, exec, s[28:29]
	s_cbranch_vccnz .LBB214_747
; %bb.746:
	global_store_short v[2:3], v0, off
.LBB214_747:
	s_mov_b64 s[28:29], 0
.LBB214_748:
	s_andn2_b64 vcc, exec, s[28:29]
	s_cbranch_vccnz .LBB214_753
; %bb.749:
	s_cmp_gt_i32 s34, 0
	s_mov_b64 s[28:29], -1
	s_cbranch_scc0 .LBB214_751
; %bb.750:
	s_mov_b64 s[28:29], 0
	global_store_byte v[2:3], v0, off
.LBB214_751:
	s_andn2_b64 vcc, exec, s[28:29]
	s_cbranch_vccnz .LBB214_753
; %bb.752:
	global_store_byte v[2:3], v0, off
.LBB214_753:
	s_mov_b64 s[28:29], -1
.LBB214_754:
	s_andn2_b64 vcc, exec, s[28:29]
	s_cbranch_vccnz .LBB214_767
; %bb.755:
	v_add_u32_e32 v18, 0x80, v18
	s_mov_b64 s[34:35], -1
.LBB214_756:
	s_andn2_b64 s[28:29], s[6:7], exec
	s_and_b64 s[0:1], s[0:1], exec
	s_or_b64 s[28:29], s[28:29], s[0:1]
	s_andn2_b64 s[0:1], s[18:19], exec
	s_and_b64 s[26:27], s[26:27], exec
	s_or_b64 s[26:27], s[0:1], s[26:27]
	;; [unrolled: 3-line block ×3, first 2 shown]
	s_orn2_b64 s[0:1], s[34:35], exec
.LBB214_757:
	s_or_b64 exec, exec, s[30:31]
	s_mov_b64 s[34:35], 0
	s_mov_b64 s[36:37], 0
	;; [unrolled: 1-line block ×3, first 2 shown]
                                        ; implicit-def: $sgpr55
                                        ; implicit-def: $vgpr2_vgpr3
                                        ; implicit-def: $vgpr0_vgpr1
	s_and_saveexec_b64 s[30:31], s[0:1]
	s_cbranch_execz .LBB214_1219
; %bb.758:
	v_cmp_gt_i32_e32 vcc, s48, v18
	s_mov_b64 s[46:47], -1
	s_mov_b64 s[0:1], s[24:25]
	s_mov_b64 s[38:39], s[26:27]
	;; [unrolled: 1-line block ×3, first 2 shown]
	s_and_saveexec_b64 s[34:35], vcc
	s_cbranch_execz .LBB214_1138
; %bb.759:
	s_waitcnt vmcnt(0)
	v_mul_lo_u32 v0, v18, s13
	v_mov_b32_e32 v1, s11
	s_and_b32 s40, s54, 0xff
	s_cmp_lt_i32 s40, 11
	v_ashrrev_i32_e32 v3, 31, v0
	v_add_co_u32_e32 v2, vcc, s10, v0
	v_addc_co_u32_e32 v3, vcc, v1, v3, vcc
	s_cbranch_scc1 .LBB214_766
; %bb.760:
	s_and_b32 s41, 0xffff, s40
	s_cmp_gt_i32 s41, 25
	s_cbranch_scc0 .LBB214_768
; %bb.761:
	s_cmp_gt_i32 s41, 28
	s_cbranch_scc0 .LBB214_769
; %bb.762:
	;; [unrolled: 3-line block ×4, first 2 shown]
	s_cmp_eq_u32 s41, 46
	s_mov_b64 s[38:39], 0
	s_cbranch_scc0 .LBB214_774
; %bb.765:
	global_load_dword v0, v[2:3], off
	s_mov_b32 s0, 0x2f800000
	s_mov_b32 s1, 0xcf800000
	s_waitcnt vmcnt(0)
	v_lshlrev_b32_e32 v0, 16, v0
	v_trunc_f32_e32 v0, v0
	v_mul_f32_e64 v1, |v0|, s0
	v_floor_f32_e32 v1, v1
	v_fma_f32 v4, v1, s1, |v0|
	v_cvt_u32_f32_e32 v4, v4
	v_cvt_u32_f32_e32 v1, v1
	v_ashrrev_i32_e32 v5, 31, v0
	s_mov_b64 s[0:1], -1
	v_xor_b32_e32 v0, v4, v5
	v_xor_b32_e32 v1, v1, v5
	v_sub_co_u32_e32 v0, vcc, v0, v5
	v_subb_co_u32_e32 v1, vcc, v1, v5, vcc
	s_branch .LBB214_775
.LBB214_766:
	s_mov_b64 s[38:39], -1
	s_mov_b64 s[0:1], 0
                                        ; implicit-def: $vgpr0_vgpr1
	s_mov_b64 s[36:37], s[24:25]
	s_branch .LBB214_836
.LBB214_767:
	s_mov_b64 s[34:35], 0
	s_branch .LBB214_518
.LBB214_768:
	s_mov_b64 s[38:39], -1
	s_mov_b64 s[0:1], 0
	s_mov_b64 s[36:37], s[24:25]
                                        ; implicit-def: $vgpr0_vgpr1
	s_branch .LBB214_804
.LBB214_769:
	s_mov_b64 s[38:39], -1
	s_mov_b64 s[0:1], 0
	s_mov_b64 s[36:37], s[24:25]
                                        ; implicit-def: $vgpr0_vgpr1
	s_branch .LBB214_785
.LBB214_770:
	s_mov_b64 s[38:39], -1
	s_mov_b64 s[0:1], 0
	s_mov_b64 s[36:37], s[24:25]
                                        ; implicit-def: $vgpr0_vgpr1
	s_branch .LBB214_780
.LBB214_771:
	s_mov_b64 s[38:39], -1
	s_mov_b64 s[0:1], 0
	s_mov_b64 s[36:37], s[24:25]
                                        ; implicit-def: $vgpr0_vgpr1
	s_branch .LBB214_775
.LBB214_772:
	s_andn2_saveexec_b64 s[36:37], s[36:37]
	s_cbranch_execz .LBB214_667
.LBB214_773:
	s_mov_b32 s40, 0x46000000
	v_add_f32_e64 v5, |v4|, s40
	v_and_b32_e32 v5, 0xff, v5
	v_cmp_ne_u32_e32 vcc, 0, v5
	s_andn2_b64 s[34:35], s[34:35], exec
	s_and_b64 s[40:41], vcc, exec
	s_or_b64 s[34:35], s[34:35], s[40:41]
	s_or_b64 exec, exec, s[36:37]
	v_mov_b32_e32 v6, 0
	s_and_saveexec_b64 s[36:37], s[34:35]
	s_cbranch_execnz .LBB214_668
	s_branch .LBB214_669
.LBB214_774:
	s_mov_b64 s[36:37], -1
                                        ; implicit-def: $vgpr0_vgpr1
	s_mov_b64 s[0:1], 0
.LBB214_775:
	s_and_b64 vcc, exec, s[38:39]
	s_cbranch_vccz .LBB214_779
; %bb.776:
	s_cmp_eq_u32 s41, 44
	s_cbranch_scc0 .LBB214_778
; %bb.777:
	global_load_ubyte v0, v[2:3], off
	s_mov_b32 s0, 0x2f800000
	s_mov_b32 s1, 0xcf800000
	s_mov_b64 s[36:37], 0
	s_waitcnt vmcnt(0)
	v_lshlrev_b32_e32 v1, 23, v0
	v_trunc_f32_e32 v1, v1
	v_mul_f32_e64 v4, |v1|, s0
	v_floor_f32_e32 v4, v4
	v_fma_f32 v5, v4, s1, |v1|
	v_cvt_u32_f32_e32 v5, v5
	v_cvt_u32_f32_e32 v4, v4
	v_ashrrev_i32_e32 v1, 31, v1
	s_mov_b64 s[0:1], -1
	v_xor_b32_e32 v5, v5, v1
	v_xor_b32_e32 v4, v4, v1
	v_sub_co_u32_e32 v5, vcc, v5, v1
	v_subb_co_u32_e32 v1, vcc, v4, v1, vcc
	v_cmp_ne_u32_e32 vcc, 0, v0
	v_cndmask_b32_e32 v1, 0, v1, vcc
	v_cndmask_b32_e32 v0, 0, v5, vcc
	s_branch .LBB214_779
.LBB214_778:
	s_mov_b64 s[36:37], -1
                                        ; implicit-def: $vgpr0_vgpr1
.LBB214_779:
	s_mov_b64 s[38:39], 0
.LBB214_780:
	s_and_b64 vcc, exec, s[38:39]
	s_cbranch_vccz .LBB214_784
; %bb.781:
	s_cmp_eq_u32 s41, 29
	s_cbranch_scc0 .LBB214_783
; %bb.782:
	global_load_dwordx2 v[0:1], v[2:3], off
	s_mov_b64 s[0:1], -1
	s_mov_b64 s[36:37], 0
	s_branch .LBB214_784
.LBB214_783:
	s_mov_b64 s[36:37], -1
                                        ; implicit-def: $vgpr0_vgpr1
.LBB214_784:
	s_mov_b64 s[38:39], 0
.LBB214_785:
	s_and_b64 vcc, exec, s[38:39]
	s_cbranch_vccz .LBB214_803
; %bb.786:
	s_cmp_lt_i32 s41, 27
	s_cbranch_scc1 .LBB214_789
; %bb.787:
	s_cmp_gt_i32 s41, 27
	s_cbranch_scc0 .LBB214_790
; %bb.788:
	global_load_dword v0, v[2:3], off
	s_waitcnt vmcnt(1)
	v_mov_b32_e32 v1, 0
	s_mov_b64 s[0:1], 0
	s_branch .LBB214_791
.LBB214_789:
	s_mov_b64 s[0:1], -1
                                        ; implicit-def: $vgpr0_vgpr1
	s_branch .LBB214_794
.LBB214_790:
	s_mov_b64 s[0:1], -1
                                        ; implicit-def: $vgpr0_vgpr1
.LBB214_791:
	s_andn2_b64 vcc, exec, s[0:1]
	s_cbranch_vccnz .LBB214_793
; %bb.792:
	global_load_ushort v0, v[2:3], off
	s_mov_b32 s0, 0
	s_waitcnt vmcnt(1)
	v_mov_b32_e32 v1, s0
	s_waitcnt vmcnt(0)
	v_and_b32_e32 v0, 0xffff, v0
.LBB214_793:
	s_mov_b64 s[0:1], 0
.LBB214_794:
	s_andn2_b64 vcc, exec, s[0:1]
	s_cbranch_vccnz .LBB214_802
; %bb.795:
	global_load_ubyte v4, v[2:3], off
	s_movk_i32 s0, 0x7f
	s_mov_b64 s[38:39], 0
	s_waitcnt vmcnt(0)
	v_cmp_lt_i16_e32 vcc, s0, v4
	s_and_saveexec_b64 s[0:1], vcc
	s_xor_b64 s[0:1], exec, s[0:1]
; %bb.796:
	s_movk_i32 s38, 0x80
	v_cmp_ne_u16_e32 vcc, s38, v4
	s_and_b64 s[38:39], vcc, exec
; %bb.797:
	s_andn2_saveexec_b64 s[0:1], s[0:1]
; %bb.798:
	v_cmp_ne_u16_e32 vcc, 0, v4
	s_andn2_b64 s[38:39], s[38:39], exec
	s_and_b64 s[42:43], vcc, exec
	s_or_b64 s[38:39], s[38:39], s[42:43]
; %bb.799:
	s_or_b64 exec, exec, s[0:1]
	v_mov_b32_e32 v0, 0
	v_mov_b32_e32 v1, 0
	s_and_saveexec_b64 s[0:1], s[38:39]
	s_cbranch_execz .LBB214_801
; %bb.800:
	v_and_b32_e32 v1, 0xffff, v4
	v_lshlrev_b32_e32 v0, 24, v4
	v_and_b32_e32 v4, 7, v1
	v_ffbh_u32_e32 v6, v4
	v_min_u32_e32 v6, 32, v6
	v_subrev_u32_e32 v7, 28, v6
	v_bfe_u32 v5, v1, 3, 4
	v_lshlrev_b32_e32 v1, v7, v1
	v_sub_u32_e32 v6, 29, v6
	v_and_b32_e32 v1, 7, v1
	v_cmp_eq_u32_e32 vcc, 0, v5
	v_cndmask_b32_e32 v5, v5, v6, vcc
	v_cndmask_b32_e32 v1, v4, v1, vcc
	v_mov_b32_e32 v4, 0x3b800000
	v_lshlrev_b32_e32 v1, 20, v1
	v_and_b32_e32 v0, 0x80000000, v0
	v_lshl_add_u32 v4, v5, 23, v4
	v_or3_b32 v0, v0, v4, v1
	v_trunc_f32_e32 v0, v0
	s_mov_b32 s38, 0x2f800000
	v_mul_f32_e64 v1, |v0|, s38
	v_floor_f32_e32 v1, v1
	s_mov_b32 s38, 0xcf800000
	v_fma_f32 v4, v1, s38, |v0|
	v_cvt_u32_f32_e32 v4, v4
	v_cvt_u32_f32_e32 v1, v1
	v_ashrrev_i32_e32 v5, 31, v0
	v_xor_b32_e32 v0, v4, v5
	v_xor_b32_e32 v1, v1, v5
	v_sub_co_u32_e32 v0, vcc, v0, v5
	v_subb_co_u32_e32 v1, vcc, v1, v5, vcc
.LBB214_801:
	s_or_b64 exec, exec, s[0:1]
.LBB214_802:
	s_mov_b64 s[0:1], -1
.LBB214_803:
	s_mov_b64 s[38:39], 0
.LBB214_804:
	s_and_b64 vcc, exec, s[38:39]
	s_cbranch_vccz .LBB214_835
; %bb.805:
	s_cmp_gt_i32 s41, 22
	s_cbranch_scc0 .LBB214_815
; %bb.806:
	s_cmp_lt_i32 s41, 24
	s_cbranch_scc1 .LBB214_816
; %bb.807:
	s_cmp_gt_i32 s41, 24
	s_cbranch_scc0 .LBB214_817
; %bb.808:
	global_load_ubyte v4, v[2:3], off
	s_movk_i32 s0, 0x7f
	s_mov_b64 s[38:39], 0
	s_waitcnt vmcnt(0)
	v_cmp_lt_i16_e32 vcc, s0, v4
	s_and_saveexec_b64 s[0:1], vcc
	s_xor_b64 s[0:1], exec, s[0:1]
; %bb.809:
	s_movk_i32 s38, 0x80
	v_cmp_ne_u16_e32 vcc, s38, v4
	s_and_b64 s[38:39], vcc, exec
; %bb.810:
	s_andn2_saveexec_b64 s[0:1], s[0:1]
; %bb.811:
	v_cmp_ne_u16_e32 vcc, 0, v4
	s_andn2_b64 s[38:39], s[38:39], exec
	s_and_b64 s[42:43], vcc, exec
	s_or_b64 s[38:39], s[38:39], s[42:43]
; %bb.812:
	s_or_b64 exec, exec, s[0:1]
	v_mov_b32_e32 v0, 0
	v_mov_b32_e32 v1, 0
	s_and_saveexec_b64 s[0:1], s[38:39]
	s_cbranch_execz .LBB214_814
; %bb.813:
	v_and_b32_e32 v1, 0xffff, v4
	v_lshlrev_b32_e32 v0, 24, v4
	v_and_b32_e32 v4, 3, v1
	v_ffbh_u32_e32 v6, v4
	v_min_u32_e32 v6, 32, v6
	v_subrev_u32_e32 v7, 29, v6
	v_bfe_u32 v5, v1, 2, 5
	v_lshlrev_b32_e32 v1, v7, v1
	v_sub_u32_e32 v6, 30, v6
	v_and_b32_e32 v1, 3, v1
	v_cmp_eq_u32_e32 vcc, 0, v5
	v_cndmask_b32_e32 v5, v5, v6, vcc
	v_cndmask_b32_e32 v1, v4, v1, vcc
	v_mov_b32_e32 v4, 0x37800000
	v_lshlrev_b32_e32 v1, 21, v1
	v_and_b32_e32 v0, 0x80000000, v0
	v_lshl_add_u32 v4, v5, 23, v4
	v_or3_b32 v0, v0, v4, v1
	v_trunc_f32_e32 v0, v0
	s_mov_b32 s38, 0x2f800000
	v_mul_f32_e64 v1, |v0|, s38
	v_floor_f32_e32 v1, v1
	s_mov_b32 s38, 0xcf800000
	v_fma_f32 v4, v1, s38, |v0|
	v_cvt_u32_f32_e32 v4, v4
	v_cvt_u32_f32_e32 v1, v1
	v_ashrrev_i32_e32 v5, 31, v0
	v_xor_b32_e32 v0, v4, v5
	v_xor_b32_e32 v1, v1, v5
	v_sub_co_u32_e32 v0, vcc, v0, v5
	v_subb_co_u32_e32 v1, vcc, v1, v5, vcc
.LBB214_814:
	s_or_b64 exec, exec, s[0:1]
	s_mov_b64 s[0:1], 0
	s_branch .LBB214_818
.LBB214_815:
	s_mov_b64 s[38:39], -1
                                        ; implicit-def: $vgpr0_vgpr1
	s_branch .LBB214_824
.LBB214_816:
	s_mov_b64 s[0:1], -1
                                        ; implicit-def: $vgpr0_vgpr1
	s_branch .LBB214_821
.LBB214_817:
	s_mov_b64 s[0:1], -1
                                        ; implicit-def: $vgpr0_vgpr1
.LBB214_818:
	s_and_b64 vcc, exec, s[0:1]
	s_cbranch_vccz .LBB214_820
; %bb.819:
	global_load_ubyte v0, v[2:3], off
	s_mov_b32 s0, 0x7f800000
	s_brev_b32 s1, 1
	s_mov_b32 s38, 0x2f800000
	s_mov_b32 s39, 0xcf800000
	s_waitcnt vmcnt(0)
	v_lshlrev_b32_e32 v0, 24, v0
	v_and_b32_e32 v1, 0x7f000000, v0
	v_ffbh_u32_e32 v4, v1
	v_min_u32_e32 v4, 32, v4
	v_sub_u32_e64 v4, v4, 4 clamp
	v_lshlrev_b32_e32 v6, v4, v1
	v_lshlrev_b32_e32 v4, 23, v4
	v_lshrrev_b32_e32 v6, 4, v6
	v_add_u32_e32 v5, 0x1000000, v1
	v_sub_u32_e32 v4, v6, v4
	v_ashrrev_i32_e32 v5, 8, v5
	v_add_u32_e32 v4, 0x3c000000, v4
	v_and_or_b32 v4, v5, s0, v4
	v_cmp_ne_u32_e32 vcc, 0, v1
	v_cndmask_b32_e32 v1, 0, v4, vcc
	v_and_or_b32 v0, v0, s1, v1
	v_trunc_f32_e32 v0, v0
	v_mul_f32_e64 v1, |v0|, s38
	v_floor_f32_e32 v1, v1
	v_fma_f32 v4, v1, s39, |v0|
	v_cvt_u32_f32_e32 v4, v4
	v_cvt_u32_f32_e32 v1, v1
	v_ashrrev_i32_e32 v5, 31, v0
	v_xor_b32_e32 v0, v4, v5
	v_xor_b32_e32 v1, v1, v5
	v_sub_co_u32_e32 v0, vcc, v0, v5
	v_subb_co_u32_e32 v1, vcc, v1, v5, vcc
.LBB214_820:
	s_mov_b64 s[0:1], 0
.LBB214_821:
	s_andn2_b64 vcc, exec, s[0:1]
	s_cbranch_vccnz .LBB214_823
; %bb.822:
	global_load_ubyte v0, v[2:3], off
	s_movk_i32 s0, 0x7f00
	s_brev_b32 s1, 16
	s_brev_b32 s38, 1
	s_mov_b32 s39, 0x2f800000
	s_mov_b32 s42, 0xcf800000
	s_waitcnt vmcnt(0)
	v_lshlrev_b16_e32 v1, 8, v0
	v_lshlrev_b32_e32 v0, 25, v0
	v_lshrrev_b32_e32 v4, 4, v0
	v_and_or_b32 v5, v1, s0, 0.5
	v_or_b32_e32 v4, 0x70000000, v4
	v_add_f32_e32 v5, -0.5, v5
	v_mul_f32_e32 v4, 0x7800000, v4
	v_cmp_gt_u32_e32 vcc, s1, v0
	v_bfe_i32 v1, v1, 0, 16
	v_cndmask_b32_e32 v0, v4, v5, vcc
	v_and_or_b32 v0, v1, s38, v0
	v_trunc_f32_e32 v0, v0
	v_mul_f32_e64 v1, |v0|, s39
	v_floor_f32_e32 v1, v1
	v_fma_f32 v4, v1, s42, |v0|
	v_cvt_u32_f32_e32 v4, v4
	v_cvt_u32_f32_e32 v1, v1
	v_ashrrev_i32_e32 v5, 31, v0
	v_xor_b32_e32 v0, v4, v5
	v_xor_b32_e32 v1, v1, v5
	v_sub_co_u32_e32 v0, vcc, v0, v5
	v_subb_co_u32_e32 v1, vcc, v1, v5, vcc
.LBB214_823:
	s_mov_b64 s[38:39], 0
	s_mov_b64 s[0:1], -1
.LBB214_824:
	s_andn2_b64 vcc, exec, s[38:39]
	s_cbranch_vccnz .LBB214_835
; %bb.825:
	s_cmp_gt_i32 s41, 14
	s_cbranch_scc0 .LBB214_828
; %bb.826:
	s_cmp_eq_u32 s41, 15
	s_cbranch_scc0 .LBB214_829
; %bb.827:
	global_load_ushort v0, v[2:3], off
	s_mov_b32 s0, 0x2f800000
	s_mov_b32 s1, 0xcf800000
	s_mov_b64 s[36:37], 0
	s_waitcnt vmcnt(0)
	v_lshlrev_b32_e32 v0, 16, v0
	v_trunc_f32_e32 v0, v0
	v_mul_f32_e64 v1, |v0|, s0
	v_floor_f32_e32 v1, v1
	v_fma_f32 v4, v1, s1, |v0|
	v_cvt_u32_f32_e32 v4, v4
	v_cvt_u32_f32_e32 v1, v1
	v_ashrrev_i32_e32 v5, 31, v0
	s_mov_b64 s[0:1], -1
	v_xor_b32_e32 v0, v4, v5
	v_xor_b32_e32 v1, v1, v5
	v_sub_co_u32_e32 v0, vcc, v0, v5
	v_subb_co_u32_e32 v1, vcc, v1, v5, vcc
	s_branch .LBB214_830
.LBB214_828:
	s_mov_b64 s[38:39], -1
                                        ; implicit-def: $vgpr0_vgpr1
	s_branch .LBB214_831
.LBB214_829:
	s_mov_b64 s[36:37], -1
                                        ; implicit-def: $vgpr0_vgpr1
.LBB214_830:
	s_mov_b64 s[38:39], 0
.LBB214_831:
	s_and_b64 vcc, exec, s[38:39]
	s_cbranch_vccz .LBB214_835
; %bb.832:
	s_cmp_eq_u32 s41, 11
	s_cbranch_scc0 .LBB214_834
; %bb.833:
	global_load_ubyte v0, v[2:3], off
	s_mov_b32 s36, 0
	s_mov_b64 s[0:1], -1
	s_waitcnt vmcnt(1)
	v_mov_b32_e32 v1, s36
	s_mov_b64 s[36:37], 0
	s_waitcnt vmcnt(0)
	v_cmp_ne_u16_e32 vcc, 0, v0
	v_cndmask_b32_e64 v0, 0, 1, vcc
	s_branch .LBB214_835
.LBB214_834:
	s_mov_b64 s[36:37], -1
                                        ; implicit-def: $vgpr0_vgpr1
.LBB214_835:
	s_mov_b64 s[38:39], 0
.LBB214_836:
	s_and_b64 vcc, exec, s[38:39]
	s_cbranch_vccz .LBB214_885
; %bb.837:
	s_and_b32 s38, 0xffff, s40
	s_cmp_lt_i32 s38, 5
	s_cbranch_scc1 .LBB214_842
; %bb.838:
	s_cmp_lt_i32 s38, 8
	s_cbranch_scc1 .LBB214_843
; %bb.839:
	;; [unrolled: 3-line block ×3, first 2 shown]
	s_cmp_gt_i32 s38, 9
	s_cbranch_scc0 .LBB214_845
; %bb.841:
	global_load_dwordx2 v[0:1], v[2:3], off
	s_movk_i32 s0, 0xffe0
	s_waitcnt vmcnt(0)
	v_trunc_f64_e32 v[0:1], v[0:1]
	v_ldexp_f64 v[4:5], v[0:1], s0
	s_mov_b32 s0, 0
	s_mov_b32 s1, 0xc1f00000
	v_floor_f64_e32 v[4:5], v[4:5]
	v_fma_f64 v[6:7], v[4:5], s[0:1], v[0:1]
	v_cvt_i32_f64_e32 v1, v[4:5]
	s_mov_b64 s[0:1], 0
	v_cvt_u32_f64_e32 v0, v[6:7]
	s_branch .LBB214_846
.LBB214_842:
	s_mov_b64 s[0:1], -1
                                        ; implicit-def: $vgpr0_vgpr1
	s_branch .LBB214_864
.LBB214_843:
	s_mov_b64 s[0:1], -1
                                        ; implicit-def: $vgpr0_vgpr1
	s_branch .LBB214_852
.LBB214_844:
	s_mov_b64 s[0:1], -1
                                        ; implicit-def: $vgpr0_vgpr1
	s_branch .LBB214_849
.LBB214_845:
	s_mov_b64 s[0:1], -1
                                        ; implicit-def: $vgpr0_vgpr1
.LBB214_846:
	s_andn2_b64 vcc, exec, s[0:1]
	s_cbranch_vccnz .LBB214_848
; %bb.847:
	global_load_dword v0, v[2:3], off
	s_mov_b32 s0, 0x2f800000
	s_mov_b32 s1, 0xcf800000
	s_waitcnt vmcnt(0)
	v_trunc_f32_e32 v0, v0
	v_mul_f32_e64 v1, |v0|, s0
	v_floor_f32_e32 v1, v1
	v_cvt_u32_f32_e32 v4, v1
	v_fma_f32 v1, v1, s1, |v0|
	v_cvt_u32_f32_e32 v1, v1
	v_ashrrev_i32_e32 v5, 31, v0
	v_xor_b32_e32 v4, v4, v5
	v_xor_b32_e32 v0, v1, v5
	v_sub_co_u32_e32 v0, vcc, v0, v5
	v_subb_co_u32_e32 v1, vcc, v4, v5, vcc
.LBB214_848:
	s_mov_b64 s[0:1], 0
.LBB214_849:
	s_andn2_b64 vcc, exec, s[0:1]
	s_cbranch_vccnz .LBB214_851
; %bb.850:
	global_load_dword v0, v[2:3], off
	s_waitcnt vmcnt(0)
	v_cvt_f32_f16_e32 v0, v0
	v_cvt_i32_f32_e32 v0, v0
	v_ashrrev_i32_e32 v1, 31, v0
.LBB214_851:
	s_mov_b64 s[0:1], 0
.LBB214_852:
	s_andn2_b64 vcc, exec, s[0:1]
	s_cbranch_vccnz .LBB214_863
; %bb.853:
	s_cmp_lt_i32 s38, 6
	s_cbranch_scc1 .LBB214_856
; %bb.854:
	s_cmp_gt_i32 s38, 6
	s_cbranch_scc0 .LBB214_857
; %bb.855:
	global_load_dwordx2 v[0:1], v[2:3], off
	s_movk_i32 s0, 0xffe0
	s_waitcnt vmcnt(0)
	v_trunc_f64_e32 v[0:1], v[0:1]
	v_ldexp_f64 v[4:5], v[0:1], s0
	s_mov_b32 s0, 0
	s_mov_b32 s1, 0xc1f00000
	v_floor_f64_e32 v[4:5], v[4:5]
	v_fma_f64 v[6:7], v[4:5], s[0:1], v[0:1]
	v_cvt_i32_f64_e32 v1, v[4:5]
	s_mov_b64 s[0:1], 0
	v_cvt_u32_f64_e32 v0, v[6:7]
	s_branch .LBB214_858
.LBB214_856:
	s_mov_b64 s[0:1], -1
                                        ; implicit-def: $vgpr0_vgpr1
	s_branch .LBB214_861
.LBB214_857:
	s_mov_b64 s[0:1], -1
                                        ; implicit-def: $vgpr0_vgpr1
.LBB214_858:
	s_andn2_b64 vcc, exec, s[0:1]
	s_cbranch_vccnz .LBB214_860
; %bb.859:
	global_load_dword v0, v[2:3], off
	s_mov_b32 s0, 0x2f800000
	s_mov_b32 s1, 0xcf800000
	s_waitcnt vmcnt(0)
	v_trunc_f32_e32 v0, v0
	v_mul_f32_e64 v1, |v0|, s0
	v_floor_f32_e32 v1, v1
	v_cvt_u32_f32_e32 v4, v1
	v_fma_f32 v1, v1, s1, |v0|
	v_cvt_u32_f32_e32 v1, v1
	v_ashrrev_i32_e32 v5, 31, v0
	v_xor_b32_e32 v4, v4, v5
	v_xor_b32_e32 v0, v1, v5
	v_sub_co_u32_e32 v0, vcc, v0, v5
	v_subb_co_u32_e32 v1, vcc, v4, v5, vcc
.LBB214_860:
	s_mov_b64 s[0:1], 0
.LBB214_861:
	s_andn2_b64 vcc, exec, s[0:1]
	s_cbranch_vccnz .LBB214_863
; %bb.862:
	global_load_ushort v0, v[2:3], off
	s_waitcnt vmcnt(0)
	v_cvt_f32_f16_e32 v0, v0
	v_cvt_i32_f32_e32 v0, v0
	v_ashrrev_i32_e32 v1, 31, v0
.LBB214_863:
	s_mov_b64 s[0:1], 0
.LBB214_864:
	s_andn2_b64 vcc, exec, s[0:1]
	s_cbranch_vccnz .LBB214_884
; %bb.865:
	s_cmp_lt_i32 s38, 2
	s_cbranch_scc1 .LBB214_869
; %bb.866:
	s_cmp_lt_i32 s38, 3
	s_cbranch_scc1 .LBB214_870
; %bb.867:
	s_cmp_gt_i32 s38, 3
	s_cbranch_scc0 .LBB214_871
; %bb.868:
	global_load_dwordx2 v[0:1], v[2:3], off
	s_mov_b64 s[0:1], 0
	s_branch .LBB214_872
.LBB214_869:
	s_mov_b64 s[0:1], -1
                                        ; implicit-def: $vgpr0_vgpr1
	s_branch .LBB214_878
.LBB214_870:
	s_mov_b64 s[0:1], -1
                                        ; implicit-def: $vgpr0_vgpr1
	s_branch .LBB214_875
.LBB214_871:
	s_mov_b64 s[0:1], -1
                                        ; implicit-def: $vgpr0_vgpr1
.LBB214_872:
	s_andn2_b64 vcc, exec, s[0:1]
	s_cbranch_vccnz .LBB214_874
; %bb.873:
	global_load_dword v0, v[2:3], off
	s_waitcnt vmcnt(0)
	v_ashrrev_i32_e32 v1, 31, v0
.LBB214_874:
	s_mov_b64 s[0:1], 0
.LBB214_875:
	s_andn2_b64 vcc, exec, s[0:1]
	s_cbranch_vccnz .LBB214_877
; %bb.876:
	global_load_ushort v0, v[2:3], off
	s_waitcnt vmcnt(0)
	v_bfe_i32 v0, v0, 0, 16
	v_ashrrev_i32_e32 v1, 31, v0
.LBB214_877:
	s_mov_b64 s[0:1], 0
.LBB214_878:
	s_andn2_b64 vcc, exec, s[0:1]
	s_cbranch_vccnz .LBB214_884
; %bb.879:
	s_cmp_gt_i32 s38, 0
	s_cbranch_scc0 .LBB214_881
; %bb.880:
	global_load_sbyte v0, v[2:3], off
	s_mov_b64 s[0:1], 0
	s_waitcnt vmcnt(0)
	v_bfe_i32 v0, v0, 0, 16
	v_ashrrev_i32_e32 v1, 31, v0
	s_branch .LBB214_882
.LBB214_881:
	s_mov_b64 s[0:1], -1
                                        ; implicit-def: $vgpr0_vgpr1
.LBB214_882:
	s_andn2_b64 vcc, exec, s[0:1]
	s_cbranch_vccnz .LBB214_884
; %bb.883:
	global_load_ubyte v0, v[2:3], off
	s_mov_b32 s0, 0
	s_waitcnt vmcnt(1)
	v_mov_b32_e32 v1, s0
	s_waitcnt vmcnt(0)
	v_and_b32_e32 v0, 0xffff, v0
.LBB214_884:
	s_mov_b64 s[0:1], -1
.LBB214_885:
	s_andn2_b64 vcc, exec, s[0:1]
	s_cbranch_vccnz .LBB214_893
; %bb.886:
	v_mul_lo_u32 v2, v18, s14
	v_mov_b32_e32 v3, s3
	s_and_b32 s42, s15, 0xff
	s_cmp_lt_i32 s42, 11
	v_ashrrev_i32_e32 v4, 31, v2
	v_add_co_u32_e32 v2, vcc, s2, v2
	v_addc_co_u32_e32 v3, vcc, v3, v4, vcc
	s_cbranch_scc1 .LBB214_895
; %bb.887:
	s_and_b32 s43, 0xffff, s42
	s_cmp_gt_i32 s43, 25
	s_cbranch_scc0 .LBB214_896
; %bb.888:
	s_cmp_gt_i32 s43, 28
	s_cbranch_scc0 .LBB214_897
; %bb.889:
	;; [unrolled: 3-line block ×4, first 2 shown]
	s_cmp_eq_u32 s43, 46
	s_mov_b64 s[40:41], 0
	s_cbranch_scc0 .LBB214_902
; %bb.892:
	global_load_dword v4, v[2:3], off
	s_mov_b32 s0, 0x2f800000
	s_mov_b32 s1, 0xcf800000
	s_mov_b64 s[38:39], 0
	s_waitcnt vmcnt(0)
	v_lshlrev_b32_e32 v4, 16, v4
	v_trunc_f32_e32 v4, v4
	v_mul_f32_e64 v5, |v4|, s0
	v_floor_f32_e32 v5, v5
	v_fma_f32 v6, v5, s1, |v4|
	v_cvt_u32_f32_e32 v6, v6
	v_cvt_u32_f32_e32 v5, v5
	v_ashrrev_i32_e32 v7, 31, v4
	s_mov_b64 s[0:1], -1
	v_xor_b32_e32 v4, v6, v7
	v_xor_b32_e32 v5, v5, v7
	v_sub_co_u32_e32 v4, vcc, v4, v7
	v_subb_co_u32_e32 v5, vcc, v5, v7, vcc
	s_branch .LBB214_903
.LBB214_893:
	s_mov_b64 s[42:43], 0
	s_mov_b64 s[0:1], s[28:29]
	;; [unrolled: 1-line block ×3, first 2 shown]
.LBB214_894:
                                        ; implicit-def: $vgpr18
	s_branch .LBB214_1137
.LBB214_895:
	s_mov_b64 s[40:41], -1
	s_mov_b64 s[0:1], 0
                                        ; implicit-def: $vgpr4_vgpr5
	s_mov_b64 s[38:39], s[26:27]
	s_branch .LBB214_964
.LBB214_896:
	s_mov_b64 s[40:41], -1
	s_mov_b64 s[0:1], 0
	s_mov_b64 s[38:39], s[26:27]
                                        ; implicit-def: $vgpr4_vgpr5
	s_branch .LBB214_932
.LBB214_897:
	s_mov_b64 s[40:41], -1
	s_mov_b64 s[0:1], 0
	s_mov_b64 s[38:39], s[26:27]
                                        ; implicit-def: $vgpr4_vgpr5
	s_branch .LBB214_913
.LBB214_898:
	s_mov_b64 s[40:41], -1
	s_mov_b64 s[0:1], 0
	s_mov_b64 s[38:39], s[26:27]
                                        ; implicit-def: $vgpr4_vgpr5
	s_branch .LBB214_908
.LBB214_899:
	s_mov_b64 s[40:41], -1
	s_mov_b64 s[0:1], 0
	s_mov_b64 s[38:39], s[26:27]
                                        ; implicit-def: $vgpr4_vgpr5
	s_branch .LBB214_903
.LBB214_900:
	s_andn2_saveexec_b64 s[36:37], s[36:37]
	s_cbranch_execz .LBB214_680
.LBB214_901:
	s_mov_b32 s40, 0x42800000
	v_add_f32_e64 v5, |v4|, s40
	v_and_b32_e32 v5, 0xff, v5
	v_cmp_ne_u32_e32 vcc, 0, v5
	s_andn2_b64 s[34:35], s[34:35], exec
	s_and_b64 s[40:41], vcc, exec
	s_or_b64 s[34:35], s[34:35], s[40:41]
	s_or_b64 exec, exec, s[36:37]
	v_mov_b32_e32 v6, 0
	s_and_saveexec_b64 s[36:37], s[34:35]
	s_cbranch_execnz .LBB214_681
	s_branch .LBB214_682
.LBB214_902:
	s_mov_b64 s[38:39], -1
                                        ; implicit-def: $vgpr4_vgpr5
	s_mov_b64 s[0:1], 0
.LBB214_903:
	s_and_b64 vcc, exec, s[40:41]
	s_cbranch_vccz .LBB214_907
; %bb.904:
	s_cmp_eq_u32 s43, 44
	s_cbranch_scc0 .LBB214_906
; %bb.905:
	global_load_ubyte v4, v[2:3], off
	s_mov_b32 s0, 0x2f800000
	s_mov_b32 s1, 0xcf800000
	s_mov_b64 s[38:39], 0
	s_waitcnt vmcnt(0)
	v_lshlrev_b32_e32 v5, 23, v4
	v_trunc_f32_e32 v5, v5
	v_mul_f32_e64 v6, |v5|, s0
	v_floor_f32_e32 v6, v6
	v_fma_f32 v7, v6, s1, |v5|
	v_cvt_u32_f32_e32 v7, v7
	v_cvt_u32_f32_e32 v6, v6
	v_ashrrev_i32_e32 v5, 31, v5
	s_mov_b64 s[0:1], -1
	v_xor_b32_e32 v7, v7, v5
	v_xor_b32_e32 v6, v6, v5
	v_sub_co_u32_e32 v7, vcc, v7, v5
	v_subb_co_u32_e32 v5, vcc, v6, v5, vcc
	v_cmp_ne_u32_e32 vcc, 0, v4
	v_cndmask_b32_e32 v5, 0, v5, vcc
	v_cndmask_b32_e32 v4, 0, v7, vcc
	s_branch .LBB214_907
.LBB214_906:
	s_mov_b64 s[38:39], -1
                                        ; implicit-def: $vgpr4_vgpr5
.LBB214_907:
	s_mov_b64 s[40:41], 0
.LBB214_908:
	s_and_b64 vcc, exec, s[40:41]
	s_cbranch_vccz .LBB214_912
; %bb.909:
	s_cmp_eq_u32 s43, 29
	s_cbranch_scc0 .LBB214_911
; %bb.910:
	global_load_dwordx2 v[4:5], v[2:3], off
	s_mov_b64 s[0:1], -1
	s_mov_b64 s[38:39], 0
	s_branch .LBB214_912
.LBB214_911:
	s_mov_b64 s[38:39], -1
                                        ; implicit-def: $vgpr4_vgpr5
.LBB214_912:
	s_mov_b64 s[40:41], 0
.LBB214_913:
	s_and_b64 vcc, exec, s[40:41]
	s_cbranch_vccz .LBB214_931
; %bb.914:
	s_cmp_lt_i32 s43, 27
	s_cbranch_scc1 .LBB214_917
; %bb.915:
	s_cmp_gt_i32 s43, 27
	s_cbranch_scc0 .LBB214_918
; %bb.916:
	global_load_dword v4, v[2:3], off
	s_waitcnt vmcnt(1)
	v_mov_b32_e32 v5, 0
	s_mov_b64 s[0:1], 0
	s_branch .LBB214_919
.LBB214_917:
	s_mov_b64 s[0:1], -1
                                        ; implicit-def: $vgpr4_vgpr5
	s_branch .LBB214_922
.LBB214_918:
	s_mov_b64 s[0:1], -1
                                        ; implicit-def: $vgpr4_vgpr5
.LBB214_919:
	s_andn2_b64 vcc, exec, s[0:1]
	s_cbranch_vccnz .LBB214_921
; %bb.920:
	global_load_ushort v4, v[2:3], off
	s_mov_b32 s0, 0
	s_waitcnt vmcnt(1)
	v_mov_b32_e32 v5, s0
	s_waitcnt vmcnt(0)
	v_and_b32_e32 v4, 0xffff, v4
.LBB214_921:
	s_mov_b64 s[0:1], 0
.LBB214_922:
	s_andn2_b64 vcc, exec, s[0:1]
	s_cbranch_vccnz .LBB214_930
; %bb.923:
	global_load_ubyte v6, v[2:3], off
	s_movk_i32 s0, 0x7f
	s_mov_b64 s[40:41], 0
	s_waitcnt vmcnt(0)
	v_cmp_lt_i16_e32 vcc, s0, v6
	s_and_saveexec_b64 s[0:1], vcc
	s_xor_b64 s[0:1], exec, s[0:1]
; %bb.924:
	s_movk_i32 s40, 0x80
	v_cmp_ne_u16_e32 vcc, s40, v6
	s_and_b64 s[40:41], vcc, exec
; %bb.925:
	s_andn2_saveexec_b64 s[0:1], s[0:1]
; %bb.926:
	v_cmp_ne_u16_e32 vcc, 0, v6
	s_andn2_b64 s[40:41], s[40:41], exec
	s_and_b64 s[44:45], vcc, exec
	s_or_b64 s[40:41], s[40:41], s[44:45]
; %bb.927:
	s_or_b64 exec, exec, s[0:1]
	v_mov_b32_e32 v4, 0
	v_mov_b32_e32 v5, 0
	s_and_saveexec_b64 s[0:1], s[40:41]
	s_cbranch_execz .LBB214_929
; %bb.928:
	v_and_b32_e32 v5, 0xffff, v6
	v_lshlrev_b32_e32 v4, 24, v6
	v_and_b32_e32 v6, 7, v5
	v_ffbh_u32_e32 v8, v6
	v_min_u32_e32 v8, 32, v8
	v_subrev_u32_e32 v9, 28, v8
	v_bfe_u32 v7, v5, 3, 4
	v_lshlrev_b32_e32 v5, v9, v5
	v_sub_u32_e32 v8, 29, v8
	v_and_b32_e32 v5, 7, v5
	v_cmp_eq_u32_e32 vcc, 0, v7
	v_cndmask_b32_e32 v7, v7, v8, vcc
	v_cndmask_b32_e32 v5, v6, v5, vcc
	v_mov_b32_e32 v6, 0x3b800000
	v_lshlrev_b32_e32 v5, 20, v5
	v_and_b32_e32 v4, 0x80000000, v4
	v_lshl_add_u32 v6, v7, 23, v6
	v_or3_b32 v4, v4, v6, v5
	v_trunc_f32_e32 v4, v4
	s_mov_b32 s40, 0x2f800000
	v_mul_f32_e64 v5, |v4|, s40
	v_floor_f32_e32 v5, v5
	s_mov_b32 s40, 0xcf800000
	v_fma_f32 v6, v5, s40, |v4|
	v_cvt_u32_f32_e32 v6, v6
	v_cvt_u32_f32_e32 v5, v5
	v_ashrrev_i32_e32 v7, 31, v4
	v_xor_b32_e32 v4, v6, v7
	v_xor_b32_e32 v5, v5, v7
	v_sub_co_u32_e32 v4, vcc, v4, v7
	v_subb_co_u32_e32 v5, vcc, v5, v7, vcc
.LBB214_929:
	s_or_b64 exec, exec, s[0:1]
.LBB214_930:
	s_mov_b64 s[0:1], -1
.LBB214_931:
	s_mov_b64 s[40:41], 0
.LBB214_932:
	s_and_b64 vcc, exec, s[40:41]
	s_cbranch_vccz .LBB214_963
; %bb.933:
	s_cmp_gt_i32 s43, 22
	s_cbranch_scc0 .LBB214_943
; %bb.934:
	s_cmp_lt_i32 s43, 24
	s_cbranch_scc1 .LBB214_944
; %bb.935:
	s_cmp_gt_i32 s43, 24
	s_cbranch_scc0 .LBB214_945
; %bb.936:
	global_load_ubyte v6, v[2:3], off
	s_movk_i32 s0, 0x7f
	s_mov_b64 s[40:41], 0
	s_waitcnt vmcnt(0)
	v_cmp_lt_i16_e32 vcc, s0, v6
	s_and_saveexec_b64 s[0:1], vcc
	s_xor_b64 s[0:1], exec, s[0:1]
; %bb.937:
	s_movk_i32 s40, 0x80
	v_cmp_ne_u16_e32 vcc, s40, v6
	s_and_b64 s[40:41], vcc, exec
; %bb.938:
	s_andn2_saveexec_b64 s[0:1], s[0:1]
; %bb.939:
	v_cmp_ne_u16_e32 vcc, 0, v6
	s_andn2_b64 s[40:41], s[40:41], exec
	s_and_b64 s[44:45], vcc, exec
	s_or_b64 s[40:41], s[40:41], s[44:45]
; %bb.940:
	s_or_b64 exec, exec, s[0:1]
	v_mov_b32_e32 v4, 0
	v_mov_b32_e32 v5, 0
	s_and_saveexec_b64 s[0:1], s[40:41]
	s_cbranch_execz .LBB214_942
; %bb.941:
	v_and_b32_e32 v5, 0xffff, v6
	v_lshlrev_b32_e32 v4, 24, v6
	v_and_b32_e32 v6, 3, v5
	v_ffbh_u32_e32 v8, v6
	v_min_u32_e32 v8, 32, v8
	v_subrev_u32_e32 v9, 29, v8
	v_bfe_u32 v7, v5, 2, 5
	v_lshlrev_b32_e32 v5, v9, v5
	v_sub_u32_e32 v8, 30, v8
	v_and_b32_e32 v5, 3, v5
	v_cmp_eq_u32_e32 vcc, 0, v7
	v_cndmask_b32_e32 v7, v7, v8, vcc
	v_cndmask_b32_e32 v5, v6, v5, vcc
	v_mov_b32_e32 v6, 0x37800000
	v_lshlrev_b32_e32 v5, 21, v5
	v_and_b32_e32 v4, 0x80000000, v4
	v_lshl_add_u32 v6, v7, 23, v6
	v_or3_b32 v4, v4, v6, v5
	v_trunc_f32_e32 v4, v4
	s_mov_b32 s40, 0x2f800000
	v_mul_f32_e64 v5, |v4|, s40
	v_floor_f32_e32 v5, v5
	s_mov_b32 s40, 0xcf800000
	v_fma_f32 v6, v5, s40, |v4|
	v_cvt_u32_f32_e32 v6, v6
	v_cvt_u32_f32_e32 v5, v5
	v_ashrrev_i32_e32 v7, 31, v4
	v_xor_b32_e32 v4, v6, v7
	v_xor_b32_e32 v5, v5, v7
	v_sub_co_u32_e32 v4, vcc, v4, v7
	v_subb_co_u32_e32 v5, vcc, v5, v7, vcc
.LBB214_942:
	s_or_b64 exec, exec, s[0:1]
	s_mov_b64 s[0:1], 0
	s_branch .LBB214_946
.LBB214_943:
	s_mov_b64 s[40:41], -1
                                        ; implicit-def: $vgpr4_vgpr5
	s_branch .LBB214_952
.LBB214_944:
	s_mov_b64 s[0:1], -1
                                        ; implicit-def: $vgpr4_vgpr5
	s_branch .LBB214_949
.LBB214_945:
	s_mov_b64 s[0:1], -1
                                        ; implicit-def: $vgpr4_vgpr5
.LBB214_946:
	s_and_b64 vcc, exec, s[0:1]
	s_cbranch_vccz .LBB214_948
; %bb.947:
	global_load_ubyte v4, v[2:3], off
	s_mov_b32 s0, 0x7f800000
	s_brev_b32 s1, 1
	s_mov_b32 s40, 0x2f800000
	s_mov_b32 s41, 0xcf800000
	s_waitcnt vmcnt(0)
	v_lshlrev_b32_e32 v4, 24, v4
	v_and_b32_e32 v5, 0x7f000000, v4
	v_ffbh_u32_e32 v6, v5
	v_min_u32_e32 v6, 32, v6
	v_sub_u32_e64 v6, v6, 4 clamp
	v_lshlrev_b32_e32 v8, v6, v5
	v_lshlrev_b32_e32 v6, 23, v6
	v_lshrrev_b32_e32 v8, 4, v8
	v_add_u32_e32 v7, 0x1000000, v5
	v_sub_u32_e32 v6, v8, v6
	v_ashrrev_i32_e32 v7, 8, v7
	v_add_u32_e32 v6, 0x3c000000, v6
	v_and_or_b32 v6, v7, s0, v6
	v_cmp_ne_u32_e32 vcc, 0, v5
	v_cndmask_b32_e32 v5, 0, v6, vcc
	v_and_or_b32 v4, v4, s1, v5
	v_trunc_f32_e32 v4, v4
	v_mul_f32_e64 v5, |v4|, s40
	v_floor_f32_e32 v5, v5
	v_fma_f32 v6, v5, s41, |v4|
	v_cvt_u32_f32_e32 v6, v6
	v_cvt_u32_f32_e32 v5, v5
	v_ashrrev_i32_e32 v7, 31, v4
	v_xor_b32_e32 v4, v6, v7
	v_xor_b32_e32 v5, v5, v7
	v_sub_co_u32_e32 v4, vcc, v4, v7
	v_subb_co_u32_e32 v5, vcc, v5, v7, vcc
.LBB214_948:
	s_mov_b64 s[0:1], 0
.LBB214_949:
	s_andn2_b64 vcc, exec, s[0:1]
	s_cbranch_vccnz .LBB214_951
; %bb.950:
	global_load_ubyte v4, v[2:3], off
	s_movk_i32 s0, 0x7f00
	s_brev_b32 s1, 16
	s_brev_b32 s40, 1
	s_mov_b32 s41, 0x2f800000
	s_mov_b32 s44, 0xcf800000
	s_waitcnt vmcnt(0)
	v_lshlrev_b16_e32 v5, 8, v4
	v_lshlrev_b32_e32 v4, 25, v4
	v_lshrrev_b32_e32 v6, 4, v4
	v_and_or_b32 v7, v5, s0, 0.5
	v_or_b32_e32 v6, 0x70000000, v6
	v_add_f32_e32 v7, -0.5, v7
	v_mul_f32_e32 v6, 0x7800000, v6
	v_cmp_gt_u32_e32 vcc, s1, v4
	v_bfe_i32 v5, v5, 0, 16
	v_cndmask_b32_e32 v4, v6, v7, vcc
	v_and_or_b32 v4, v5, s40, v4
	v_trunc_f32_e32 v4, v4
	v_mul_f32_e64 v5, |v4|, s41
	v_floor_f32_e32 v5, v5
	v_fma_f32 v6, v5, s44, |v4|
	v_cvt_u32_f32_e32 v6, v6
	v_cvt_u32_f32_e32 v5, v5
	v_ashrrev_i32_e32 v7, 31, v4
	v_xor_b32_e32 v4, v6, v7
	v_xor_b32_e32 v5, v5, v7
	v_sub_co_u32_e32 v4, vcc, v4, v7
	v_subb_co_u32_e32 v5, vcc, v5, v7, vcc
.LBB214_951:
	s_mov_b64 s[40:41], 0
	s_mov_b64 s[0:1], -1
.LBB214_952:
	s_andn2_b64 vcc, exec, s[40:41]
	s_cbranch_vccnz .LBB214_963
; %bb.953:
	s_cmp_gt_i32 s43, 14
	s_cbranch_scc0 .LBB214_956
; %bb.954:
	s_cmp_eq_u32 s43, 15
	s_cbranch_scc0 .LBB214_957
; %bb.955:
	global_load_ushort v4, v[2:3], off
	s_mov_b32 s0, 0x2f800000
	s_mov_b32 s1, 0xcf800000
	s_mov_b64 s[38:39], 0
	s_waitcnt vmcnt(0)
	v_lshlrev_b32_e32 v4, 16, v4
	v_trunc_f32_e32 v4, v4
	v_mul_f32_e64 v5, |v4|, s0
	v_floor_f32_e32 v5, v5
	v_fma_f32 v6, v5, s1, |v4|
	v_cvt_u32_f32_e32 v6, v6
	v_cvt_u32_f32_e32 v5, v5
	v_ashrrev_i32_e32 v7, 31, v4
	s_mov_b64 s[0:1], -1
	v_xor_b32_e32 v4, v6, v7
	v_xor_b32_e32 v5, v5, v7
	v_sub_co_u32_e32 v4, vcc, v4, v7
	v_subb_co_u32_e32 v5, vcc, v5, v7, vcc
	s_branch .LBB214_958
.LBB214_956:
	s_mov_b64 s[40:41], -1
                                        ; implicit-def: $vgpr4_vgpr5
	s_branch .LBB214_959
.LBB214_957:
	s_mov_b64 s[38:39], -1
                                        ; implicit-def: $vgpr4_vgpr5
.LBB214_958:
	s_mov_b64 s[40:41], 0
.LBB214_959:
	s_and_b64 vcc, exec, s[40:41]
	s_cbranch_vccz .LBB214_963
; %bb.960:
	s_cmp_eq_u32 s43, 11
	s_cbranch_scc0 .LBB214_962
; %bb.961:
	global_load_ubyte v4, v[2:3], off
	s_mov_b32 s38, 0
	s_mov_b64 s[0:1], -1
	s_waitcnt vmcnt(1)
	v_mov_b32_e32 v5, s38
	s_mov_b64 s[38:39], 0
	s_waitcnt vmcnt(0)
	v_cmp_ne_u16_e32 vcc, 0, v4
	v_cndmask_b32_e64 v4, 0, 1, vcc
	s_branch .LBB214_963
.LBB214_962:
	s_mov_b64 s[38:39], -1
                                        ; implicit-def: $vgpr4_vgpr5
.LBB214_963:
	s_mov_b64 s[40:41], 0
.LBB214_964:
	s_and_b64 vcc, exec, s[40:41]
	s_cbranch_vccz .LBB214_1013
; %bb.965:
	s_and_b32 s40, 0xffff, s42
	s_cmp_lt_i32 s40, 5
	s_cbranch_scc1 .LBB214_970
; %bb.966:
	s_cmp_lt_i32 s40, 8
	s_cbranch_scc1 .LBB214_971
; %bb.967:
	;; [unrolled: 3-line block ×3, first 2 shown]
	s_cmp_gt_i32 s40, 9
	s_cbranch_scc0 .LBB214_973
; %bb.969:
	global_load_dwordx2 v[4:5], v[2:3], off
	s_movk_i32 s0, 0xffe0
	s_waitcnt vmcnt(0)
	v_trunc_f64_e32 v[4:5], v[4:5]
	v_ldexp_f64 v[6:7], v[4:5], s0
	s_mov_b32 s0, 0
	s_mov_b32 s1, 0xc1f00000
	v_floor_f64_e32 v[6:7], v[6:7]
	v_fma_f64 v[8:9], v[6:7], s[0:1], v[4:5]
	v_cvt_i32_f64_e32 v5, v[6:7]
	s_mov_b64 s[0:1], 0
	v_cvt_u32_f64_e32 v4, v[8:9]
	s_branch .LBB214_974
.LBB214_970:
	s_mov_b64 s[0:1], -1
                                        ; implicit-def: $vgpr4_vgpr5
	s_branch .LBB214_992
.LBB214_971:
	s_mov_b64 s[0:1], -1
                                        ; implicit-def: $vgpr4_vgpr5
	s_branch .LBB214_980
.LBB214_972:
	s_mov_b64 s[0:1], -1
                                        ; implicit-def: $vgpr4_vgpr5
	s_branch .LBB214_977
.LBB214_973:
	s_mov_b64 s[0:1], -1
                                        ; implicit-def: $vgpr4_vgpr5
.LBB214_974:
	s_andn2_b64 vcc, exec, s[0:1]
	s_cbranch_vccnz .LBB214_976
; %bb.975:
	global_load_dword v4, v[2:3], off
	s_mov_b32 s0, 0x2f800000
	s_mov_b32 s1, 0xcf800000
	s_waitcnt vmcnt(0)
	v_trunc_f32_e32 v4, v4
	v_mul_f32_e64 v5, |v4|, s0
	v_floor_f32_e32 v5, v5
	v_cvt_u32_f32_e32 v6, v5
	v_fma_f32 v5, v5, s1, |v4|
	v_cvt_u32_f32_e32 v5, v5
	v_ashrrev_i32_e32 v7, 31, v4
	v_xor_b32_e32 v6, v6, v7
	v_xor_b32_e32 v4, v5, v7
	v_sub_co_u32_e32 v4, vcc, v4, v7
	v_subb_co_u32_e32 v5, vcc, v6, v7, vcc
.LBB214_976:
	s_mov_b64 s[0:1], 0
.LBB214_977:
	s_andn2_b64 vcc, exec, s[0:1]
	s_cbranch_vccnz .LBB214_979
; %bb.978:
	global_load_dword v4, v[2:3], off
	s_waitcnt vmcnt(0)
	v_cvt_f32_f16_e32 v4, v4
	v_cvt_i32_f32_e32 v4, v4
	v_ashrrev_i32_e32 v5, 31, v4
.LBB214_979:
	s_mov_b64 s[0:1], 0
.LBB214_980:
	s_andn2_b64 vcc, exec, s[0:1]
	s_cbranch_vccnz .LBB214_991
; %bb.981:
	s_cmp_lt_i32 s40, 6
	s_cbranch_scc1 .LBB214_984
; %bb.982:
	s_cmp_gt_i32 s40, 6
	s_cbranch_scc0 .LBB214_985
; %bb.983:
	global_load_dwordx2 v[4:5], v[2:3], off
	s_movk_i32 s0, 0xffe0
	s_waitcnt vmcnt(0)
	v_trunc_f64_e32 v[4:5], v[4:5]
	v_ldexp_f64 v[6:7], v[4:5], s0
	s_mov_b32 s0, 0
	s_mov_b32 s1, 0xc1f00000
	v_floor_f64_e32 v[6:7], v[6:7]
	v_fma_f64 v[8:9], v[6:7], s[0:1], v[4:5]
	v_cvt_i32_f64_e32 v5, v[6:7]
	s_mov_b64 s[0:1], 0
	v_cvt_u32_f64_e32 v4, v[8:9]
	s_branch .LBB214_986
.LBB214_984:
	s_mov_b64 s[0:1], -1
                                        ; implicit-def: $vgpr4_vgpr5
	s_branch .LBB214_989
.LBB214_985:
	s_mov_b64 s[0:1], -1
                                        ; implicit-def: $vgpr4_vgpr5
.LBB214_986:
	s_andn2_b64 vcc, exec, s[0:1]
	s_cbranch_vccnz .LBB214_988
; %bb.987:
	global_load_dword v4, v[2:3], off
	s_mov_b32 s0, 0x2f800000
	s_mov_b32 s1, 0xcf800000
	s_waitcnt vmcnt(0)
	v_trunc_f32_e32 v4, v4
	v_mul_f32_e64 v5, |v4|, s0
	v_floor_f32_e32 v5, v5
	v_cvt_u32_f32_e32 v6, v5
	v_fma_f32 v5, v5, s1, |v4|
	v_cvt_u32_f32_e32 v5, v5
	v_ashrrev_i32_e32 v7, 31, v4
	v_xor_b32_e32 v6, v6, v7
	v_xor_b32_e32 v4, v5, v7
	v_sub_co_u32_e32 v4, vcc, v4, v7
	v_subb_co_u32_e32 v5, vcc, v6, v7, vcc
.LBB214_988:
	s_mov_b64 s[0:1], 0
.LBB214_989:
	s_andn2_b64 vcc, exec, s[0:1]
	s_cbranch_vccnz .LBB214_991
; %bb.990:
	global_load_ushort v4, v[2:3], off
	s_waitcnt vmcnt(0)
	v_cvt_f32_f16_e32 v4, v4
	v_cvt_i32_f32_e32 v4, v4
	v_ashrrev_i32_e32 v5, 31, v4
.LBB214_991:
	s_mov_b64 s[0:1], 0
.LBB214_992:
	s_andn2_b64 vcc, exec, s[0:1]
	s_cbranch_vccnz .LBB214_1012
; %bb.993:
	s_cmp_lt_i32 s40, 2
	s_cbranch_scc1 .LBB214_997
; %bb.994:
	s_cmp_lt_i32 s40, 3
	s_cbranch_scc1 .LBB214_998
; %bb.995:
	s_cmp_gt_i32 s40, 3
	s_cbranch_scc0 .LBB214_999
; %bb.996:
	global_load_dwordx2 v[4:5], v[2:3], off
	s_mov_b64 s[0:1], 0
	s_branch .LBB214_1000
.LBB214_997:
	s_mov_b64 s[0:1], -1
                                        ; implicit-def: $vgpr4_vgpr5
	s_branch .LBB214_1006
.LBB214_998:
	s_mov_b64 s[0:1], -1
                                        ; implicit-def: $vgpr4_vgpr5
	s_branch .LBB214_1003
.LBB214_999:
	s_mov_b64 s[0:1], -1
                                        ; implicit-def: $vgpr4_vgpr5
.LBB214_1000:
	s_andn2_b64 vcc, exec, s[0:1]
	s_cbranch_vccnz .LBB214_1002
; %bb.1001:
	global_load_dword v4, v[2:3], off
	s_waitcnt vmcnt(0)
	v_ashrrev_i32_e32 v5, 31, v4
.LBB214_1002:
	s_mov_b64 s[0:1], 0
.LBB214_1003:
	s_andn2_b64 vcc, exec, s[0:1]
	s_cbranch_vccnz .LBB214_1005
; %bb.1004:
	global_load_ushort v4, v[2:3], off
	s_waitcnt vmcnt(0)
	v_bfe_i32 v4, v4, 0, 16
	v_ashrrev_i32_e32 v5, 31, v4
.LBB214_1005:
	s_mov_b64 s[0:1], 0
.LBB214_1006:
	s_andn2_b64 vcc, exec, s[0:1]
	s_cbranch_vccnz .LBB214_1012
; %bb.1007:
	s_cmp_gt_i32 s40, 0
	s_cbranch_scc0 .LBB214_1009
; %bb.1008:
	global_load_sbyte v4, v[2:3], off
	s_mov_b64 s[0:1], 0
	s_waitcnt vmcnt(0)
	v_bfe_i32 v4, v4, 0, 16
	v_ashrrev_i32_e32 v5, 31, v4
	s_branch .LBB214_1010
.LBB214_1009:
	s_mov_b64 s[0:1], -1
                                        ; implicit-def: $vgpr4_vgpr5
.LBB214_1010:
	s_andn2_b64 vcc, exec, s[0:1]
	s_cbranch_vccnz .LBB214_1012
; %bb.1011:
	global_load_ubyte v2, v[2:3], off
	s_mov_b32 s0, 0
	s_waitcnt vmcnt(1)
	v_mov_b32_e32 v5, s0
	s_waitcnt vmcnt(0)
	v_and_b32_e32 v4, 0xffff, v2
.LBB214_1012:
	s_mov_b64 s[0:1], -1
.LBB214_1013:
	s_andn2_b64 vcc, exec, s[0:1]
	s_cbranch_vccnz .LBB214_1021
; %bb.1014:
	v_mul_lo_u32 v2, v18, s12
	s_waitcnt vmcnt(0)
	v_cmp_gt_u64_e32 vcc, 63, v[4:5]
	s_and_b32 s46, s33, 0xff
	v_cndmask_b32_e32 v3, 63, v4, vcc
	v_ashrrev_i64 v[0:1], v3, v[0:1]
	v_ashrrev_i32_e32 v3, 31, v2
	v_mov_b32_e32 v4, s9
	v_add_co_u32_e32 v2, vcc, s8, v2
	s_cmp_lt_i32 s46, 11
	v_addc_co_u32_e32 v3, vcc, v4, v3, vcc
	s_cbranch_scc1 .LBB214_1022
; %bb.1015:
	s_and_b32 s47, 0xffff, s46
	s_cmp_gt_i32 s47, 25
	s_cbranch_scc0 .LBB214_1023
; %bb.1016:
	s_cmp_gt_i32 s47, 28
	s_cbranch_scc0 .LBB214_1024
; %bb.1017:
	;; [unrolled: 3-line block ×4, first 2 shown]
	s_mov_b64 s[42:43], 0
	s_mov_b64 s[0:1], -1
	s_cmp_eq_u32 s47, 46
	s_mov_b64 s[40:41], 0
	s_cbranch_scc0 .LBB214_1027
; %bb.1020:
	v_xor_b32_e32 v5, v0, v1
	v_ffbh_i32_e32 v4, v1
	v_ashrrev_i32_e32 v5, 31, v5
	v_add_u32_e32 v4, -1, v4
	v_add_u32_e32 v5, 32, v5
	v_min_u32_e32 v6, v4, v5
	v_lshlrev_b64 v[4:5], v6, v[0:1]
	s_movk_i32 s0, 0x7fff
	v_min_u32_e32 v4, 1, v4
	v_or_b32_e32 v4, v5, v4
	v_cvt_f32_i32_e32 v4, v4
	v_sub_u32_e32 v5, 32, v6
	s_mov_b64 s[40:41], -1
	v_ldexp_f32 v4, v4, v5
	v_bfe_u32 v5, v4, 16, 1
	v_add3_u32 v4, v4, v5, s0
	v_lshrrev_b32_e32 v4, 16, v4
	global_store_dword v[2:3], v4, off
	s_mov_b64 s[0:1], 0
	s_branch .LBB214_1027
.LBB214_1021:
	s_mov_b64 s[42:43], 0
                                        ; implicit-def: $vgpr18
	s_mov_b64 s[0:1], s[28:29]
	s_branch .LBB214_1137
.LBB214_1022:
	s_mov_b64 s[42:43], -1
	s_mov_b64 s[40:41], 0
	s_mov_b64 s[0:1], s[28:29]
	s_branch .LBB214_1096
.LBB214_1023:
	s_mov_b64 s[42:43], -1
	s_mov_b64 s[40:41], 0
	s_mov_b64 s[0:1], s[28:29]
	s_branch .LBB214_1054
.LBB214_1024:
	s_mov_b64 s[42:43], -1
	s_mov_b64 s[40:41], 0
	s_mov_b64 s[0:1], s[28:29]
	s_branch .LBB214_1037
.LBB214_1025:
	s_mov_b64 s[42:43], -1
	s_mov_b64 s[40:41], 0
	s_mov_b64 s[0:1], s[28:29]
	s_branch .LBB214_1033
.LBB214_1026:
	s_mov_b64 s[42:43], -1
	s_mov_b64 s[40:41], 0
	s_mov_b64 s[0:1], s[28:29]
.LBB214_1027:
	s_and_b64 vcc, exec, s[42:43]
	s_cbranch_vccz .LBB214_1032
; %bb.1028:
	s_cmp_eq_u32 s47, 44
	s_mov_b64 s[0:1], -1
	s_cbranch_scc0 .LBB214_1032
; %bb.1029:
	v_xor_b32_e32 v5, v0, v1
	v_ffbh_i32_e32 v4, v1
	v_ashrrev_i32_e32 v5, 31, v5
	v_add_u32_e32 v4, -1, v4
	v_add_u32_e32 v5, 32, v5
	v_min_u32_e32 v6, v4, v5
	v_lshlrev_b64 v[4:5], v6, v[0:1]
	s_movk_i32 s0, 0xff
	v_min_u32_e32 v4, 1, v4
	v_or_b32_e32 v4, v5, v4
	v_cvt_f32_i32_e32 v4, v4
	v_sub_u32_e32 v5, 32, v6
	v_mov_b32_e32 v6, 0xff
	v_ldexp_f32 v4, v4, v5
	v_bfe_u32 v5, v4, 23, 8
	v_cmp_ne_u32_e32 vcc, s0, v5
	s_and_saveexec_b64 s[40:41], vcc
; %bb.1030:
	s_mov_b32 s0, 0x3fffff
	v_lshrrev_b32_e32 v6, 23, v4
	v_and_b32_e32 v7, 0x400000, v4
	v_and_or_b32 v4, v4, s0, v5
	v_cmp_ne_u32_e32 vcc, 0, v7
	v_cmp_ne_u32_e64 s[0:1], 0, v4
	s_and_b64 s[0:1], vcc, s[0:1]
	v_cndmask_b32_e64 v4, 0, 1, s[0:1]
	v_add_u32_e32 v6, v6, v4
; %bb.1031:
	s_or_b64 exec, exec, s[40:41]
	s_mov_b64 s[40:41], -1
	s_mov_b64 s[0:1], 0
	global_store_byte v[2:3], v6, off
.LBB214_1032:
	s_mov_b64 s[42:43], 0
.LBB214_1033:
	s_and_b64 vcc, exec, s[42:43]
	s_cbranch_vccz .LBB214_1036
; %bb.1034:
	s_cmp_eq_u32 s47, 29
	s_mov_b64 s[0:1], -1
	s_cbranch_scc0 .LBB214_1036
; %bb.1035:
	global_store_dwordx2 v[2:3], v[0:1], off
	s_mov_b64 s[40:41], -1
	s_mov_b64 s[0:1], 0
.LBB214_1036:
	s_mov_b64 s[42:43], 0
.LBB214_1037:
	s_and_b64 vcc, exec, s[42:43]
	s_cbranch_vccz .LBB214_1053
; %bb.1038:
	s_cmp_lt_i32 s47, 27
	s_mov_b64 s[40:41], -1
	s_cbranch_scc1 .LBB214_1044
; %bb.1039:
	s_cmp_gt_i32 s47, 27
	s_cbranch_scc0 .LBB214_1041
; %bb.1040:
	s_mov_b64 s[40:41], 0
	global_store_dword v[2:3], v0, off
.LBB214_1041:
	s_andn2_b64 vcc, exec, s[40:41]
	s_cbranch_vccnz .LBB214_1043
; %bb.1042:
	global_store_short v[2:3], v0, off
.LBB214_1043:
	s_mov_b64 s[40:41], 0
.LBB214_1044:
	s_andn2_b64 vcc, exec, s[40:41]
	s_cbranch_vccnz .LBB214_1052
; %bb.1045:
	v_xor_b32_e32 v5, v0, v1
	v_ffbh_i32_e32 v4, v1
	v_ashrrev_i32_e32 v5, 31, v5
	v_add_u32_e32 v4, -1, v4
	v_add_u32_e32 v5, 32, v5
	v_min_u32_e32 v6, v4, v5
	v_lshlrev_b64 v[4:5], v6, v[0:1]
	s_mov_b32 s40, 0x43800000
	v_min_u32_e32 v4, 1, v4
	v_or_b32_e32 v4, v5, v4
	v_cvt_f32_i32_e32 v4, v4
	v_sub_u32_e32 v5, 32, v6
	v_mov_b32_e32 v6, 0x80
	v_ldexp_f32 v4, v4, v5
	v_and_b32_e32 v5, 0x7fffffff, v4
	v_cmp_gt_u32_e32 vcc, s40, v5
	s_and_saveexec_b64 s[40:41], vcc
	s_cbranch_execz .LBB214_1051
; %bb.1046:
	s_mov_b32 s42, 0x3bffffff
	v_cmp_lt_u32_e32 vcc, s42, v5
	s_mov_b64 s[42:43], 0
                                        ; implicit-def: $vgpr5
	s_and_saveexec_b64 s[44:45], vcc
	s_xor_b64 s[44:45], exec, s[44:45]
	s_cbranch_execz .LBB214_1153
; %bb.1047:
	v_bfe_u32 v5, v4, 20, 1
	s_mov_b32 s49, 0x487ffff
	v_add3_u32 v5, v4, v5, s49
	s_mov_b64 s[42:43], exec
	v_lshrrev_b32_e32 v5, 20, v5
	s_andn2_saveexec_b64 s[44:45], s[44:45]
	s_cbranch_execnz .LBB214_1154
.LBB214_1048:
	s_or_b64 exec, exec, s[44:45]
	v_mov_b32_e32 v6, 0
	s_and_saveexec_b64 s[44:45], s[42:43]
.LBB214_1049:
	v_lshrrev_b32_e32 v4, 24, v4
	s_movk_i32 s42, 0x80
	v_and_or_b32 v6, v4, s42, v5
.LBB214_1050:
	s_or_b64 exec, exec, s[44:45]
.LBB214_1051:
	s_or_b64 exec, exec, s[40:41]
	global_store_byte v[2:3], v6, off
.LBB214_1052:
	s_mov_b64 s[40:41], -1
.LBB214_1053:
	s_mov_b64 s[42:43], 0
.LBB214_1054:
	s_and_b64 vcc, exec, s[42:43]
	s_cbranch_vccz .LBB214_1095
; %bb.1055:
	s_cmp_gt_i32 s47, 22
	s_mov_b64 s[42:43], -1
	s_cbranch_scc0 .LBB214_1087
; %bb.1056:
	s_cmp_lt_i32 s47, 24
	s_mov_b64 s[40:41], -1
	s_cbranch_scc1 .LBB214_1076
; %bb.1057:
	s_cmp_gt_i32 s47, 24
	s_cbranch_scc0 .LBB214_1065
; %bb.1058:
	v_xor_b32_e32 v5, v0, v1
	v_ffbh_i32_e32 v4, v1
	v_ashrrev_i32_e32 v5, 31, v5
	v_add_u32_e32 v4, -1, v4
	v_add_u32_e32 v5, 32, v5
	v_min_u32_e32 v6, v4, v5
	v_lshlrev_b64 v[4:5], v6, v[0:1]
	s_mov_b32 s40, 0x47800000
	v_min_u32_e32 v4, 1, v4
	v_or_b32_e32 v4, v5, v4
	v_cvt_f32_i32_e32 v4, v4
	v_sub_u32_e32 v5, 32, v6
	v_mov_b32_e32 v6, 0x80
	v_ldexp_f32 v4, v4, v5
	v_and_b32_e32 v5, 0x7fffffff, v4
	v_cmp_gt_u32_e32 vcc, s40, v5
	s_and_saveexec_b64 s[40:41], vcc
	s_cbranch_execz .LBB214_1064
; %bb.1059:
	s_mov_b32 s42, 0x37ffffff
	v_cmp_lt_u32_e32 vcc, s42, v5
	s_mov_b64 s[42:43], 0
                                        ; implicit-def: $vgpr5
	s_and_saveexec_b64 s[44:45], vcc
	s_xor_b64 s[44:45], exec, s[44:45]
	s_cbranch_execz .LBB214_2147
; %bb.1060:
	v_bfe_u32 v5, v4, 21, 1
	s_mov_b32 s49, 0x88fffff
	v_add3_u32 v5, v4, v5, s49
	s_mov_b64 s[42:43], exec
	v_lshrrev_b32_e32 v5, 21, v5
	s_andn2_saveexec_b64 s[44:45], s[44:45]
	s_cbranch_execnz .LBB214_2148
.LBB214_1061:
	s_or_b64 exec, exec, s[44:45]
	v_mov_b32_e32 v6, 0
	s_and_saveexec_b64 s[44:45], s[42:43]
.LBB214_1062:
	v_lshrrev_b32_e32 v4, 24, v4
	s_movk_i32 s42, 0x80
	v_and_or_b32 v6, v4, s42, v5
.LBB214_1063:
	s_or_b64 exec, exec, s[44:45]
.LBB214_1064:
	s_or_b64 exec, exec, s[40:41]
	s_mov_b64 s[40:41], 0
	global_store_byte v[2:3], v6, off
.LBB214_1065:
	s_and_b64 vcc, exec, s[40:41]
	s_cbranch_vccz .LBB214_1075
; %bb.1066:
	v_xor_b32_e32 v5, v0, v1
	v_ffbh_i32_e32 v4, v1
	v_ashrrev_i32_e32 v5, 31, v5
	v_add_u32_e32 v4, -1, v4
	v_add_u32_e32 v5, 32, v5
	v_min_u32_e32 v6, v4, v5
	v_lshlrev_b64 v[4:5], v6, v[0:1]
	s_mov_b32 s40, 0x43f00000
	v_min_u32_e32 v4, 1, v4
	v_or_b32_e32 v4, v5, v4
	v_cvt_f32_i32_e32 v4, v4
	v_sub_u32_e32 v5, 32, v6
	v_ldexp_f32 v4, v4, v5
	v_and_b32_e32 v6, 0x7fffffff, v4
	v_cmp_gt_u32_e32 vcc, s40, v6
                                        ; implicit-def: $vgpr5
	s_and_saveexec_b64 s[40:41], vcc
	s_xor_b64 s[40:41], exec, s[40:41]
	s_cbranch_execz .LBB214_1072
; %bb.1067:
	s_mov_b32 s42, 0x3c7fffff
	v_cmp_lt_u32_e32 vcc, s42, v6
                                        ; implicit-def: $vgpr5
	s_and_saveexec_b64 s[42:43], vcc
	s_xor_b64 s[42:43], exec, s[42:43]
; %bb.1068:
	v_bfe_u32 v5, v4, 20, 1
	s_mov_b32 s44, 0x407ffff
	v_add3_u32 v5, v4, v5, s44
	v_lshrrev_b32_e32 v6, 20, v5
	v_and_b32_e32 v5, 0xff00000, v5
	s_mov_b32 s44, 0x7f00000
	v_mov_b32_e32 v7, 0x7e
	v_cmp_ne_u32_e32 vcc, s44, v5
	v_cndmask_b32_e32 v5, v7, v6, vcc
; %bb.1069:
	s_andn2_saveexec_b64 s[42:43], s[42:43]
; %bb.1070:
	s_mov_b32 s44, 0x46800000
	v_add_f32_e64 v5, |v4|, s44
; %bb.1071:
	s_or_b64 exec, exec, s[42:43]
                                        ; implicit-def: $vgpr6
.LBB214_1072:
	s_andn2_saveexec_b64 s[40:41], s[40:41]
; %bb.1073:
	s_mov_b32 s42, 0x7f800000
	v_mov_b32_e32 v5, 0x7e
	v_mov_b32_e32 v7, 0x7f
	v_cmp_lt_u32_e32 vcc, s42, v6
	v_cndmask_b32_e32 v5, v5, v7, vcc
; %bb.1074:
	s_or_b64 exec, exec, s[40:41]
	v_lshrrev_b32_e32 v4, 24, v4
	s_movk_i32 s40, 0x80
	v_and_or_b32 v4, v4, s40, v5
	global_store_byte v[2:3], v4, off
.LBB214_1075:
	s_mov_b64 s[40:41], 0
.LBB214_1076:
	s_andn2_b64 vcc, exec, s[40:41]
	s_cbranch_vccnz .LBB214_1086
; %bb.1077:
	v_xor_b32_e32 v5, v0, v1
	v_ffbh_i32_e32 v4, v1
	v_ashrrev_i32_e32 v5, 31, v5
	v_add_u32_e32 v4, -1, v4
	v_add_u32_e32 v5, 32, v5
	v_min_u32_e32 v6, v4, v5
	v_lshlrev_b64 v[4:5], v6, v[0:1]
	s_mov_b32 s40, 0x47800000
	v_min_u32_e32 v4, 1, v4
	v_or_b32_e32 v4, v5, v4
	v_cvt_f32_i32_e32 v4, v4
	v_sub_u32_e32 v5, 32, v6
	v_ldexp_f32 v4, v4, v5
	v_and_b32_e32 v6, 0x7fffffff, v4
	v_cmp_gt_u32_e32 vcc, s40, v6
                                        ; implicit-def: $vgpr5
	s_and_saveexec_b64 s[40:41], vcc
	s_xor_b64 s[40:41], exec, s[40:41]
	s_cbranch_execz .LBB214_1083
; %bb.1078:
	s_mov_b32 s42, 0x387fffff
	v_cmp_lt_u32_e32 vcc, s42, v6
                                        ; implicit-def: $vgpr5
	s_and_saveexec_b64 s[42:43], vcc
	s_xor_b64 s[42:43], exec, s[42:43]
; %bb.1079:
	v_bfe_u32 v5, v4, 21, 1
	s_mov_b32 s44, 0x80fffff
	v_add3_u32 v5, v4, v5, s44
	v_lshrrev_b32_e32 v5, 21, v5
; %bb.1080:
	s_andn2_saveexec_b64 s[42:43], s[42:43]
; %bb.1081:
	s_mov_b32 s44, 0x43000000
	v_add_f32_e64 v5, |v4|, s44
; %bb.1082:
	s_or_b64 exec, exec, s[42:43]
                                        ; implicit-def: $vgpr6
.LBB214_1083:
	s_andn2_saveexec_b64 s[40:41], s[40:41]
; %bb.1084:
	s_mov_b32 s42, 0x7f800000
	v_mov_b32_e32 v5, 0x7c
	v_mov_b32_e32 v7, 0x7f
	v_cmp_lt_u32_e32 vcc, s42, v6
	v_cndmask_b32_e32 v5, v5, v7, vcc
; %bb.1085:
	s_or_b64 exec, exec, s[40:41]
	v_lshrrev_b32_e32 v4, 24, v4
	s_movk_i32 s40, 0x80
	v_and_or_b32 v4, v4, s40, v5
	global_store_byte v[2:3], v4, off
.LBB214_1086:
	s_mov_b64 s[42:43], 0
	s_mov_b64 s[40:41], -1
.LBB214_1087:
	s_andn2_b64 vcc, exec, s[42:43]
	s_cbranch_vccnz .LBB214_1095
; %bb.1088:
	s_cmp_gt_i32 s47, 14
	s_mov_b64 s[42:43], -1
	s_cbranch_scc0 .LBB214_1092
; %bb.1089:
	s_cmp_eq_u32 s47, 15
	s_mov_b64 s[0:1], -1
	s_cbranch_scc0 .LBB214_1091
; %bb.1090:
	v_xor_b32_e32 v5, v0, v1
	v_ffbh_i32_e32 v4, v1
	v_ashrrev_i32_e32 v5, 31, v5
	v_add_u32_e32 v4, -1, v4
	v_add_u32_e32 v5, 32, v5
	v_min_u32_e32 v6, v4, v5
	v_lshlrev_b64 v[4:5], v6, v[0:1]
	s_movk_i32 s0, 0x7fff
	v_min_u32_e32 v4, 1, v4
	v_or_b32_e32 v4, v5, v4
	v_cvt_f32_i32_e32 v4, v4
	v_sub_u32_e32 v5, 32, v6
	s_mov_b64 s[40:41], -1
	v_ldexp_f32 v4, v4, v5
	v_bfe_u32 v5, v4, 16, 1
	v_add3_u32 v4, v4, v5, s0
	global_store_short_d16_hi v[2:3], v4, off
	s_mov_b64 s[0:1], 0
.LBB214_1091:
	s_mov_b64 s[42:43], 0
.LBB214_1092:
	s_and_b64 vcc, exec, s[42:43]
	s_cbranch_vccz .LBB214_1095
; %bb.1093:
	s_cmp_eq_u32 s47, 11
	s_mov_b64 s[0:1], -1
	s_cbranch_scc0 .LBB214_1095
; %bb.1094:
	v_cmp_ne_u64_e32 vcc, 0, v[0:1]
	s_mov_b64 s[0:1], 0
	v_cndmask_b32_e64 v4, 0, 1, vcc
	s_mov_b64 s[40:41], -1
	global_store_byte v[2:3], v4, off
.LBB214_1095:
	s_mov_b64 s[42:43], 0
.LBB214_1096:
	s_and_b64 vcc, exec, s[42:43]
	s_cbranch_vccz .LBB214_1135
; %bb.1097:
	s_and_b32 s42, 0xffff, s46
	s_cmp_lt_i32 s42, 5
	s_mov_b64 s[40:41], -1
	s_cbranch_scc1 .LBB214_1118
; %bb.1098:
	s_cmp_lt_i32 s42, 8
	s_cbranch_scc1 .LBB214_1108
; %bb.1099:
	s_cmp_lt_i32 s42, 9
	s_cbranch_scc1 .LBB214_1105
; %bb.1100:
	s_cmp_gt_i32 s42, 9
	s_cbranch_scc0 .LBB214_1102
; %bb.1101:
	v_cvt_f64_i32_e32 v[4:5], v1
	v_cvt_f64_u32_e32 v[6:7], v0
	s_mov_b64 s[40:41], 0
	v_ldexp_f64 v[4:5], v[4:5], 32
	v_add_f64 v[4:5], v[4:5], v[6:7]
	v_mov_b32_e32 v6, 0
	v_mov_b32_e32 v7, v6
	global_store_dwordx4 v[2:3], v[4:7], off
.LBB214_1102:
	s_andn2_b64 vcc, exec, s[40:41]
	s_cbranch_vccnz .LBB214_1104
; %bb.1103:
	v_xor_b32_e32 v5, v0, v1
	v_ffbh_i32_e32 v4, v1
	v_ashrrev_i32_e32 v5, 31, v5
	v_add_u32_e32 v4, -1, v4
	v_add_u32_e32 v5, 32, v5
	v_min_u32_e32 v6, v4, v5
	v_lshlrev_b64 v[4:5], v6, v[0:1]
	v_min_u32_e32 v4, 1, v4
	v_or_b32_e32 v4, v5, v4
	v_cvt_f32_i32_e32 v4, v4
	v_sub_u32_e32 v5, 32, v6
	v_ldexp_f32 v4, v4, v5
	v_mov_b32_e32 v5, 0
	global_store_dwordx2 v[2:3], v[4:5], off
.LBB214_1104:
	s_mov_b64 s[40:41], 0
.LBB214_1105:
	s_andn2_b64 vcc, exec, s[40:41]
	s_cbranch_vccnz .LBB214_1107
; %bb.1106:
	v_xor_b32_e32 v5, v0, v1
	v_ffbh_i32_e32 v4, v1
	v_ashrrev_i32_e32 v5, 31, v5
	v_add_u32_e32 v4, -1, v4
	v_add_u32_e32 v5, 32, v5
	v_min_u32_e32 v6, v4, v5
	v_lshlrev_b64 v[4:5], v6, v[0:1]
	v_min_u32_e32 v4, 1, v4
	v_or_b32_e32 v4, v5, v4
	v_cvt_f32_i32_e32 v4, v4
	v_sub_u32_e32 v5, 32, v6
	v_ldexp_f32 v4, v4, v5
	v_cvt_f16_f32_e32 v4, v4
	global_store_dword v[2:3], v4, off
.LBB214_1107:
	s_mov_b64 s[40:41], 0
.LBB214_1108:
	s_andn2_b64 vcc, exec, s[40:41]
	s_cbranch_vccnz .LBB214_1117
; %bb.1109:
	s_cmp_lt_i32 s42, 6
	s_mov_b64 s[40:41], -1
	s_cbranch_scc1 .LBB214_1115
; %bb.1110:
	s_cmp_gt_i32 s42, 6
	s_cbranch_scc0 .LBB214_1112
; %bb.1111:
	v_cvt_f64_i32_e32 v[4:5], v1
	v_cvt_f64_u32_e32 v[6:7], v0
	s_mov_b64 s[40:41], 0
	v_ldexp_f64 v[4:5], v[4:5], 32
	v_add_f64 v[4:5], v[4:5], v[6:7]
	global_store_dwordx2 v[2:3], v[4:5], off
.LBB214_1112:
	s_andn2_b64 vcc, exec, s[40:41]
	s_cbranch_vccnz .LBB214_1114
; %bb.1113:
	v_xor_b32_e32 v5, v0, v1
	v_ffbh_i32_e32 v4, v1
	v_ashrrev_i32_e32 v5, 31, v5
	v_add_u32_e32 v4, -1, v4
	v_add_u32_e32 v5, 32, v5
	v_min_u32_e32 v6, v4, v5
	v_lshlrev_b64 v[4:5], v6, v[0:1]
	v_min_u32_e32 v4, 1, v4
	v_or_b32_e32 v4, v5, v4
	v_cvt_f32_i32_e32 v4, v4
	v_sub_u32_e32 v5, 32, v6
	v_ldexp_f32 v4, v4, v5
	global_store_dword v[2:3], v4, off
.LBB214_1114:
	s_mov_b64 s[40:41], 0
.LBB214_1115:
	s_andn2_b64 vcc, exec, s[40:41]
	s_cbranch_vccnz .LBB214_1117
; %bb.1116:
	v_xor_b32_e32 v5, v0, v1
	v_ffbh_i32_e32 v4, v1
	v_ashrrev_i32_e32 v5, 31, v5
	v_add_u32_e32 v4, -1, v4
	v_add_u32_e32 v5, 32, v5
	v_min_u32_e32 v6, v4, v5
	v_lshlrev_b64 v[4:5], v6, v[0:1]
	v_min_u32_e32 v4, 1, v4
	v_or_b32_e32 v4, v5, v4
	v_cvt_f32_i32_e32 v4, v4
	v_sub_u32_e32 v5, 32, v6
	v_ldexp_f32 v4, v4, v5
	v_cvt_f16_f32_e32 v4, v4
	global_store_short v[2:3], v4, off
.LBB214_1117:
	s_mov_b64 s[40:41], 0
.LBB214_1118:
	s_andn2_b64 vcc, exec, s[40:41]
	s_cbranch_vccnz .LBB214_1134
; %bb.1119:
	s_cmp_lt_i32 s42, 2
	s_mov_b64 s[40:41], -1
	s_cbranch_scc1 .LBB214_1129
; %bb.1120:
	s_cmp_lt_i32 s42, 3
	s_cbranch_scc1 .LBB214_1126
; %bb.1121:
	s_cmp_gt_i32 s42, 3
	s_cbranch_scc0 .LBB214_1123
; %bb.1122:
	s_mov_b64 s[40:41], 0
	global_store_dwordx2 v[2:3], v[0:1], off
.LBB214_1123:
	s_andn2_b64 vcc, exec, s[40:41]
	s_cbranch_vccnz .LBB214_1125
; %bb.1124:
	global_store_dword v[2:3], v0, off
.LBB214_1125:
	s_mov_b64 s[40:41], 0
.LBB214_1126:
	s_andn2_b64 vcc, exec, s[40:41]
	s_cbranch_vccnz .LBB214_1128
; %bb.1127:
	global_store_short v[2:3], v0, off
.LBB214_1128:
	s_mov_b64 s[40:41], 0
.LBB214_1129:
	s_andn2_b64 vcc, exec, s[40:41]
	s_cbranch_vccnz .LBB214_1134
; %bb.1130:
	s_cmp_gt_i32 s42, 0
	s_mov_b64 s[40:41], -1
	s_cbranch_scc0 .LBB214_1132
; %bb.1131:
	s_mov_b64 s[40:41], 0
	global_store_byte v[2:3], v0, off
.LBB214_1132:
	s_andn2_b64 vcc, exec, s[40:41]
	s_cbranch_vccnz .LBB214_1134
; %bb.1133:
	global_store_byte v[2:3], v0, off
.LBB214_1134:
	s_mov_b64 s[40:41], -1
.LBB214_1135:
	s_andn2_b64 vcc, exec, s[40:41]
	s_cbranch_vccnz .LBB214_1148
; %bb.1136:
	v_add_u32_e32 v18, 0x80, v18
	s_mov_b64 s[42:43], -1
.LBB214_1137:
	s_andn2_b64 s[40:41], s[28:29], exec
	s_and_b64 s[0:1], s[0:1], exec
	s_or_b64 s[40:41], s[40:41], s[0:1]
	s_andn2_b64 s[0:1], s[26:27], exec
	s_and_b64 s[38:39], s[38:39], exec
	s_or_b64 s[38:39], s[0:1], s[38:39]
	;; [unrolled: 3-line block ×3, first 2 shown]
	s_orn2_b64 s[46:47], s[42:43], exec
.LBB214_1138:
	s_or_b64 exec, exec, s[34:35]
	s_mov_b64 s[42:43], 0
	s_mov_b64 s[36:37], 0
	;; [unrolled: 1-line block ×3, first 2 shown]
                                        ; implicit-def: $sgpr55
                                        ; implicit-def: $vgpr2_vgpr3
                                        ; implicit-def: $vgpr0_vgpr1
	s_and_saveexec_b64 s[34:35], s[46:47]
	s_cbranch_execz .LBB214_1218
; %bb.1139:
	v_cmp_gt_i32_e32 vcc, s48, v18
	s_mov_b64 s[46:47], 0
	s_mov_b64 s[48:49], s[0:1]
	s_mov_b64 s[50:51], 0
	s_mov_b64 s[52:53], 0
                                        ; implicit-def: $sgpr55
                                        ; implicit-def: $vgpr2_vgpr3
                                        ; implicit-def: $vgpr0_vgpr1
	s_and_saveexec_b64 s[36:37], vcc
	s_cbranch_execz .LBB214_1217
; %bb.1140:
	s_waitcnt vmcnt(0)
	v_mul_lo_u32 v0, v18, s13
	v_mov_b32_e32 v1, s11
	s_and_b32 s55, s54, 0xff
	s_cmp_lt_i32 s55, 11
	v_ashrrev_i32_e32 v3, 31, v0
	v_add_co_u32_e32 v2, vcc, s10, v0
	v_addc_co_u32_e32 v3, vcc, v1, v3, vcc
	s_cbranch_scc1 .LBB214_1147
; %bb.1141:
	s_and_b32 s50, 0xffff, s55
	s_cmp_gt_i32 s50, 25
	s_cbranch_scc0 .LBB214_1149
; %bb.1142:
	s_cmp_gt_i32 s50, 28
	s_cbranch_scc0 .LBB214_1150
; %bb.1143:
	;; [unrolled: 3-line block ×4, first 2 shown]
	s_cmp_eq_u32 s50, 46
	s_mov_b64 s[48:49], 0
	s_cbranch_scc0 .LBB214_1155
; %bb.1146:
	global_load_dword v0, v[2:3], off
	s_mov_b32 s42, 0x2f800000
	s_mov_b32 s43, 0xcf800000
	s_mov_b64 s[46:47], -1
	s_waitcnt vmcnt(0)
	v_lshlrev_b32_e32 v0, 16, v0
	v_trunc_f32_e32 v0, v0
	v_mul_f32_e64 v1, |v0|, s42
	v_floor_f32_e32 v1, v1
	v_fma_f32 v4, v1, s43, |v0|
	v_cvt_u32_f32_e32 v4, v4
	v_cvt_u32_f32_e32 v1, v1
	v_ashrrev_i32_e32 v5, 31, v0
	s_mov_b64 s[42:43], 0
	v_xor_b32_e32 v0, v4, v5
	v_xor_b32_e32 v1, v1, v5
	v_sub_co_u32_e32 v0, vcc, v0, v5
	v_subb_co_u32_e32 v1, vcc, v1, v5, vcc
	s_branch .LBB214_1157
.LBB214_1147:
	s_mov_b64 s[48:49], -1
                                        ; implicit-def: $vgpr0_vgpr1
	s_mov_b64 s[42:43], s[0:1]
	s_branch .LBB214_1216
.LBB214_1148:
	s_mov_b64 s[42:43], 0
	s_branch .LBB214_894
.LBB214_1149:
	s_mov_b64 s[48:49], -1
	s_mov_b64 s[42:43], s[0:1]
                                        ; implicit-def: $vgpr0_vgpr1
	s_branch .LBB214_1186
.LBB214_1150:
	s_mov_b64 s[48:49], -1
	s_mov_b64 s[42:43], s[0:1]
                                        ; implicit-def: $vgpr0_vgpr1
	s_branch .LBB214_1167
.LBB214_1151:
	s_mov_b64 s[48:49], -1
	s_mov_b64 s[42:43], s[0:1]
                                        ; implicit-def: $vgpr0_vgpr1
	s_branch .LBB214_1162
.LBB214_1152:
	s_mov_b64 s[48:49], -1
	s_mov_b64 s[42:43], s[0:1]
	s_branch .LBB214_1156
.LBB214_1153:
	s_andn2_saveexec_b64 s[44:45], s[44:45]
	s_cbranch_execz .LBB214_1048
.LBB214_1154:
	s_mov_b32 s49, 0x46000000
	v_add_f32_e64 v5, |v4|, s49
	v_and_b32_e32 v5, 0xff, v5
	v_cmp_ne_u32_e32 vcc, 0, v5
	s_andn2_b64 s[42:43], s[42:43], exec
	s_and_b64 s[50:51], vcc, exec
	s_or_b64 s[42:43], s[42:43], s[50:51]
	s_or_b64 exec, exec, s[44:45]
	v_mov_b32_e32 v6, 0
	s_and_saveexec_b64 s[44:45], s[42:43]
	s_cbranch_execnz .LBB214_1049
	s_branch .LBB214_1050
.LBB214_1155:
	s_mov_b64 s[42:43], -1
.LBB214_1156:
                                        ; implicit-def: $vgpr0_vgpr1
.LBB214_1157:
	s_and_b64 vcc, exec, s[48:49]
	s_cbranch_vccz .LBB214_1161
; %bb.1158:
	s_cmp_eq_u32 s50, 44
	s_cbranch_scc0 .LBB214_1160
; %bb.1159:
	global_load_ubyte v0, v[2:3], off
	s_mov_b32 s42, 0x2f800000
	s_mov_b32 s43, 0xcf800000
	s_mov_b64 s[46:47], -1
	s_waitcnt vmcnt(0)
	v_lshlrev_b32_e32 v1, 23, v0
	v_trunc_f32_e32 v1, v1
	v_mul_f32_e64 v4, |v1|, s42
	v_floor_f32_e32 v4, v4
	v_fma_f32 v5, v4, s43, |v1|
	v_cvt_u32_f32_e32 v5, v5
	v_cvt_u32_f32_e32 v4, v4
	v_ashrrev_i32_e32 v1, 31, v1
	s_mov_b64 s[42:43], 0
	v_xor_b32_e32 v5, v5, v1
	v_xor_b32_e32 v4, v4, v1
	v_sub_co_u32_e32 v5, vcc, v5, v1
	v_subb_co_u32_e32 v1, vcc, v4, v1, vcc
	v_cmp_ne_u32_e32 vcc, 0, v0
	v_cndmask_b32_e32 v1, 0, v1, vcc
	v_cndmask_b32_e32 v0, 0, v5, vcc
	s_branch .LBB214_1161
.LBB214_1160:
	s_mov_b64 s[42:43], -1
                                        ; implicit-def: $vgpr0_vgpr1
.LBB214_1161:
	s_mov_b64 s[48:49], 0
.LBB214_1162:
	s_and_b64 vcc, exec, s[48:49]
	s_cbranch_vccz .LBB214_1166
; %bb.1163:
	s_cmp_eq_u32 s50, 29
	s_cbranch_scc0 .LBB214_1165
; %bb.1164:
	global_load_dwordx2 v[0:1], v[2:3], off
	s_mov_b64 s[42:43], 0
	s_mov_b64 s[46:47], -1
	s_branch .LBB214_1166
.LBB214_1165:
	s_mov_b64 s[42:43], -1
                                        ; implicit-def: $vgpr0_vgpr1
.LBB214_1166:
	s_mov_b64 s[48:49], 0
.LBB214_1167:
	s_and_b64 vcc, exec, s[48:49]
	s_cbranch_vccz .LBB214_1185
; %bb.1168:
	s_cmp_lt_i32 s50, 27
	s_cbranch_scc1 .LBB214_1171
; %bb.1169:
	s_cmp_gt_i32 s50, 27
	s_cbranch_scc0 .LBB214_1172
; %bb.1170:
	global_load_dword v0, v[2:3], off
	s_waitcnt vmcnt(1)
	v_mov_b32_e32 v1, 0
	s_mov_b64 s[46:47], 0
	s_branch .LBB214_1173
.LBB214_1171:
	s_mov_b64 s[46:47], -1
                                        ; implicit-def: $vgpr0_vgpr1
	s_branch .LBB214_1176
.LBB214_1172:
	s_mov_b64 s[46:47], -1
                                        ; implicit-def: $vgpr0_vgpr1
.LBB214_1173:
	s_andn2_b64 vcc, exec, s[46:47]
	s_cbranch_vccnz .LBB214_1175
; %bb.1174:
	global_load_ushort v0, v[2:3], off
	s_mov_b32 s46, 0
	s_waitcnt vmcnt(1)
	v_mov_b32_e32 v1, s46
	s_waitcnt vmcnt(0)
	v_and_b32_e32 v0, 0xffff, v0
.LBB214_1175:
	s_mov_b64 s[46:47], 0
.LBB214_1176:
	s_andn2_b64 vcc, exec, s[46:47]
	s_cbranch_vccnz .LBB214_1184
; %bb.1177:
	global_load_ubyte v4, v[2:3], off
	s_movk_i32 s46, 0x7f
	s_mov_b64 s[48:49], 0
	s_waitcnt vmcnt(0)
	v_cmp_lt_i16_e32 vcc, s46, v4
	s_and_saveexec_b64 s[46:47], vcc
	s_xor_b64 s[46:47], exec, s[46:47]
; %bb.1178:
	s_movk_i32 s48, 0x80
	v_cmp_ne_u16_e32 vcc, s48, v4
	s_and_b64 s[48:49], vcc, exec
; %bb.1179:
	s_andn2_saveexec_b64 s[46:47], s[46:47]
; %bb.1180:
	v_cmp_ne_u16_e32 vcc, 0, v4
	s_andn2_b64 s[48:49], s[48:49], exec
	s_and_b64 s[52:53], vcc, exec
	s_or_b64 s[48:49], s[48:49], s[52:53]
; %bb.1181:
	s_or_b64 exec, exec, s[46:47]
	v_mov_b32_e32 v0, 0
	v_mov_b32_e32 v1, 0
	s_and_saveexec_b64 s[46:47], s[48:49]
	s_cbranch_execz .LBB214_1183
; %bb.1182:
	v_and_b32_e32 v1, 0xffff, v4
	v_lshlrev_b32_e32 v0, 24, v4
	v_and_b32_e32 v4, 7, v1
	v_ffbh_u32_e32 v6, v4
	v_min_u32_e32 v6, 32, v6
	v_subrev_u32_e32 v7, 28, v6
	v_bfe_u32 v5, v1, 3, 4
	v_lshlrev_b32_e32 v1, v7, v1
	v_sub_u32_e32 v6, 29, v6
	v_and_b32_e32 v1, 7, v1
	v_cmp_eq_u32_e32 vcc, 0, v5
	v_cndmask_b32_e32 v5, v5, v6, vcc
	v_cndmask_b32_e32 v1, v4, v1, vcc
	v_mov_b32_e32 v4, 0x3b800000
	v_lshlrev_b32_e32 v1, 20, v1
	v_and_b32_e32 v0, 0x80000000, v0
	v_lshl_add_u32 v4, v5, 23, v4
	v_or3_b32 v0, v0, v4, v1
	v_trunc_f32_e32 v0, v0
	s_mov_b32 s48, 0x2f800000
	v_mul_f32_e64 v1, |v0|, s48
	v_floor_f32_e32 v1, v1
	s_mov_b32 s48, 0xcf800000
	v_fma_f32 v4, v1, s48, |v0|
	v_cvt_u32_f32_e32 v4, v4
	v_cvt_u32_f32_e32 v1, v1
	v_ashrrev_i32_e32 v5, 31, v0
	v_xor_b32_e32 v0, v4, v5
	v_xor_b32_e32 v1, v1, v5
	v_sub_co_u32_e32 v0, vcc, v0, v5
	v_subb_co_u32_e32 v1, vcc, v1, v5, vcc
.LBB214_1183:
	s_or_b64 exec, exec, s[46:47]
.LBB214_1184:
	s_mov_b64 s[46:47], -1
.LBB214_1185:
	s_mov_b64 s[48:49], 0
.LBB214_1186:
	s_and_b64 vcc, exec, s[48:49]
	s_cbranch_vccz .LBB214_1215
; %bb.1187:
	s_cmp_gt_i32 s50, 22
	s_cbranch_scc0 .LBB214_1197
; %bb.1188:
	s_cmp_lt_i32 s50, 24
	s_cbranch_scc1 .LBB214_1198
; %bb.1189:
	s_cmp_gt_i32 s50, 24
	s_cbranch_scc0 .LBB214_1199
; %bb.1190:
	global_load_ubyte v4, v[2:3], off
	s_movk_i32 s44, 0x7f
	s_mov_b64 s[46:47], 0
	s_waitcnt vmcnt(0)
	v_cmp_lt_i16_e32 vcc, s44, v4
	s_and_saveexec_b64 s[44:45], vcc
	s_xor_b64 s[44:45], exec, s[44:45]
; %bb.1191:
	s_movk_i32 s46, 0x80
	v_cmp_ne_u16_e32 vcc, s46, v4
	s_and_b64 s[46:47], vcc, exec
; %bb.1192:
	s_andn2_saveexec_b64 s[44:45], s[44:45]
; %bb.1193:
	v_cmp_ne_u16_e32 vcc, 0, v4
	s_andn2_b64 s[46:47], s[46:47], exec
	s_and_b64 s[48:49], vcc, exec
	s_or_b64 s[46:47], s[46:47], s[48:49]
; %bb.1194:
	s_or_b64 exec, exec, s[44:45]
	v_mov_b32_e32 v0, 0
	v_mov_b32_e32 v1, 0
	s_and_saveexec_b64 s[44:45], s[46:47]
	s_cbranch_execz .LBB214_1196
; %bb.1195:
	v_and_b32_e32 v1, 0xffff, v4
	v_lshlrev_b32_e32 v0, 24, v4
	v_and_b32_e32 v4, 3, v1
	v_ffbh_u32_e32 v6, v4
	v_min_u32_e32 v6, 32, v6
	v_subrev_u32_e32 v7, 29, v6
	v_bfe_u32 v5, v1, 2, 5
	v_lshlrev_b32_e32 v1, v7, v1
	v_sub_u32_e32 v6, 30, v6
	v_and_b32_e32 v1, 3, v1
	v_cmp_eq_u32_e32 vcc, 0, v5
	v_cndmask_b32_e32 v5, v5, v6, vcc
	v_cndmask_b32_e32 v1, v4, v1, vcc
	v_mov_b32_e32 v4, 0x37800000
	v_lshlrev_b32_e32 v1, 21, v1
	v_and_b32_e32 v0, 0x80000000, v0
	v_lshl_add_u32 v4, v5, 23, v4
	v_or3_b32 v0, v0, v4, v1
	v_trunc_f32_e32 v0, v0
	s_mov_b32 s46, 0x2f800000
	v_mul_f32_e64 v1, |v0|, s46
	v_floor_f32_e32 v1, v1
	s_mov_b32 s46, 0xcf800000
	v_fma_f32 v4, v1, s46, |v0|
	v_cvt_u32_f32_e32 v4, v4
	v_cvt_u32_f32_e32 v1, v1
	v_ashrrev_i32_e32 v5, 31, v0
	v_xor_b32_e32 v0, v4, v5
	v_xor_b32_e32 v1, v1, v5
	v_sub_co_u32_e32 v0, vcc, v0, v5
	v_subb_co_u32_e32 v1, vcc, v1, v5, vcc
.LBB214_1196:
	s_or_b64 exec, exec, s[44:45]
	s_mov_b64 s[44:45], 0
	s_branch .LBB214_1200
.LBB214_1197:
	s_mov_b64 s[44:45], -1
                                        ; implicit-def: $vgpr0_vgpr1
	s_branch .LBB214_1206
.LBB214_1198:
	s_mov_b64 s[44:45], -1
                                        ; implicit-def: $vgpr0_vgpr1
	s_branch .LBB214_1203
.LBB214_1199:
	s_mov_b64 s[44:45], -1
                                        ; implicit-def: $vgpr0_vgpr1
.LBB214_1200:
	s_and_b64 vcc, exec, s[44:45]
	s_cbranch_vccz .LBB214_1202
; %bb.1201:
	global_load_ubyte v0, v[2:3], off
	s_mov_b32 s44, 0x7f800000
	s_brev_b32 s45, 1
	s_mov_b32 s46, 0x2f800000
	s_mov_b32 s47, 0xcf800000
	s_waitcnt vmcnt(0)
	v_lshlrev_b32_e32 v0, 24, v0
	v_and_b32_e32 v1, 0x7f000000, v0
	v_ffbh_u32_e32 v4, v1
	v_min_u32_e32 v4, 32, v4
	v_sub_u32_e64 v4, v4, 4 clamp
	v_lshlrev_b32_e32 v6, v4, v1
	v_lshlrev_b32_e32 v4, 23, v4
	v_lshrrev_b32_e32 v6, 4, v6
	v_add_u32_e32 v5, 0x1000000, v1
	v_sub_u32_e32 v4, v6, v4
	v_ashrrev_i32_e32 v5, 8, v5
	v_add_u32_e32 v4, 0x3c000000, v4
	v_and_or_b32 v4, v5, s44, v4
	v_cmp_ne_u32_e32 vcc, 0, v1
	v_cndmask_b32_e32 v1, 0, v4, vcc
	v_and_or_b32 v0, v0, s45, v1
	v_trunc_f32_e32 v0, v0
	v_mul_f32_e64 v1, |v0|, s46
	v_floor_f32_e32 v1, v1
	v_fma_f32 v4, v1, s47, |v0|
	v_cvt_u32_f32_e32 v4, v4
	v_cvt_u32_f32_e32 v1, v1
	v_ashrrev_i32_e32 v5, 31, v0
	v_xor_b32_e32 v0, v4, v5
	v_xor_b32_e32 v1, v1, v5
	v_sub_co_u32_e32 v0, vcc, v0, v5
	v_subb_co_u32_e32 v1, vcc, v1, v5, vcc
.LBB214_1202:
	s_mov_b64 s[44:45], 0
.LBB214_1203:
	s_andn2_b64 vcc, exec, s[44:45]
	s_cbranch_vccnz .LBB214_1205
; %bb.1204:
	global_load_ubyte v0, v[2:3], off
	s_movk_i32 s44, 0x7f00
	s_brev_b32 s45, 16
	s_brev_b32 s46, 1
	s_mov_b32 s47, 0x2f800000
	s_mov_b32 s48, 0xcf800000
	s_waitcnt vmcnt(0)
	v_lshlrev_b16_e32 v1, 8, v0
	v_lshlrev_b32_e32 v0, 25, v0
	v_lshrrev_b32_e32 v4, 4, v0
	v_and_or_b32 v5, v1, s44, 0.5
	v_or_b32_e32 v4, 0x70000000, v4
	v_add_f32_e32 v5, -0.5, v5
	v_mul_f32_e32 v4, 0x7800000, v4
	v_cmp_gt_u32_e32 vcc, s45, v0
	v_bfe_i32 v1, v1, 0, 16
	v_cndmask_b32_e32 v0, v4, v5, vcc
	v_and_or_b32 v0, v1, s46, v0
	v_trunc_f32_e32 v0, v0
	v_mul_f32_e64 v1, |v0|, s47
	v_floor_f32_e32 v1, v1
	v_fma_f32 v4, v1, s48, |v0|
	v_cvt_u32_f32_e32 v4, v4
	v_cvt_u32_f32_e32 v1, v1
	v_ashrrev_i32_e32 v5, 31, v0
	v_xor_b32_e32 v0, v4, v5
	v_xor_b32_e32 v1, v1, v5
	v_sub_co_u32_e32 v0, vcc, v0, v5
	v_subb_co_u32_e32 v1, vcc, v1, v5, vcc
.LBB214_1205:
	s_mov_b64 s[44:45], 0
	s_mov_b64 s[46:47], -1
.LBB214_1206:
	s_andn2_b64 vcc, exec, s[44:45]
	s_mov_b64 s[44:45], 0
	s_cbranch_vccnz .LBB214_1215
; %bb.1207:
	s_cmp_gt_i32 s50, 14
	s_cbranch_scc0 .LBB214_1210
; %bb.1208:
	s_cmp_eq_u32 s50, 15
	s_cbranch_scc0 .LBB214_1211
; %bb.1209:
	global_load_ushort v0, v[2:3], off
	s_mov_b32 s42, 0x2f800000
	s_mov_b32 s43, 0xcf800000
	s_mov_b64 s[46:47], -1
	s_waitcnt vmcnt(0)
	v_lshlrev_b32_e32 v0, 16, v0
	v_trunc_f32_e32 v0, v0
	v_mul_f32_e64 v1, |v0|, s42
	v_floor_f32_e32 v1, v1
	v_fma_f32 v4, v1, s43, |v0|
	v_cvt_u32_f32_e32 v4, v4
	v_cvt_u32_f32_e32 v1, v1
	v_ashrrev_i32_e32 v5, 31, v0
	s_mov_b64 s[42:43], 0
	v_xor_b32_e32 v0, v4, v5
	v_xor_b32_e32 v1, v1, v5
	v_sub_co_u32_e32 v0, vcc, v0, v5
	v_subb_co_u32_e32 v1, vcc, v1, v5, vcc
	s_branch .LBB214_1212
.LBB214_1210:
	s_mov_b64 s[48:49], -1
                                        ; implicit-def: $vgpr0_vgpr1
	s_branch .LBB214_1213
.LBB214_1211:
	s_mov_b64 s[42:43], -1
                                        ; implicit-def: $vgpr0_vgpr1
.LBB214_1212:
	s_mov_b64 s[48:49], 0
.LBB214_1213:
	s_and_b64 vcc, exec, s[48:49]
	s_cbranch_vccz .LBB214_1215
; %bb.1214:
	s_cmp_lg_u32 s50, 11
	s_cselect_b64 s[48:49], -1, 0
	s_andn2_b64 s[42:43], s[42:43], exec
	s_and_b64 s[48:49], s[48:49], exec
	s_mov_b64 s[44:45], -1
	s_or_b64 s[42:43], s[42:43], s[48:49]
.LBB214_1215:
	s_mov_b64 s[48:49], 0
.LBB214_1216:
	s_and_b64 s[52:53], s[46:47], exec
	s_and_b64 s[46:47], s[44:45], exec
	s_andn2_b64 s[44:45], s[0:1], exec
	s_and_b64 s[42:43], s[42:43], exec
	s_and_b64 s[50:51], s[48:49], exec
	s_or_b64 s[48:49], s[44:45], s[42:43]
.LBB214_1217:
	s_or_b64 exec, exec, s[36:37]
	s_and_b64 s[42:43], s[46:47], exec
	s_andn2_b64 s[0:1], s[0:1], exec
	s_and_b64 s[46:47], s[48:49], exec
	s_and_b64 s[44:45], s[52:53], exec
	;; [unrolled: 1-line block ×3, first 2 shown]
	s_or_b64 s[0:1], s[0:1], s[46:47]
.LBB214_1218:
	s_or_b64 exec, exec, s[34:35]
	s_andn2_b64 s[28:29], s[28:29], exec
	s_and_b64 s[34:35], s[40:41], exec
	s_or_b64 s[28:29], s[28:29], s[34:35]
	s_andn2_b64 s[26:27], s[26:27], exec
	s_and_b64 s[34:35], s[38:39], exec
	s_andn2_b64 s[24:25], s[24:25], exec
	s_and_b64 s[0:1], s[0:1], exec
	s_or_b64 s[26:27], s[26:27], s[34:35]
	s_and_b64 s[38:39], s[44:45], exec
	s_and_b64 s[36:37], s[36:37], exec
	;; [unrolled: 1-line block ×3, first 2 shown]
	s_or_b64 s[24:25], s[24:25], s[0:1]
.LBB214_1219:
	s_or_b64 exec, exec, s[30:31]
	s_andn2_b64 s[0:1], s[6:7], exec
	s_and_b64 s[6:7], s[28:29], exec
	s_or_b64 s[6:7], s[0:1], s[6:7]
	s_andn2_b64 s[0:1], s[18:19], exec
	s_and_b64 s[18:19], s[26:27], exec
	s_or_b64 s[18:19], s[0:1], s[18:19]
	s_andn2_b64 s[0:1], s[20:21], exec
	s_and_b64 s[20:21], s[24:25], exec
	s_and_b64 s[28:29], s[38:39], exec
	;; [unrolled: 1-line block ×4, first 2 shown]
	s_or_b64 s[20:21], s[0:1], s[20:21]
	s_or_b64 exec, exec, s[22:23]
	s_mov_b64 s[22:23], 0
	s_and_saveexec_b64 s[0:1], s[20:21]
	s_cbranch_execz .LBB214_385
.LBB214_1220:
	s_mov_b64 s[22:23], exec
	s_andn2_b64 s[26:27], s[26:27], exec
	s_trap 2
	s_or_b64 exec, exec, s[0:1]
	s_and_saveexec_b64 s[0:1], s[26:27]
	s_xor_b64 s[0:1], exec, s[0:1]
	s_cbranch_execnz .LBB214_386
.LBB214_1221:
	s_or_b64 exec, exec, s[0:1]
	s_and_saveexec_b64 s[0:1], s[30:31]
	s_cbranch_execz .LBB214_1267
.LBB214_1222:
	s_sext_i32_i16 s20, s55
	s_cmp_lt_i32 s20, 5
	s_cbranch_scc1 .LBB214_1227
; %bb.1223:
	s_cmp_lt_i32 s20, 8
	s_cbranch_scc1 .LBB214_1228
; %bb.1224:
	;; [unrolled: 3-line block ×3, first 2 shown]
	s_cmp_gt_i32 s20, 9
	s_cbranch_scc0 .LBB214_1230
; %bb.1226:
	global_load_dwordx2 v[0:1], v[2:3], off
	s_movk_i32 s20, 0xffe0
	s_waitcnt vmcnt(0)
	v_trunc_f64_e32 v[0:1], v[0:1]
	v_ldexp_f64 v[4:5], v[0:1], s20
	s_mov_b32 s20, 0
	s_mov_b32 s21, 0xc1f00000
	v_floor_f64_e32 v[4:5], v[4:5]
	v_fma_f64 v[6:7], v[4:5], s[20:21], v[0:1]
	v_cvt_i32_f64_e32 v1, v[4:5]
	s_mov_b64 s[20:21], 0
	v_cvt_u32_f64_e32 v0, v[6:7]
	s_branch .LBB214_1231
.LBB214_1227:
                                        ; implicit-def: $vgpr0_vgpr1
	s_branch .LBB214_1248
.LBB214_1228:
                                        ; implicit-def: $vgpr0_vgpr1
	s_branch .LBB214_1237
.LBB214_1229:
	s_mov_b64 s[20:21], -1
                                        ; implicit-def: $vgpr0_vgpr1
	s_branch .LBB214_1234
.LBB214_1230:
	s_mov_b64 s[20:21], -1
                                        ; implicit-def: $vgpr0_vgpr1
.LBB214_1231:
	s_andn2_b64 vcc, exec, s[20:21]
	s_cbranch_vccnz .LBB214_1233
; %bb.1232:
	global_load_dword v0, v[2:3], off
	s_mov_b32 s20, 0x2f800000
	s_mov_b32 s21, 0xcf800000
	s_waitcnt vmcnt(0)
	v_trunc_f32_e32 v0, v0
	v_mul_f32_e64 v1, |v0|, s20
	v_floor_f32_e32 v1, v1
	v_cvt_u32_f32_e32 v4, v1
	v_fma_f32 v1, v1, s21, |v0|
	v_cvt_u32_f32_e32 v1, v1
	v_ashrrev_i32_e32 v5, 31, v0
	v_xor_b32_e32 v4, v4, v5
	v_xor_b32_e32 v0, v1, v5
	v_sub_co_u32_e32 v0, vcc, v0, v5
	v_subb_co_u32_e32 v1, vcc, v4, v5, vcc
.LBB214_1233:
	s_mov_b64 s[20:21], 0
.LBB214_1234:
	s_andn2_b64 vcc, exec, s[20:21]
	s_cbranch_vccnz .LBB214_1236
; %bb.1235:
	global_load_dword v0, v[2:3], off
	s_waitcnt vmcnt(0)
	v_cvt_f32_f16_e32 v0, v0
	v_cvt_i32_f32_e32 v0, v0
	v_ashrrev_i32_e32 v1, 31, v0
.LBB214_1236:
	s_cbranch_execnz .LBB214_1247
.LBB214_1237:
	s_sext_i32_i16 s20, s55
	s_cmp_lt_i32 s20, 6
	s_cbranch_scc1 .LBB214_1240
; %bb.1238:
	s_cmp_gt_i32 s20, 6
	s_cbranch_scc0 .LBB214_1241
; %bb.1239:
	global_load_dwordx2 v[0:1], v[2:3], off
	s_movk_i32 s20, 0xffe0
	s_waitcnt vmcnt(0)
	v_trunc_f64_e32 v[0:1], v[0:1]
	v_ldexp_f64 v[4:5], v[0:1], s20
	s_mov_b32 s20, 0
	s_mov_b32 s21, 0xc1f00000
	v_floor_f64_e32 v[4:5], v[4:5]
	v_fma_f64 v[6:7], v[4:5], s[20:21], v[0:1]
	v_cvt_i32_f64_e32 v1, v[4:5]
	s_mov_b64 s[20:21], 0
	v_cvt_u32_f64_e32 v0, v[6:7]
	s_branch .LBB214_1242
.LBB214_1240:
	s_mov_b64 s[20:21], -1
                                        ; implicit-def: $vgpr0_vgpr1
	s_branch .LBB214_1245
.LBB214_1241:
	s_mov_b64 s[20:21], -1
                                        ; implicit-def: $vgpr0_vgpr1
.LBB214_1242:
	s_andn2_b64 vcc, exec, s[20:21]
	s_cbranch_vccnz .LBB214_1244
; %bb.1243:
	global_load_dword v0, v[2:3], off
	s_mov_b32 s20, 0x2f800000
	s_mov_b32 s21, 0xcf800000
	s_waitcnt vmcnt(0)
	v_trunc_f32_e32 v0, v0
	v_mul_f32_e64 v1, |v0|, s20
	v_floor_f32_e32 v1, v1
	v_cvt_u32_f32_e32 v4, v1
	v_fma_f32 v1, v1, s21, |v0|
	v_cvt_u32_f32_e32 v1, v1
	v_ashrrev_i32_e32 v5, 31, v0
	v_xor_b32_e32 v4, v4, v5
	v_xor_b32_e32 v0, v1, v5
	v_sub_co_u32_e32 v0, vcc, v0, v5
	v_subb_co_u32_e32 v1, vcc, v4, v5, vcc
.LBB214_1244:
	s_mov_b64 s[20:21], 0
.LBB214_1245:
	s_andn2_b64 vcc, exec, s[20:21]
	s_cbranch_vccnz .LBB214_1247
; %bb.1246:
	global_load_ushort v0, v[2:3], off
	s_waitcnt vmcnt(0)
	v_cvt_f32_f16_e32 v0, v0
	v_cvt_i32_f32_e32 v0, v0
	v_ashrrev_i32_e32 v1, 31, v0
.LBB214_1247:
	s_cbranch_execnz .LBB214_1266
.LBB214_1248:
	s_sext_i32_i16 s20, s55
	s_cmp_lt_i32 s20, 2
	s_cbranch_scc1 .LBB214_1252
; %bb.1249:
	s_cmp_lt_i32 s20, 3
	s_cbranch_scc1 .LBB214_1253
; %bb.1250:
	s_cmp_gt_i32 s20, 3
	s_cbranch_scc0 .LBB214_1254
; %bb.1251:
	global_load_dwordx2 v[0:1], v[2:3], off
	s_mov_b64 s[20:21], 0
	s_branch .LBB214_1255
.LBB214_1252:
                                        ; implicit-def: $vgpr0_vgpr1
	s_branch .LBB214_1261
.LBB214_1253:
	s_mov_b64 s[20:21], -1
                                        ; implicit-def: $vgpr0_vgpr1
	s_branch .LBB214_1258
.LBB214_1254:
	s_mov_b64 s[20:21], -1
                                        ; implicit-def: $vgpr0_vgpr1
.LBB214_1255:
	s_andn2_b64 vcc, exec, s[20:21]
	s_cbranch_vccnz .LBB214_1257
; %bb.1256:
	global_load_dword v0, v[2:3], off
	s_waitcnt vmcnt(0)
	v_ashrrev_i32_e32 v1, 31, v0
.LBB214_1257:
	s_mov_b64 s[20:21], 0
.LBB214_1258:
	s_andn2_b64 vcc, exec, s[20:21]
	s_cbranch_vccnz .LBB214_1260
; %bb.1259:
	global_load_ushort v0, v[2:3], off
	s_waitcnt vmcnt(0)
	v_bfe_i32 v0, v0, 0, 16
	v_ashrrev_i32_e32 v1, 31, v0
.LBB214_1260:
	s_cbranch_execnz .LBB214_1266
.LBB214_1261:
	s_sext_i32_i16 s20, s55
	s_cmp_gt_i32 s20, 0
	s_cbranch_scc0 .LBB214_1263
; %bb.1262:
	global_load_sbyte v0, v[2:3], off
	s_mov_b64 s[20:21], 0
	s_waitcnt vmcnt(0)
	v_bfe_i32 v0, v0, 0, 16
	v_ashrrev_i32_e32 v1, 31, v0
	s_branch .LBB214_1264
.LBB214_1263:
	s_mov_b64 s[20:21], -1
                                        ; implicit-def: $vgpr0_vgpr1
.LBB214_1264:
	s_andn2_b64 vcc, exec, s[20:21]
	s_cbranch_vccnz .LBB214_1266
; %bb.1265:
	global_load_ubyte v0, v[2:3], off
	s_mov_b32 s20, 0
	s_waitcnt vmcnt(1)
	v_mov_b32_e32 v1, s20
	s_waitcnt vmcnt(0)
	v_and_b32_e32 v0, 0xffff, v0
.LBB214_1266:
	s_or_b64 s[28:29], s[28:29], exec
.LBB214_1267:
	s_or_b64 exec, exec, s[0:1]
	s_mov_b64 s[26:27], 0
	s_mov_b64 s[30:31], 0
	;; [unrolled: 1-line block ×3, first 2 shown]
                                        ; implicit-def: $sgpr34
                                        ; implicit-def: $vgpr2_vgpr3
                                        ; implicit-def: $vgpr6_vgpr7
	s_and_saveexec_b64 s[0:1], s[28:29]
	s_cbranch_execz .LBB214_1275
; %bb.1268:
	v_mul_lo_u32 v2, v18, s14
	v_mov_b32_e32 v3, s3
	s_and_b32 s34, s15, 0xff
	s_cmp_lt_i32 s34, 11
	s_waitcnt vmcnt(0)
	v_ashrrev_i32_e32 v4, 31, v2
	v_add_co_u32_e32 v2, vcc, s2, v2
	v_addc_co_u32_e32 v3, vcc, v3, v4, vcc
	s_cbranch_scc1 .LBB214_1278
; %bb.1269:
	s_and_b32 s30, 0xffff, s34
	s_cmp_gt_i32 s30, 25
	s_cbranch_scc0 .LBB214_1279
; %bb.1270:
	s_cmp_gt_i32 s30, 28
	s_cbranch_scc0 .LBB214_1280
; %bb.1271:
	;; [unrolled: 3-line block ×4, first 2 shown]
	s_cmp_eq_u32 s30, 46
	s_mov_b64 s[28:29], 0
	s_cbranch_scc0 .LBB214_1283
; %bb.1274:
	global_load_dword v4, v[2:3], off
	s_mov_b32 s20, 0x2f800000
	s_mov_b32 s21, 0xcf800000
	s_mov_b64 s[24:25], -1
	s_waitcnt vmcnt(0)
	v_lshlrev_b32_e32 v4, 16, v4
	v_trunc_f32_e32 v4, v4
	v_mul_f32_e64 v5, |v4|, s20
	v_floor_f32_e32 v5, v5
	v_fma_f32 v6, v5, s21, |v4|
	v_cvt_u32_f32_e32 v6, v6
	v_cvt_u32_f32_e32 v5, v5
	v_ashrrev_i32_e32 v4, 31, v4
	s_mov_b64 s[20:21], 0
	v_xor_b32_e32 v6, v6, v4
	v_xor_b32_e32 v5, v5, v4
	v_sub_co_u32_e32 v6, vcc, v6, v4
	v_subb_co_u32_e32 v7, vcc, v5, v4, vcc
	s_branch .LBB214_1285
.LBB214_1275:
	s_or_b64 exec, exec, s[0:1]
	s_and_saveexec_b64 s[0:1], s[18:19]
	s_cbranch_execnz .LBB214_1344
.LBB214_1276:
	s_or_b64 exec, exec, s[0:1]
	s_and_saveexec_b64 s[0:1], s[26:27]
	s_xor_b64 s[0:1], exec, s[0:1]
	s_cbranch_execz .LBB214_1345
.LBB214_1277:
	global_load_ubyte v4, v[2:3], off
	s_mov_b32 s18, 0
	s_waitcnt vmcnt(1)
	v_mov_b32_e32 v7, s18
	s_or_b64 s[24:25], s[24:25], exec
	s_waitcnt vmcnt(0)
	v_cmp_ne_u16_e32 vcc, 0, v4
	v_cndmask_b32_e64 v6, 0, 1, vcc
	s_or_b64 exec, exec, s[0:1]
	s_and_saveexec_b64 s[0:1], s[30:31]
	s_cbranch_execz .LBB214_1391
	s_branch .LBB214_1346
.LBB214_1278:
	s_mov_b64 s[28:29], -1
                                        ; implicit-def: $vgpr6_vgpr7
	s_mov_b64 s[20:21], s[18:19]
	s_branch .LBB214_1343
.LBB214_1279:
	s_mov_b64 s[20:21], s[18:19]
                                        ; implicit-def: $vgpr6_vgpr7
	s_cbranch_execnz .LBB214_1314
	s_branch .LBB214_1342
.LBB214_1280:
	s_mov_b64 s[28:29], -1
	s_mov_b64 s[20:21], s[18:19]
                                        ; implicit-def: $vgpr6_vgpr7
	s_branch .LBB214_1295
.LBB214_1281:
	s_mov_b64 s[28:29], -1
	s_mov_b64 s[20:21], s[18:19]
                                        ; implicit-def: $vgpr6_vgpr7
	s_branch .LBB214_1290
.LBB214_1282:
	s_mov_b64 s[28:29], -1
	s_mov_b64 s[20:21], s[18:19]
	s_branch .LBB214_1284
.LBB214_1283:
	s_mov_b64 s[20:21], -1
.LBB214_1284:
                                        ; implicit-def: $vgpr6_vgpr7
.LBB214_1285:
	s_and_b64 vcc, exec, s[28:29]
	s_cbranch_vccz .LBB214_1289
; %bb.1286:
	s_cmp_eq_u32 s30, 44
	s_cbranch_scc0 .LBB214_1288
; %bb.1287:
	global_load_ubyte v4, v[2:3], off
	s_mov_b32 s20, 0x2f800000
	s_mov_b32 s21, 0xcf800000
	s_mov_b64 s[24:25], -1
	s_waitcnt vmcnt(0)
	v_lshlrev_b32_e32 v5, 23, v4
	v_trunc_f32_e32 v5, v5
	v_mul_f32_e64 v6, |v5|, s20
	v_floor_f32_e32 v6, v6
	v_fma_f32 v7, v6, s21, |v5|
	v_cvt_u32_f32_e32 v7, v7
	v_cvt_u32_f32_e32 v6, v6
	v_ashrrev_i32_e32 v5, 31, v5
	s_mov_b64 s[20:21], 0
	v_xor_b32_e32 v7, v7, v5
	v_xor_b32_e32 v6, v6, v5
	v_sub_co_u32_e32 v8, vcc, v7, v5
	v_subb_co_u32_e32 v5, vcc, v6, v5, vcc
	v_cmp_ne_u32_e32 vcc, 0, v4
	v_cndmask_b32_e32 v7, 0, v5, vcc
	v_cndmask_b32_e32 v6, 0, v8, vcc
	s_branch .LBB214_1289
.LBB214_1288:
	s_mov_b64 s[20:21], -1
                                        ; implicit-def: $vgpr6_vgpr7
.LBB214_1289:
	s_mov_b64 s[28:29], 0
.LBB214_1290:
	s_and_b64 vcc, exec, s[28:29]
	s_cbranch_vccz .LBB214_1294
; %bb.1291:
	s_cmp_eq_u32 s30, 29
	s_cbranch_scc0 .LBB214_1293
; %bb.1292:
	global_load_dwordx2 v[6:7], v[2:3], off
	s_mov_b64 s[20:21], 0
	s_mov_b64 s[24:25], -1
	s_branch .LBB214_1294
.LBB214_1293:
	s_mov_b64 s[20:21], -1
                                        ; implicit-def: $vgpr6_vgpr7
.LBB214_1294:
	s_mov_b64 s[28:29], 0
.LBB214_1295:
	s_and_b64 vcc, exec, s[28:29]
	s_cbranch_vccz .LBB214_1313
; %bb.1296:
	s_cmp_lt_i32 s30, 27
	s_cbranch_scc1 .LBB214_1299
; %bb.1297:
	s_cmp_gt_i32 s30, 27
	s_cbranch_scc0 .LBB214_1300
; %bb.1298:
	global_load_dword v6, v[2:3], off
	s_waitcnt vmcnt(1)
	v_mov_b32_e32 v7, 0
	s_mov_b64 s[24:25], 0
	s_branch .LBB214_1301
.LBB214_1299:
	s_mov_b64 s[24:25], -1
                                        ; implicit-def: $vgpr6_vgpr7
	s_branch .LBB214_1304
.LBB214_1300:
	s_mov_b64 s[24:25], -1
                                        ; implicit-def: $vgpr6_vgpr7
.LBB214_1301:
	s_andn2_b64 vcc, exec, s[24:25]
	s_cbranch_vccnz .LBB214_1303
; %bb.1302:
	global_load_ushort v4, v[2:3], off
	s_mov_b32 s24, 0
	s_waitcnt vmcnt(1)
	v_mov_b32_e32 v7, s24
	s_waitcnt vmcnt(0)
	v_and_b32_e32 v6, 0xffff, v4
.LBB214_1303:
	s_mov_b64 s[24:25], 0
.LBB214_1304:
	s_andn2_b64 vcc, exec, s[24:25]
	s_cbranch_vccnz .LBB214_1312
; %bb.1305:
	global_load_ubyte v4, v[2:3], off
	s_movk_i32 s24, 0x7f
	s_mov_b64 s[28:29], 0
	s_waitcnt vmcnt(0)
	v_cmp_lt_i16_e32 vcc, s24, v4
	s_and_saveexec_b64 s[24:25], vcc
	s_xor_b64 s[24:25], exec, s[24:25]
; %bb.1306:
	s_movk_i32 s28, 0x80
	v_cmp_ne_u16_e32 vcc, s28, v4
	s_and_b64 s[28:29], vcc, exec
; %bb.1307:
	s_andn2_saveexec_b64 s[24:25], s[24:25]
; %bb.1308:
	v_cmp_ne_u16_e32 vcc, 0, v4
	s_andn2_b64 s[28:29], s[28:29], exec
	s_and_b64 s[36:37], vcc, exec
	s_or_b64 s[28:29], s[28:29], s[36:37]
; %bb.1309:
	s_or_b64 exec, exec, s[24:25]
	v_mov_b32_e32 v6, 0
	v_mov_b32_e32 v7, 0
	s_and_saveexec_b64 s[24:25], s[28:29]
	s_cbranch_execz .LBB214_1311
; %bb.1310:
	v_lshlrev_b32_e32 v5, 24, v4
	v_and_b32_e32 v4, 0xffff, v4
	v_and_b32_e32 v6, 7, v4
	v_ffbh_u32_e32 v8, v6
	v_min_u32_e32 v8, 32, v8
	v_subrev_u32_e32 v9, 28, v8
	v_bfe_u32 v7, v4, 3, 4
	v_lshlrev_b32_e32 v4, v9, v4
	v_sub_u32_e32 v8, 29, v8
	v_and_b32_e32 v4, 7, v4
	v_cmp_eq_u32_e32 vcc, 0, v7
	v_cndmask_b32_e32 v7, v7, v8, vcc
	v_cndmask_b32_e32 v4, v6, v4, vcc
	v_mov_b32_e32 v6, 0x3b800000
	v_lshlrev_b32_e32 v4, 20, v4
	v_and_b32_e32 v5, 0x80000000, v5
	v_lshl_add_u32 v6, v7, 23, v6
	v_or3_b32 v4, v5, v6, v4
	v_trunc_f32_e32 v4, v4
	s_mov_b32 s28, 0x2f800000
	v_mul_f32_e64 v5, |v4|, s28
	v_floor_f32_e32 v5, v5
	s_mov_b32 s28, 0xcf800000
	v_fma_f32 v6, v5, s28, |v4|
	v_cvt_u32_f32_e32 v6, v6
	v_cvt_u32_f32_e32 v5, v5
	v_ashrrev_i32_e32 v4, 31, v4
	v_xor_b32_e32 v6, v6, v4
	v_xor_b32_e32 v5, v5, v4
	v_sub_co_u32_e32 v6, vcc, v6, v4
	v_subb_co_u32_e32 v7, vcc, v5, v4, vcc
.LBB214_1311:
	s_or_b64 exec, exec, s[24:25]
.LBB214_1312:
	s_mov_b64 s[24:25], -1
.LBB214_1313:
	s_branch .LBB214_1342
.LBB214_1314:
	s_cmp_gt_i32 s30, 22
	s_cbranch_scc0 .LBB214_1324
; %bb.1315:
	s_cmp_lt_i32 s30, 24
	s_cbranch_scc1 .LBB214_1325
; %bb.1316:
	s_cmp_gt_i32 s30, 24
	s_cbranch_scc0 .LBB214_1326
; %bb.1317:
	global_load_ubyte v4, v[2:3], off
	s_movk_i32 s24, 0x7f
	s_waitcnt vmcnt(0)
	v_cmp_lt_i16_e32 vcc, s24, v4
	s_and_saveexec_b64 s[24:25], vcc
	s_xor_b64 s[24:25], exec, s[24:25]
; %bb.1318:
	s_movk_i32 s26, 0x80
	v_cmp_ne_u16_e32 vcc, s26, v4
	s_and_b64 s[26:27], vcc, exec
; %bb.1319:
	s_andn2_saveexec_b64 s[24:25], s[24:25]
; %bb.1320:
	v_cmp_ne_u16_e32 vcc, 0, v4
	s_andn2_b64 s[26:27], s[26:27], exec
	s_and_b64 s[28:29], vcc, exec
	s_or_b64 s[26:27], s[26:27], s[28:29]
; %bb.1321:
	s_or_b64 exec, exec, s[24:25]
	v_mov_b32_e32 v6, 0
	v_mov_b32_e32 v7, 0
	s_and_saveexec_b64 s[24:25], s[26:27]
	s_cbranch_execz .LBB214_1323
; %bb.1322:
	v_lshlrev_b32_e32 v5, 24, v4
	v_and_b32_e32 v4, 0xffff, v4
	v_and_b32_e32 v6, 3, v4
	v_ffbh_u32_e32 v8, v6
	v_min_u32_e32 v8, 32, v8
	v_subrev_u32_e32 v9, 29, v8
	v_bfe_u32 v7, v4, 2, 5
	v_lshlrev_b32_e32 v4, v9, v4
	v_sub_u32_e32 v8, 30, v8
	v_and_b32_e32 v4, 3, v4
	v_cmp_eq_u32_e32 vcc, 0, v7
	v_cndmask_b32_e32 v7, v7, v8, vcc
	v_cndmask_b32_e32 v4, v6, v4, vcc
	v_mov_b32_e32 v6, 0x37800000
	v_lshlrev_b32_e32 v4, 21, v4
	v_and_b32_e32 v5, 0x80000000, v5
	v_lshl_add_u32 v6, v7, 23, v6
	v_or3_b32 v4, v5, v6, v4
	v_trunc_f32_e32 v4, v4
	s_mov_b32 s26, 0x2f800000
	v_mul_f32_e64 v5, |v4|, s26
	v_floor_f32_e32 v5, v5
	s_mov_b32 s26, 0xcf800000
	v_fma_f32 v6, v5, s26, |v4|
	v_cvt_u32_f32_e32 v6, v6
	v_cvt_u32_f32_e32 v5, v5
	v_ashrrev_i32_e32 v4, 31, v4
	v_xor_b32_e32 v6, v6, v4
	v_xor_b32_e32 v5, v5, v4
	v_sub_co_u32_e32 v6, vcc, v6, v4
	v_subb_co_u32_e32 v7, vcc, v5, v4, vcc
.LBB214_1323:
	s_or_b64 exec, exec, s[24:25]
	s_mov_b64 s[24:25], 0
	s_branch .LBB214_1327
.LBB214_1324:
	s_mov_b64 s[26:27], -1
                                        ; implicit-def: $vgpr6_vgpr7
	s_branch .LBB214_1333
.LBB214_1325:
	s_mov_b64 s[24:25], -1
                                        ; implicit-def: $vgpr6_vgpr7
	s_branch .LBB214_1330
.LBB214_1326:
	s_mov_b64 s[24:25], -1
                                        ; implicit-def: $vgpr6_vgpr7
.LBB214_1327:
	s_and_b64 vcc, exec, s[24:25]
	s_cbranch_vccz .LBB214_1329
; %bb.1328:
	global_load_ubyte v4, v[2:3], off
	s_mov_b32 s24, 0x7f800000
	s_brev_b32 s25, 1
	s_mov_b32 s26, 0x2f800000
	s_mov_b32 s27, 0xcf800000
	s_waitcnt vmcnt(0)
	v_lshlrev_b32_e32 v4, 24, v4
	v_and_b32_e32 v5, 0x7f000000, v4
	v_ffbh_u32_e32 v6, v5
	v_min_u32_e32 v6, 32, v6
	v_sub_u32_e64 v6, v6, 4 clamp
	v_lshlrev_b32_e32 v8, v6, v5
	v_lshlrev_b32_e32 v6, 23, v6
	v_lshrrev_b32_e32 v8, 4, v8
	v_add_u32_e32 v7, 0x1000000, v5
	v_sub_u32_e32 v6, v8, v6
	v_ashrrev_i32_e32 v7, 8, v7
	v_add_u32_e32 v6, 0x3c000000, v6
	v_and_or_b32 v6, v7, s24, v6
	v_cmp_ne_u32_e32 vcc, 0, v5
	v_cndmask_b32_e32 v5, 0, v6, vcc
	v_and_or_b32 v4, v4, s25, v5
	v_trunc_f32_e32 v4, v4
	v_mul_f32_e64 v5, |v4|, s26
	v_floor_f32_e32 v5, v5
	v_fma_f32 v6, v5, s27, |v4|
	v_cvt_u32_f32_e32 v6, v6
	v_cvt_u32_f32_e32 v5, v5
	v_ashrrev_i32_e32 v4, 31, v4
	v_xor_b32_e32 v6, v6, v4
	v_xor_b32_e32 v5, v5, v4
	v_sub_co_u32_e32 v6, vcc, v6, v4
	v_subb_co_u32_e32 v7, vcc, v5, v4, vcc
.LBB214_1329:
	s_mov_b64 s[24:25], 0
.LBB214_1330:
	s_andn2_b64 vcc, exec, s[24:25]
	s_cbranch_vccnz .LBB214_1332
; %bb.1331:
	global_load_ubyte v4, v[2:3], off
	s_movk_i32 s24, 0x7f00
	s_brev_b32 s25, 16
	s_brev_b32 s26, 1
	s_mov_b32 s27, 0x2f800000
	s_mov_b32 s28, 0xcf800000
	s_waitcnt vmcnt(0)
	v_lshlrev_b16_e32 v5, 8, v4
	v_lshlrev_b32_e32 v4, 25, v4
	v_lshrrev_b32_e32 v6, 4, v4
	v_and_or_b32 v7, v5, s24, 0.5
	v_or_b32_e32 v6, 0x70000000, v6
	v_add_f32_e32 v7, -0.5, v7
	v_mul_f32_e32 v6, 0x7800000, v6
	v_cmp_gt_u32_e32 vcc, s25, v4
	v_bfe_i32 v5, v5, 0, 16
	v_cndmask_b32_e32 v4, v6, v7, vcc
	v_and_or_b32 v4, v5, s26, v4
	v_trunc_f32_e32 v4, v4
	v_mul_f32_e64 v5, |v4|, s27
	v_floor_f32_e32 v5, v5
	v_fma_f32 v6, v5, s28, |v4|
	v_cvt_u32_f32_e32 v6, v6
	v_cvt_u32_f32_e32 v5, v5
	v_ashrrev_i32_e32 v4, 31, v4
	v_xor_b32_e32 v6, v6, v4
	v_xor_b32_e32 v5, v5, v4
	v_sub_co_u32_e32 v6, vcc, v6, v4
	v_subb_co_u32_e32 v7, vcc, v5, v4, vcc
.LBB214_1332:
	s_mov_b64 s[26:27], 0
	s_mov_b64 s[24:25], -1
.LBB214_1333:
	s_andn2_b64 vcc, exec, s[26:27]
	s_mov_b64 s[26:27], 0
	s_cbranch_vccnz .LBB214_1342
; %bb.1334:
	s_cmp_gt_i32 s30, 14
	s_cbranch_scc0 .LBB214_1337
; %bb.1335:
	s_cmp_eq_u32 s30, 15
	s_cbranch_scc0 .LBB214_1338
; %bb.1336:
	global_load_ushort v4, v[2:3], off
	s_mov_b32 s20, 0x2f800000
	s_mov_b32 s21, 0xcf800000
	s_mov_b64 s[24:25], -1
	s_waitcnt vmcnt(0)
	v_lshlrev_b32_e32 v4, 16, v4
	v_trunc_f32_e32 v4, v4
	v_mul_f32_e64 v5, |v4|, s20
	v_floor_f32_e32 v5, v5
	v_fma_f32 v6, v5, s21, |v4|
	v_cvt_u32_f32_e32 v6, v6
	v_cvt_u32_f32_e32 v5, v5
	v_ashrrev_i32_e32 v4, 31, v4
	s_mov_b64 s[20:21], 0
	v_xor_b32_e32 v6, v6, v4
	v_xor_b32_e32 v5, v5, v4
	v_sub_co_u32_e32 v6, vcc, v6, v4
	v_subb_co_u32_e32 v7, vcc, v5, v4, vcc
	s_branch .LBB214_1339
.LBB214_1337:
	s_mov_b64 s[28:29], -1
                                        ; implicit-def: $vgpr6_vgpr7
	s_branch .LBB214_1340
.LBB214_1338:
	s_mov_b64 s[20:21], -1
                                        ; implicit-def: $vgpr6_vgpr7
.LBB214_1339:
	s_mov_b64 s[28:29], 0
.LBB214_1340:
	s_and_b64 vcc, exec, s[28:29]
	s_cbranch_vccz .LBB214_1342
; %bb.1341:
	s_cmp_lg_u32 s30, 11
	s_cselect_b64 s[28:29], -1, 0
	s_andn2_b64 s[20:21], s[20:21], exec
	s_and_b64 s[28:29], s[28:29], exec
	s_mov_b64 s[26:27], -1
	s_or_b64 s[20:21], s[20:21], s[28:29]
.LBB214_1342:
	s_mov_b64 s[28:29], 0
.LBB214_1343:
	s_andn2_b64 s[18:19], s[18:19], exec
	s_and_b64 s[20:21], s[20:21], exec
	s_and_b64 s[24:25], s[24:25], exec
	;; [unrolled: 1-line block ×4, first 2 shown]
	s_or_b64 s[18:19], s[18:19], s[20:21]
	s_or_b64 exec, exec, s[0:1]
	s_and_saveexec_b64 s[0:1], s[18:19]
	s_cbranch_execz .LBB214_1276
.LBB214_1344:
	s_or_b64 s[22:23], s[22:23], exec
	s_andn2_b64 s[26:27], s[26:27], exec
	s_trap 2
	s_or_b64 exec, exec, s[0:1]
	s_and_saveexec_b64 s[0:1], s[26:27]
	s_xor_b64 s[0:1], exec, s[0:1]
	s_cbranch_execnz .LBB214_1277
.LBB214_1345:
	s_or_b64 exec, exec, s[0:1]
	s_and_saveexec_b64 s[0:1], s[30:31]
	s_cbranch_execz .LBB214_1391
.LBB214_1346:
	s_sext_i32_i16 s18, s34
	s_cmp_lt_i32 s18, 5
	s_cbranch_scc1 .LBB214_1351
; %bb.1347:
	s_cmp_lt_i32 s18, 8
	s_cbranch_scc1 .LBB214_1352
; %bb.1348:
	;; [unrolled: 3-line block ×3, first 2 shown]
	s_cmp_gt_i32 s18, 9
	s_cbranch_scc0 .LBB214_1354
; %bb.1350:
	global_load_dwordx2 v[4:5], v[2:3], off
	s_movk_i32 s18, 0xffe0
	s_waitcnt vmcnt(0)
	v_trunc_f64_e32 v[4:5], v[4:5]
	v_ldexp_f64 v[6:7], v[4:5], s18
	s_mov_b32 s18, 0
	s_mov_b32 s19, 0xc1f00000
	v_floor_f64_e32 v[6:7], v[6:7]
	v_fma_f64 v[4:5], v[6:7], s[18:19], v[4:5]
	v_cvt_i32_f64_e32 v7, v[6:7]
	s_mov_b64 s[18:19], 0
	v_cvt_u32_f64_e32 v6, v[4:5]
	s_branch .LBB214_1355
.LBB214_1351:
                                        ; implicit-def: $vgpr6_vgpr7
	s_branch .LBB214_1372
.LBB214_1352:
                                        ; implicit-def: $vgpr6_vgpr7
	s_branch .LBB214_1361
.LBB214_1353:
	s_mov_b64 s[18:19], -1
                                        ; implicit-def: $vgpr6_vgpr7
	s_branch .LBB214_1358
.LBB214_1354:
	s_mov_b64 s[18:19], -1
                                        ; implicit-def: $vgpr6_vgpr7
.LBB214_1355:
	s_andn2_b64 vcc, exec, s[18:19]
	s_cbranch_vccnz .LBB214_1357
; %bb.1356:
	global_load_dword v4, v[2:3], off
	s_mov_b32 s18, 0x2f800000
	s_mov_b32 s19, 0xcf800000
	s_waitcnt vmcnt(0)
	v_trunc_f32_e32 v4, v4
	v_mul_f32_e64 v5, |v4|, s18
	v_floor_f32_e32 v5, v5
	v_cvt_u32_f32_e32 v6, v5
	v_fma_f32 v5, v5, s19, |v4|
	v_cvt_u32_f32_e32 v5, v5
	v_ashrrev_i32_e32 v4, 31, v4
	v_xor_b32_e32 v7, v6, v4
	v_xor_b32_e32 v5, v5, v4
	v_sub_co_u32_e32 v6, vcc, v5, v4
	v_subb_co_u32_e32 v7, vcc, v7, v4, vcc
.LBB214_1357:
	s_mov_b64 s[18:19], 0
.LBB214_1358:
	s_andn2_b64 vcc, exec, s[18:19]
	s_cbranch_vccnz .LBB214_1360
; %bb.1359:
	global_load_dword v4, v[2:3], off
	s_waitcnt vmcnt(0)
	v_cvt_f32_f16_e32 v4, v4
	v_cvt_i32_f32_e32 v6, v4
	v_ashrrev_i32_e32 v7, 31, v6
.LBB214_1360:
	s_cbranch_execnz .LBB214_1371
.LBB214_1361:
	s_sext_i32_i16 s18, s34
	s_cmp_lt_i32 s18, 6
	s_cbranch_scc1 .LBB214_1364
; %bb.1362:
	s_cmp_gt_i32 s18, 6
	s_cbranch_scc0 .LBB214_1365
; %bb.1363:
	global_load_dwordx2 v[4:5], v[2:3], off
	s_movk_i32 s18, 0xffe0
	s_waitcnt vmcnt(0)
	v_trunc_f64_e32 v[4:5], v[4:5]
	v_ldexp_f64 v[6:7], v[4:5], s18
	s_mov_b32 s18, 0
	s_mov_b32 s19, 0xc1f00000
	v_floor_f64_e32 v[6:7], v[6:7]
	v_fma_f64 v[4:5], v[6:7], s[18:19], v[4:5]
	v_cvt_i32_f64_e32 v7, v[6:7]
	s_mov_b64 s[18:19], 0
	v_cvt_u32_f64_e32 v6, v[4:5]
	s_branch .LBB214_1366
.LBB214_1364:
	s_mov_b64 s[18:19], -1
                                        ; implicit-def: $vgpr6_vgpr7
	s_branch .LBB214_1369
.LBB214_1365:
	s_mov_b64 s[18:19], -1
                                        ; implicit-def: $vgpr6_vgpr7
.LBB214_1366:
	s_andn2_b64 vcc, exec, s[18:19]
	s_cbranch_vccnz .LBB214_1368
; %bb.1367:
	global_load_dword v4, v[2:3], off
	s_mov_b32 s18, 0x2f800000
	s_mov_b32 s19, 0xcf800000
	s_waitcnt vmcnt(0)
	v_trunc_f32_e32 v4, v4
	v_mul_f32_e64 v5, |v4|, s18
	v_floor_f32_e32 v5, v5
	v_cvt_u32_f32_e32 v6, v5
	v_fma_f32 v5, v5, s19, |v4|
	v_cvt_u32_f32_e32 v5, v5
	v_ashrrev_i32_e32 v4, 31, v4
	v_xor_b32_e32 v7, v6, v4
	v_xor_b32_e32 v5, v5, v4
	v_sub_co_u32_e32 v6, vcc, v5, v4
	v_subb_co_u32_e32 v7, vcc, v7, v4, vcc
.LBB214_1368:
	s_mov_b64 s[18:19], 0
.LBB214_1369:
	s_andn2_b64 vcc, exec, s[18:19]
	s_cbranch_vccnz .LBB214_1371
; %bb.1370:
	global_load_ushort v4, v[2:3], off
	s_waitcnt vmcnt(0)
	v_cvt_f32_f16_e32 v4, v4
	v_cvt_i32_f32_e32 v6, v4
	v_ashrrev_i32_e32 v7, 31, v6
.LBB214_1371:
	s_cbranch_execnz .LBB214_1390
.LBB214_1372:
	s_sext_i32_i16 s18, s34
	s_cmp_lt_i32 s18, 2
	s_cbranch_scc1 .LBB214_1376
; %bb.1373:
	s_cmp_lt_i32 s18, 3
	s_cbranch_scc1 .LBB214_1377
; %bb.1374:
	s_cmp_gt_i32 s18, 3
	s_cbranch_scc0 .LBB214_1378
; %bb.1375:
	global_load_dwordx2 v[6:7], v[2:3], off
	s_mov_b64 s[18:19], 0
	s_branch .LBB214_1379
.LBB214_1376:
                                        ; implicit-def: $vgpr6_vgpr7
	s_branch .LBB214_1385
.LBB214_1377:
	s_mov_b64 s[18:19], -1
                                        ; implicit-def: $vgpr6_vgpr7
	s_branch .LBB214_1382
.LBB214_1378:
	s_mov_b64 s[18:19], -1
                                        ; implicit-def: $vgpr6_vgpr7
.LBB214_1379:
	s_andn2_b64 vcc, exec, s[18:19]
	s_cbranch_vccnz .LBB214_1381
; %bb.1380:
	global_load_dword v6, v[2:3], off
	s_waitcnt vmcnt(0)
	v_ashrrev_i32_e32 v7, 31, v6
.LBB214_1381:
	s_mov_b64 s[18:19], 0
.LBB214_1382:
	s_andn2_b64 vcc, exec, s[18:19]
	s_cbranch_vccnz .LBB214_1384
; %bb.1383:
	global_load_ushort v4, v[2:3], off
	s_waitcnt vmcnt(0)
	v_bfe_i32 v6, v4, 0, 16
	v_ashrrev_i32_e32 v7, 31, v6
.LBB214_1384:
	s_cbranch_execnz .LBB214_1390
.LBB214_1385:
	s_sext_i32_i16 s18, s34
	s_cmp_gt_i32 s18, 0
	s_cbranch_scc0 .LBB214_1387
; %bb.1386:
	global_load_sbyte v4, v[2:3], off
	s_mov_b64 s[18:19], 0
	s_waitcnt vmcnt(0)
	v_bfe_i32 v6, v4, 0, 16
	v_ashrrev_i32_e32 v7, 31, v6
	s_branch .LBB214_1388
.LBB214_1387:
	s_mov_b64 s[18:19], -1
                                        ; implicit-def: $vgpr6_vgpr7
.LBB214_1388:
	s_andn2_b64 vcc, exec, s[18:19]
	s_cbranch_vccnz .LBB214_1390
; %bb.1389:
	global_load_ubyte v2, v[2:3], off
	s_mov_b32 s18, 0
	s_waitcnt vmcnt(1)
	v_mov_b32_e32 v7, s18
	s_waitcnt vmcnt(0)
	v_and_b32_e32 v6, 0xffff, v2
.LBB214_1390:
	s_or_b64 s[24:25], s[24:25], exec
.LBB214_1391:
	s_or_b64 exec, exec, s[0:1]
	s_mov_b64 s[26:27], 0
	s_mov_b64 s[20:21], 0
                                        ; implicit-def: $sgpr30
                                        ; implicit-def: $vgpr4_vgpr5
                                        ; implicit-def: $vgpr2_vgpr3
	s_and_saveexec_b64 s[18:19], s[24:25]
	s_cbranch_execz .LBB214_1399
; %bb.1392:
	s_waitcnt vmcnt(0)
	v_mul_lo_u32 v4, v18, s12
	v_cmp_gt_u64_e32 vcc, 63, v[6:7]
	s_and_b32 s30, s33, 0xff
	v_cndmask_b32_e32 v2, 63, v6, vcc
	v_ashrrev_i64 v[2:3], v2, v[0:1]
	v_ashrrev_i32_e32 v0, 31, v4
	v_mov_b32_e32 v1, s9
	v_add_co_u32_e32 v4, vcc, s8, v4
	s_cmp_lt_i32 s30, 11
	v_addc_co_u32_e32 v5, vcc, v1, v0, vcc
	s_cbranch_scc1 .LBB214_1402
; %bb.1393:
	s_and_b32 s31, 0xffff, s30
	s_mov_b64 s[24:25], -1
	s_cmp_gt_i32 s31, 25
	s_mov_b64 s[0:1], s[6:7]
	s_cbranch_scc0 .LBB214_1430
; %bb.1394:
	s_mov_b64 s[20:21], -1
	s_cmp_gt_i32 s31, 28
	s_mov_b64 s[0:1], s[6:7]
	s_cbranch_scc0 .LBB214_1414
; %bb.1395:
	s_cmp_gt_i32 s31, 43
	s_mov_b64 s[0:1], s[6:7]
	s_cbranch_scc0 .LBB214_1410
; %bb.1396:
	;; [unrolled: 4-line block ×3, first 2 shown]
	s_cmp_eq_u32 s31, 46
	s_mov_b64 s[0:1], -1
	s_cbranch_scc0 .LBB214_1403
; %bb.1398:
	v_xor_b32_e32 v1, v2, v3
	v_ffbh_i32_e32 v0, v3
	v_ashrrev_i32_e32 v1, 31, v1
	v_add_u32_e32 v0, -1, v0
	v_add_u32_e32 v1, 32, v1
	v_min_u32_e32 v6, v0, v1
	v_lshlrev_b64 v[0:1], v6, v[2:3]
	s_movk_i32 s0, 0x7fff
	v_min_u32_e32 v0, 1, v0
	v_or_b32_e32 v0, v1, v0
	v_cvt_f32_i32_e32 v0, v0
	v_sub_u32_e32 v1, 32, v6
	s_mov_b64 s[20:21], 0
	v_ldexp_f32 v0, v0, v1
	v_bfe_u32 v1, v0, 16, 1
	v_add3_u32 v0, v0, v1, s0
	v_lshrrev_b32_e32 v0, 16, v0
	global_store_dword v[4:5], v0, off
	s_mov_b64 s[0:1], 0
	s_branch .LBB214_1404
.LBB214_1399:
	s_or_b64 exec, exec, s[18:19]
	s_and_saveexec_b64 s[0:1], s[6:7]
	s_cbranch_execnz .LBB214_1472
.LBB214_1400:
	s_or_b64 exec, exec, s[0:1]
	s_and_saveexec_b64 s[0:1], s[26:27]
	s_xor_b64 s[0:1], exec, s[0:1]
	s_cbranch_execz .LBB214_1473
.LBB214_1401:
	v_cmp_ne_u64_e32 vcc, 0, v[2:3]
	s_waitcnt vmcnt(0)
	v_cndmask_b32_e64 v0, 0, 1, vcc
	global_store_byte v[4:5], v0, off
	s_or_b64 exec, exec, s[0:1]
	s_and_saveexec_b64 s[0:1], s[20:21]
	s_xor_b64 s[0:1], exec, s[0:1]
	s_cbranch_execz .LBB214_1511
	s_branch .LBB214_1474
.LBB214_1402:
	s_mov_b64 s[24:25], 0
	s_mov_b64 s[20:21], -1
	s_mov_b64 s[0:1], s[6:7]
	s_branch .LBB214_1471
.LBB214_1403:
	s_mov_b64 s[20:21], 0
.LBB214_1404:
	s_and_b64 vcc, exec, s[20:21]
	s_cbranch_vccz .LBB214_1409
; %bb.1405:
	s_cmp_eq_u32 s31, 44
	s_mov_b64 s[0:1], -1
	s_cbranch_scc0 .LBB214_1409
; %bb.1406:
	v_xor_b32_e32 v1, v2, v3
	v_ffbh_i32_e32 v0, v3
	v_ashrrev_i32_e32 v1, 31, v1
	v_add_u32_e32 v0, -1, v0
	v_add_u32_e32 v1, 32, v1
	v_min_u32_e32 v6, v0, v1
	v_lshlrev_b64 v[0:1], v6, v[2:3]
	s_movk_i32 s0, 0xff
	v_min_u32_e32 v0, 1, v0
	v_or_b32_e32 v0, v1, v0
	v_cvt_f32_i32_e32 v0, v0
	v_sub_u32_e32 v1, 32, v6
	v_mov_b32_e32 v6, 0xff
	v_ldexp_f32 v0, v0, v1
	v_bfe_u32 v1, v0, 23, 8
	v_cmp_ne_u32_e32 vcc, s0, v1
	s_and_saveexec_b64 s[20:21], vcc
; %bb.1407:
	s_mov_b32 s0, 0x3fffff
	v_lshrrev_b32_e32 v6, 23, v0
	v_and_b32_e32 v7, 0x400000, v0
	v_and_or_b32 v0, v0, s0, v1
	v_cmp_ne_u32_e32 vcc, 0, v7
	v_cmp_ne_u32_e64 s[0:1], 0, v0
	s_and_b64 s[0:1], vcc, s[0:1]
	v_cndmask_b32_e64 v0, 0, 1, s[0:1]
	v_add_u32_e32 v6, v6, v0
; %bb.1408:
	s_or_b64 exec, exec, s[20:21]
	s_mov_b64 s[0:1], 0
	global_store_byte v[4:5], v6, off
.LBB214_1409:
	s_mov_b64 s[20:21], 0
.LBB214_1410:
	s_and_b64 vcc, exec, s[20:21]
	s_cbranch_vccz .LBB214_1413
; %bb.1411:
	s_cmp_eq_u32 s31, 29
	s_mov_b64 s[0:1], -1
	s_cbranch_scc0 .LBB214_1413
; %bb.1412:
	global_store_dwordx2 v[4:5], v[2:3], off
	s_mov_b64 s[0:1], 0
.LBB214_1413:
	s_mov_b64 s[20:21], 0
.LBB214_1414:
	s_and_b64 vcc, exec, s[20:21]
	s_cbranch_vccz .LBB214_1429
; %bb.1415:
	s_cmp_lt_i32 s31, 27
	s_mov_b64 s[20:21], -1
	s_cbranch_scc1 .LBB214_1421
; %bb.1416:
	s_cmp_gt_i32 s31, 27
	s_cbranch_scc0 .LBB214_1418
; %bb.1417:
	s_mov_b64 s[20:21], 0
	global_store_dword v[4:5], v2, off
.LBB214_1418:
	s_andn2_b64 vcc, exec, s[20:21]
	s_cbranch_vccnz .LBB214_1420
; %bb.1419:
	global_store_short v[4:5], v2, off
.LBB214_1420:
	s_mov_b64 s[20:21], 0
.LBB214_1421:
	s_andn2_b64 vcc, exec, s[20:21]
	s_cbranch_vccnz .LBB214_1429
; %bb.1422:
	v_xor_b32_e32 v1, v2, v3
	v_ffbh_i32_e32 v0, v3
	v_ashrrev_i32_e32 v1, 31, v1
	v_add_u32_e32 v0, -1, v0
	v_add_u32_e32 v1, 32, v1
	v_min_u32_e32 v6, v0, v1
	v_lshlrev_b64 v[0:1], v6, v[2:3]
	s_mov_b32 s20, 0x43800000
	v_min_u32_e32 v0, 1, v0
	v_or_b32_e32 v0, v1, v0
	v_cvt_f32_i32_e32 v0, v0
	v_sub_u32_e32 v1, 32, v6
	v_mov_b32_e32 v6, 0x80
	v_ldexp_f32 v0, v0, v1
	v_and_b32_e32 v1, 0x7fffffff, v0
	v_cmp_gt_u32_e32 vcc, s20, v1
	s_and_saveexec_b64 s[20:21], vcc
	s_cbranch_execz .LBB214_1428
; %bb.1423:
	s_mov_b32 s24, 0x3bffffff
	v_cmp_lt_u32_e32 vcc, s24, v1
	s_mov_b64 s[24:25], 0
                                        ; implicit-def: $vgpr1
	s_and_saveexec_b64 s[26:27], vcc
	s_xor_b64 s[26:27], exec, s[26:27]
	s_cbranch_execz .LBB214_1526
; %bb.1424:
	v_bfe_u32 v1, v0, 20, 1
	s_mov_b32 s28, 0x487ffff
	v_add3_u32 v1, v0, v1, s28
	s_mov_b64 s[24:25], exec
	v_lshrrev_b32_e32 v1, 20, v1
	s_andn2_saveexec_b64 s[26:27], s[26:27]
	s_cbranch_execnz .LBB214_1527
.LBB214_1425:
	s_or_b64 exec, exec, s[26:27]
	v_mov_b32_e32 v6, 0
	s_and_saveexec_b64 s[26:27], s[24:25]
.LBB214_1426:
	v_lshrrev_b32_e32 v0, 24, v0
	s_movk_i32 s24, 0x80
	v_and_or_b32 v6, v0, s24, v1
.LBB214_1427:
	s_or_b64 exec, exec, s[26:27]
.LBB214_1428:
	s_or_b64 exec, exec, s[20:21]
	global_store_byte v[4:5], v6, off
.LBB214_1429:
	s_mov_b64 s[24:25], 0
.LBB214_1430:
	s_mov_b64 s[20:21], 0
	s_and_b64 vcc, exec, s[24:25]
	s_cbranch_vccz .LBB214_1470
; %bb.1431:
	s_cmp_gt_i32 s31, 22
	s_mov_b64 s[24:25], -1
	s_cbranch_scc0 .LBB214_1463
; %bb.1432:
	s_cmp_lt_i32 s31, 24
	s_cbranch_scc1 .LBB214_1452
; %bb.1433:
	s_cmp_gt_i32 s31, 24
	s_cbranch_scc0 .LBB214_1441
; %bb.1434:
	v_xor_b32_e32 v1, v2, v3
	v_ffbh_i32_e32 v0, v3
	v_ashrrev_i32_e32 v1, 31, v1
	v_add_u32_e32 v0, -1, v0
	v_add_u32_e32 v1, 32, v1
	v_min_u32_e32 v6, v0, v1
	v_lshlrev_b64 v[0:1], v6, v[2:3]
	s_mov_b32 s24, 0x47800000
	v_min_u32_e32 v0, 1, v0
	v_or_b32_e32 v0, v1, v0
	v_cvt_f32_i32_e32 v0, v0
	v_sub_u32_e32 v1, 32, v6
	v_mov_b32_e32 v6, 0x80
	v_ldexp_f32 v0, v0, v1
	v_and_b32_e32 v1, 0x7fffffff, v0
	v_cmp_gt_u32_e32 vcc, s24, v1
	s_and_saveexec_b64 s[24:25], vcc
	s_cbranch_execz .LBB214_1440
; %bb.1435:
	s_mov_b32 s26, 0x37ffffff
	v_cmp_lt_u32_e32 vcc, s26, v1
	s_mov_b64 s[26:27], 0
                                        ; implicit-def: $vgpr1
	s_and_saveexec_b64 s[28:29], vcc
	s_xor_b64 s[28:29], exec, s[28:29]
	s_cbranch_execz .LBB214_1646
; %bb.1436:
	v_bfe_u32 v1, v0, 21, 1
	s_mov_b32 s34, 0x88fffff
	v_add3_u32 v1, v0, v1, s34
	s_mov_b64 s[26:27], exec
	v_lshrrev_b32_e32 v1, 21, v1
	s_andn2_saveexec_b64 s[28:29], s[28:29]
	s_cbranch_execnz .LBB214_1647
.LBB214_1437:
	s_or_b64 exec, exec, s[28:29]
	v_mov_b32_e32 v6, 0
	s_and_saveexec_b64 s[28:29], s[26:27]
.LBB214_1438:
	v_lshrrev_b32_e32 v0, 24, v0
	s_movk_i32 s26, 0x80
	v_and_or_b32 v6, v0, s26, v1
.LBB214_1439:
	s_or_b64 exec, exec, s[28:29]
.LBB214_1440:
	s_or_b64 exec, exec, s[24:25]
	s_mov_b64 s[24:25], 0
	global_store_byte v[4:5], v6, off
.LBB214_1441:
	s_and_b64 vcc, exec, s[24:25]
	s_cbranch_vccz .LBB214_1451
; %bb.1442:
	v_xor_b32_e32 v1, v2, v3
	v_ffbh_i32_e32 v0, v3
	v_ashrrev_i32_e32 v1, 31, v1
	v_add_u32_e32 v0, -1, v0
	v_add_u32_e32 v1, 32, v1
	v_min_u32_e32 v6, v0, v1
	v_lshlrev_b64 v[0:1], v6, v[2:3]
	s_mov_b32 s24, 0x43f00000
	v_min_u32_e32 v0, 1, v0
	v_or_b32_e32 v0, v1, v0
	v_cvt_f32_i32_e32 v0, v0
	v_sub_u32_e32 v1, 32, v6
	v_ldexp_f32 v0, v0, v1
	v_and_b32_e32 v6, 0x7fffffff, v0
	v_cmp_gt_u32_e32 vcc, s24, v6
                                        ; implicit-def: $vgpr1
	s_and_saveexec_b64 s[24:25], vcc
	s_xor_b64 s[24:25], exec, s[24:25]
	s_cbranch_execz .LBB214_1448
; %bb.1443:
	s_mov_b32 s26, 0x3c7fffff
	v_cmp_lt_u32_e32 vcc, s26, v6
                                        ; implicit-def: $vgpr1
	s_and_saveexec_b64 s[26:27], vcc
	s_xor_b64 s[26:27], exec, s[26:27]
; %bb.1444:
	v_bfe_u32 v1, v0, 20, 1
	s_mov_b32 s28, 0x407ffff
	v_add3_u32 v1, v0, v1, s28
	v_lshrrev_b32_e32 v6, 20, v1
	v_and_b32_e32 v1, 0xff00000, v1
	s_mov_b32 s28, 0x7f00000
	v_mov_b32_e32 v7, 0x7e
	v_cmp_ne_u32_e32 vcc, s28, v1
	v_cndmask_b32_e32 v1, v7, v6, vcc
; %bb.1445:
	s_andn2_saveexec_b64 s[26:27], s[26:27]
; %bb.1446:
	s_mov_b32 s28, 0x46800000
	v_add_f32_e64 v1, |v0|, s28
; %bb.1447:
	s_or_b64 exec, exec, s[26:27]
                                        ; implicit-def: $vgpr6
.LBB214_1448:
	s_andn2_saveexec_b64 s[24:25], s[24:25]
; %bb.1449:
	s_mov_b32 s26, 0x7f800000
	v_mov_b32_e32 v1, 0x7e
	v_mov_b32_e32 v7, 0x7f
	v_cmp_lt_u32_e32 vcc, s26, v6
	v_cndmask_b32_e32 v1, v1, v7, vcc
; %bb.1450:
	s_or_b64 exec, exec, s[24:25]
	v_lshrrev_b32_e32 v0, 24, v0
	s_movk_i32 s24, 0x80
	v_and_or_b32 v0, v0, s24, v1
	global_store_byte v[4:5], v0, off
.LBB214_1451:
	s_mov_b64 s[24:25], 0
.LBB214_1452:
	s_andn2_b64 vcc, exec, s[24:25]
	s_cbranch_vccnz .LBB214_1462
; %bb.1453:
	v_xor_b32_e32 v1, v2, v3
	v_ffbh_i32_e32 v0, v3
	v_ashrrev_i32_e32 v1, 31, v1
	v_add_u32_e32 v0, -1, v0
	v_add_u32_e32 v1, 32, v1
	v_min_u32_e32 v6, v0, v1
	v_lshlrev_b64 v[0:1], v6, v[2:3]
	s_mov_b32 s24, 0x47800000
	v_min_u32_e32 v0, 1, v0
	v_or_b32_e32 v0, v1, v0
	v_cvt_f32_i32_e32 v0, v0
	v_sub_u32_e32 v1, 32, v6
	v_ldexp_f32 v0, v0, v1
	v_and_b32_e32 v6, 0x7fffffff, v0
	v_cmp_gt_u32_e32 vcc, s24, v6
                                        ; implicit-def: $vgpr1
	s_and_saveexec_b64 s[24:25], vcc
	s_xor_b64 s[24:25], exec, s[24:25]
	s_cbranch_execz .LBB214_1459
; %bb.1454:
	s_mov_b32 s26, 0x387fffff
	v_cmp_lt_u32_e32 vcc, s26, v6
                                        ; implicit-def: $vgpr1
	s_and_saveexec_b64 s[26:27], vcc
	s_xor_b64 s[26:27], exec, s[26:27]
; %bb.1455:
	v_bfe_u32 v1, v0, 21, 1
	s_mov_b32 s28, 0x80fffff
	v_add3_u32 v1, v0, v1, s28
	v_lshrrev_b32_e32 v1, 21, v1
; %bb.1456:
	s_andn2_saveexec_b64 s[26:27], s[26:27]
; %bb.1457:
	s_mov_b32 s28, 0x43000000
	v_add_f32_e64 v1, |v0|, s28
; %bb.1458:
	s_or_b64 exec, exec, s[26:27]
                                        ; implicit-def: $vgpr6
.LBB214_1459:
	s_andn2_saveexec_b64 s[24:25], s[24:25]
; %bb.1460:
	s_mov_b32 s26, 0x7f800000
	v_mov_b32_e32 v1, 0x7c
	v_mov_b32_e32 v7, 0x7f
	v_cmp_lt_u32_e32 vcc, s26, v6
	v_cndmask_b32_e32 v1, v1, v7, vcc
; %bb.1461:
	s_or_b64 exec, exec, s[24:25]
	v_lshrrev_b32_e32 v0, 24, v0
	s_movk_i32 s24, 0x80
	v_and_or_b32 v0, v0, s24, v1
	global_store_byte v[4:5], v0, off
.LBB214_1462:
	s_mov_b64 s[24:25], 0
.LBB214_1463:
	s_andn2_b64 vcc, exec, s[24:25]
	s_mov_b64 s[24:25], 0
	s_cbranch_vccnz .LBB214_1471
; %bb.1464:
	s_cmp_gt_i32 s31, 14
	s_mov_b64 s[26:27], -1
	s_cbranch_scc0 .LBB214_1468
; %bb.1465:
	s_cmp_eq_u32 s31, 15
	s_mov_b64 s[0:1], -1
	s_cbranch_scc0 .LBB214_1467
; %bb.1466:
	v_xor_b32_e32 v1, v2, v3
	v_ffbh_i32_e32 v0, v3
	v_ashrrev_i32_e32 v1, 31, v1
	v_add_u32_e32 v0, -1, v0
	v_add_u32_e32 v1, 32, v1
	v_min_u32_e32 v6, v0, v1
	v_lshlrev_b64 v[0:1], v6, v[2:3]
	s_movk_i32 s0, 0x7fff
	v_min_u32_e32 v0, 1, v0
	v_or_b32_e32 v0, v1, v0
	v_cvt_f32_i32_e32 v0, v0
	v_sub_u32_e32 v1, 32, v6
	v_ldexp_f32 v0, v0, v1
	v_bfe_u32 v1, v0, 16, 1
	v_add3_u32 v0, v0, v1, s0
	global_store_short_d16_hi v[4:5], v0, off
	s_mov_b64 s[0:1], 0
.LBB214_1467:
	s_mov_b64 s[26:27], 0
.LBB214_1468:
	s_and_b64 vcc, exec, s[26:27]
	s_cbranch_vccz .LBB214_1471
; %bb.1469:
	s_cmp_lg_u32 s31, 11
	s_cselect_b64 s[26:27], -1, 0
	s_andn2_b64 s[0:1], s[0:1], exec
	s_and_b64 s[26:27], s[26:27], exec
	s_mov_b64 s[24:25], -1
	s_or_b64 s[0:1], s[0:1], s[26:27]
	s_branch .LBB214_1471
.LBB214_1470:
	s_mov_b64 s[24:25], 0
.LBB214_1471:
	s_andn2_b64 s[6:7], s[6:7], exec
	s_and_b64 s[0:1], s[0:1], exec
	s_and_b64 s[20:21], s[20:21], exec
	;; [unrolled: 1-line block ×3, first 2 shown]
	s_or_b64 s[6:7], s[6:7], s[0:1]
	s_or_b64 exec, exec, s[18:19]
	s_and_saveexec_b64 s[0:1], s[6:7]
	s_cbranch_execz .LBB214_1400
.LBB214_1472:
	s_or_b64 s[22:23], s[22:23], exec
	s_andn2_b64 s[26:27], s[26:27], exec
	s_trap 2
	s_or_b64 exec, exec, s[0:1]
	s_and_saveexec_b64 s[0:1], s[26:27]
	s_xor_b64 s[0:1], exec, s[0:1]
	s_cbranch_execnz .LBB214_1401
.LBB214_1473:
	s_or_b64 exec, exec, s[0:1]
	s_and_saveexec_b64 s[0:1], s[20:21]
	s_xor_b64 s[0:1], exec, s[0:1]
	s_cbranch_execz .LBB214_1511
.LBB214_1474:
	s_sext_i32_i16 s18, s30
	s_cmp_lt_i32 s18, 5
	s_mov_b64 s[6:7], -1
	s_cbranch_scc1 .LBB214_1495
; %bb.1475:
	s_cmp_lt_i32 s18, 8
	s_cbranch_scc1 .LBB214_1485
; %bb.1476:
	s_cmp_lt_i32 s18, 9
	s_cbranch_scc1 .LBB214_1482
; %bb.1477:
	s_cmp_gt_i32 s18, 9
	s_cbranch_scc0 .LBB214_1479
; %bb.1478:
	s_waitcnt vmcnt(0)
	v_cvt_f64_i32_e32 v[0:1], v3
	v_cvt_f64_u32_e32 v[6:7], v2
	v_mov_b32_e32 v8, 0
	v_mov_b32_e32 v9, v8
	v_ldexp_f64 v[0:1], v[0:1], 32
	s_mov_b64 s[6:7], 0
	v_add_f64 v[6:7], v[0:1], v[6:7]
	global_store_dwordx4 v[4:5], v[6:9], off
.LBB214_1479:
	s_andn2_b64 vcc, exec, s[6:7]
	s_cbranch_vccnz .LBB214_1481
; %bb.1480:
	s_waitcnt vmcnt(0)
	v_xor_b32_e32 v1, v2, v3
	v_ffbh_i32_e32 v0, v3
	v_ashrrev_i32_e32 v1, 31, v1
	v_add_u32_e32 v0, -1, v0
	v_add_u32_e32 v1, 32, v1
	v_min_u32_e32 v6, v0, v1
	v_lshlrev_b64 v[0:1], v6, v[2:3]
	v_min_u32_e32 v0, 1, v0
	v_or_b32_e32 v0, v1, v0
	v_cvt_f32_i32_e32 v0, v0
	v_sub_u32_e32 v1, 32, v6
	v_ldexp_f32 v0, v0, v1
	v_mov_b32_e32 v1, 0
	global_store_dwordx2 v[4:5], v[0:1], off
.LBB214_1481:
	s_mov_b64 s[6:7], 0
.LBB214_1482:
	s_andn2_b64 vcc, exec, s[6:7]
	s_cbranch_vccnz .LBB214_1484
; %bb.1483:
	s_waitcnt vmcnt(0)
	v_xor_b32_e32 v1, v2, v3
	v_ffbh_i32_e32 v0, v3
	v_ashrrev_i32_e32 v1, 31, v1
	v_add_u32_e32 v0, -1, v0
	v_add_u32_e32 v1, 32, v1
	v_min_u32_e32 v6, v0, v1
	v_lshlrev_b64 v[0:1], v6, v[2:3]
	v_min_u32_e32 v0, 1, v0
	v_or_b32_e32 v0, v1, v0
	v_cvt_f32_i32_e32 v0, v0
	v_sub_u32_e32 v1, 32, v6
	v_ldexp_f32 v0, v0, v1
	v_cvt_f16_f32_e32 v0, v0
	global_store_dword v[4:5], v0, off
.LBB214_1484:
	s_mov_b64 s[6:7], 0
.LBB214_1485:
	s_andn2_b64 vcc, exec, s[6:7]
	s_cbranch_vccnz .LBB214_1494
; %bb.1486:
	s_sext_i32_i16 s18, s30
	s_cmp_lt_i32 s18, 6
	s_mov_b64 s[6:7], -1
	s_cbranch_scc1 .LBB214_1492
; %bb.1487:
	s_cmp_gt_i32 s18, 6
	s_cbranch_scc0 .LBB214_1489
; %bb.1488:
	s_waitcnt vmcnt(0)
	v_cvt_f64_i32_e32 v[0:1], v3
	v_cvt_f64_u32_e32 v[6:7], v2
	s_mov_b64 s[6:7], 0
	v_ldexp_f64 v[0:1], v[0:1], 32
	v_add_f64 v[0:1], v[0:1], v[6:7]
	global_store_dwordx2 v[4:5], v[0:1], off
.LBB214_1489:
	s_andn2_b64 vcc, exec, s[6:7]
	s_cbranch_vccnz .LBB214_1491
; %bb.1490:
	s_waitcnt vmcnt(0)
	v_xor_b32_e32 v1, v2, v3
	v_ffbh_i32_e32 v0, v3
	v_ashrrev_i32_e32 v1, 31, v1
	v_add_u32_e32 v0, -1, v0
	v_add_u32_e32 v1, 32, v1
	v_min_u32_e32 v6, v0, v1
	v_lshlrev_b64 v[0:1], v6, v[2:3]
	v_min_u32_e32 v0, 1, v0
	v_or_b32_e32 v0, v1, v0
	v_cvt_f32_i32_e32 v0, v0
	v_sub_u32_e32 v1, 32, v6
	v_ldexp_f32 v0, v0, v1
	global_store_dword v[4:5], v0, off
.LBB214_1491:
	s_mov_b64 s[6:7], 0
.LBB214_1492:
	s_andn2_b64 vcc, exec, s[6:7]
	s_cbranch_vccnz .LBB214_1494
; %bb.1493:
	s_waitcnt vmcnt(0)
	v_xor_b32_e32 v1, v2, v3
	v_ffbh_i32_e32 v0, v3
	v_ashrrev_i32_e32 v1, 31, v1
	v_add_u32_e32 v0, -1, v0
	v_add_u32_e32 v1, 32, v1
	v_min_u32_e32 v6, v0, v1
	v_lshlrev_b64 v[0:1], v6, v[2:3]
	v_min_u32_e32 v0, 1, v0
	v_or_b32_e32 v0, v1, v0
	v_cvt_f32_i32_e32 v0, v0
	v_sub_u32_e32 v1, 32, v6
	v_ldexp_f32 v0, v0, v1
	v_cvt_f16_f32_e32 v0, v0
	global_store_short v[4:5], v0, off
.LBB214_1494:
	s_mov_b64 s[6:7], 0
.LBB214_1495:
	s_andn2_b64 vcc, exec, s[6:7]
	s_cbranch_vccnz .LBB214_1511
; %bb.1496:
	s_sext_i32_i16 s18, s30
	s_cmp_lt_i32 s18, 2
	s_mov_b64 s[6:7], -1
	s_cbranch_scc1 .LBB214_1506
; %bb.1497:
	s_cmp_lt_i32 s18, 3
	s_cbranch_scc1 .LBB214_1503
; %bb.1498:
	s_cmp_gt_i32 s18, 3
	s_cbranch_scc0 .LBB214_1500
; %bb.1499:
	s_mov_b64 s[6:7], 0
	s_waitcnt vmcnt(0)
	global_store_dwordx2 v[4:5], v[2:3], off
.LBB214_1500:
	s_andn2_b64 vcc, exec, s[6:7]
	s_cbranch_vccnz .LBB214_1502
; %bb.1501:
	s_waitcnt vmcnt(0)
	global_store_dword v[4:5], v2, off
.LBB214_1502:
	s_mov_b64 s[6:7], 0
.LBB214_1503:
	s_andn2_b64 vcc, exec, s[6:7]
	s_cbranch_vccnz .LBB214_1505
; %bb.1504:
	s_waitcnt vmcnt(0)
	global_store_short v[4:5], v2, off
.LBB214_1505:
	s_mov_b64 s[6:7], 0
.LBB214_1506:
	s_andn2_b64 vcc, exec, s[6:7]
	s_cbranch_vccnz .LBB214_1511
; %bb.1507:
	s_sext_i32_i16 s6, s30
	s_cmp_gt_i32 s6, 0
	s_mov_b64 s[6:7], -1
	s_cbranch_scc0 .LBB214_1509
; %bb.1508:
	s_mov_b64 s[6:7], 0
	s_waitcnt vmcnt(0)
	global_store_byte v[4:5], v2, off
.LBB214_1509:
	s_andn2_b64 vcc, exec, s[6:7]
	s_cbranch_vccnz .LBB214_1511
; %bb.1510:
	s_waitcnt vmcnt(0)
	global_store_byte v[4:5], v2, off
.LBB214_1511:
	s_or_b64 exec, exec, s[0:1]
	s_and_b64 s[6:7], s[22:23], exec
                                        ; implicit-def: $vgpr18
.LBB214_1512:
	s_or_saveexec_b64 s[4:5], s[4:5]
	s_mov_b64 s[0:1], 0
                                        ; implicit-def: $sgpr20
                                        ; implicit-def: $vgpr0_vgpr1
                                        ; implicit-def: $vgpr2_vgpr3
	s_xor_b64 exec, exec, s[4:5]
	s_cbranch_execz .LBB214_2949
; %bb.1513:
	s_waitcnt vmcnt(0)
	v_mul_lo_u32 v6, s13, v18
	v_mov_b32_e32 v0, s11
	s_and_b32 s24, s54, 0xff
	s_cmp_lt_i32 s24, 11
	v_ashrrev_i32_e32 v1, 31, v6
	v_add_co_u32_e32 v2, vcc, s10, v6
	v_addc_co_u32_e32 v3, vcc, v0, v1, vcc
	s_cbranch_scc1 .LBB214_1520
; %bb.1514:
	s_and_b32 s22, 0xffff, s24
	s_cmp_gt_i32 s22, 25
	s_cbranch_scc0 .LBB214_1522
; %bb.1515:
	s_cmp_gt_i32 s22, 28
	s_cbranch_scc0 .LBB214_1523
; %bb.1516:
	;; [unrolled: 3-line block ×4, first 2 shown]
	s_cmp_eq_u32 s22, 46
	s_mov_b64 s[18:19], 0
	s_cbranch_scc0 .LBB214_1528
; %bb.1519:
	global_load_dword v0, v[2:3], off
	s_mov_b32 s0, 0x2f800000
	s_mov_b32 s1, 0xcf800000
	s_mov_b64 s[20:21], -1
	s_waitcnt vmcnt(0)
	v_lshlrev_b32_e32 v0, 16, v0
	v_trunc_f32_e32 v0, v0
	v_mul_f32_e64 v1, |v0|, s0
	v_floor_f32_e32 v1, v1
	v_fma_f32 v4, v1, s1, |v0|
	v_cvt_u32_f32_e32 v4, v4
	v_cvt_u32_f32_e32 v1, v1
	v_ashrrev_i32_e32 v5, 31, v0
	s_mov_b64 s[0:1], 0
	v_xor_b32_e32 v0, v4, v5
	v_xor_b32_e32 v1, v1, v5
	v_sub_co_u32_e32 v0, vcc, v0, v5
	v_subb_co_u32_e32 v1, vcc, v1, v5, vcc
	s_branch .LBB214_1529
.LBB214_1520:
	s_mov_b64 s[20:21], 0
                                        ; implicit-def: $vgpr0_vgpr1
	s_mov_b64 s[18:19], s[6:7]
	s_cbranch_execnz .LBB214_1587
.LBB214_1521:
	s_andn2_b64 vcc, exec, s[20:21]
	s_cbranch_vccz .LBB214_1632
	s_branch .LBB214_2947
.LBB214_1522:
	s_mov_b64 s[20:21], 0
                                        ; implicit-def: $vgpr0_vgpr1
	s_cbranch_execnz .LBB214_1556
	s_branch .LBB214_1583
.LBB214_1523:
	s_mov_b64 s[20:21], 0
                                        ; implicit-def: $vgpr0_vgpr1
	s_cbranch_execz .LBB214_1555
	s_branch .LBB214_1538
.LBB214_1524:
	s_mov_b64 s[20:21], 0
                                        ; implicit-def: $vgpr0_vgpr1
	s_cbranch_execnz .LBB214_1534
	s_branch .LBB214_1537
.LBB214_1525:
	s_mov_b64 s[18:19], -1
	s_mov_b64 s[20:21], 0
                                        ; implicit-def: $vgpr0_vgpr1
	s_branch .LBB214_1529
.LBB214_1526:
	s_andn2_saveexec_b64 s[26:27], s[26:27]
	s_cbranch_execz .LBB214_1425
.LBB214_1527:
	s_mov_b32 s28, 0x46000000
	v_add_f32_e64 v1, |v0|, s28
	v_and_b32_e32 v1, 0xff, v1
	v_cmp_ne_u32_e32 vcc, 0, v1
	s_andn2_b64 s[24:25], s[24:25], exec
	s_and_b64 s[28:29], vcc, exec
	s_or_b64 s[24:25], s[24:25], s[28:29]
	s_or_b64 exec, exec, s[26:27]
	v_mov_b32_e32 v6, 0
	s_and_saveexec_b64 s[26:27], s[24:25]
	s_cbranch_execnz .LBB214_1426
	s_branch .LBB214_1427
.LBB214_1528:
	s_mov_b64 s[0:1], -1
                                        ; implicit-def: $vgpr0_vgpr1
	s_mov_b64 s[20:21], 0
.LBB214_1529:
	s_and_b64 vcc, exec, s[18:19]
	s_cbranch_vccz .LBB214_1532
; %bb.1530:
	s_cmp_eq_u32 s22, 44
	s_cbranch_scc0 .LBB214_1533
; %bb.1531:
	global_load_ubyte v0, v[2:3], off
	s_mov_b32 s0, 0x2f800000
	s_mov_b32 s1, 0xcf800000
	s_mov_b64 s[20:21], -1
	s_waitcnt vmcnt(0)
	v_lshlrev_b32_e32 v1, 23, v0
	v_trunc_f32_e32 v1, v1
	v_mul_f32_e64 v4, |v1|, s0
	v_floor_f32_e32 v4, v4
	v_fma_f32 v5, v4, s1, |v1|
	v_cvt_u32_f32_e32 v5, v5
	v_cvt_u32_f32_e32 v4, v4
	v_ashrrev_i32_e32 v1, 31, v1
	s_mov_b64 s[0:1], 0
	v_xor_b32_e32 v5, v5, v1
	v_xor_b32_e32 v4, v4, v1
	v_sub_co_u32_e32 v5, vcc, v5, v1
	v_subb_co_u32_e32 v1, vcc, v4, v1, vcc
	v_cmp_ne_u32_e32 vcc, 0, v0
	v_cndmask_b32_e32 v1, 0, v1, vcc
	v_cndmask_b32_e32 v0, 0, v5, vcc
.LBB214_1532:
	s_branch .LBB214_1537
.LBB214_1533:
	s_mov_b64 s[0:1], -1
                                        ; implicit-def: $vgpr0_vgpr1
	s_branch .LBB214_1537
.LBB214_1534:
	s_cmp_eq_u32 s22, 29
	s_cbranch_scc0 .LBB214_1536
; %bb.1535:
	global_load_dwordx2 v[0:1], v[2:3], off
	s_mov_b64 s[0:1], 0
	s_mov_b64 s[20:21], -1
	s_branch .LBB214_1537
.LBB214_1536:
	s_mov_b64 s[0:1], -1
                                        ; implicit-def: $vgpr0_vgpr1
.LBB214_1537:
	s_branch .LBB214_1555
.LBB214_1538:
	s_cmp_lt_i32 s22, 27
	s_cbranch_scc1 .LBB214_1541
; %bb.1539:
	s_cmp_gt_i32 s22, 27
	s_cbranch_scc0 .LBB214_1542
; %bb.1540:
	global_load_dword v0, v[2:3], off
	s_waitcnt vmcnt(1)
	v_mov_b32_e32 v1, 0
	s_mov_b64 s[18:19], 0
	s_branch .LBB214_1543
.LBB214_1541:
	s_mov_b64 s[18:19], -1
                                        ; implicit-def: $vgpr0_vgpr1
	s_branch .LBB214_1546
.LBB214_1542:
	s_mov_b64 s[18:19], -1
                                        ; implicit-def: $vgpr0_vgpr1
.LBB214_1543:
	s_andn2_b64 vcc, exec, s[18:19]
	s_cbranch_vccnz .LBB214_1545
; %bb.1544:
	global_load_ushort v0, v[2:3], off
	s_mov_b32 s18, 0
	s_waitcnt vmcnt(1)
	v_mov_b32_e32 v1, s18
	s_waitcnt vmcnt(0)
	v_and_b32_e32 v0, 0xffff, v0
.LBB214_1545:
	s_mov_b64 s[18:19], 0
.LBB214_1546:
	s_andn2_b64 vcc, exec, s[18:19]
	s_cbranch_vccnz .LBB214_1554
; %bb.1547:
	global_load_ubyte v4, v[2:3], off
	s_movk_i32 s18, 0x7f
	s_mov_b64 s[20:21], 0
	s_waitcnt vmcnt(0)
	v_cmp_lt_i16_e32 vcc, s18, v4
	s_and_saveexec_b64 s[18:19], vcc
	s_xor_b64 s[18:19], exec, s[18:19]
; %bb.1548:
	s_movk_i32 s20, 0x80
	v_cmp_ne_u16_e32 vcc, s20, v4
	s_and_b64 s[20:21], vcc, exec
; %bb.1549:
	s_andn2_saveexec_b64 s[18:19], s[18:19]
; %bb.1550:
	v_cmp_ne_u16_e32 vcc, 0, v4
	s_andn2_b64 s[20:21], s[20:21], exec
	s_and_b64 s[26:27], vcc, exec
	s_or_b64 s[20:21], s[20:21], s[26:27]
; %bb.1551:
	s_or_b64 exec, exec, s[18:19]
	v_mov_b32_e32 v0, 0
	v_mov_b32_e32 v1, 0
	s_and_saveexec_b64 s[18:19], s[20:21]
	s_cbranch_execz .LBB214_1553
; %bb.1552:
	v_and_b32_e32 v1, 0xffff, v4
	v_lshlrev_b32_e32 v0, 24, v4
	v_and_b32_e32 v4, 7, v1
	v_ffbh_u32_e32 v7, v4
	v_min_u32_e32 v7, 32, v7
	v_subrev_u32_e32 v8, 28, v7
	v_bfe_u32 v5, v1, 3, 4
	v_lshlrev_b32_e32 v1, v8, v1
	v_sub_u32_e32 v7, 29, v7
	v_and_b32_e32 v1, 7, v1
	v_cmp_eq_u32_e32 vcc, 0, v5
	v_cndmask_b32_e32 v5, v5, v7, vcc
	v_cndmask_b32_e32 v1, v4, v1, vcc
	v_mov_b32_e32 v4, 0x3b800000
	v_lshlrev_b32_e32 v1, 20, v1
	v_and_b32_e32 v0, 0x80000000, v0
	v_lshl_add_u32 v4, v5, 23, v4
	v_or3_b32 v0, v0, v4, v1
	v_trunc_f32_e32 v0, v0
	s_mov_b32 s20, 0x2f800000
	v_mul_f32_e64 v1, |v0|, s20
	v_floor_f32_e32 v1, v1
	s_mov_b32 s20, 0xcf800000
	v_fma_f32 v4, v1, s20, |v0|
	v_cvt_u32_f32_e32 v4, v4
	v_cvt_u32_f32_e32 v1, v1
	v_ashrrev_i32_e32 v5, 31, v0
	v_xor_b32_e32 v0, v4, v5
	v_xor_b32_e32 v1, v1, v5
	v_sub_co_u32_e32 v0, vcc, v0, v5
	v_subb_co_u32_e32 v1, vcc, v1, v5, vcc
.LBB214_1553:
	s_or_b64 exec, exec, s[18:19]
.LBB214_1554:
	s_mov_b64 s[20:21], -1
.LBB214_1555:
	s_branch .LBB214_1583
.LBB214_1556:
	s_cmp_gt_i32 s22, 22
	s_cbranch_scc0 .LBB214_1566
; %bb.1557:
	s_cmp_lt_i32 s22, 24
	s_cbranch_scc1 .LBB214_1567
; %bb.1558:
	s_cmp_gt_i32 s22, 24
	s_cbranch_scc0 .LBB214_1568
; %bb.1559:
	global_load_ubyte v4, v[2:3], off
	s_movk_i32 s16, 0x7f
	s_mov_b64 s[18:19], 0
	s_waitcnt vmcnt(0)
	v_cmp_lt_i16_e32 vcc, s16, v4
	s_and_saveexec_b64 s[16:17], vcc
	s_xor_b64 s[16:17], exec, s[16:17]
; %bb.1560:
	s_movk_i32 s18, 0x80
	v_cmp_ne_u16_e32 vcc, s18, v4
	s_and_b64 s[18:19], vcc, exec
; %bb.1561:
	s_andn2_saveexec_b64 s[16:17], s[16:17]
; %bb.1562:
	v_cmp_ne_u16_e32 vcc, 0, v4
	s_andn2_b64 s[18:19], s[18:19], exec
	s_and_b64 s[20:21], vcc, exec
	s_or_b64 s[18:19], s[18:19], s[20:21]
; %bb.1563:
	s_or_b64 exec, exec, s[16:17]
	v_mov_b32_e32 v0, 0
	v_mov_b32_e32 v1, 0
	s_and_saveexec_b64 s[16:17], s[18:19]
	s_cbranch_execz .LBB214_1565
; %bb.1564:
	v_and_b32_e32 v1, 0xffff, v4
	v_lshlrev_b32_e32 v0, 24, v4
	v_and_b32_e32 v4, 3, v1
	v_ffbh_u32_e32 v7, v4
	v_min_u32_e32 v7, 32, v7
	v_subrev_u32_e32 v8, 29, v7
	v_bfe_u32 v5, v1, 2, 5
	v_lshlrev_b32_e32 v1, v8, v1
	v_sub_u32_e32 v7, 30, v7
	v_and_b32_e32 v1, 3, v1
	v_cmp_eq_u32_e32 vcc, 0, v5
	v_cndmask_b32_e32 v5, v5, v7, vcc
	v_cndmask_b32_e32 v1, v4, v1, vcc
	v_mov_b32_e32 v4, 0x37800000
	v_lshlrev_b32_e32 v1, 21, v1
	v_and_b32_e32 v0, 0x80000000, v0
	v_lshl_add_u32 v4, v5, 23, v4
	v_or3_b32 v0, v0, v4, v1
	v_trunc_f32_e32 v0, v0
	s_mov_b32 s18, 0x2f800000
	v_mul_f32_e64 v1, |v0|, s18
	v_floor_f32_e32 v1, v1
	s_mov_b32 s18, 0xcf800000
	v_fma_f32 v4, v1, s18, |v0|
	v_cvt_u32_f32_e32 v4, v4
	v_cvt_u32_f32_e32 v1, v1
	v_ashrrev_i32_e32 v5, 31, v0
	v_xor_b32_e32 v0, v4, v5
	v_xor_b32_e32 v1, v1, v5
	v_sub_co_u32_e32 v0, vcc, v0, v5
	v_subb_co_u32_e32 v1, vcc, v1, v5, vcc
.LBB214_1565:
	s_or_b64 exec, exec, s[16:17]
	s_mov_b64 s[16:17], 0
	s_branch .LBB214_1569
.LBB214_1566:
                                        ; implicit-def: $vgpr0_vgpr1
	s_mov_b64 s[16:17], 0
	s_branch .LBB214_1575
.LBB214_1567:
	s_mov_b64 s[16:17], -1
                                        ; implicit-def: $vgpr0_vgpr1
	s_branch .LBB214_1572
.LBB214_1568:
	s_mov_b64 s[16:17], -1
                                        ; implicit-def: $vgpr0_vgpr1
.LBB214_1569:
	s_and_b64 vcc, exec, s[16:17]
	s_cbranch_vccz .LBB214_1571
; %bb.1570:
	global_load_ubyte v0, v[2:3], off
	s_mov_b32 s16, 0x7f800000
	s_brev_b32 s17, 1
	s_mov_b32 s18, 0x2f800000
	s_mov_b32 s19, 0xcf800000
	s_waitcnt vmcnt(0)
	v_lshlrev_b32_e32 v0, 24, v0
	v_and_b32_e32 v1, 0x7f000000, v0
	v_ffbh_u32_e32 v4, v1
	v_min_u32_e32 v4, 32, v4
	v_sub_u32_e64 v4, v4, 4 clamp
	v_lshlrev_b32_e32 v7, v4, v1
	v_lshlrev_b32_e32 v4, 23, v4
	v_lshrrev_b32_e32 v7, 4, v7
	v_add_u32_e32 v5, 0x1000000, v1
	v_sub_u32_e32 v4, v7, v4
	v_ashrrev_i32_e32 v5, 8, v5
	v_add_u32_e32 v4, 0x3c000000, v4
	v_and_or_b32 v4, v5, s16, v4
	v_cmp_ne_u32_e32 vcc, 0, v1
	v_cndmask_b32_e32 v1, 0, v4, vcc
	v_and_or_b32 v0, v0, s17, v1
	v_trunc_f32_e32 v0, v0
	v_mul_f32_e64 v1, |v0|, s18
	v_floor_f32_e32 v1, v1
	v_fma_f32 v4, v1, s19, |v0|
	v_cvt_u32_f32_e32 v4, v4
	v_cvt_u32_f32_e32 v1, v1
	v_ashrrev_i32_e32 v5, 31, v0
	v_xor_b32_e32 v0, v4, v5
	v_xor_b32_e32 v1, v1, v5
	v_sub_co_u32_e32 v0, vcc, v0, v5
	v_subb_co_u32_e32 v1, vcc, v1, v5, vcc
.LBB214_1571:
	s_mov_b64 s[16:17], 0
.LBB214_1572:
	s_andn2_b64 vcc, exec, s[16:17]
	s_cbranch_vccnz .LBB214_1574
; %bb.1573:
	global_load_ubyte v0, v[2:3], off
	s_movk_i32 s16, 0x7f00
	s_brev_b32 s17, 16
	s_brev_b32 s18, 1
	s_mov_b32 s19, 0x2f800000
	s_mov_b32 s20, 0xcf800000
	s_waitcnt vmcnt(0)
	v_lshlrev_b16_e32 v1, 8, v0
	v_lshlrev_b32_e32 v0, 25, v0
	v_lshrrev_b32_e32 v4, 4, v0
	v_and_or_b32 v5, v1, s16, 0.5
	v_or_b32_e32 v4, 0x70000000, v4
	v_add_f32_e32 v5, -0.5, v5
	v_mul_f32_e32 v4, 0x7800000, v4
	v_cmp_gt_u32_e32 vcc, s17, v0
	v_bfe_i32 v1, v1, 0, 16
	v_cndmask_b32_e32 v0, v4, v5, vcc
	v_and_or_b32 v0, v1, s18, v0
	v_trunc_f32_e32 v0, v0
	v_mul_f32_e64 v1, |v0|, s19
	v_floor_f32_e32 v1, v1
	v_fma_f32 v4, v1, s20, |v0|
	v_cvt_u32_f32_e32 v4, v4
	v_cvt_u32_f32_e32 v1, v1
	v_ashrrev_i32_e32 v5, 31, v0
	v_xor_b32_e32 v0, v4, v5
	v_xor_b32_e32 v1, v1, v5
	v_sub_co_u32_e32 v0, vcc, v0, v5
	v_subb_co_u32_e32 v1, vcc, v1, v5, vcc
.LBB214_1574:
	s_mov_b64 s[20:21], -1
	s_mov_b64 s[16:17], 0
	s_cbranch_execnz .LBB214_1583
.LBB214_1575:
	s_cmp_gt_i32 s22, 14
	s_cbranch_scc0 .LBB214_1578
; %bb.1576:
	s_cmp_eq_u32 s22, 15
	s_cbranch_scc0 .LBB214_1579
; %bb.1577:
	global_load_ushort v0, v[2:3], off
	s_mov_b32 s0, 0x2f800000
	s_mov_b32 s1, 0xcf800000
	s_mov_b64 s[20:21], -1
	s_waitcnt vmcnt(0)
	v_lshlrev_b32_e32 v0, 16, v0
	v_trunc_f32_e32 v0, v0
	v_mul_f32_e64 v1, |v0|, s0
	v_floor_f32_e32 v1, v1
	v_fma_f32 v4, v1, s1, |v0|
	v_cvt_u32_f32_e32 v4, v4
	v_cvt_u32_f32_e32 v1, v1
	v_ashrrev_i32_e32 v5, 31, v0
	s_mov_b64 s[0:1], 0
	v_xor_b32_e32 v0, v4, v5
	v_xor_b32_e32 v1, v1, v5
	v_sub_co_u32_e32 v0, vcc, v0, v5
	v_subb_co_u32_e32 v1, vcc, v1, v5, vcc
	s_branch .LBB214_1580
.LBB214_1578:
	s_mov_b64 s[18:19], -1
                                        ; implicit-def: $vgpr0_vgpr1
	s_branch .LBB214_1581
.LBB214_1579:
	s_mov_b64 s[0:1], -1
                                        ; implicit-def: $vgpr0_vgpr1
.LBB214_1580:
	s_mov_b64 s[18:19], 0
.LBB214_1581:
	s_and_b64 vcc, exec, s[18:19]
	s_cbranch_vccz .LBB214_1583
; %bb.1582:
	s_cmp_lg_u32 s22, 11
	s_mov_b64 s[16:17], -1
	s_cselect_b64 s[0:1], -1, 0
.LBB214_1583:
	s_and_b64 vcc, exec, s[0:1]
	s_mov_b64 s[18:19], s[6:7]
	s_cbranch_vccnz .LBB214_1644
; %bb.1584:
	s_andn2_b64 vcc, exec, s[16:17]
	s_cbranch_vccnz .LBB214_1586
.LBB214_1585:
	global_load_ubyte v0, v[2:3], off
	s_mov_b32 s0, 0
	s_waitcnt vmcnt(1)
	v_mov_b32_e32 v1, s0
	s_mov_b64 s[20:21], -1
	s_waitcnt vmcnt(0)
	v_cmp_ne_u16_e32 vcc, 0, v0
	v_cndmask_b32_e64 v0, 0, 1, vcc
.LBB214_1586:
	s_branch .LBB214_1521
.LBB214_1587:
	s_and_b32 s16, 0xffff, s24
	s_cmp_lt_i32 s16, 5
	s_cbranch_scc1 .LBB214_1592
; %bb.1588:
	s_cmp_lt_i32 s16, 8
	s_cbranch_scc1 .LBB214_1593
; %bb.1589:
	;; [unrolled: 3-line block ×3, first 2 shown]
	s_cmp_gt_i32 s16, 9
	s_cbranch_scc0 .LBB214_1595
; %bb.1591:
	global_load_dwordx2 v[0:1], v[2:3], off
	s_movk_i32 s0, 0xffe0
	s_waitcnt vmcnt(0)
	v_trunc_f64_e32 v[0:1], v[0:1]
	v_ldexp_f64 v[4:5], v[0:1], s0
	s_mov_b32 s0, 0
	s_mov_b32 s1, 0xc1f00000
	v_floor_f64_e32 v[4:5], v[4:5]
	v_fma_f64 v[7:8], v[4:5], s[0:1], v[0:1]
	v_cvt_i32_f64_e32 v1, v[4:5]
	s_mov_b64 s[0:1], 0
	v_cvt_u32_f64_e32 v0, v[7:8]
	s_branch .LBB214_1596
.LBB214_1592:
                                        ; implicit-def: $vgpr0_vgpr1
	s_branch .LBB214_1613
.LBB214_1593:
                                        ; implicit-def: $vgpr0_vgpr1
	s_branch .LBB214_1602
.LBB214_1594:
	s_mov_b64 s[0:1], -1
                                        ; implicit-def: $vgpr0_vgpr1
	s_branch .LBB214_1599
.LBB214_1595:
	s_mov_b64 s[0:1], -1
                                        ; implicit-def: $vgpr0_vgpr1
.LBB214_1596:
	s_andn2_b64 vcc, exec, s[0:1]
	s_cbranch_vccnz .LBB214_1598
; %bb.1597:
	global_load_dword v0, v[2:3], off
	s_mov_b32 s0, 0x2f800000
	s_mov_b32 s1, 0xcf800000
	s_waitcnt vmcnt(0)
	v_trunc_f32_e32 v0, v0
	v_mul_f32_e64 v1, |v0|, s0
	v_floor_f32_e32 v1, v1
	v_cvt_u32_f32_e32 v4, v1
	v_fma_f32 v1, v1, s1, |v0|
	v_cvt_u32_f32_e32 v1, v1
	v_ashrrev_i32_e32 v5, 31, v0
	v_xor_b32_e32 v4, v4, v5
	v_xor_b32_e32 v0, v1, v5
	v_sub_co_u32_e32 v0, vcc, v0, v5
	v_subb_co_u32_e32 v1, vcc, v4, v5, vcc
.LBB214_1598:
	s_mov_b64 s[0:1], 0
.LBB214_1599:
	s_andn2_b64 vcc, exec, s[0:1]
	s_cbranch_vccnz .LBB214_1601
; %bb.1600:
	global_load_dword v0, v[2:3], off
	s_waitcnt vmcnt(0)
	v_cvt_f32_f16_e32 v0, v0
	v_cvt_i32_f32_e32 v0, v0
	v_ashrrev_i32_e32 v1, 31, v0
.LBB214_1601:
	s_cbranch_execnz .LBB214_1612
.LBB214_1602:
	s_cmp_lt_i32 s16, 6
	s_cbranch_scc1 .LBB214_1605
; %bb.1603:
	s_cmp_gt_i32 s16, 6
	s_cbranch_scc0 .LBB214_1606
; %bb.1604:
	global_load_dwordx2 v[0:1], v[2:3], off
	s_movk_i32 s0, 0xffe0
	s_waitcnt vmcnt(0)
	v_trunc_f64_e32 v[0:1], v[0:1]
	v_ldexp_f64 v[4:5], v[0:1], s0
	s_mov_b32 s0, 0
	s_mov_b32 s1, 0xc1f00000
	v_floor_f64_e32 v[4:5], v[4:5]
	v_fma_f64 v[7:8], v[4:5], s[0:1], v[0:1]
	v_cvt_i32_f64_e32 v1, v[4:5]
	s_mov_b64 s[0:1], 0
	v_cvt_u32_f64_e32 v0, v[7:8]
	s_branch .LBB214_1607
.LBB214_1605:
	s_mov_b64 s[0:1], -1
                                        ; implicit-def: $vgpr0_vgpr1
	s_branch .LBB214_1610
.LBB214_1606:
	s_mov_b64 s[0:1], -1
                                        ; implicit-def: $vgpr0_vgpr1
.LBB214_1607:
	s_andn2_b64 vcc, exec, s[0:1]
	s_cbranch_vccnz .LBB214_1609
; %bb.1608:
	global_load_dword v0, v[2:3], off
	s_mov_b32 s0, 0x2f800000
	s_mov_b32 s1, 0xcf800000
	s_waitcnt vmcnt(0)
	v_trunc_f32_e32 v0, v0
	v_mul_f32_e64 v1, |v0|, s0
	v_floor_f32_e32 v1, v1
	v_cvt_u32_f32_e32 v4, v1
	v_fma_f32 v1, v1, s1, |v0|
	v_cvt_u32_f32_e32 v1, v1
	v_ashrrev_i32_e32 v5, 31, v0
	v_xor_b32_e32 v4, v4, v5
	v_xor_b32_e32 v0, v1, v5
	v_sub_co_u32_e32 v0, vcc, v0, v5
	v_subb_co_u32_e32 v1, vcc, v4, v5, vcc
.LBB214_1609:
	s_mov_b64 s[0:1], 0
.LBB214_1610:
	s_andn2_b64 vcc, exec, s[0:1]
	s_cbranch_vccnz .LBB214_1612
; %bb.1611:
	global_load_ushort v0, v[2:3], off
	s_waitcnt vmcnt(0)
	v_cvt_f32_f16_e32 v0, v0
	v_cvt_i32_f32_e32 v0, v0
	v_ashrrev_i32_e32 v1, 31, v0
.LBB214_1612:
	s_cbranch_execnz .LBB214_1631
.LBB214_1613:
	s_cmp_lt_i32 s16, 2
	s_cbranch_scc1 .LBB214_1617
; %bb.1614:
	s_cmp_lt_i32 s16, 3
	s_cbranch_scc1 .LBB214_1618
; %bb.1615:
	s_cmp_gt_i32 s16, 3
	s_cbranch_scc0 .LBB214_1619
; %bb.1616:
	global_load_dwordx2 v[0:1], v[2:3], off
	s_mov_b64 s[0:1], 0
	s_branch .LBB214_1620
.LBB214_1617:
                                        ; implicit-def: $vgpr0_vgpr1
	s_branch .LBB214_1626
.LBB214_1618:
	s_mov_b64 s[0:1], -1
                                        ; implicit-def: $vgpr0_vgpr1
	s_branch .LBB214_1623
.LBB214_1619:
	s_mov_b64 s[0:1], -1
                                        ; implicit-def: $vgpr0_vgpr1
.LBB214_1620:
	s_andn2_b64 vcc, exec, s[0:1]
	s_cbranch_vccnz .LBB214_1622
; %bb.1621:
	global_load_dword v0, v[2:3], off
	s_waitcnt vmcnt(0)
	v_ashrrev_i32_e32 v1, 31, v0
.LBB214_1622:
	s_mov_b64 s[0:1], 0
.LBB214_1623:
	s_andn2_b64 vcc, exec, s[0:1]
	s_cbranch_vccnz .LBB214_1625
; %bb.1624:
	global_load_ushort v0, v[2:3], off
	s_waitcnt vmcnt(0)
	v_bfe_i32 v0, v0, 0, 16
	v_ashrrev_i32_e32 v1, 31, v0
.LBB214_1625:
	s_cbranch_execnz .LBB214_1631
.LBB214_1626:
	s_cmp_gt_i32 s16, 0
	s_cbranch_scc0 .LBB214_1628
; %bb.1627:
	global_load_sbyte v0, v[2:3], off
	s_mov_b64 s[0:1], 0
	s_waitcnt vmcnt(0)
	v_bfe_i32 v0, v0, 0, 16
	v_ashrrev_i32_e32 v1, 31, v0
	s_branch .LBB214_1629
.LBB214_1628:
	s_mov_b64 s[0:1], -1
                                        ; implicit-def: $vgpr0_vgpr1
.LBB214_1629:
	s_andn2_b64 vcc, exec, s[0:1]
	s_cbranch_vccnz .LBB214_1631
; %bb.1630:
	global_load_ubyte v0, v[2:3], off
	s_mov_b32 s0, 0
	s_waitcnt vmcnt(1)
	v_mov_b32_e32 v1, s0
	s_waitcnt vmcnt(0)
	v_and_b32_e32 v0, 0xffff, v0
.LBB214_1631:
.LBB214_1632:
	v_mul_lo_u32 v8, s14, v18
	v_mov_b32_e32 v2, s3
	s_and_b32 s25, s15, 0xff
	s_cmp_lt_i32 s25, 11
	v_ashrrev_i32_e32 v3, 31, v8
	v_add_co_u32_e32 v4, vcc, s2, v8
	v_addc_co_u32_e32 v5, vcc, v2, v3, vcc
	s_cbranch_scc1 .LBB214_1639
; %bb.1633:
	s_and_b32 s15, 0xffff, s25
	s_cmp_gt_i32 s15, 25
	s_mov_b64 s[16:17], 0
	s_cbranch_scc0 .LBB214_1641
; %bb.1634:
	s_cmp_gt_i32 s15, 28
	s_cbranch_scc0 .LBB214_1642
; %bb.1635:
	s_cmp_gt_i32 s15, 43
	;; [unrolled: 3-line block ×3, first 2 shown]
	s_cbranch_scc0 .LBB214_1645
; %bb.1637:
	s_cmp_eq_u32 s15, 46
	s_mov_b64 s[22:23], 0
	s_cbranch_scc0 .LBB214_1648
; %bb.1638:
	global_load_dword v2, v[4:5], off
	s_mov_b32 s0, 0x2f800000
	s_mov_b32 s1, 0xcf800000
	s_mov_b64 s[20:21], -1
	s_waitcnt vmcnt(0)
	v_lshlrev_b32_e32 v2, 16, v2
	v_trunc_f32_e32 v2, v2
	v_mul_f32_e64 v3, |v2|, s0
	v_floor_f32_e32 v3, v3
	v_fma_f32 v7, v3, s1, |v2|
	v_cvt_u32_f32_e32 v7, v7
	v_cvt_u32_f32_e32 v3, v3
	v_ashrrev_i32_e32 v9, 31, v2
	s_mov_b64 s[0:1], 0
	v_xor_b32_e32 v2, v7, v9
	v_xor_b32_e32 v3, v3, v9
	v_sub_co_u32_e32 v2, vcc, v2, v9
	v_subb_co_u32_e32 v3, vcc, v3, v9, vcc
	s_branch .LBB214_1649
.LBB214_1639:
	s_mov_b64 s[20:21], 0
                                        ; implicit-def: $vgpr2_vgpr3
	s_cbranch_execnz .LBB214_1710
.LBB214_1640:
	s_andn2_b64 vcc, exec, s[20:21]
	s_cbranch_vccnz .LBB214_2947
	s_branch .LBB214_1757
.LBB214_1641:
	s_mov_b64 s[20:21], 0
	s_mov_b64 s[0:1], 0
                                        ; implicit-def: $vgpr2_vgpr3
	s_cbranch_execnz .LBB214_1678
	s_branch .LBB214_1706
.LBB214_1642:
	s_mov_b64 s[22:23], -1
	s_mov_b64 s[20:21], 0
	s_mov_b64 s[0:1], 0
                                        ; implicit-def: $vgpr2_vgpr3
	s_branch .LBB214_1659
.LBB214_1643:
	s_mov_b64 s[22:23], -1
	s_mov_b64 s[20:21], 0
	s_mov_b64 s[0:1], 0
                                        ; implicit-def: $vgpr2_vgpr3
	s_branch .LBB214_1654
.LBB214_1644:
	s_or_b64 s[18:19], s[6:7], exec
	s_trap 2
	s_cbranch_execz .LBB214_1585
	s_branch .LBB214_1586
.LBB214_1645:
	s_mov_b64 s[22:23], -1
	s_mov_b64 s[20:21], 0
	s_mov_b64 s[0:1], 0
                                        ; implicit-def: $vgpr2_vgpr3
	s_branch .LBB214_1649
.LBB214_1646:
	s_andn2_saveexec_b64 s[28:29], s[28:29]
	s_cbranch_execz .LBB214_1437
.LBB214_1647:
	s_mov_b32 s34, 0x42800000
	v_add_f32_e64 v1, |v0|, s34
	v_and_b32_e32 v1, 0xff, v1
	v_cmp_ne_u32_e32 vcc, 0, v1
	s_andn2_b64 s[26:27], s[26:27], exec
	s_and_b64 s[34:35], vcc, exec
	s_or_b64 s[26:27], s[26:27], s[34:35]
	s_or_b64 exec, exec, s[28:29]
	v_mov_b32_e32 v6, 0
	s_and_saveexec_b64 s[28:29], s[26:27]
	s_cbranch_execnz .LBB214_1438
	s_branch .LBB214_1439
.LBB214_1648:
	s_mov_b64 s[0:1], -1
                                        ; implicit-def: $vgpr2_vgpr3
	s_mov_b64 s[20:21], 0
.LBB214_1649:
	s_and_b64 vcc, exec, s[22:23]
	s_cbranch_vccz .LBB214_1653
; %bb.1650:
	s_cmp_eq_u32 s15, 44
	s_cbranch_scc0 .LBB214_1652
; %bb.1651:
	global_load_ubyte v2, v[4:5], off
	s_mov_b32 s0, 0x2f800000
	s_mov_b32 s1, 0xcf800000
	s_mov_b64 s[20:21], -1
	s_waitcnt vmcnt(0)
	v_lshlrev_b32_e32 v3, 23, v2
	v_trunc_f32_e32 v3, v3
	v_mul_f32_e64 v7, |v3|, s0
	v_floor_f32_e32 v7, v7
	v_fma_f32 v9, v7, s1, |v3|
	v_cvt_u32_f32_e32 v9, v9
	v_cvt_u32_f32_e32 v7, v7
	v_ashrrev_i32_e32 v3, 31, v3
	s_mov_b64 s[0:1], 0
	v_xor_b32_e32 v9, v9, v3
	v_xor_b32_e32 v7, v7, v3
	v_sub_co_u32_e32 v9, vcc, v9, v3
	v_subb_co_u32_e32 v3, vcc, v7, v3, vcc
	v_cmp_ne_u32_e32 vcc, 0, v2
	v_cndmask_b32_e32 v3, 0, v3, vcc
	v_cndmask_b32_e32 v2, 0, v9, vcc
	s_branch .LBB214_1653
.LBB214_1652:
	s_mov_b64 s[0:1], -1
                                        ; implicit-def: $vgpr2_vgpr3
.LBB214_1653:
	s_mov_b64 s[22:23], 0
.LBB214_1654:
	s_and_b64 vcc, exec, s[22:23]
	s_cbranch_vccz .LBB214_1658
; %bb.1655:
	s_cmp_eq_u32 s15, 29
	s_cbranch_scc0 .LBB214_1657
; %bb.1656:
	global_load_dwordx2 v[2:3], v[4:5], off
	s_mov_b64 s[0:1], 0
	s_mov_b64 s[20:21], -1
	s_branch .LBB214_1658
.LBB214_1657:
	s_mov_b64 s[0:1], -1
                                        ; implicit-def: $vgpr2_vgpr3
.LBB214_1658:
	s_mov_b64 s[22:23], 0
.LBB214_1659:
	s_and_b64 vcc, exec, s[22:23]
	s_cbranch_vccz .LBB214_1677
; %bb.1660:
	s_cmp_lt_i32 s15, 27
	s_cbranch_scc1 .LBB214_1663
; %bb.1661:
	s_cmp_gt_i32 s15, 27
	s_cbranch_scc0 .LBB214_1664
; %bb.1662:
	global_load_dword v2, v[4:5], off
	s_waitcnt vmcnt(1)
	v_mov_b32_e32 v3, 0
	s_mov_b64 s[20:21], 0
	s_branch .LBB214_1665
.LBB214_1663:
	s_mov_b64 s[20:21], -1
                                        ; implicit-def: $vgpr2_vgpr3
	s_branch .LBB214_1668
.LBB214_1664:
	s_mov_b64 s[20:21], -1
                                        ; implicit-def: $vgpr2_vgpr3
.LBB214_1665:
	s_andn2_b64 vcc, exec, s[20:21]
	s_cbranch_vccnz .LBB214_1667
; %bb.1666:
	global_load_ushort v2, v[4:5], off
	s_mov_b32 s20, 0
	s_waitcnt vmcnt(1)
	v_mov_b32_e32 v3, s20
	s_waitcnt vmcnt(0)
	v_and_b32_e32 v2, 0xffff, v2
.LBB214_1667:
	s_mov_b64 s[20:21], 0
.LBB214_1668:
	s_andn2_b64 vcc, exec, s[20:21]
	s_cbranch_vccnz .LBB214_1676
; %bb.1669:
	global_load_ubyte v7, v[4:5], off
	s_movk_i32 s20, 0x7f
	s_mov_b64 s[22:23], 0
	s_waitcnt vmcnt(0)
	v_cmp_lt_i16_e32 vcc, s20, v7
	s_and_saveexec_b64 s[20:21], vcc
	s_xor_b64 s[20:21], exec, s[20:21]
; %bb.1670:
	s_movk_i32 s22, 0x80
	v_cmp_ne_u16_e32 vcc, s22, v7
	s_and_b64 s[22:23], vcc, exec
; %bb.1671:
	s_andn2_saveexec_b64 s[20:21], s[20:21]
; %bb.1672:
	v_cmp_ne_u16_e32 vcc, 0, v7
	s_andn2_b64 s[22:23], s[22:23], exec
	s_and_b64 s[26:27], vcc, exec
	s_or_b64 s[22:23], s[22:23], s[26:27]
; %bb.1673:
	s_or_b64 exec, exec, s[20:21]
	v_mov_b32_e32 v2, 0
	v_mov_b32_e32 v3, 0
	s_and_saveexec_b64 s[20:21], s[22:23]
	s_cbranch_execz .LBB214_1675
; %bb.1674:
	v_and_b32_e32 v3, 0xffff, v7
	v_lshlrev_b32_e32 v2, 24, v7
	v_and_b32_e32 v7, 7, v3
	v_ffbh_u32_e32 v10, v7
	v_min_u32_e32 v10, 32, v10
	v_subrev_u32_e32 v11, 28, v10
	v_bfe_u32 v9, v3, 3, 4
	v_lshlrev_b32_e32 v3, v11, v3
	v_sub_u32_e32 v10, 29, v10
	v_and_b32_e32 v3, 7, v3
	v_cmp_eq_u32_e32 vcc, 0, v9
	v_cndmask_b32_e32 v9, v9, v10, vcc
	v_cndmask_b32_e32 v3, v7, v3, vcc
	v_mov_b32_e32 v7, 0x3b800000
	v_lshlrev_b32_e32 v3, 20, v3
	v_and_b32_e32 v2, 0x80000000, v2
	v_lshl_add_u32 v7, v9, 23, v7
	v_or3_b32 v2, v2, v7, v3
	v_trunc_f32_e32 v2, v2
	s_mov_b32 s22, 0x2f800000
	v_mul_f32_e64 v3, |v2|, s22
	v_floor_f32_e32 v3, v3
	s_mov_b32 s22, 0xcf800000
	v_fma_f32 v7, v3, s22, |v2|
	v_cvt_u32_f32_e32 v7, v7
	v_cvt_u32_f32_e32 v3, v3
	v_ashrrev_i32_e32 v9, 31, v2
	v_xor_b32_e32 v2, v7, v9
	v_xor_b32_e32 v3, v3, v9
	v_sub_co_u32_e32 v2, vcc, v2, v9
	v_subb_co_u32_e32 v3, vcc, v3, v9, vcc
.LBB214_1675:
	s_or_b64 exec, exec, s[20:21]
.LBB214_1676:
	s_mov_b64 s[20:21], -1
.LBB214_1677:
	s_branch .LBB214_1706
.LBB214_1678:
	s_cmp_gt_i32 s15, 22
	s_cbranch_scc0 .LBB214_1688
; %bb.1679:
	s_cmp_lt_i32 s15, 24
	s_cbranch_scc1 .LBB214_1689
; %bb.1680:
	s_cmp_gt_i32 s15, 24
	s_cbranch_scc0 .LBB214_1690
; %bb.1681:
	global_load_ubyte v7, v[4:5], off
	s_movk_i32 s16, 0x7f
	s_mov_b64 s[20:21], 0
	s_waitcnt vmcnt(0)
	v_cmp_lt_i16_e32 vcc, s16, v7
	s_and_saveexec_b64 s[16:17], vcc
	s_xor_b64 s[16:17], exec, s[16:17]
; %bb.1682:
	s_movk_i32 s20, 0x80
	v_cmp_ne_u16_e32 vcc, s20, v7
	s_and_b64 s[20:21], vcc, exec
; %bb.1683:
	s_andn2_saveexec_b64 s[16:17], s[16:17]
; %bb.1684:
	v_cmp_ne_u16_e32 vcc, 0, v7
	s_andn2_b64 s[20:21], s[20:21], exec
	s_and_b64 s[22:23], vcc, exec
	s_or_b64 s[20:21], s[20:21], s[22:23]
; %bb.1685:
	s_or_b64 exec, exec, s[16:17]
	v_mov_b32_e32 v2, 0
	v_mov_b32_e32 v3, 0
	s_and_saveexec_b64 s[16:17], s[20:21]
	s_cbranch_execz .LBB214_1687
; %bb.1686:
	v_and_b32_e32 v3, 0xffff, v7
	v_lshlrev_b32_e32 v2, 24, v7
	v_and_b32_e32 v7, 3, v3
	v_ffbh_u32_e32 v10, v7
	v_min_u32_e32 v10, 32, v10
	v_subrev_u32_e32 v11, 29, v10
	v_bfe_u32 v9, v3, 2, 5
	v_lshlrev_b32_e32 v3, v11, v3
	v_sub_u32_e32 v10, 30, v10
	v_and_b32_e32 v3, 3, v3
	v_cmp_eq_u32_e32 vcc, 0, v9
	v_cndmask_b32_e32 v9, v9, v10, vcc
	v_cndmask_b32_e32 v3, v7, v3, vcc
	v_mov_b32_e32 v7, 0x37800000
	v_lshlrev_b32_e32 v3, 21, v3
	v_and_b32_e32 v2, 0x80000000, v2
	v_lshl_add_u32 v7, v9, 23, v7
	v_or3_b32 v2, v2, v7, v3
	v_trunc_f32_e32 v2, v2
	s_mov_b32 s20, 0x2f800000
	v_mul_f32_e64 v3, |v2|, s20
	v_floor_f32_e32 v3, v3
	s_mov_b32 s20, 0xcf800000
	v_fma_f32 v7, v3, s20, |v2|
	v_cvt_u32_f32_e32 v7, v7
	v_cvt_u32_f32_e32 v3, v3
	v_ashrrev_i32_e32 v9, 31, v2
	v_xor_b32_e32 v2, v7, v9
	v_xor_b32_e32 v3, v3, v9
	v_sub_co_u32_e32 v2, vcc, v2, v9
	v_subb_co_u32_e32 v3, vcc, v3, v9, vcc
.LBB214_1687:
	s_or_b64 exec, exec, s[16:17]
	s_mov_b64 s[16:17], 0
	s_branch .LBB214_1691
.LBB214_1688:
	s_mov_b64 s[16:17], -1
                                        ; implicit-def: $vgpr2_vgpr3
	s_branch .LBB214_1697
.LBB214_1689:
	s_mov_b64 s[16:17], -1
                                        ; implicit-def: $vgpr2_vgpr3
	s_branch .LBB214_1694
.LBB214_1690:
	s_mov_b64 s[16:17], -1
                                        ; implicit-def: $vgpr2_vgpr3
.LBB214_1691:
	s_and_b64 vcc, exec, s[16:17]
	s_cbranch_vccz .LBB214_1693
; %bb.1692:
	global_load_ubyte v2, v[4:5], off
	s_mov_b32 s16, 0x7f800000
	s_brev_b32 s17, 1
	s_mov_b32 s20, 0x2f800000
	s_mov_b32 s21, 0xcf800000
	s_waitcnt vmcnt(0)
	v_lshlrev_b32_e32 v2, 24, v2
	v_and_b32_e32 v3, 0x7f000000, v2
	v_ffbh_u32_e32 v7, v3
	v_min_u32_e32 v7, 32, v7
	v_sub_u32_e64 v7, v7, 4 clamp
	v_lshlrev_b32_e32 v10, v7, v3
	v_lshlrev_b32_e32 v7, 23, v7
	v_lshrrev_b32_e32 v10, 4, v10
	v_add_u32_e32 v9, 0x1000000, v3
	v_sub_u32_e32 v7, v10, v7
	v_ashrrev_i32_e32 v9, 8, v9
	v_add_u32_e32 v7, 0x3c000000, v7
	v_and_or_b32 v7, v9, s16, v7
	v_cmp_ne_u32_e32 vcc, 0, v3
	v_cndmask_b32_e32 v3, 0, v7, vcc
	v_and_or_b32 v2, v2, s17, v3
	v_trunc_f32_e32 v2, v2
	v_mul_f32_e64 v3, |v2|, s20
	v_floor_f32_e32 v3, v3
	v_fma_f32 v7, v3, s21, |v2|
	v_cvt_u32_f32_e32 v7, v7
	v_cvt_u32_f32_e32 v3, v3
	v_ashrrev_i32_e32 v9, 31, v2
	v_xor_b32_e32 v2, v7, v9
	v_xor_b32_e32 v3, v3, v9
	v_sub_co_u32_e32 v2, vcc, v2, v9
	v_subb_co_u32_e32 v3, vcc, v3, v9, vcc
.LBB214_1693:
	s_mov_b64 s[16:17], 0
.LBB214_1694:
	s_andn2_b64 vcc, exec, s[16:17]
	s_cbranch_vccnz .LBB214_1696
; %bb.1695:
	global_load_ubyte v2, v[4:5], off
	s_movk_i32 s16, 0x7f00
	s_brev_b32 s17, 16
	s_brev_b32 s20, 1
	s_mov_b32 s21, 0x2f800000
	s_mov_b32 s22, 0xcf800000
	s_waitcnt vmcnt(0)
	v_lshlrev_b16_e32 v3, 8, v2
	v_lshlrev_b32_e32 v2, 25, v2
	v_lshrrev_b32_e32 v7, 4, v2
	v_and_or_b32 v9, v3, s16, 0.5
	v_or_b32_e32 v7, 0x70000000, v7
	v_add_f32_e32 v9, -0.5, v9
	v_mul_f32_e32 v7, 0x7800000, v7
	v_cmp_gt_u32_e32 vcc, s17, v2
	v_bfe_i32 v3, v3, 0, 16
	v_cndmask_b32_e32 v2, v7, v9, vcc
	v_and_or_b32 v2, v3, s20, v2
	v_trunc_f32_e32 v2, v2
	v_mul_f32_e64 v3, |v2|, s21
	v_floor_f32_e32 v3, v3
	v_fma_f32 v7, v3, s22, |v2|
	v_cvt_u32_f32_e32 v7, v7
	v_cvt_u32_f32_e32 v3, v3
	v_ashrrev_i32_e32 v9, 31, v2
	v_xor_b32_e32 v2, v7, v9
	v_xor_b32_e32 v3, v3, v9
	v_sub_co_u32_e32 v2, vcc, v2, v9
	v_subb_co_u32_e32 v3, vcc, v3, v9, vcc
.LBB214_1696:
	s_mov_b64 s[16:17], 0
	s_mov_b64 s[20:21], -1
.LBB214_1697:
	s_andn2_b64 vcc, exec, s[16:17]
	s_mov_b64 s[16:17], 0
	s_cbranch_vccnz .LBB214_1706
; %bb.1698:
	s_cmp_gt_i32 s15, 14
	s_cbranch_scc0 .LBB214_1701
; %bb.1699:
	s_cmp_eq_u32 s15, 15
	s_cbranch_scc0 .LBB214_1702
; %bb.1700:
	global_load_ushort v2, v[4:5], off
	s_mov_b32 s0, 0x2f800000
	s_mov_b32 s1, 0xcf800000
	s_mov_b64 s[20:21], -1
	s_waitcnt vmcnt(0)
	v_lshlrev_b32_e32 v2, 16, v2
	v_trunc_f32_e32 v2, v2
	v_mul_f32_e64 v3, |v2|, s0
	v_floor_f32_e32 v3, v3
	v_fma_f32 v7, v3, s1, |v2|
	v_cvt_u32_f32_e32 v7, v7
	v_cvt_u32_f32_e32 v3, v3
	v_ashrrev_i32_e32 v9, 31, v2
	s_mov_b64 s[0:1], 0
	v_xor_b32_e32 v2, v7, v9
	v_xor_b32_e32 v3, v3, v9
	v_sub_co_u32_e32 v2, vcc, v2, v9
	v_subb_co_u32_e32 v3, vcc, v3, v9, vcc
	s_branch .LBB214_1703
.LBB214_1701:
	s_mov_b64 s[22:23], -1
                                        ; implicit-def: $vgpr2_vgpr3
	s_branch .LBB214_1704
.LBB214_1702:
	s_mov_b64 s[0:1], -1
                                        ; implicit-def: $vgpr2_vgpr3
.LBB214_1703:
	s_mov_b64 s[22:23], 0
.LBB214_1704:
	s_and_b64 vcc, exec, s[22:23]
	s_cbranch_vccz .LBB214_1706
; %bb.1705:
	s_cmp_lg_u32 s15, 11
	s_mov_b64 s[16:17], -1
	s_cselect_b64 s[0:1], -1, 0
.LBB214_1706:
	s_and_b64 vcc, exec, s[0:1]
	s_cbranch_vccnz .LBB214_1769
; %bb.1707:
	s_andn2_b64 vcc, exec, s[16:17]
	s_cbranch_vccnz .LBB214_1709
.LBB214_1708:
	global_load_ubyte v2, v[4:5], off
	s_mov_b32 s0, 0
	s_waitcnt vmcnt(1)
	v_mov_b32_e32 v3, s0
	s_mov_b64 s[20:21], -1
	s_waitcnt vmcnt(0)
	v_cmp_ne_u16_e32 vcc, 0, v2
	v_cndmask_b32_e64 v2, 0, 1, vcc
.LBB214_1709:
	s_branch .LBB214_1640
.LBB214_1710:
	s_and_b32 s15, 0xffff, s25
	s_cmp_lt_i32 s15, 5
	s_cbranch_scc1 .LBB214_1715
; %bb.1711:
	s_cmp_lt_i32 s15, 8
	s_cbranch_scc1 .LBB214_1716
; %bb.1712:
	;; [unrolled: 3-line block ×3, first 2 shown]
	s_cmp_gt_i32 s15, 9
	s_cbranch_scc0 .LBB214_1718
; %bb.1714:
	global_load_dwordx2 v[2:3], v[4:5], off
	s_movk_i32 s0, 0xffe0
	s_waitcnt vmcnt(0)
	v_trunc_f64_e32 v[2:3], v[2:3]
	v_ldexp_f64 v[9:10], v[2:3], s0
	s_mov_b32 s0, 0
	s_mov_b32 s1, 0xc1f00000
	v_floor_f64_e32 v[9:10], v[9:10]
	v_fma_f64 v[11:12], v[9:10], s[0:1], v[2:3]
	v_cvt_i32_f64_e32 v3, v[9:10]
	s_mov_b64 s[0:1], 0
	v_cvt_u32_f64_e32 v2, v[11:12]
	s_branch .LBB214_1719
.LBB214_1715:
                                        ; implicit-def: $vgpr2_vgpr3
	s_branch .LBB214_1737
.LBB214_1716:
	s_mov_b64 s[0:1], -1
                                        ; implicit-def: $vgpr2_vgpr3
	s_branch .LBB214_1725
.LBB214_1717:
	s_mov_b64 s[0:1], -1
                                        ; implicit-def: $vgpr2_vgpr3
	s_branch .LBB214_1722
.LBB214_1718:
	s_mov_b64 s[0:1], -1
                                        ; implicit-def: $vgpr2_vgpr3
.LBB214_1719:
	s_andn2_b64 vcc, exec, s[0:1]
	s_cbranch_vccnz .LBB214_1721
; %bb.1720:
	global_load_dword v2, v[4:5], off
	s_mov_b32 s0, 0x2f800000
	s_mov_b32 s1, 0xcf800000
	s_waitcnt vmcnt(0)
	v_trunc_f32_e32 v2, v2
	v_mul_f32_e64 v3, |v2|, s0
	v_floor_f32_e32 v3, v3
	v_cvt_u32_f32_e32 v7, v3
	v_fma_f32 v3, v3, s1, |v2|
	v_cvt_u32_f32_e32 v3, v3
	v_ashrrev_i32_e32 v9, 31, v2
	v_xor_b32_e32 v7, v7, v9
	v_xor_b32_e32 v2, v3, v9
	v_sub_co_u32_e32 v2, vcc, v2, v9
	v_subb_co_u32_e32 v3, vcc, v7, v9, vcc
.LBB214_1721:
	s_mov_b64 s[0:1], 0
.LBB214_1722:
	s_andn2_b64 vcc, exec, s[0:1]
	s_cbranch_vccnz .LBB214_1724
; %bb.1723:
	global_load_dword v2, v[4:5], off
	s_waitcnt vmcnt(0)
	v_cvt_f32_f16_e32 v2, v2
	v_cvt_i32_f32_e32 v2, v2
	v_ashrrev_i32_e32 v3, 31, v2
.LBB214_1724:
	s_mov_b64 s[0:1], 0
.LBB214_1725:
	s_andn2_b64 vcc, exec, s[0:1]
	s_cbranch_vccnz .LBB214_1736
; %bb.1726:
	s_cmp_lt_i32 s15, 6
	s_cbranch_scc1 .LBB214_1729
; %bb.1727:
	s_cmp_gt_i32 s15, 6
	s_cbranch_scc0 .LBB214_1730
; %bb.1728:
	global_load_dwordx2 v[2:3], v[4:5], off
	s_movk_i32 s0, 0xffe0
	s_waitcnt vmcnt(0)
	v_trunc_f64_e32 v[2:3], v[2:3]
	v_ldexp_f64 v[9:10], v[2:3], s0
	s_mov_b32 s0, 0
	s_mov_b32 s1, 0xc1f00000
	v_floor_f64_e32 v[9:10], v[9:10]
	v_fma_f64 v[11:12], v[9:10], s[0:1], v[2:3]
	v_cvt_i32_f64_e32 v3, v[9:10]
	s_mov_b64 s[0:1], 0
	v_cvt_u32_f64_e32 v2, v[11:12]
	s_branch .LBB214_1731
.LBB214_1729:
	s_mov_b64 s[0:1], -1
                                        ; implicit-def: $vgpr2_vgpr3
	s_branch .LBB214_1734
.LBB214_1730:
	s_mov_b64 s[0:1], -1
                                        ; implicit-def: $vgpr2_vgpr3
.LBB214_1731:
	s_andn2_b64 vcc, exec, s[0:1]
	s_cbranch_vccnz .LBB214_1733
; %bb.1732:
	global_load_dword v2, v[4:5], off
	s_mov_b32 s0, 0x2f800000
	s_mov_b32 s1, 0xcf800000
	s_waitcnt vmcnt(0)
	v_trunc_f32_e32 v2, v2
	v_mul_f32_e64 v3, |v2|, s0
	v_floor_f32_e32 v3, v3
	v_cvt_u32_f32_e32 v7, v3
	v_fma_f32 v3, v3, s1, |v2|
	v_cvt_u32_f32_e32 v3, v3
	v_ashrrev_i32_e32 v9, 31, v2
	v_xor_b32_e32 v7, v7, v9
	v_xor_b32_e32 v2, v3, v9
	v_sub_co_u32_e32 v2, vcc, v2, v9
	v_subb_co_u32_e32 v3, vcc, v7, v9, vcc
.LBB214_1733:
	s_mov_b64 s[0:1], 0
.LBB214_1734:
	s_andn2_b64 vcc, exec, s[0:1]
	s_cbranch_vccnz .LBB214_1736
; %bb.1735:
	global_load_ushort v2, v[4:5], off
	s_waitcnt vmcnt(0)
	v_cvt_f32_f16_e32 v2, v2
	v_cvt_i32_f32_e32 v2, v2
	v_ashrrev_i32_e32 v3, 31, v2
.LBB214_1736:
	s_cbranch_execnz .LBB214_1756
.LBB214_1737:
	s_cmp_lt_i32 s15, 2
	s_cbranch_scc1 .LBB214_1741
; %bb.1738:
	s_cmp_lt_i32 s15, 3
	s_cbranch_scc1 .LBB214_1742
; %bb.1739:
	s_cmp_gt_i32 s15, 3
	s_cbranch_scc0 .LBB214_1743
; %bb.1740:
	global_load_dwordx2 v[2:3], v[4:5], off
	s_mov_b64 s[0:1], 0
	s_branch .LBB214_1744
.LBB214_1741:
	s_mov_b64 s[0:1], -1
                                        ; implicit-def: $vgpr2_vgpr3
	s_branch .LBB214_1750
.LBB214_1742:
	s_mov_b64 s[0:1], -1
                                        ; implicit-def: $vgpr2_vgpr3
	s_branch .LBB214_1747
.LBB214_1743:
	s_mov_b64 s[0:1], -1
                                        ; implicit-def: $vgpr2_vgpr3
.LBB214_1744:
	s_andn2_b64 vcc, exec, s[0:1]
	s_cbranch_vccnz .LBB214_1746
; %bb.1745:
	global_load_dword v2, v[4:5], off
	s_waitcnt vmcnt(0)
	v_ashrrev_i32_e32 v3, 31, v2
.LBB214_1746:
	s_mov_b64 s[0:1], 0
.LBB214_1747:
	s_andn2_b64 vcc, exec, s[0:1]
	s_cbranch_vccnz .LBB214_1749
; %bb.1748:
	global_load_ushort v2, v[4:5], off
	s_waitcnt vmcnt(0)
	v_bfe_i32 v2, v2, 0, 16
	v_ashrrev_i32_e32 v3, 31, v2
.LBB214_1749:
	s_mov_b64 s[0:1], 0
.LBB214_1750:
	s_andn2_b64 vcc, exec, s[0:1]
	s_cbranch_vccnz .LBB214_1756
; %bb.1751:
	s_cmp_gt_i32 s15, 0
	s_cbranch_scc0 .LBB214_1753
; %bb.1752:
	global_load_sbyte v2, v[4:5], off
	s_mov_b64 s[0:1], 0
	s_waitcnt vmcnt(0)
	v_bfe_i32 v2, v2, 0, 16
	v_ashrrev_i32_e32 v3, 31, v2
	s_branch .LBB214_1754
.LBB214_1753:
	s_mov_b64 s[0:1], -1
                                        ; implicit-def: $vgpr2_vgpr3
.LBB214_1754:
	s_andn2_b64 vcc, exec, s[0:1]
	s_cbranch_vccnz .LBB214_1756
; %bb.1755:
	global_load_ubyte v2, v[4:5], off
	s_mov_b32 s0, 0
	s_waitcnt vmcnt(1)
	v_mov_b32_e32 v3, s0
	s_waitcnt vmcnt(0)
	v_and_b32_e32 v2, 0xffff, v2
.LBB214_1756:
.LBB214_1757:
	s_lshl_b32 s13, s13, 7
	v_add_u32_e32 v10, s13, v6
	v_ashrrev_i32_e32 v4, 31, v10
	v_mov_b32_e32 v5, s11
	v_add_co_u32_e32 v6, vcc, s10, v10
	s_cmp_lt_i32 s24, 11
	v_addc_co_u32_e32 v7, vcc, v5, v4, vcc
	s_cbranch_scc1 .LBB214_1764
; %bb.1758:
	s_and_b32 s15, 0xffff, s24
	s_cmp_gt_i32 s15, 25
	s_mov_b64 s[16:17], 0
	s_cbranch_scc0 .LBB214_1766
; %bb.1759:
	s_cmp_gt_i32 s15, 28
	s_cbranch_scc0 .LBB214_1767
; %bb.1760:
	s_cmp_gt_i32 s15, 43
	;; [unrolled: 3-line block ×3, first 2 shown]
	s_cbranch_scc0 .LBB214_1770
; %bb.1762:
	s_cmp_eq_u32 s15, 46
	s_mov_b64 s[22:23], 0
	s_cbranch_scc0 .LBB214_1771
; %bb.1763:
	global_load_dword v4, v[6:7], off
	s_mov_b32 s0, 0x2f800000
	s_mov_b32 s1, 0xcf800000
	s_mov_b64 s[20:21], -1
	s_waitcnt vmcnt(0)
	v_lshlrev_b32_e32 v4, 16, v4
	v_trunc_f32_e32 v4, v4
	v_mul_f32_e64 v5, |v4|, s0
	v_floor_f32_e32 v5, v5
	v_fma_f32 v9, v5, s1, |v4|
	v_cvt_u32_f32_e32 v9, v9
	v_cvt_u32_f32_e32 v5, v5
	v_ashrrev_i32_e32 v11, 31, v4
	s_mov_b64 s[0:1], 0
	v_xor_b32_e32 v4, v9, v11
	v_xor_b32_e32 v5, v5, v11
	v_sub_co_u32_e32 v4, vcc, v4, v11
	v_subb_co_u32_e32 v5, vcc, v5, v11, vcc
	s_branch .LBB214_1772
.LBB214_1764:
	s_mov_b64 s[20:21], 0
                                        ; implicit-def: $vgpr4_vgpr5
	s_cbranch_execnz .LBB214_1834
.LBB214_1765:
	s_andn2_b64 vcc, exec, s[20:21]
	s_cbranch_vccnz .LBB214_2947
	s_branch .LBB214_1882
.LBB214_1766:
	s_mov_b64 s[22:23], -1
	s_mov_b64 s[20:21], 0
	s_mov_b64 s[0:1], 0
                                        ; implicit-def: $vgpr4_vgpr5
	s_branch .LBB214_1801
.LBB214_1767:
	s_mov_b64 s[22:23], -1
	s_mov_b64 s[20:21], 0
	s_mov_b64 s[0:1], 0
                                        ; implicit-def: $vgpr4_vgpr5
	s_branch .LBB214_1782
.LBB214_1768:
	s_mov_b64 s[22:23], -1
	s_mov_b64 s[20:21], 0
	s_mov_b64 s[0:1], 0
                                        ; implicit-def: $vgpr4_vgpr5
	s_branch .LBB214_1777
.LBB214_1769:
	s_trap 2
	s_or_b64 s[18:19], s[18:19], exec
	s_cbranch_execz .LBB214_1708
	s_branch .LBB214_1709
.LBB214_1770:
	s_mov_b64 s[22:23], -1
	s_mov_b64 s[20:21], 0
	s_mov_b64 s[0:1], 0
                                        ; implicit-def: $vgpr4_vgpr5
	s_branch .LBB214_1772
.LBB214_1771:
	s_mov_b64 s[0:1], -1
                                        ; implicit-def: $vgpr4_vgpr5
	s_mov_b64 s[20:21], 0
.LBB214_1772:
	s_and_b64 vcc, exec, s[22:23]
	s_cbranch_vccz .LBB214_1776
; %bb.1773:
	s_cmp_eq_u32 s15, 44
	s_cbranch_scc0 .LBB214_1775
; %bb.1774:
	global_load_ubyte v4, v[6:7], off
	s_mov_b32 s0, 0x2f800000
	s_mov_b32 s1, 0xcf800000
	s_mov_b64 s[20:21], -1
	s_waitcnt vmcnt(0)
	v_lshlrev_b32_e32 v5, 23, v4
	v_trunc_f32_e32 v5, v5
	v_mul_f32_e64 v9, |v5|, s0
	v_floor_f32_e32 v9, v9
	v_fma_f32 v11, v9, s1, |v5|
	v_cvt_u32_f32_e32 v11, v11
	v_cvt_u32_f32_e32 v9, v9
	v_ashrrev_i32_e32 v5, 31, v5
	s_mov_b64 s[0:1], 0
	v_xor_b32_e32 v11, v11, v5
	v_xor_b32_e32 v9, v9, v5
	v_sub_co_u32_e32 v11, vcc, v11, v5
	v_subb_co_u32_e32 v5, vcc, v9, v5, vcc
	v_cmp_ne_u32_e32 vcc, 0, v4
	v_cndmask_b32_e32 v5, 0, v5, vcc
	v_cndmask_b32_e32 v4, 0, v11, vcc
	s_branch .LBB214_1776
.LBB214_1775:
	s_mov_b64 s[0:1], -1
                                        ; implicit-def: $vgpr4_vgpr5
.LBB214_1776:
	s_mov_b64 s[22:23], 0
.LBB214_1777:
	s_and_b64 vcc, exec, s[22:23]
	s_cbranch_vccz .LBB214_1781
; %bb.1778:
	s_cmp_eq_u32 s15, 29
	s_cbranch_scc0 .LBB214_1780
; %bb.1779:
	global_load_dwordx2 v[4:5], v[6:7], off
	s_mov_b64 s[0:1], 0
	s_mov_b64 s[20:21], -1
	s_branch .LBB214_1781
.LBB214_1780:
	s_mov_b64 s[0:1], -1
                                        ; implicit-def: $vgpr4_vgpr5
.LBB214_1781:
	s_mov_b64 s[22:23], 0
.LBB214_1782:
	s_and_b64 vcc, exec, s[22:23]
	s_cbranch_vccz .LBB214_1800
; %bb.1783:
	s_cmp_lt_i32 s15, 27
	s_cbranch_scc1 .LBB214_1786
; %bb.1784:
	s_cmp_gt_i32 s15, 27
	s_cbranch_scc0 .LBB214_1787
; %bb.1785:
	global_load_dword v4, v[6:7], off
	s_waitcnt vmcnt(1)
	v_mov_b32_e32 v5, 0
	s_mov_b64 s[20:21], 0
	s_branch .LBB214_1788
.LBB214_1786:
	s_mov_b64 s[20:21], -1
                                        ; implicit-def: $vgpr4_vgpr5
	s_branch .LBB214_1791
.LBB214_1787:
	s_mov_b64 s[20:21], -1
                                        ; implicit-def: $vgpr4_vgpr5
.LBB214_1788:
	s_andn2_b64 vcc, exec, s[20:21]
	s_cbranch_vccnz .LBB214_1790
; %bb.1789:
	global_load_ushort v4, v[6:7], off
	s_mov_b32 s20, 0
	s_waitcnt vmcnt(1)
	v_mov_b32_e32 v5, s20
	s_waitcnt vmcnt(0)
	v_and_b32_e32 v4, 0xffff, v4
.LBB214_1790:
	s_mov_b64 s[20:21], 0
.LBB214_1791:
	s_andn2_b64 vcc, exec, s[20:21]
	s_cbranch_vccnz .LBB214_1799
; %bb.1792:
	global_load_ubyte v9, v[6:7], off
	s_movk_i32 s20, 0x7f
	s_mov_b64 s[22:23], 0
	s_waitcnt vmcnt(0)
	v_cmp_lt_i16_e32 vcc, s20, v9
	s_and_saveexec_b64 s[20:21], vcc
	s_xor_b64 s[20:21], exec, s[20:21]
; %bb.1793:
	s_movk_i32 s22, 0x80
	v_cmp_ne_u16_e32 vcc, s22, v9
	s_and_b64 s[22:23], vcc, exec
; %bb.1794:
	s_andn2_saveexec_b64 s[20:21], s[20:21]
; %bb.1795:
	v_cmp_ne_u16_e32 vcc, 0, v9
	s_andn2_b64 s[22:23], s[22:23], exec
	s_and_b64 s[26:27], vcc, exec
	s_or_b64 s[22:23], s[22:23], s[26:27]
; %bb.1796:
	s_or_b64 exec, exec, s[20:21]
	v_mov_b32_e32 v4, 0
	v_mov_b32_e32 v5, 0
	s_and_saveexec_b64 s[20:21], s[22:23]
	s_cbranch_execz .LBB214_1798
; %bb.1797:
	v_and_b32_e32 v5, 0xffff, v9
	v_lshlrev_b32_e32 v4, 24, v9
	v_and_b32_e32 v9, 7, v5
	v_ffbh_u32_e32 v12, v9
	v_min_u32_e32 v12, 32, v12
	v_subrev_u32_e32 v13, 28, v12
	v_bfe_u32 v11, v5, 3, 4
	v_lshlrev_b32_e32 v5, v13, v5
	v_sub_u32_e32 v12, 29, v12
	v_and_b32_e32 v5, 7, v5
	v_cmp_eq_u32_e32 vcc, 0, v11
	v_cndmask_b32_e32 v11, v11, v12, vcc
	v_cndmask_b32_e32 v5, v9, v5, vcc
	v_mov_b32_e32 v9, 0x3b800000
	v_lshlrev_b32_e32 v5, 20, v5
	v_and_b32_e32 v4, 0x80000000, v4
	v_lshl_add_u32 v9, v11, 23, v9
	v_or3_b32 v4, v4, v9, v5
	v_trunc_f32_e32 v4, v4
	s_mov_b32 s22, 0x2f800000
	v_mul_f32_e64 v5, |v4|, s22
	v_floor_f32_e32 v5, v5
	s_mov_b32 s22, 0xcf800000
	v_fma_f32 v9, v5, s22, |v4|
	v_cvt_u32_f32_e32 v9, v9
	v_cvt_u32_f32_e32 v5, v5
	v_ashrrev_i32_e32 v11, 31, v4
	v_xor_b32_e32 v4, v9, v11
	v_xor_b32_e32 v5, v5, v11
	v_sub_co_u32_e32 v4, vcc, v4, v11
	v_subb_co_u32_e32 v5, vcc, v5, v11, vcc
.LBB214_1798:
	s_or_b64 exec, exec, s[20:21]
.LBB214_1799:
	s_mov_b64 s[20:21], -1
.LBB214_1800:
	s_mov_b64 s[22:23], 0
.LBB214_1801:
	s_and_b64 vcc, exec, s[22:23]
	s_cbranch_vccz .LBB214_1830
; %bb.1802:
	s_cmp_gt_i32 s15, 22
	s_cbranch_scc0 .LBB214_1812
; %bb.1803:
	s_cmp_lt_i32 s15, 24
	s_cbranch_scc1 .LBB214_1813
; %bb.1804:
	s_cmp_gt_i32 s15, 24
	s_cbranch_scc0 .LBB214_1814
; %bb.1805:
	global_load_ubyte v9, v[6:7], off
	s_movk_i32 s16, 0x7f
	s_mov_b64 s[20:21], 0
	s_waitcnt vmcnt(0)
	v_cmp_lt_i16_e32 vcc, s16, v9
	s_and_saveexec_b64 s[16:17], vcc
	s_xor_b64 s[16:17], exec, s[16:17]
; %bb.1806:
	s_movk_i32 s20, 0x80
	v_cmp_ne_u16_e32 vcc, s20, v9
	s_and_b64 s[20:21], vcc, exec
; %bb.1807:
	s_andn2_saveexec_b64 s[16:17], s[16:17]
; %bb.1808:
	v_cmp_ne_u16_e32 vcc, 0, v9
	s_andn2_b64 s[20:21], s[20:21], exec
	s_and_b64 s[22:23], vcc, exec
	s_or_b64 s[20:21], s[20:21], s[22:23]
; %bb.1809:
	s_or_b64 exec, exec, s[16:17]
	v_mov_b32_e32 v4, 0
	v_mov_b32_e32 v5, 0
	s_and_saveexec_b64 s[16:17], s[20:21]
	s_cbranch_execz .LBB214_1811
; %bb.1810:
	v_and_b32_e32 v5, 0xffff, v9
	v_lshlrev_b32_e32 v4, 24, v9
	v_and_b32_e32 v9, 3, v5
	v_ffbh_u32_e32 v12, v9
	v_min_u32_e32 v12, 32, v12
	v_subrev_u32_e32 v13, 29, v12
	v_bfe_u32 v11, v5, 2, 5
	v_lshlrev_b32_e32 v5, v13, v5
	v_sub_u32_e32 v12, 30, v12
	v_and_b32_e32 v5, 3, v5
	v_cmp_eq_u32_e32 vcc, 0, v11
	v_cndmask_b32_e32 v11, v11, v12, vcc
	v_cndmask_b32_e32 v5, v9, v5, vcc
	v_mov_b32_e32 v9, 0x37800000
	v_lshlrev_b32_e32 v5, 21, v5
	v_and_b32_e32 v4, 0x80000000, v4
	v_lshl_add_u32 v9, v11, 23, v9
	v_or3_b32 v4, v4, v9, v5
	v_trunc_f32_e32 v4, v4
	s_mov_b32 s20, 0x2f800000
	v_mul_f32_e64 v5, |v4|, s20
	v_floor_f32_e32 v5, v5
	s_mov_b32 s20, 0xcf800000
	v_fma_f32 v9, v5, s20, |v4|
	v_cvt_u32_f32_e32 v9, v9
	v_cvt_u32_f32_e32 v5, v5
	v_ashrrev_i32_e32 v11, 31, v4
	v_xor_b32_e32 v4, v9, v11
	v_xor_b32_e32 v5, v5, v11
	v_sub_co_u32_e32 v4, vcc, v4, v11
	v_subb_co_u32_e32 v5, vcc, v5, v11, vcc
.LBB214_1811:
	s_or_b64 exec, exec, s[16:17]
	s_mov_b64 s[16:17], 0
	s_branch .LBB214_1815
.LBB214_1812:
	s_mov_b64 s[16:17], -1
                                        ; implicit-def: $vgpr4_vgpr5
	s_branch .LBB214_1821
.LBB214_1813:
	s_mov_b64 s[16:17], -1
                                        ; implicit-def: $vgpr4_vgpr5
	s_branch .LBB214_1818
.LBB214_1814:
	s_mov_b64 s[16:17], -1
                                        ; implicit-def: $vgpr4_vgpr5
.LBB214_1815:
	s_and_b64 vcc, exec, s[16:17]
	s_cbranch_vccz .LBB214_1817
; %bb.1816:
	global_load_ubyte v4, v[6:7], off
	s_mov_b32 s16, 0x7f800000
	s_brev_b32 s17, 1
	s_mov_b32 s20, 0x2f800000
	s_mov_b32 s21, 0xcf800000
	s_waitcnt vmcnt(0)
	v_lshlrev_b32_e32 v4, 24, v4
	v_and_b32_e32 v5, 0x7f000000, v4
	v_ffbh_u32_e32 v9, v5
	v_min_u32_e32 v9, 32, v9
	v_sub_u32_e64 v9, v9, 4 clamp
	v_lshlrev_b32_e32 v12, v9, v5
	v_lshlrev_b32_e32 v9, 23, v9
	v_lshrrev_b32_e32 v12, 4, v12
	v_add_u32_e32 v11, 0x1000000, v5
	v_sub_u32_e32 v9, v12, v9
	v_ashrrev_i32_e32 v11, 8, v11
	v_add_u32_e32 v9, 0x3c000000, v9
	v_and_or_b32 v9, v11, s16, v9
	v_cmp_ne_u32_e32 vcc, 0, v5
	v_cndmask_b32_e32 v5, 0, v9, vcc
	v_and_or_b32 v4, v4, s17, v5
	v_trunc_f32_e32 v4, v4
	v_mul_f32_e64 v5, |v4|, s20
	v_floor_f32_e32 v5, v5
	v_fma_f32 v9, v5, s21, |v4|
	v_cvt_u32_f32_e32 v9, v9
	v_cvt_u32_f32_e32 v5, v5
	v_ashrrev_i32_e32 v11, 31, v4
	v_xor_b32_e32 v4, v9, v11
	v_xor_b32_e32 v5, v5, v11
	v_sub_co_u32_e32 v4, vcc, v4, v11
	v_subb_co_u32_e32 v5, vcc, v5, v11, vcc
.LBB214_1817:
	s_mov_b64 s[16:17], 0
.LBB214_1818:
	s_andn2_b64 vcc, exec, s[16:17]
	s_cbranch_vccnz .LBB214_1820
; %bb.1819:
	global_load_ubyte v4, v[6:7], off
	s_movk_i32 s16, 0x7f00
	s_brev_b32 s17, 16
	s_brev_b32 s20, 1
	s_mov_b32 s21, 0x2f800000
	s_mov_b32 s22, 0xcf800000
	s_waitcnt vmcnt(0)
	v_lshlrev_b16_e32 v5, 8, v4
	v_lshlrev_b32_e32 v4, 25, v4
	v_lshrrev_b32_e32 v9, 4, v4
	v_and_or_b32 v11, v5, s16, 0.5
	v_or_b32_e32 v9, 0x70000000, v9
	v_add_f32_e32 v11, -0.5, v11
	v_mul_f32_e32 v9, 0x7800000, v9
	v_cmp_gt_u32_e32 vcc, s17, v4
	v_bfe_i32 v5, v5, 0, 16
	v_cndmask_b32_e32 v4, v9, v11, vcc
	v_and_or_b32 v4, v5, s20, v4
	v_trunc_f32_e32 v4, v4
	v_mul_f32_e64 v5, |v4|, s21
	v_floor_f32_e32 v5, v5
	v_fma_f32 v9, v5, s22, |v4|
	v_cvt_u32_f32_e32 v9, v9
	v_cvt_u32_f32_e32 v5, v5
	v_ashrrev_i32_e32 v11, 31, v4
	v_xor_b32_e32 v4, v9, v11
	v_xor_b32_e32 v5, v5, v11
	v_sub_co_u32_e32 v4, vcc, v4, v11
	v_subb_co_u32_e32 v5, vcc, v5, v11, vcc
.LBB214_1820:
	s_mov_b64 s[16:17], 0
	s_mov_b64 s[20:21], -1
.LBB214_1821:
	s_andn2_b64 vcc, exec, s[16:17]
	s_mov_b64 s[16:17], 0
	s_cbranch_vccnz .LBB214_1830
; %bb.1822:
	s_cmp_gt_i32 s15, 14
	s_cbranch_scc0 .LBB214_1825
; %bb.1823:
	s_cmp_eq_u32 s15, 15
	s_cbranch_scc0 .LBB214_1826
; %bb.1824:
	global_load_ushort v4, v[6:7], off
	s_mov_b32 s0, 0x2f800000
	s_mov_b32 s1, 0xcf800000
	s_mov_b64 s[20:21], -1
	s_waitcnt vmcnt(0)
	v_lshlrev_b32_e32 v4, 16, v4
	v_trunc_f32_e32 v4, v4
	v_mul_f32_e64 v5, |v4|, s0
	v_floor_f32_e32 v5, v5
	v_fma_f32 v9, v5, s1, |v4|
	v_cvt_u32_f32_e32 v9, v9
	v_cvt_u32_f32_e32 v5, v5
	v_ashrrev_i32_e32 v11, 31, v4
	s_mov_b64 s[0:1], 0
	v_xor_b32_e32 v4, v9, v11
	v_xor_b32_e32 v5, v5, v11
	v_sub_co_u32_e32 v4, vcc, v4, v11
	v_subb_co_u32_e32 v5, vcc, v5, v11, vcc
	s_branch .LBB214_1827
.LBB214_1825:
	s_mov_b64 s[22:23], -1
                                        ; implicit-def: $vgpr4_vgpr5
	s_branch .LBB214_1828
.LBB214_1826:
	s_mov_b64 s[0:1], -1
                                        ; implicit-def: $vgpr4_vgpr5
.LBB214_1827:
	s_mov_b64 s[22:23], 0
.LBB214_1828:
	s_and_b64 vcc, exec, s[22:23]
	s_cbranch_vccz .LBB214_1830
; %bb.1829:
	s_cmp_lg_u32 s15, 11
	s_mov_b64 s[16:17], -1
	s_cselect_b64 s[0:1], -1, 0
.LBB214_1830:
	s_and_b64 vcc, exec, s[0:1]
	s_cbranch_vccnz .LBB214_1893
; %bb.1831:
	s_andn2_b64 vcc, exec, s[16:17]
	s_cbranch_vccnz .LBB214_1833
.LBB214_1832:
	global_load_ubyte v4, v[6:7], off
	s_mov_b32 s0, 0
	s_waitcnt vmcnt(1)
	v_mov_b32_e32 v5, s0
	s_mov_b64 s[20:21], -1
	s_waitcnt vmcnt(0)
	v_cmp_ne_u16_e32 vcc, 0, v4
	v_cndmask_b32_e64 v4, 0, 1, vcc
.LBB214_1833:
	s_branch .LBB214_1765
.LBB214_1834:
	s_and_b32 s15, 0xffff, s24
	s_cmp_lt_i32 s15, 5
	s_cbranch_scc1 .LBB214_1839
; %bb.1835:
	s_cmp_lt_i32 s15, 8
	s_cbranch_scc1 .LBB214_1840
; %bb.1836:
	;; [unrolled: 3-line block ×3, first 2 shown]
	s_cmp_gt_i32 s15, 9
	s_cbranch_scc0 .LBB214_1842
; %bb.1838:
	global_load_dwordx2 v[4:5], v[6:7], off
	s_movk_i32 s0, 0xffe0
	s_waitcnt vmcnt(0)
	v_trunc_f64_e32 v[4:5], v[4:5]
	v_ldexp_f64 v[11:12], v[4:5], s0
	s_mov_b32 s0, 0
	s_mov_b32 s1, 0xc1f00000
	v_floor_f64_e32 v[11:12], v[11:12]
	v_fma_f64 v[13:14], v[11:12], s[0:1], v[4:5]
	v_cvt_i32_f64_e32 v5, v[11:12]
	s_mov_b64 s[0:1], 0
	v_cvt_u32_f64_e32 v4, v[13:14]
	s_branch .LBB214_1843
.LBB214_1839:
	s_mov_b64 s[0:1], -1
                                        ; implicit-def: $vgpr4_vgpr5
	s_branch .LBB214_1861
.LBB214_1840:
	s_mov_b64 s[0:1], -1
                                        ; implicit-def: $vgpr4_vgpr5
	s_branch .LBB214_1849
.LBB214_1841:
	s_mov_b64 s[0:1], -1
                                        ; implicit-def: $vgpr4_vgpr5
	s_branch .LBB214_1846
.LBB214_1842:
	s_mov_b64 s[0:1], -1
                                        ; implicit-def: $vgpr4_vgpr5
.LBB214_1843:
	s_andn2_b64 vcc, exec, s[0:1]
	s_cbranch_vccnz .LBB214_1845
; %bb.1844:
	global_load_dword v4, v[6:7], off
	s_mov_b32 s0, 0x2f800000
	s_mov_b32 s1, 0xcf800000
	s_waitcnt vmcnt(0)
	v_trunc_f32_e32 v4, v4
	v_mul_f32_e64 v5, |v4|, s0
	v_floor_f32_e32 v5, v5
	v_cvt_u32_f32_e32 v9, v5
	v_fma_f32 v5, v5, s1, |v4|
	v_cvt_u32_f32_e32 v5, v5
	v_ashrrev_i32_e32 v11, 31, v4
	v_xor_b32_e32 v9, v9, v11
	v_xor_b32_e32 v4, v5, v11
	v_sub_co_u32_e32 v4, vcc, v4, v11
	v_subb_co_u32_e32 v5, vcc, v9, v11, vcc
.LBB214_1845:
	s_mov_b64 s[0:1], 0
.LBB214_1846:
	s_andn2_b64 vcc, exec, s[0:1]
	s_cbranch_vccnz .LBB214_1848
; %bb.1847:
	global_load_dword v4, v[6:7], off
	s_waitcnt vmcnt(0)
	v_cvt_f32_f16_e32 v4, v4
	v_cvt_i32_f32_e32 v4, v4
	v_ashrrev_i32_e32 v5, 31, v4
.LBB214_1848:
	s_mov_b64 s[0:1], 0
.LBB214_1849:
	s_andn2_b64 vcc, exec, s[0:1]
	s_cbranch_vccnz .LBB214_1860
; %bb.1850:
	s_cmp_lt_i32 s15, 6
	s_cbranch_scc1 .LBB214_1853
; %bb.1851:
	s_cmp_gt_i32 s15, 6
	s_cbranch_scc0 .LBB214_1854
; %bb.1852:
	global_load_dwordx2 v[4:5], v[6:7], off
	s_movk_i32 s0, 0xffe0
	s_waitcnt vmcnt(0)
	v_trunc_f64_e32 v[4:5], v[4:5]
	v_ldexp_f64 v[11:12], v[4:5], s0
	s_mov_b32 s0, 0
	s_mov_b32 s1, 0xc1f00000
	v_floor_f64_e32 v[11:12], v[11:12]
	v_fma_f64 v[13:14], v[11:12], s[0:1], v[4:5]
	v_cvt_i32_f64_e32 v5, v[11:12]
	s_mov_b64 s[0:1], 0
	v_cvt_u32_f64_e32 v4, v[13:14]
	s_branch .LBB214_1855
.LBB214_1853:
	s_mov_b64 s[0:1], -1
                                        ; implicit-def: $vgpr4_vgpr5
	s_branch .LBB214_1858
.LBB214_1854:
	s_mov_b64 s[0:1], -1
                                        ; implicit-def: $vgpr4_vgpr5
.LBB214_1855:
	s_andn2_b64 vcc, exec, s[0:1]
	s_cbranch_vccnz .LBB214_1857
; %bb.1856:
	global_load_dword v4, v[6:7], off
	s_mov_b32 s0, 0x2f800000
	s_mov_b32 s1, 0xcf800000
	s_waitcnt vmcnt(0)
	v_trunc_f32_e32 v4, v4
	v_mul_f32_e64 v5, |v4|, s0
	v_floor_f32_e32 v5, v5
	v_cvt_u32_f32_e32 v9, v5
	v_fma_f32 v5, v5, s1, |v4|
	v_cvt_u32_f32_e32 v5, v5
	v_ashrrev_i32_e32 v11, 31, v4
	v_xor_b32_e32 v9, v9, v11
	v_xor_b32_e32 v4, v5, v11
	v_sub_co_u32_e32 v4, vcc, v4, v11
	v_subb_co_u32_e32 v5, vcc, v9, v11, vcc
.LBB214_1857:
	s_mov_b64 s[0:1], 0
.LBB214_1858:
	s_andn2_b64 vcc, exec, s[0:1]
	s_cbranch_vccnz .LBB214_1860
; %bb.1859:
	global_load_ushort v4, v[6:7], off
	s_waitcnt vmcnt(0)
	v_cvt_f32_f16_e32 v4, v4
	v_cvt_i32_f32_e32 v4, v4
	v_ashrrev_i32_e32 v5, 31, v4
.LBB214_1860:
	s_mov_b64 s[0:1], 0
.LBB214_1861:
	s_andn2_b64 vcc, exec, s[0:1]
	s_cbranch_vccnz .LBB214_1881
; %bb.1862:
	s_cmp_lt_i32 s15, 2
	s_cbranch_scc1 .LBB214_1866
; %bb.1863:
	s_cmp_lt_i32 s15, 3
	s_cbranch_scc1 .LBB214_1867
; %bb.1864:
	s_cmp_gt_i32 s15, 3
	s_cbranch_scc0 .LBB214_1868
; %bb.1865:
	global_load_dwordx2 v[4:5], v[6:7], off
	s_mov_b64 s[0:1], 0
	s_branch .LBB214_1869
.LBB214_1866:
	s_mov_b64 s[0:1], -1
                                        ; implicit-def: $vgpr4_vgpr5
	s_branch .LBB214_1875
.LBB214_1867:
	s_mov_b64 s[0:1], -1
                                        ; implicit-def: $vgpr4_vgpr5
	s_branch .LBB214_1872
.LBB214_1868:
	s_mov_b64 s[0:1], -1
                                        ; implicit-def: $vgpr4_vgpr5
.LBB214_1869:
	s_andn2_b64 vcc, exec, s[0:1]
	s_cbranch_vccnz .LBB214_1871
; %bb.1870:
	global_load_dword v4, v[6:7], off
	s_waitcnt vmcnt(0)
	v_ashrrev_i32_e32 v5, 31, v4
.LBB214_1871:
	s_mov_b64 s[0:1], 0
.LBB214_1872:
	s_andn2_b64 vcc, exec, s[0:1]
	s_cbranch_vccnz .LBB214_1874
; %bb.1873:
	global_load_ushort v4, v[6:7], off
	s_waitcnt vmcnt(0)
	v_bfe_i32 v4, v4, 0, 16
	v_ashrrev_i32_e32 v5, 31, v4
.LBB214_1874:
	s_mov_b64 s[0:1], 0
.LBB214_1875:
	s_andn2_b64 vcc, exec, s[0:1]
	s_cbranch_vccnz .LBB214_1881
; %bb.1876:
	s_cmp_gt_i32 s15, 0
	s_cbranch_scc0 .LBB214_1878
; %bb.1877:
	global_load_sbyte v4, v[6:7], off
	s_mov_b64 s[0:1], 0
	s_waitcnt vmcnt(0)
	v_bfe_i32 v4, v4, 0, 16
	v_ashrrev_i32_e32 v5, 31, v4
	s_branch .LBB214_1879
.LBB214_1878:
	s_mov_b64 s[0:1], -1
                                        ; implicit-def: $vgpr4_vgpr5
.LBB214_1879:
	s_andn2_b64 vcc, exec, s[0:1]
	s_cbranch_vccnz .LBB214_1881
; %bb.1880:
	global_load_ubyte v4, v[6:7], off
	s_mov_b32 s0, 0
	s_waitcnt vmcnt(1)
	v_mov_b32_e32 v5, s0
	s_waitcnt vmcnt(0)
	v_and_b32_e32 v4, 0xffff, v4
.LBB214_1881:
.LBB214_1882:
	s_lshl_b32 s22, s14, 7
	v_add_u32_e32 v12, s22, v8
	v_ashrrev_i32_e32 v6, 31, v12
	v_mov_b32_e32 v7, s3
	v_add_co_u32_e32 v8, vcc, s2, v12
	s_cmp_lt_i32 s25, 11
	v_addc_co_u32_e32 v9, vcc, v7, v6, vcc
	s_cbranch_scc1 .LBB214_1889
; %bb.1883:
	s_and_b32 s23, 0xffff, s25
	s_cmp_gt_i32 s23, 25
	s_mov_b64 s[14:15], 0
	s_cbranch_scc0 .LBB214_1890
; %bb.1884:
	s_cmp_gt_i32 s23, 28
	s_cbranch_scc0 .LBB214_1891
; %bb.1885:
	s_cmp_gt_i32 s23, 43
	;; [unrolled: 3-line block ×3, first 2 shown]
	s_cbranch_scc0 .LBB214_1894
; %bb.1887:
	s_cmp_eq_u32 s23, 46
	s_mov_b64 s[20:21], 0
	s_cbranch_scc0 .LBB214_1895
; %bb.1888:
	global_load_dword v6, v[8:9], off
	s_mov_b32 s0, 0x2f800000
	s_mov_b32 s1, 0xcf800000
	s_mov_b64 s[16:17], -1
	s_waitcnt vmcnt(0)
	v_lshlrev_b32_e32 v6, 16, v6
	v_trunc_f32_e32 v6, v6
	v_mul_f32_e64 v7, |v6|, s0
	v_floor_f32_e32 v7, v7
	v_fma_f32 v11, v7, s1, |v6|
	v_cvt_u32_f32_e32 v11, v11
	v_cvt_u32_f32_e32 v7, v7
	v_ashrrev_i32_e32 v13, 31, v6
	s_mov_b64 s[0:1], 0
	v_xor_b32_e32 v6, v11, v13
	v_xor_b32_e32 v7, v7, v13
	v_sub_co_u32_e32 v6, vcc, v6, v13
	v_subb_co_u32_e32 v7, vcc, v7, v13, vcc
	s_branch .LBB214_1896
.LBB214_1889:
	s_mov_b64 s[0:1], -1
	s_mov_b64 s[16:17], 0
                                        ; implicit-def: $vgpr6_vgpr7
	s_branch .LBB214_1958
.LBB214_1890:
	s_mov_b64 s[20:21], -1
	s_mov_b64 s[16:17], 0
	s_mov_b64 s[0:1], 0
                                        ; implicit-def: $vgpr6_vgpr7
	s_branch .LBB214_1925
.LBB214_1891:
	s_mov_b64 s[20:21], -1
	s_mov_b64 s[16:17], 0
	s_mov_b64 s[0:1], 0
                                        ; implicit-def: $vgpr6_vgpr7
	s_branch .LBB214_1906
.LBB214_1892:
	s_mov_b64 s[20:21], -1
	s_mov_b64 s[16:17], 0
	s_mov_b64 s[0:1], 0
                                        ; implicit-def: $vgpr6_vgpr7
	s_branch .LBB214_1901
.LBB214_1893:
	s_trap 2
	s_or_b64 s[18:19], s[18:19], exec
	s_cbranch_execz .LBB214_1832
	s_branch .LBB214_1833
.LBB214_1894:
	s_mov_b64 s[20:21], -1
	s_mov_b64 s[16:17], 0
	s_mov_b64 s[0:1], 0
                                        ; implicit-def: $vgpr6_vgpr7
	s_branch .LBB214_1896
.LBB214_1895:
	s_mov_b64 s[0:1], -1
                                        ; implicit-def: $vgpr6_vgpr7
	s_mov_b64 s[16:17], 0
.LBB214_1896:
	s_and_b64 vcc, exec, s[20:21]
	s_cbranch_vccz .LBB214_1900
; %bb.1897:
	s_cmp_eq_u32 s23, 44
	s_cbranch_scc0 .LBB214_1899
; %bb.1898:
	global_load_ubyte v6, v[8:9], off
	s_mov_b32 s0, 0x2f800000
	s_mov_b32 s1, 0xcf800000
	s_mov_b64 s[16:17], -1
	s_waitcnt vmcnt(0)
	v_lshlrev_b32_e32 v7, 23, v6
	v_trunc_f32_e32 v7, v7
	v_mul_f32_e64 v11, |v7|, s0
	v_floor_f32_e32 v11, v11
	v_fma_f32 v13, v11, s1, |v7|
	v_cvt_u32_f32_e32 v13, v13
	v_cvt_u32_f32_e32 v11, v11
	v_ashrrev_i32_e32 v7, 31, v7
	s_mov_b64 s[0:1], 0
	v_xor_b32_e32 v13, v13, v7
	v_xor_b32_e32 v11, v11, v7
	v_sub_co_u32_e32 v13, vcc, v13, v7
	v_subb_co_u32_e32 v7, vcc, v11, v7, vcc
	v_cmp_ne_u32_e32 vcc, 0, v6
	v_cndmask_b32_e32 v7, 0, v7, vcc
	v_cndmask_b32_e32 v6, 0, v13, vcc
	s_branch .LBB214_1900
.LBB214_1899:
	s_mov_b64 s[0:1], -1
                                        ; implicit-def: $vgpr6_vgpr7
.LBB214_1900:
	s_mov_b64 s[20:21], 0
.LBB214_1901:
	s_and_b64 vcc, exec, s[20:21]
	s_cbranch_vccz .LBB214_1905
; %bb.1902:
	s_cmp_eq_u32 s23, 29
	s_cbranch_scc0 .LBB214_1904
; %bb.1903:
	global_load_dwordx2 v[6:7], v[8:9], off
	s_mov_b64 s[0:1], 0
	s_mov_b64 s[16:17], -1
	s_branch .LBB214_1905
.LBB214_1904:
	s_mov_b64 s[0:1], -1
                                        ; implicit-def: $vgpr6_vgpr7
.LBB214_1905:
	s_mov_b64 s[20:21], 0
.LBB214_1906:
	s_and_b64 vcc, exec, s[20:21]
	s_cbranch_vccz .LBB214_1924
; %bb.1907:
	s_cmp_lt_i32 s23, 27
	s_cbranch_scc1 .LBB214_1910
; %bb.1908:
	s_cmp_gt_i32 s23, 27
	s_cbranch_scc0 .LBB214_1911
; %bb.1909:
	global_load_dword v6, v[8:9], off
	s_waitcnt vmcnt(1)
	v_mov_b32_e32 v7, 0
	s_mov_b64 s[16:17], 0
	s_branch .LBB214_1912
.LBB214_1910:
	s_mov_b64 s[16:17], -1
                                        ; implicit-def: $vgpr6_vgpr7
	s_branch .LBB214_1915
.LBB214_1911:
	s_mov_b64 s[16:17], -1
                                        ; implicit-def: $vgpr6_vgpr7
.LBB214_1912:
	s_andn2_b64 vcc, exec, s[16:17]
	s_cbranch_vccnz .LBB214_1914
; %bb.1913:
	global_load_ushort v6, v[8:9], off
	s_mov_b32 s16, 0
	s_waitcnt vmcnt(1)
	v_mov_b32_e32 v7, s16
	s_waitcnt vmcnt(0)
	v_and_b32_e32 v6, 0xffff, v6
.LBB214_1914:
	s_mov_b64 s[16:17], 0
.LBB214_1915:
	s_andn2_b64 vcc, exec, s[16:17]
	s_cbranch_vccnz .LBB214_1923
; %bb.1916:
	global_load_ubyte v11, v[8:9], off
	s_movk_i32 s16, 0x7f
	s_mov_b64 s[20:21], 0
	s_waitcnt vmcnt(0)
	v_cmp_lt_i16_e32 vcc, s16, v11
	s_and_saveexec_b64 s[16:17], vcc
	s_xor_b64 s[16:17], exec, s[16:17]
; %bb.1917:
	s_movk_i32 s20, 0x80
	v_cmp_ne_u16_e32 vcc, s20, v11
	s_and_b64 s[20:21], vcc, exec
; %bb.1918:
	s_andn2_saveexec_b64 s[16:17], s[16:17]
; %bb.1919:
	v_cmp_ne_u16_e32 vcc, 0, v11
	s_andn2_b64 s[20:21], s[20:21], exec
	s_and_b64 s[26:27], vcc, exec
	s_or_b64 s[20:21], s[20:21], s[26:27]
; %bb.1920:
	s_or_b64 exec, exec, s[16:17]
	v_mov_b32_e32 v6, 0
	v_mov_b32_e32 v7, 0
	s_and_saveexec_b64 s[16:17], s[20:21]
	s_cbranch_execz .LBB214_1922
; %bb.1921:
	v_and_b32_e32 v7, 0xffff, v11
	v_lshlrev_b32_e32 v6, 24, v11
	v_and_b32_e32 v11, 7, v7
	v_ffbh_u32_e32 v14, v11
	v_min_u32_e32 v14, 32, v14
	v_subrev_u32_e32 v15, 28, v14
	v_bfe_u32 v13, v7, 3, 4
	v_lshlrev_b32_e32 v7, v15, v7
	v_sub_u32_e32 v14, 29, v14
	v_and_b32_e32 v7, 7, v7
	v_cmp_eq_u32_e32 vcc, 0, v13
	v_cndmask_b32_e32 v13, v13, v14, vcc
	v_cndmask_b32_e32 v7, v11, v7, vcc
	v_mov_b32_e32 v11, 0x3b800000
	v_lshlrev_b32_e32 v7, 20, v7
	v_and_b32_e32 v6, 0x80000000, v6
	v_lshl_add_u32 v11, v13, 23, v11
	v_or3_b32 v6, v6, v11, v7
	v_trunc_f32_e32 v6, v6
	s_mov_b32 s20, 0x2f800000
	v_mul_f32_e64 v7, |v6|, s20
	v_floor_f32_e32 v7, v7
	s_mov_b32 s20, 0xcf800000
	v_fma_f32 v11, v7, s20, |v6|
	v_cvt_u32_f32_e32 v11, v11
	v_cvt_u32_f32_e32 v7, v7
	v_ashrrev_i32_e32 v13, 31, v6
	v_xor_b32_e32 v6, v11, v13
	v_xor_b32_e32 v7, v7, v13
	v_sub_co_u32_e32 v6, vcc, v6, v13
	v_subb_co_u32_e32 v7, vcc, v7, v13, vcc
.LBB214_1922:
	s_or_b64 exec, exec, s[16:17]
.LBB214_1923:
	s_mov_b64 s[16:17], -1
.LBB214_1924:
	s_mov_b64 s[20:21], 0
.LBB214_1925:
	s_and_b64 vcc, exec, s[20:21]
	s_cbranch_vccz .LBB214_1954
; %bb.1926:
	s_cmp_gt_i32 s23, 22
	s_cbranch_scc0 .LBB214_1936
; %bb.1927:
	s_cmp_lt_i32 s23, 24
	s_cbranch_scc1 .LBB214_1937
; %bb.1928:
	s_cmp_gt_i32 s23, 24
	s_cbranch_scc0 .LBB214_1938
; %bb.1929:
	global_load_ubyte v11, v[8:9], off
	s_movk_i32 s14, 0x7f
	s_mov_b64 s[16:17], 0
	s_waitcnt vmcnt(0)
	v_cmp_lt_i16_e32 vcc, s14, v11
	s_and_saveexec_b64 s[14:15], vcc
	s_xor_b64 s[14:15], exec, s[14:15]
; %bb.1930:
	s_movk_i32 s16, 0x80
	v_cmp_ne_u16_e32 vcc, s16, v11
	s_and_b64 s[16:17], vcc, exec
; %bb.1931:
	s_andn2_saveexec_b64 s[14:15], s[14:15]
; %bb.1932:
	v_cmp_ne_u16_e32 vcc, 0, v11
	s_andn2_b64 s[16:17], s[16:17], exec
	s_and_b64 s[20:21], vcc, exec
	s_or_b64 s[16:17], s[16:17], s[20:21]
; %bb.1933:
	s_or_b64 exec, exec, s[14:15]
	v_mov_b32_e32 v6, 0
	v_mov_b32_e32 v7, 0
	s_and_saveexec_b64 s[14:15], s[16:17]
	s_cbranch_execz .LBB214_1935
; %bb.1934:
	v_and_b32_e32 v7, 0xffff, v11
	v_lshlrev_b32_e32 v6, 24, v11
	v_and_b32_e32 v11, 3, v7
	v_ffbh_u32_e32 v14, v11
	v_min_u32_e32 v14, 32, v14
	v_subrev_u32_e32 v15, 29, v14
	v_bfe_u32 v13, v7, 2, 5
	v_lshlrev_b32_e32 v7, v15, v7
	v_sub_u32_e32 v14, 30, v14
	v_and_b32_e32 v7, 3, v7
	v_cmp_eq_u32_e32 vcc, 0, v13
	v_cndmask_b32_e32 v13, v13, v14, vcc
	v_cndmask_b32_e32 v7, v11, v7, vcc
	v_mov_b32_e32 v11, 0x37800000
	v_lshlrev_b32_e32 v7, 21, v7
	v_and_b32_e32 v6, 0x80000000, v6
	v_lshl_add_u32 v11, v13, 23, v11
	v_or3_b32 v6, v6, v11, v7
	v_trunc_f32_e32 v6, v6
	s_mov_b32 s16, 0x2f800000
	v_mul_f32_e64 v7, |v6|, s16
	v_floor_f32_e32 v7, v7
	s_mov_b32 s16, 0xcf800000
	v_fma_f32 v11, v7, s16, |v6|
	v_cvt_u32_f32_e32 v11, v11
	v_cvt_u32_f32_e32 v7, v7
	v_ashrrev_i32_e32 v13, 31, v6
	v_xor_b32_e32 v6, v11, v13
	v_xor_b32_e32 v7, v7, v13
	v_sub_co_u32_e32 v6, vcc, v6, v13
	v_subb_co_u32_e32 v7, vcc, v7, v13, vcc
.LBB214_1935:
	s_or_b64 exec, exec, s[14:15]
	s_mov_b64 s[14:15], 0
	s_branch .LBB214_1939
.LBB214_1936:
	s_mov_b64 s[14:15], -1
                                        ; implicit-def: $vgpr6_vgpr7
	s_branch .LBB214_1945
.LBB214_1937:
	s_mov_b64 s[14:15], -1
                                        ; implicit-def: $vgpr6_vgpr7
	s_branch .LBB214_1942
.LBB214_1938:
	s_mov_b64 s[14:15], -1
                                        ; implicit-def: $vgpr6_vgpr7
.LBB214_1939:
	s_and_b64 vcc, exec, s[14:15]
	s_cbranch_vccz .LBB214_1941
; %bb.1940:
	global_load_ubyte v6, v[8:9], off
	s_mov_b32 s14, 0x7f800000
	s_brev_b32 s15, 1
	s_mov_b32 s16, 0x2f800000
	s_mov_b32 s17, 0xcf800000
	s_waitcnt vmcnt(0)
	v_lshlrev_b32_e32 v6, 24, v6
	v_and_b32_e32 v7, 0x7f000000, v6
	v_ffbh_u32_e32 v11, v7
	v_min_u32_e32 v11, 32, v11
	v_sub_u32_e64 v11, v11, 4 clamp
	v_lshlrev_b32_e32 v14, v11, v7
	v_lshlrev_b32_e32 v11, 23, v11
	v_lshrrev_b32_e32 v14, 4, v14
	v_add_u32_e32 v13, 0x1000000, v7
	v_sub_u32_e32 v11, v14, v11
	v_ashrrev_i32_e32 v13, 8, v13
	v_add_u32_e32 v11, 0x3c000000, v11
	v_and_or_b32 v11, v13, s14, v11
	v_cmp_ne_u32_e32 vcc, 0, v7
	v_cndmask_b32_e32 v7, 0, v11, vcc
	v_and_or_b32 v6, v6, s15, v7
	v_trunc_f32_e32 v6, v6
	v_mul_f32_e64 v7, |v6|, s16
	v_floor_f32_e32 v7, v7
	v_fma_f32 v11, v7, s17, |v6|
	v_cvt_u32_f32_e32 v11, v11
	v_cvt_u32_f32_e32 v7, v7
	v_ashrrev_i32_e32 v13, 31, v6
	v_xor_b32_e32 v6, v11, v13
	v_xor_b32_e32 v7, v7, v13
	v_sub_co_u32_e32 v6, vcc, v6, v13
	v_subb_co_u32_e32 v7, vcc, v7, v13, vcc
.LBB214_1941:
	s_mov_b64 s[14:15], 0
.LBB214_1942:
	s_andn2_b64 vcc, exec, s[14:15]
	s_cbranch_vccnz .LBB214_1944
; %bb.1943:
	global_load_ubyte v6, v[8:9], off
	s_movk_i32 s14, 0x7f00
	s_brev_b32 s15, 16
	s_brev_b32 s16, 1
	s_mov_b32 s17, 0x2f800000
	s_mov_b32 s20, 0xcf800000
	s_waitcnt vmcnt(0)
	v_lshlrev_b16_e32 v7, 8, v6
	v_lshlrev_b32_e32 v6, 25, v6
	v_lshrrev_b32_e32 v11, 4, v6
	v_and_or_b32 v13, v7, s14, 0.5
	v_or_b32_e32 v11, 0x70000000, v11
	v_add_f32_e32 v13, -0.5, v13
	v_mul_f32_e32 v11, 0x7800000, v11
	v_cmp_gt_u32_e32 vcc, s15, v6
	v_bfe_i32 v7, v7, 0, 16
	v_cndmask_b32_e32 v6, v11, v13, vcc
	v_and_or_b32 v6, v7, s16, v6
	v_trunc_f32_e32 v6, v6
	v_mul_f32_e64 v7, |v6|, s17
	v_floor_f32_e32 v7, v7
	v_fma_f32 v11, v7, s20, |v6|
	v_cvt_u32_f32_e32 v11, v11
	v_cvt_u32_f32_e32 v7, v7
	v_ashrrev_i32_e32 v13, 31, v6
	v_xor_b32_e32 v6, v11, v13
	v_xor_b32_e32 v7, v7, v13
	v_sub_co_u32_e32 v6, vcc, v6, v13
	v_subb_co_u32_e32 v7, vcc, v7, v13, vcc
.LBB214_1944:
	s_mov_b64 s[14:15], 0
	s_mov_b64 s[16:17], -1
.LBB214_1945:
	s_andn2_b64 vcc, exec, s[14:15]
	s_mov_b64 s[14:15], 0
	s_cbranch_vccnz .LBB214_1954
; %bb.1946:
	s_cmp_gt_i32 s23, 14
	s_cbranch_scc0 .LBB214_1949
; %bb.1947:
	s_cmp_eq_u32 s23, 15
	s_cbranch_scc0 .LBB214_1950
; %bb.1948:
	global_load_ushort v6, v[8:9], off
	s_mov_b32 s0, 0x2f800000
	s_mov_b32 s1, 0xcf800000
	s_mov_b64 s[16:17], -1
	s_waitcnt vmcnt(0)
	v_lshlrev_b32_e32 v6, 16, v6
	v_trunc_f32_e32 v6, v6
	v_mul_f32_e64 v7, |v6|, s0
	v_floor_f32_e32 v7, v7
	v_fma_f32 v11, v7, s1, |v6|
	v_cvt_u32_f32_e32 v11, v11
	v_cvt_u32_f32_e32 v7, v7
	v_ashrrev_i32_e32 v13, 31, v6
	s_mov_b64 s[0:1], 0
	v_xor_b32_e32 v6, v11, v13
	v_xor_b32_e32 v7, v7, v13
	v_sub_co_u32_e32 v6, vcc, v6, v13
	v_subb_co_u32_e32 v7, vcc, v7, v13, vcc
	s_branch .LBB214_1951
.LBB214_1949:
	s_mov_b64 s[20:21], -1
                                        ; implicit-def: $vgpr6_vgpr7
	s_branch .LBB214_1952
.LBB214_1950:
	s_mov_b64 s[0:1], -1
                                        ; implicit-def: $vgpr6_vgpr7
.LBB214_1951:
	s_mov_b64 s[20:21], 0
.LBB214_1952:
	s_and_b64 vcc, exec, s[20:21]
	s_cbranch_vccz .LBB214_1954
; %bb.1953:
	s_cmp_lg_u32 s23, 11
	s_mov_b64 s[14:15], -1
	s_cselect_b64 s[0:1], -1, 0
.LBB214_1954:
	s_and_b64 vcc, exec, s[0:1]
	s_cbranch_vccnz .LBB214_2019
; %bb.1955:
	s_andn2_b64 vcc, exec, s[14:15]
	s_cbranch_vccnz .LBB214_1957
.LBB214_1956:
	global_load_ubyte v6, v[8:9], off
	s_mov_b32 s0, 0
	s_waitcnt vmcnt(1)
	v_mov_b32_e32 v7, s0
	s_mov_b64 s[16:17], -1
	s_waitcnt vmcnt(0)
	v_cmp_ne_u16_e32 vcc, 0, v6
	v_cndmask_b32_e64 v6, 0, 1, vcc
.LBB214_1957:
	s_mov_b64 s[0:1], 0
.LBB214_1958:
	s_and_b64 vcc, exec, s[0:1]
	s_cbranch_vccz .LBB214_2007
; %bb.1959:
	s_and_b32 s14, 0xffff, s25
	s_cmp_lt_i32 s14, 5
	s_cbranch_scc1 .LBB214_1964
; %bb.1960:
	s_cmp_lt_i32 s14, 8
	s_cbranch_scc1 .LBB214_1965
; %bb.1961:
	;; [unrolled: 3-line block ×3, first 2 shown]
	s_cmp_gt_i32 s14, 9
	s_cbranch_scc0 .LBB214_1967
; %bb.1963:
	global_load_dwordx2 v[6:7], v[8:9], off
	s_movk_i32 s0, 0xffe0
	s_waitcnt vmcnt(0)
	v_trunc_f64_e32 v[6:7], v[6:7]
	v_ldexp_f64 v[13:14], v[6:7], s0
	s_mov_b32 s0, 0
	s_mov_b32 s1, 0xc1f00000
	v_floor_f64_e32 v[13:14], v[13:14]
	v_fma_f64 v[15:16], v[13:14], s[0:1], v[6:7]
	v_cvt_i32_f64_e32 v7, v[13:14]
	s_mov_b64 s[0:1], 0
	v_cvt_u32_f64_e32 v6, v[15:16]
	s_branch .LBB214_1968
.LBB214_1964:
	s_mov_b64 s[0:1], -1
                                        ; implicit-def: $vgpr6_vgpr7
	s_branch .LBB214_1986
.LBB214_1965:
	s_mov_b64 s[0:1], -1
                                        ; implicit-def: $vgpr6_vgpr7
	s_branch .LBB214_1974
.LBB214_1966:
	s_mov_b64 s[0:1], -1
                                        ; implicit-def: $vgpr6_vgpr7
	s_branch .LBB214_1971
.LBB214_1967:
	s_mov_b64 s[0:1], -1
                                        ; implicit-def: $vgpr6_vgpr7
.LBB214_1968:
	s_andn2_b64 vcc, exec, s[0:1]
	s_cbranch_vccnz .LBB214_1970
; %bb.1969:
	global_load_dword v6, v[8:9], off
	s_mov_b32 s0, 0x2f800000
	s_mov_b32 s1, 0xcf800000
	s_waitcnt vmcnt(0)
	v_trunc_f32_e32 v6, v6
	v_mul_f32_e64 v7, |v6|, s0
	v_floor_f32_e32 v7, v7
	v_cvt_u32_f32_e32 v11, v7
	v_fma_f32 v7, v7, s1, |v6|
	v_cvt_u32_f32_e32 v7, v7
	v_ashrrev_i32_e32 v13, 31, v6
	v_xor_b32_e32 v11, v11, v13
	v_xor_b32_e32 v6, v7, v13
	v_sub_co_u32_e32 v6, vcc, v6, v13
	v_subb_co_u32_e32 v7, vcc, v11, v13, vcc
.LBB214_1970:
	s_mov_b64 s[0:1], 0
.LBB214_1971:
	s_andn2_b64 vcc, exec, s[0:1]
	s_cbranch_vccnz .LBB214_1973
; %bb.1972:
	global_load_dword v6, v[8:9], off
	s_waitcnt vmcnt(0)
	v_cvt_f32_f16_e32 v6, v6
	v_cvt_i32_f32_e32 v6, v6
	v_ashrrev_i32_e32 v7, 31, v6
.LBB214_1973:
	s_mov_b64 s[0:1], 0
.LBB214_1974:
	s_andn2_b64 vcc, exec, s[0:1]
	s_cbranch_vccnz .LBB214_1985
; %bb.1975:
	s_cmp_lt_i32 s14, 6
	s_cbranch_scc1 .LBB214_1978
; %bb.1976:
	s_cmp_gt_i32 s14, 6
	s_cbranch_scc0 .LBB214_1979
; %bb.1977:
	global_load_dwordx2 v[6:7], v[8:9], off
	s_movk_i32 s0, 0xffe0
	s_waitcnt vmcnt(0)
	v_trunc_f64_e32 v[6:7], v[6:7]
	v_ldexp_f64 v[13:14], v[6:7], s0
	s_mov_b32 s0, 0
	s_mov_b32 s1, 0xc1f00000
	v_floor_f64_e32 v[13:14], v[13:14]
	v_fma_f64 v[15:16], v[13:14], s[0:1], v[6:7]
	v_cvt_i32_f64_e32 v7, v[13:14]
	s_mov_b64 s[0:1], 0
	v_cvt_u32_f64_e32 v6, v[15:16]
	s_branch .LBB214_1980
.LBB214_1978:
	s_mov_b64 s[0:1], -1
                                        ; implicit-def: $vgpr6_vgpr7
	s_branch .LBB214_1983
.LBB214_1979:
	s_mov_b64 s[0:1], -1
                                        ; implicit-def: $vgpr6_vgpr7
.LBB214_1980:
	s_andn2_b64 vcc, exec, s[0:1]
	s_cbranch_vccnz .LBB214_1982
; %bb.1981:
	global_load_dword v6, v[8:9], off
	s_mov_b32 s0, 0x2f800000
	s_mov_b32 s1, 0xcf800000
	s_waitcnt vmcnt(0)
	v_trunc_f32_e32 v6, v6
	v_mul_f32_e64 v7, |v6|, s0
	v_floor_f32_e32 v7, v7
	v_cvt_u32_f32_e32 v11, v7
	v_fma_f32 v7, v7, s1, |v6|
	v_cvt_u32_f32_e32 v7, v7
	v_ashrrev_i32_e32 v13, 31, v6
	v_xor_b32_e32 v11, v11, v13
	v_xor_b32_e32 v6, v7, v13
	v_sub_co_u32_e32 v6, vcc, v6, v13
	v_subb_co_u32_e32 v7, vcc, v11, v13, vcc
.LBB214_1982:
	s_mov_b64 s[0:1], 0
.LBB214_1983:
	s_andn2_b64 vcc, exec, s[0:1]
	s_cbranch_vccnz .LBB214_1985
; %bb.1984:
	global_load_ushort v6, v[8:9], off
	s_waitcnt vmcnt(0)
	v_cvt_f32_f16_e32 v6, v6
	v_cvt_i32_f32_e32 v6, v6
	v_ashrrev_i32_e32 v7, 31, v6
.LBB214_1985:
	s_mov_b64 s[0:1], 0
.LBB214_1986:
	s_andn2_b64 vcc, exec, s[0:1]
	s_cbranch_vccnz .LBB214_2006
; %bb.1987:
	s_cmp_lt_i32 s14, 2
	s_cbranch_scc1 .LBB214_1991
; %bb.1988:
	s_cmp_lt_i32 s14, 3
	s_cbranch_scc1 .LBB214_1992
; %bb.1989:
	s_cmp_gt_i32 s14, 3
	s_cbranch_scc0 .LBB214_1993
; %bb.1990:
	global_load_dwordx2 v[6:7], v[8:9], off
	s_mov_b64 s[0:1], 0
	s_branch .LBB214_1994
.LBB214_1991:
	s_mov_b64 s[0:1], -1
                                        ; implicit-def: $vgpr6_vgpr7
	s_branch .LBB214_2000
.LBB214_1992:
	s_mov_b64 s[0:1], -1
                                        ; implicit-def: $vgpr6_vgpr7
	s_branch .LBB214_1997
.LBB214_1993:
	s_mov_b64 s[0:1], -1
                                        ; implicit-def: $vgpr6_vgpr7
.LBB214_1994:
	s_andn2_b64 vcc, exec, s[0:1]
	s_cbranch_vccnz .LBB214_1996
; %bb.1995:
	global_load_dword v6, v[8:9], off
	s_waitcnt vmcnt(0)
	v_ashrrev_i32_e32 v7, 31, v6
.LBB214_1996:
	s_mov_b64 s[0:1], 0
.LBB214_1997:
	s_andn2_b64 vcc, exec, s[0:1]
	s_cbranch_vccnz .LBB214_1999
; %bb.1998:
	global_load_ushort v6, v[8:9], off
	s_waitcnt vmcnt(0)
	v_bfe_i32 v6, v6, 0, 16
	v_ashrrev_i32_e32 v7, 31, v6
.LBB214_1999:
	s_mov_b64 s[0:1], 0
.LBB214_2000:
	s_andn2_b64 vcc, exec, s[0:1]
	s_cbranch_vccnz .LBB214_2006
; %bb.2001:
	s_cmp_gt_i32 s14, 0
	s_cbranch_scc0 .LBB214_2003
; %bb.2002:
	global_load_sbyte v6, v[8:9], off
	s_mov_b64 s[0:1], 0
	s_waitcnt vmcnt(0)
	v_bfe_i32 v6, v6, 0, 16
	v_ashrrev_i32_e32 v7, 31, v6
	s_branch .LBB214_2004
.LBB214_2003:
	s_mov_b64 s[0:1], -1
                                        ; implicit-def: $vgpr6_vgpr7
.LBB214_2004:
	s_andn2_b64 vcc, exec, s[0:1]
	s_cbranch_vccnz .LBB214_2006
; %bb.2005:
	global_load_ubyte v6, v[8:9], off
	s_mov_b32 s0, 0
	s_waitcnt vmcnt(1)
	v_mov_b32_e32 v7, s0
	s_waitcnt vmcnt(0)
	v_and_b32_e32 v6, 0xffff, v6
.LBB214_2006:
	s_mov_b64 s[16:17], -1
.LBB214_2007:
	s_andn2_b64 vcc, exec, s[16:17]
	s_cbranch_vccnz .LBB214_2947
; %bb.2008:
	v_add_u32_e32 v14, s13, v10
	v_ashrrev_i32_e32 v8, 31, v14
	v_mov_b32_e32 v9, s11
	v_add_co_u32_e32 v10, vcc, s10, v14
	s_cmp_lt_i32 s24, 11
	v_addc_co_u32_e32 v11, vcc, v9, v8, vcc
	s_cbranch_scc1 .LBB214_2015
; %bb.2009:
	s_and_b32 s23, 0xffff, s24
	s_cmp_gt_i32 s23, 25
	s_mov_b64 s[14:15], 0
	s_cbranch_scc0 .LBB214_2016
; %bb.2010:
	s_cmp_gt_i32 s23, 28
	s_cbranch_scc0 .LBB214_2017
; %bb.2011:
	s_cmp_gt_i32 s23, 43
	;; [unrolled: 3-line block ×3, first 2 shown]
	s_cbranch_scc0 .LBB214_2020
; %bb.2013:
	s_cmp_eq_u32 s23, 46
	s_mov_b64 s[20:21], 0
	s_cbranch_scc0 .LBB214_2021
; %bb.2014:
	global_load_dword v8, v[10:11], off
	s_mov_b32 s0, 0x2f800000
	s_mov_b32 s1, 0xcf800000
	s_mov_b64 s[16:17], -1
	s_waitcnt vmcnt(0)
	v_lshlrev_b32_e32 v8, 16, v8
	v_trunc_f32_e32 v8, v8
	v_mul_f32_e64 v9, |v8|, s0
	v_floor_f32_e32 v9, v9
	v_fma_f32 v13, v9, s1, |v8|
	v_cvt_u32_f32_e32 v13, v13
	v_cvt_u32_f32_e32 v9, v9
	v_ashrrev_i32_e32 v15, 31, v8
	s_mov_b64 s[0:1], 0
	v_xor_b32_e32 v8, v13, v15
	v_xor_b32_e32 v9, v9, v15
	v_sub_co_u32_e32 v8, vcc, v8, v15
	v_subb_co_u32_e32 v9, vcc, v9, v15, vcc
	s_branch .LBB214_2022
.LBB214_2015:
	s_mov_b64 s[0:1], -1
	s_mov_b64 s[16:17], 0
                                        ; implicit-def: $vgpr8_vgpr9
	s_branch .LBB214_2084
.LBB214_2016:
	s_mov_b64 s[20:21], -1
	s_mov_b64 s[16:17], 0
	s_mov_b64 s[0:1], 0
                                        ; implicit-def: $vgpr8_vgpr9
	s_branch .LBB214_2051
.LBB214_2017:
	s_mov_b64 s[20:21], -1
	s_mov_b64 s[16:17], 0
	s_mov_b64 s[0:1], 0
                                        ; implicit-def: $vgpr8_vgpr9
	s_branch .LBB214_2032
.LBB214_2018:
	s_mov_b64 s[20:21], -1
	s_mov_b64 s[16:17], 0
	s_mov_b64 s[0:1], 0
                                        ; implicit-def: $vgpr8_vgpr9
	s_branch .LBB214_2027
.LBB214_2019:
	s_trap 2
	s_or_b64 s[18:19], s[18:19], exec
	s_cbranch_execz .LBB214_1956
	s_branch .LBB214_1957
.LBB214_2020:
	s_mov_b64 s[20:21], -1
	s_mov_b64 s[16:17], 0
	s_mov_b64 s[0:1], 0
                                        ; implicit-def: $vgpr8_vgpr9
	s_branch .LBB214_2022
.LBB214_2021:
	s_mov_b64 s[0:1], -1
                                        ; implicit-def: $vgpr8_vgpr9
	s_mov_b64 s[16:17], 0
.LBB214_2022:
	s_and_b64 vcc, exec, s[20:21]
	s_cbranch_vccz .LBB214_2026
; %bb.2023:
	s_cmp_eq_u32 s23, 44
	s_cbranch_scc0 .LBB214_2025
; %bb.2024:
	global_load_ubyte v8, v[10:11], off
	s_mov_b32 s0, 0x2f800000
	s_mov_b32 s1, 0xcf800000
	s_mov_b64 s[16:17], -1
	s_waitcnt vmcnt(0)
	v_lshlrev_b32_e32 v9, 23, v8
	v_trunc_f32_e32 v9, v9
	v_mul_f32_e64 v13, |v9|, s0
	v_floor_f32_e32 v13, v13
	v_fma_f32 v15, v13, s1, |v9|
	v_cvt_u32_f32_e32 v15, v15
	v_cvt_u32_f32_e32 v13, v13
	v_ashrrev_i32_e32 v9, 31, v9
	s_mov_b64 s[0:1], 0
	v_xor_b32_e32 v15, v15, v9
	v_xor_b32_e32 v13, v13, v9
	v_sub_co_u32_e32 v15, vcc, v15, v9
	v_subb_co_u32_e32 v9, vcc, v13, v9, vcc
	v_cmp_ne_u32_e32 vcc, 0, v8
	v_cndmask_b32_e32 v9, 0, v9, vcc
	v_cndmask_b32_e32 v8, 0, v15, vcc
	s_branch .LBB214_2026
.LBB214_2025:
	s_mov_b64 s[0:1], -1
                                        ; implicit-def: $vgpr8_vgpr9
.LBB214_2026:
	s_mov_b64 s[20:21], 0
.LBB214_2027:
	s_and_b64 vcc, exec, s[20:21]
	s_cbranch_vccz .LBB214_2031
; %bb.2028:
	s_cmp_eq_u32 s23, 29
	s_cbranch_scc0 .LBB214_2030
; %bb.2029:
	global_load_dwordx2 v[8:9], v[10:11], off
	s_mov_b64 s[0:1], 0
	s_mov_b64 s[16:17], -1
	s_branch .LBB214_2031
.LBB214_2030:
	s_mov_b64 s[0:1], -1
                                        ; implicit-def: $vgpr8_vgpr9
.LBB214_2031:
	s_mov_b64 s[20:21], 0
.LBB214_2032:
	s_and_b64 vcc, exec, s[20:21]
	s_cbranch_vccz .LBB214_2050
; %bb.2033:
	s_cmp_lt_i32 s23, 27
	s_cbranch_scc1 .LBB214_2036
; %bb.2034:
	s_cmp_gt_i32 s23, 27
	s_cbranch_scc0 .LBB214_2037
; %bb.2035:
	global_load_dword v8, v[10:11], off
	s_waitcnt vmcnt(1)
	v_mov_b32_e32 v9, 0
	s_mov_b64 s[16:17], 0
	s_branch .LBB214_2038
.LBB214_2036:
	s_mov_b64 s[16:17], -1
                                        ; implicit-def: $vgpr8_vgpr9
	s_branch .LBB214_2041
.LBB214_2037:
	s_mov_b64 s[16:17], -1
                                        ; implicit-def: $vgpr8_vgpr9
.LBB214_2038:
	s_andn2_b64 vcc, exec, s[16:17]
	s_cbranch_vccnz .LBB214_2040
; %bb.2039:
	global_load_ushort v8, v[10:11], off
	s_mov_b32 s16, 0
	s_waitcnt vmcnt(1)
	v_mov_b32_e32 v9, s16
	s_waitcnt vmcnt(0)
	v_and_b32_e32 v8, 0xffff, v8
.LBB214_2040:
	s_mov_b64 s[16:17], 0
.LBB214_2041:
	s_andn2_b64 vcc, exec, s[16:17]
	s_cbranch_vccnz .LBB214_2049
; %bb.2042:
	global_load_ubyte v13, v[10:11], off
	s_movk_i32 s16, 0x7f
	s_mov_b64 s[20:21], 0
	s_waitcnt vmcnt(0)
	v_cmp_lt_i16_e32 vcc, s16, v13
	s_and_saveexec_b64 s[16:17], vcc
	s_xor_b64 s[16:17], exec, s[16:17]
; %bb.2043:
	s_movk_i32 s20, 0x80
	v_cmp_ne_u16_e32 vcc, s20, v13
	s_and_b64 s[20:21], vcc, exec
; %bb.2044:
	s_andn2_saveexec_b64 s[16:17], s[16:17]
; %bb.2045:
	v_cmp_ne_u16_e32 vcc, 0, v13
	s_andn2_b64 s[20:21], s[20:21], exec
	s_and_b64 s[26:27], vcc, exec
	s_or_b64 s[20:21], s[20:21], s[26:27]
; %bb.2046:
	s_or_b64 exec, exec, s[16:17]
	v_mov_b32_e32 v8, 0
	v_mov_b32_e32 v9, 0
	s_and_saveexec_b64 s[16:17], s[20:21]
	s_cbranch_execz .LBB214_2048
; %bb.2047:
	v_and_b32_e32 v9, 0xffff, v13
	v_lshlrev_b32_e32 v8, 24, v13
	v_and_b32_e32 v13, 7, v9
	v_ffbh_u32_e32 v16, v13
	v_min_u32_e32 v16, 32, v16
	v_subrev_u32_e32 v17, 28, v16
	v_bfe_u32 v15, v9, 3, 4
	v_lshlrev_b32_e32 v9, v17, v9
	v_sub_u32_e32 v16, 29, v16
	v_and_b32_e32 v9, 7, v9
	v_cmp_eq_u32_e32 vcc, 0, v15
	v_cndmask_b32_e32 v15, v15, v16, vcc
	v_cndmask_b32_e32 v9, v13, v9, vcc
	v_mov_b32_e32 v13, 0x3b800000
	v_lshlrev_b32_e32 v9, 20, v9
	v_and_b32_e32 v8, 0x80000000, v8
	v_lshl_add_u32 v13, v15, 23, v13
	v_or3_b32 v8, v8, v13, v9
	v_trunc_f32_e32 v8, v8
	s_mov_b32 s20, 0x2f800000
	v_mul_f32_e64 v9, |v8|, s20
	v_floor_f32_e32 v9, v9
	s_mov_b32 s20, 0xcf800000
	v_fma_f32 v13, v9, s20, |v8|
	v_cvt_u32_f32_e32 v13, v13
	v_cvt_u32_f32_e32 v9, v9
	v_ashrrev_i32_e32 v15, 31, v8
	v_xor_b32_e32 v8, v13, v15
	v_xor_b32_e32 v9, v9, v15
	v_sub_co_u32_e32 v8, vcc, v8, v15
	v_subb_co_u32_e32 v9, vcc, v9, v15, vcc
.LBB214_2048:
	s_or_b64 exec, exec, s[16:17]
.LBB214_2049:
	s_mov_b64 s[16:17], -1
.LBB214_2050:
	s_mov_b64 s[20:21], 0
.LBB214_2051:
	s_and_b64 vcc, exec, s[20:21]
	s_cbranch_vccz .LBB214_2080
; %bb.2052:
	s_cmp_gt_i32 s23, 22
	s_cbranch_scc0 .LBB214_2062
; %bb.2053:
	s_cmp_lt_i32 s23, 24
	s_cbranch_scc1 .LBB214_2063
; %bb.2054:
	s_cmp_gt_i32 s23, 24
	s_cbranch_scc0 .LBB214_2064
; %bb.2055:
	global_load_ubyte v13, v[10:11], off
	s_movk_i32 s14, 0x7f
	s_mov_b64 s[16:17], 0
	s_waitcnt vmcnt(0)
	v_cmp_lt_i16_e32 vcc, s14, v13
	s_and_saveexec_b64 s[14:15], vcc
	s_xor_b64 s[14:15], exec, s[14:15]
; %bb.2056:
	s_movk_i32 s16, 0x80
	v_cmp_ne_u16_e32 vcc, s16, v13
	s_and_b64 s[16:17], vcc, exec
; %bb.2057:
	s_andn2_saveexec_b64 s[14:15], s[14:15]
; %bb.2058:
	v_cmp_ne_u16_e32 vcc, 0, v13
	s_andn2_b64 s[16:17], s[16:17], exec
	s_and_b64 s[20:21], vcc, exec
	s_or_b64 s[16:17], s[16:17], s[20:21]
; %bb.2059:
	s_or_b64 exec, exec, s[14:15]
	v_mov_b32_e32 v8, 0
	v_mov_b32_e32 v9, 0
	s_and_saveexec_b64 s[14:15], s[16:17]
	s_cbranch_execz .LBB214_2061
; %bb.2060:
	v_and_b32_e32 v9, 0xffff, v13
	v_lshlrev_b32_e32 v8, 24, v13
	v_and_b32_e32 v13, 3, v9
	v_ffbh_u32_e32 v16, v13
	v_min_u32_e32 v16, 32, v16
	v_subrev_u32_e32 v17, 29, v16
	v_bfe_u32 v15, v9, 2, 5
	v_lshlrev_b32_e32 v9, v17, v9
	v_sub_u32_e32 v16, 30, v16
	v_and_b32_e32 v9, 3, v9
	v_cmp_eq_u32_e32 vcc, 0, v15
	v_cndmask_b32_e32 v15, v15, v16, vcc
	v_cndmask_b32_e32 v9, v13, v9, vcc
	v_mov_b32_e32 v13, 0x37800000
	v_lshlrev_b32_e32 v9, 21, v9
	v_and_b32_e32 v8, 0x80000000, v8
	v_lshl_add_u32 v13, v15, 23, v13
	v_or3_b32 v8, v8, v13, v9
	v_trunc_f32_e32 v8, v8
	s_mov_b32 s16, 0x2f800000
	v_mul_f32_e64 v9, |v8|, s16
	v_floor_f32_e32 v9, v9
	s_mov_b32 s16, 0xcf800000
	v_fma_f32 v13, v9, s16, |v8|
	v_cvt_u32_f32_e32 v13, v13
	v_cvt_u32_f32_e32 v9, v9
	v_ashrrev_i32_e32 v15, 31, v8
	v_xor_b32_e32 v8, v13, v15
	v_xor_b32_e32 v9, v9, v15
	v_sub_co_u32_e32 v8, vcc, v8, v15
	v_subb_co_u32_e32 v9, vcc, v9, v15, vcc
.LBB214_2061:
	s_or_b64 exec, exec, s[14:15]
	s_mov_b64 s[14:15], 0
	s_branch .LBB214_2065
.LBB214_2062:
	s_mov_b64 s[14:15], -1
                                        ; implicit-def: $vgpr8_vgpr9
	s_branch .LBB214_2071
.LBB214_2063:
	s_mov_b64 s[14:15], -1
                                        ; implicit-def: $vgpr8_vgpr9
	s_branch .LBB214_2068
.LBB214_2064:
	s_mov_b64 s[14:15], -1
                                        ; implicit-def: $vgpr8_vgpr9
.LBB214_2065:
	s_and_b64 vcc, exec, s[14:15]
	s_cbranch_vccz .LBB214_2067
; %bb.2066:
	global_load_ubyte v8, v[10:11], off
	s_mov_b32 s14, 0x7f800000
	s_brev_b32 s15, 1
	s_mov_b32 s16, 0x2f800000
	s_mov_b32 s17, 0xcf800000
	s_waitcnt vmcnt(0)
	v_lshlrev_b32_e32 v8, 24, v8
	v_and_b32_e32 v9, 0x7f000000, v8
	v_ffbh_u32_e32 v13, v9
	v_min_u32_e32 v13, 32, v13
	v_sub_u32_e64 v13, v13, 4 clamp
	v_lshlrev_b32_e32 v16, v13, v9
	v_lshlrev_b32_e32 v13, 23, v13
	v_lshrrev_b32_e32 v16, 4, v16
	v_add_u32_e32 v15, 0x1000000, v9
	v_sub_u32_e32 v13, v16, v13
	v_ashrrev_i32_e32 v15, 8, v15
	v_add_u32_e32 v13, 0x3c000000, v13
	v_and_or_b32 v13, v15, s14, v13
	v_cmp_ne_u32_e32 vcc, 0, v9
	v_cndmask_b32_e32 v9, 0, v13, vcc
	v_and_or_b32 v8, v8, s15, v9
	v_trunc_f32_e32 v8, v8
	v_mul_f32_e64 v9, |v8|, s16
	v_floor_f32_e32 v9, v9
	v_fma_f32 v13, v9, s17, |v8|
	v_cvt_u32_f32_e32 v13, v13
	v_cvt_u32_f32_e32 v9, v9
	v_ashrrev_i32_e32 v15, 31, v8
	v_xor_b32_e32 v8, v13, v15
	v_xor_b32_e32 v9, v9, v15
	v_sub_co_u32_e32 v8, vcc, v8, v15
	v_subb_co_u32_e32 v9, vcc, v9, v15, vcc
.LBB214_2067:
	s_mov_b64 s[14:15], 0
.LBB214_2068:
	s_andn2_b64 vcc, exec, s[14:15]
	s_cbranch_vccnz .LBB214_2070
; %bb.2069:
	global_load_ubyte v8, v[10:11], off
	s_movk_i32 s14, 0x7f00
	s_brev_b32 s15, 16
	s_brev_b32 s16, 1
	s_mov_b32 s17, 0x2f800000
	s_mov_b32 s20, 0xcf800000
	s_waitcnt vmcnt(0)
	v_lshlrev_b16_e32 v9, 8, v8
	v_lshlrev_b32_e32 v8, 25, v8
	v_lshrrev_b32_e32 v13, 4, v8
	v_and_or_b32 v15, v9, s14, 0.5
	v_or_b32_e32 v13, 0x70000000, v13
	v_add_f32_e32 v15, -0.5, v15
	v_mul_f32_e32 v13, 0x7800000, v13
	v_cmp_gt_u32_e32 vcc, s15, v8
	v_bfe_i32 v9, v9, 0, 16
	v_cndmask_b32_e32 v8, v13, v15, vcc
	v_and_or_b32 v8, v9, s16, v8
	v_trunc_f32_e32 v8, v8
	v_mul_f32_e64 v9, |v8|, s17
	v_floor_f32_e32 v9, v9
	v_fma_f32 v13, v9, s20, |v8|
	v_cvt_u32_f32_e32 v13, v13
	v_cvt_u32_f32_e32 v9, v9
	v_ashrrev_i32_e32 v15, 31, v8
	v_xor_b32_e32 v8, v13, v15
	v_xor_b32_e32 v9, v9, v15
	v_sub_co_u32_e32 v8, vcc, v8, v15
	v_subb_co_u32_e32 v9, vcc, v9, v15, vcc
.LBB214_2070:
	s_mov_b64 s[14:15], 0
	s_mov_b64 s[16:17], -1
.LBB214_2071:
	s_andn2_b64 vcc, exec, s[14:15]
	s_mov_b64 s[14:15], 0
	s_cbranch_vccnz .LBB214_2080
; %bb.2072:
	s_cmp_gt_i32 s23, 14
	s_cbranch_scc0 .LBB214_2075
; %bb.2073:
	s_cmp_eq_u32 s23, 15
	s_cbranch_scc0 .LBB214_2076
; %bb.2074:
	global_load_ushort v8, v[10:11], off
	s_mov_b32 s0, 0x2f800000
	s_mov_b32 s1, 0xcf800000
	s_mov_b64 s[16:17], -1
	s_waitcnt vmcnt(0)
	v_lshlrev_b32_e32 v8, 16, v8
	v_trunc_f32_e32 v8, v8
	v_mul_f32_e64 v9, |v8|, s0
	v_floor_f32_e32 v9, v9
	v_fma_f32 v13, v9, s1, |v8|
	v_cvt_u32_f32_e32 v13, v13
	v_cvt_u32_f32_e32 v9, v9
	v_ashrrev_i32_e32 v15, 31, v8
	s_mov_b64 s[0:1], 0
	v_xor_b32_e32 v8, v13, v15
	v_xor_b32_e32 v9, v9, v15
	v_sub_co_u32_e32 v8, vcc, v8, v15
	v_subb_co_u32_e32 v9, vcc, v9, v15, vcc
	s_branch .LBB214_2077
.LBB214_2075:
	s_mov_b64 s[20:21], -1
                                        ; implicit-def: $vgpr8_vgpr9
	s_branch .LBB214_2078
.LBB214_2076:
	s_mov_b64 s[0:1], -1
                                        ; implicit-def: $vgpr8_vgpr9
.LBB214_2077:
	s_mov_b64 s[20:21], 0
.LBB214_2078:
	s_and_b64 vcc, exec, s[20:21]
	s_cbranch_vccz .LBB214_2080
; %bb.2079:
	s_cmp_lg_u32 s23, 11
	s_mov_b64 s[14:15], -1
	s_cselect_b64 s[0:1], -1, 0
.LBB214_2080:
	s_and_b64 vcc, exec, s[0:1]
	s_cbranch_vccnz .LBB214_2145
; %bb.2081:
	s_andn2_b64 vcc, exec, s[14:15]
	s_cbranch_vccnz .LBB214_2083
.LBB214_2082:
	global_load_ubyte v8, v[10:11], off
	s_mov_b32 s0, 0
	s_waitcnt vmcnt(1)
	v_mov_b32_e32 v9, s0
	s_mov_b64 s[16:17], -1
	s_waitcnt vmcnt(0)
	v_cmp_ne_u16_e32 vcc, 0, v8
	v_cndmask_b32_e64 v8, 0, 1, vcc
.LBB214_2083:
	s_mov_b64 s[0:1], 0
.LBB214_2084:
	s_and_b64 vcc, exec, s[0:1]
	s_cbranch_vccz .LBB214_2133
; %bb.2085:
	s_and_b32 s14, 0xffff, s24
	s_cmp_lt_i32 s14, 5
	s_cbranch_scc1 .LBB214_2090
; %bb.2086:
	s_cmp_lt_i32 s14, 8
	s_cbranch_scc1 .LBB214_2091
; %bb.2087:
	;; [unrolled: 3-line block ×3, first 2 shown]
	s_cmp_gt_i32 s14, 9
	s_cbranch_scc0 .LBB214_2093
; %bb.2089:
	global_load_dwordx2 v[8:9], v[10:11], off
	s_movk_i32 s0, 0xffe0
	s_waitcnt vmcnt(0)
	v_trunc_f64_e32 v[8:9], v[8:9]
	v_ldexp_f64 v[15:16], v[8:9], s0
	s_mov_b32 s0, 0
	s_mov_b32 s1, 0xc1f00000
	v_floor_f64_e32 v[15:16], v[15:16]
	v_fma_f64 v[19:20], v[15:16], s[0:1], v[8:9]
	v_cvt_i32_f64_e32 v9, v[15:16]
	s_mov_b64 s[0:1], 0
	v_cvt_u32_f64_e32 v8, v[19:20]
	s_branch .LBB214_2094
.LBB214_2090:
	s_mov_b64 s[0:1], -1
                                        ; implicit-def: $vgpr8_vgpr9
	s_branch .LBB214_2112
.LBB214_2091:
	s_mov_b64 s[0:1], -1
                                        ; implicit-def: $vgpr8_vgpr9
	s_branch .LBB214_2100
.LBB214_2092:
	s_mov_b64 s[0:1], -1
                                        ; implicit-def: $vgpr8_vgpr9
	s_branch .LBB214_2097
.LBB214_2093:
	s_mov_b64 s[0:1], -1
                                        ; implicit-def: $vgpr8_vgpr9
.LBB214_2094:
	s_andn2_b64 vcc, exec, s[0:1]
	s_cbranch_vccnz .LBB214_2096
; %bb.2095:
	global_load_dword v8, v[10:11], off
	s_mov_b32 s0, 0x2f800000
	s_mov_b32 s1, 0xcf800000
	s_waitcnt vmcnt(0)
	v_trunc_f32_e32 v8, v8
	v_mul_f32_e64 v9, |v8|, s0
	v_floor_f32_e32 v9, v9
	v_cvt_u32_f32_e32 v13, v9
	v_fma_f32 v9, v9, s1, |v8|
	v_cvt_u32_f32_e32 v9, v9
	v_ashrrev_i32_e32 v15, 31, v8
	v_xor_b32_e32 v13, v13, v15
	v_xor_b32_e32 v8, v9, v15
	v_sub_co_u32_e32 v8, vcc, v8, v15
	v_subb_co_u32_e32 v9, vcc, v13, v15, vcc
.LBB214_2096:
	s_mov_b64 s[0:1], 0
.LBB214_2097:
	s_andn2_b64 vcc, exec, s[0:1]
	s_cbranch_vccnz .LBB214_2099
; %bb.2098:
	global_load_dword v8, v[10:11], off
	s_waitcnt vmcnt(0)
	v_cvt_f32_f16_e32 v8, v8
	v_cvt_i32_f32_e32 v8, v8
	v_ashrrev_i32_e32 v9, 31, v8
.LBB214_2099:
	s_mov_b64 s[0:1], 0
.LBB214_2100:
	s_andn2_b64 vcc, exec, s[0:1]
	s_cbranch_vccnz .LBB214_2111
; %bb.2101:
	s_cmp_lt_i32 s14, 6
	s_cbranch_scc1 .LBB214_2104
; %bb.2102:
	s_cmp_gt_i32 s14, 6
	s_cbranch_scc0 .LBB214_2105
; %bb.2103:
	global_load_dwordx2 v[8:9], v[10:11], off
	s_movk_i32 s0, 0xffe0
	s_waitcnt vmcnt(0)
	v_trunc_f64_e32 v[8:9], v[8:9]
	v_ldexp_f64 v[15:16], v[8:9], s0
	s_mov_b32 s0, 0
	s_mov_b32 s1, 0xc1f00000
	v_floor_f64_e32 v[15:16], v[15:16]
	v_fma_f64 v[19:20], v[15:16], s[0:1], v[8:9]
	v_cvt_i32_f64_e32 v9, v[15:16]
	s_mov_b64 s[0:1], 0
	v_cvt_u32_f64_e32 v8, v[19:20]
	s_branch .LBB214_2106
.LBB214_2104:
	s_mov_b64 s[0:1], -1
                                        ; implicit-def: $vgpr8_vgpr9
	s_branch .LBB214_2109
.LBB214_2105:
	s_mov_b64 s[0:1], -1
                                        ; implicit-def: $vgpr8_vgpr9
.LBB214_2106:
	s_andn2_b64 vcc, exec, s[0:1]
	s_cbranch_vccnz .LBB214_2108
; %bb.2107:
	global_load_dword v8, v[10:11], off
	s_mov_b32 s0, 0x2f800000
	s_mov_b32 s1, 0xcf800000
	s_waitcnt vmcnt(0)
	v_trunc_f32_e32 v8, v8
	v_mul_f32_e64 v9, |v8|, s0
	v_floor_f32_e32 v9, v9
	v_cvt_u32_f32_e32 v13, v9
	v_fma_f32 v9, v9, s1, |v8|
	v_cvt_u32_f32_e32 v9, v9
	v_ashrrev_i32_e32 v15, 31, v8
	v_xor_b32_e32 v13, v13, v15
	v_xor_b32_e32 v8, v9, v15
	v_sub_co_u32_e32 v8, vcc, v8, v15
	v_subb_co_u32_e32 v9, vcc, v13, v15, vcc
.LBB214_2108:
	s_mov_b64 s[0:1], 0
.LBB214_2109:
	s_andn2_b64 vcc, exec, s[0:1]
	s_cbranch_vccnz .LBB214_2111
; %bb.2110:
	global_load_ushort v8, v[10:11], off
	s_waitcnt vmcnt(0)
	v_cvt_f32_f16_e32 v8, v8
	v_cvt_i32_f32_e32 v8, v8
	v_ashrrev_i32_e32 v9, 31, v8
.LBB214_2111:
	s_mov_b64 s[0:1], 0
.LBB214_2112:
	s_andn2_b64 vcc, exec, s[0:1]
	s_cbranch_vccnz .LBB214_2132
; %bb.2113:
	s_cmp_lt_i32 s14, 2
	s_cbranch_scc1 .LBB214_2117
; %bb.2114:
	s_cmp_lt_i32 s14, 3
	s_cbranch_scc1 .LBB214_2118
; %bb.2115:
	s_cmp_gt_i32 s14, 3
	s_cbranch_scc0 .LBB214_2119
; %bb.2116:
	global_load_dwordx2 v[8:9], v[10:11], off
	s_mov_b64 s[0:1], 0
	s_branch .LBB214_2120
.LBB214_2117:
	s_mov_b64 s[0:1], -1
                                        ; implicit-def: $vgpr8_vgpr9
	s_branch .LBB214_2126
.LBB214_2118:
	s_mov_b64 s[0:1], -1
                                        ; implicit-def: $vgpr8_vgpr9
	s_branch .LBB214_2123
.LBB214_2119:
	s_mov_b64 s[0:1], -1
                                        ; implicit-def: $vgpr8_vgpr9
.LBB214_2120:
	s_andn2_b64 vcc, exec, s[0:1]
	s_cbranch_vccnz .LBB214_2122
; %bb.2121:
	global_load_dword v8, v[10:11], off
	s_waitcnt vmcnt(0)
	v_ashrrev_i32_e32 v9, 31, v8
.LBB214_2122:
	s_mov_b64 s[0:1], 0
.LBB214_2123:
	s_andn2_b64 vcc, exec, s[0:1]
	s_cbranch_vccnz .LBB214_2125
; %bb.2124:
	global_load_ushort v8, v[10:11], off
	s_waitcnt vmcnt(0)
	v_bfe_i32 v8, v8, 0, 16
	v_ashrrev_i32_e32 v9, 31, v8
.LBB214_2125:
	s_mov_b64 s[0:1], 0
.LBB214_2126:
	s_andn2_b64 vcc, exec, s[0:1]
	s_cbranch_vccnz .LBB214_2132
; %bb.2127:
	s_cmp_gt_i32 s14, 0
	s_cbranch_scc0 .LBB214_2129
; %bb.2128:
	global_load_sbyte v8, v[10:11], off
	s_mov_b64 s[0:1], 0
	s_waitcnt vmcnt(0)
	v_bfe_i32 v8, v8, 0, 16
	v_ashrrev_i32_e32 v9, 31, v8
	s_branch .LBB214_2130
.LBB214_2129:
	s_mov_b64 s[0:1], -1
                                        ; implicit-def: $vgpr8_vgpr9
.LBB214_2130:
	s_andn2_b64 vcc, exec, s[0:1]
	s_cbranch_vccnz .LBB214_2132
; %bb.2131:
	global_load_ubyte v8, v[10:11], off
	s_mov_b32 s0, 0
	s_waitcnt vmcnt(1)
	v_mov_b32_e32 v9, s0
	s_waitcnt vmcnt(0)
	v_and_b32_e32 v8, 0xffff, v8
.LBB214_2132:
	s_mov_b64 s[16:17], -1
.LBB214_2133:
	s_andn2_b64 vcc, exec, s[16:17]
	s_cbranch_vccnz .LBB214_2947
; %bb.2134:
	v_add_u32_e32 v16, s22, v12
	v_ashrrev_i32_e32 v10, 31, v16
	v_mov_b32_e32 v11, s3
	v_add_co_u32_e32 v12, vcc, s2, v16
	s_cmp_lt_i32 s25, 11
	v_addc_co_u32_e32 v13, vcc, v11, v10, vcc
	s_cbranch_scc1 .LBB214_2141
; %bb.2135:
	s_and_b32 s23, 0xffff, s25
	s_cmp_gt_i32 s23, 25
	s_mov_b64 s[14:15], 0
	s_cbranch_scc0 .LBB214_2142
; %bb.2136:
	s_cmp_gt_i32 s23, 28
	s_cbranch_scc0 .LBB214_2143
; %bb.2137:
	s_cmp_gt_i32 s23, 43
	;; [unrolled: 3-line block ×3, first 2 shown]
	s_cbranch_scc0 .LBB214_2146
; %bb.2139:
	s_cmp_eq_u32 s23, 46
	s_mov_b64 s[20:21], 0
	s_cbranch_scc0 .LBB214_2149
; %bb.2140:
	global_load_dword v10, v[12:13], off
	s_mov_b32 s0, 0x2f800000
	s_mov_b32 s1, 0xcf800000
	s_mov_b64 s[16:17], -1
	s_waitcnt vmcnt(0)
	v_lshlrev_b32_e32 v10, 16, v10
	v_trunc_f32_e32 v10, v10
	v_mul_f32_e64 v11, |v10|, s0
	v_floor_f32_e32 v11, v11
	v_fma_f32 v15, v11, s1, |v10|
	v_cvt_u32_f32_e32 v15, v15
	v_cvt_u32_f32_e32 v11, v11
	v_ashrrev_i32_e32 v17, 31, v10
	s_mov_b64 s[0:1], 0
	v_xor_b32_e32 v10, v15, v17
	v_xor_b32_e32 v11, v11, v17
	v_sub_co_u32_e32 v10, vcc, v10, v17
	v_subb_co_u32_e32 v11, vcc, v11, v17, vcc
	s_branch .LBB214_2150
.LBB214_2141:
	s_mov_b64 s[0:1], -1
	s_mov_b64 s[16:17], 0
                                        ; implicit-def: $vgpr10_vgpr11
	s_branch .LBB214_2212
.LBB214_2142:
	s_mov_b64 s[20:21], -1
	s_mov_b64 s[16:17], 0
	s_mov_b64 s[0:1], 0
                                        ; implicit-def: $vgpr10_vgpr11
	s_branch .LBB214_2179
.LBB214_2143:
	s_mov_b64 s[20:21], -1
	s_mov_b64 s[16:17], 0
	s_mov_b64 s[0:1], 0
                                        ; implicit-def: $vgpr10_vgpr11
	s_branch .LBB214_2160
.LBB214_2144:
	s_mov_b64 s[20:21], -1
	s_mov_b64 s[16:17], 0
	s_mov_b64 s[0:1], 0
                                        ; implicit-def: $vgpr10_vgpr11
	s_branch .LBB214_2155
.LBB214_2145:
	s_trap 2
	s_or_b64 s[18:19], s[18:19], exec
	s_cbranch_execz .LBB214_2082
	s_branch .LBB214_2083
.LBB214_2146:
	s_mov_b64 s[20:21], -1
	s_mov_b64 s[16:17], 0
	s_mov_b64 s[0:1], 0
                                        ; implicit-def: $vgpr10_vgpr11
	s_branch .LBB214_2150
.LBB214_2147:
	s_andn2_saveexec_b64 s[44:45], s[44:45]
	s_cbranch_execz .LBB214_1061
.LBB214_2148:
	s_mov_b32 s49, 0x42800000
	v_add_f32_e64 v5, |v4|, s49
	v_and_b32_e32 v5, 0xff, v5
	v_cmp_ne_u32_e32 vcc, 0, v5
	s_andn2_b64 s[42:43], s[42:43], exec
	s_and_b64 s[50:51], vcc, exec
	s_or_b64 s[42:43], s[42:43], s[50:51]
	s_or_b64 exec, exec, s[44:45]
	v_mov_b32_e32 v6, 0
	s_and_saveexec_b64 s[44:45], s[42:43]
	s_cbranch_execnz .LBB214_1062
	s_branch .LBB214_1063
.LBB214_2149:
	s_mov_b64 s[0:1], -1
                                        ; implicit-def: $vgpr10_vgpr11
	s_mov_b64 s[16:17], 0
.LBB214_2150:
	s_and_b64 vcc, exec, s[20:21]
	s_cbranch_vccz .LBB214_2154
; %bb.2151:
	s_cmp_eq_u32 s23, 44
	s_cbranch_scc0 .LBB214_2153
; %bb.2152:
	global_load_ubyte v10, v[12:13], off
	s_mov_b32 s0, 0x2f800000
	s_mov_b32 s1, 0xcf800000
	s_mov_b64 s[16:17], -1
	s_waitcnt vmcnt(0)
	v_lshlrev_b32_e32 v11, 23, v10
	v_trunc_f32_e32 v11, v11
	v_mul_f32_e64 v15, |v11|, s0
	v_floor_f32_e32 v15, v15
	v_fma_f32 v17, v15, s1, |v11|
	v_cvt_u32_f32_e32 v17, v17
	v_cvt_u32_f32_e32 v15, v15
	v_ashrrev_i32_e32 v11, 31, v11
	s_mov_b64 s[0:1], 0
	v_xor_b32_e32 v17, v17, v11
	v_xor_b32_e32 v15, v15, v11
	v_sub_co_u32_e32 v17, vcc, v17, v11
	v_subb_co_u32_e32 v11, vcc, v15, v11, vcc
	v_cmp_ne_u32_e32 vcc, 0, v10
	v_cndmask_b32_e32 v11, 0, v11, vcc
	v_cndmask_b32_e32 v10, 0, v17, vcc
	s_branch .LBB214_2154
.LBB214_2153:
	s_mov_b64 s[0:1], -1
                                        ; implicit-def: $vgpr10_vgpr11
.LBB214_2154:
	s_mov_b64 s[20:21], 0
.LBB214_2155:
	s_and_b64 vcc, exec, s[20:21]
	s_cbranch_vccz .LBB214_2159
; %bb.2156:
	s_cmp_eq_u32 s23, 29
	s_cbranch_scc0 .LBB214_2158
; %bb.2157:
	global_load_dwordx2 v[10:11], v[12:13], off
	s_mov_b64 s[0:1], 0
	s_mov_b64 s[16:17], -1
	s_branch .LBB214_2159
.LBB214_2158:
	s_mov_b64 s[0:1], -1
                                        ; implicit-def: $vgpr10_vgpr11
.LBB214_2159:
	s_mov_b64 s[20:21], 0
.LBB214_2160:
	s_and_b64 vcc, exec, s[20:21]
	s_cbranch_vccz .LBB214_2178
; %bb.2161:
	s_cmp_lt_i32 s23, 27
	s_cbranch_scc1 .LBB214_2164
; %bb.2162:
	s_cmp_gt_i32 s23, 27
	s_cbranch_scc0 .LBB214_2165
; %bb.2163:
	global_load_dword v10, v[12:13], off
	s_waitcnt vmcnt(1)
	v_mov_b32_e32 v11, 0
	s_mov_b64 s[16:17], 0
	s_branch .LBB214_2166
.LBB214_2164:
	s_mov_b64 s[16:17], -1
                                        ; implicit-def: $vgpr10_vgpr11
	s_branch .LBB214_2169
.LBB214_2165:
	s_mov_b64 s[16:17], -1
                                        ; implicit-def: $vgpr10_vgpr11
.LBB214_2166:
	s_andn2_b64 vcc, exec, s[16:17]
	s_cbranch_vccnz .LBB214_2168
; %bb.2167:
	global_load_ushort v10, v[12:13], off
	s_mov_b32 s16, 0
	s_waitcnt vmcnt(1)
	v_mov_b32_e32 v11, s16
	s_waitcnt vmcnt(0)
	v_and_b32_e32 v10, 0xffff, v10
.LBB214_2168:
	s_mov_b64 s[16:17], 0
.LBB214_2169:
	s_andn2_b64 vcc, exec, s[16:17]
	s_cbranch_vccnz .LBB214_2177
; %bb.2170:
	global_load_ubyte v15, v[12:13], off
	s_movk_i32 s16, 0x7f
	s_mov_b64 s[20:21], 0
	s_waitcnt vmcnt(0)
	v_cmp_lt_i16_e32 vcc, s16, v15
	s_and_saveexec_b64 s[16:17], vcc
	s_xor_b64 s[16:17], exec, s[16:17]
; %bb.2171:
	s_movk_i32 s20, 0x80
	v_cmp_ne_u16_e32 vcc, s20, v15
	s_and_b64 s[20:21], vcc, exec
; %bb.2172:
	s_andn2_saveexec_b64 s[16:17], s[16:17]
; %bb.2173:
	v_cmp_ne_u16_e32 vcc, 0, v15
	s_andn2_b64 s[20:21], s[20:21], exec
	s_and_b64 s[26:27], vcc, exec
	s_or_b64 s[20:21], s[20:21], s[26:27]
; %bb.2174:
	s_or_b64 exec, exec, s[16:17]
	v_mov_b32_e32 v10, 0
	v_mov_b32_e32 v11, 0
	s_and_saveexec_b64 s[16:17], s[20:21]
	s_cbranch_execz .LBB214_2176
; %bb.2175:
	v_and_b32_e32 v11, 0xffff, v15
	v_lshlrev_b32_e32 v10, 24, v15
	v_and_b32_e32 v15, 7, v11
	v_ffbh_u32_e32 v19, v15
	v_min_u32_e32 v19, 32, v19
	v_subrev_u32_e32 v20, 28, v19
	v_bfe_u32 v17, v11, 3, 4
	v_lshlrev_b32_e32 v11, v20, v11
	v_sub_u32_e32 v19, 29, v19
	v_and_b32_e32 v11, 7, v11
	v_cmp_eq_u32_e32 vcc, 0, v17
	v_cndmask_b32_e32 v17, v17, v19, vcc
	v_cndmask_b32_e32 v11, v15, v11, vcc
	v_mov_b32_e32 v15, 0x3b800000
	v_lshlrev_b32_e32 v11, 20, v11
	v_and_b32_e32 v10, 0x80000000, v10
	v_lshl_add_u32 v15, v17, 23, v15
	v_or3_b32 v10, v10, v15, v11
	v_trunc_f32_e32 v10, v10
	s_mov_b32 s20, 0x2f800000
	v_mul_f32_e64 v11, |v10|, s20
	v_floor_f32_e32 v11, v11
	s_mov_b32 s20, 0xcf800000
	v_fma_f32 v15, v11, s20, |v10|
	v_cvt_u32_f32_e32 v15, v15
	v_cvt_u32_f32_e32 v11, v11
	v_ashrrev_i32_e32 v17, 31, v10
	v_xor_b32_e32 v10, v15, v17
	v_xor_b32_e32 v11, v11, v17
	v_sub_co_u32_e32 v10, vcc, v10, v17
	v_subb_co_u32_e32 v11, vcc, v11, v17, vcc
.LBB214_2176:
	s_or_b64 exec, exec, s[16:17]
.LBB214_2177:
	s_mov_b64 s[16:17], -1
.LBB214_2178:
	s_mov_b64 s[20:21], 0
.LBB214_2179:
	s_and_b64 vcc, exec, s[20:21]
	s_cbranch_vccz .LBB214_2208
; %bb.2180:
	s_cmp_gt_i32 s23, 22
	s_cbranch_scc0 .LBB214_2190
; %bb.2181:
	s_cmp_lt_i32 s23, 24
	s_cbranch_scc1 .LBB214_2191
; %bb.2182:
	s_cmp_gt_i32 s23, 24
	s_cbranch_scc0 .LBB214_2192
; %bb.2183:
	global_load_ubyte v15, v[12:13], off
	s_movk_i32 s14, 0x7f
	s_mov_b64 s[16:17], 0
	s_waitcnt vmcnt(0)
	v_cmp_lt_i16_e32 vcc, s14, v15
	s_and_saveexec_b64 s[14:15], vcc
	s_xor_b64 s[14:15], exec, s[14:15]
; %bb.2184:
	s_movk_i32 s16, 0x80
	v_cmp_ne_u16_e32 vcc, s16, v15
	s_and_b64 s[16:17], vcc, exec
; %bb.2185:
	s_andn2_saveexec_b64 s[14:15], s[14:15]
; %bb.2186:
	v_cmp_ne_u16_e32 vcc, 0, v15
	s_andn2_b64 s[16:17], s[16:17], exec
	s_and_b64 s[20:21], vcc, exec
	s_or_b64 s[16:17], s[16:17], s[20:21]
; %bb.2187:
	s_or_b64 exec, exec, s[14:15]
	v_mov_b32_e32 v10, 0
	v_mov_b32_e32 v11, 0
	s_and_saveexec_b64 s[14:15], s[16:17]
	s_cbranch_execz .LBB214_2189
; %bb.2188:
	v_and_b32_e32 v11, 0xffff, v15
	v_lshlrev_b32_e32 v10, 24, v15
	v_and_b32_e32 v15, 3, v11
	v_ffbh_u32_e32 v19, v15
	v_min_u32_e32 v19, 32, v19
	v_subrev_u32_e32 v20, 29, v19
	v_bfe_u32 v17, v11, 2, 5
	v_lshlrev_b32_e32 v11, v20, v11
	v_sub_u32_e32 v19, 30, v19
	v_and_b32_e32 v11, 3, v11
	v_cmp_eq_u32_e32 vcc, 0, v17
	v_cndmask_b32_e32 v17, v17, v19, vcc
	v_cndmask_b32_e32 v11, v15, v11, vcc
	v_mov_b32_e32 v15, 0x37800000
	v_lshlrev_b32_e32 v11, 21, v11
	v_and_b32_e32 v10, 0x80000000, v10
	v_lshl_add_u32 v15, v17, 23, v15
	v_or3_b32 v10, v10, v15, v11
	v_trunc_f32_e32 v10, v10
	s_mov_b32 s16, 0x2f800000
	v_mul_f32_e64 v11, |v10|, s16
	v_floor_f32_e32 v11, v11
	s_mov_b32 s16, 0xcf800000
	v_fma_f32 v15, v11, s16, |v10|
	v_cvt_u32_f32_e32 v15, v15
	v_cvt_u32_f32_e32 v11, v11
	v_ashrrev_i32_e32 v17, 31, v10
	v_xor_b32_e32 v10, v15, v17
	v_xor_b32_e32 v11, v11, v17
	v_sub_co_u32_e32 v10, vcc, v10, v17
	v_subb_co_u32_e32 v11, vcc, v11, v17, vcc
.LBB214_2189:
	s_or_b64 exec, exec, s[14:15]
	s_mov_b64 s[14:15], 0
	s_branch .LBB214_2193
.LBB214_2190:
	s_mov_b64 s[14:15], -1
                                        ; implicit-def: $vgpr10_vgpr11
	s_branch .LBB214_2199
.LBB214_2191:
	s_mov_b64 s[14:15], -1
                                        ; implicit-def: $vgpr10_vgpr11
	s_branch .LBB214_2196
.LBB214_2192:
	s_mov_b64 s[14:15], -1
                                        ; implicit-def: $vgpr10_vgpr11
.LBB214_2193:
	s_and_b64 vcc, exec, s[14:15]
	s_cbranch_vccz .LBB214_2195
; %bb.2194:
	global_load_ubyte v10, v[12:13], off
	s_mov_b32 s14, 0x7f800000
	s_brev_b32 s15, 1
	s_mov_b32 s16, 0x2f800000
	s_mov_b32 s17, 0xcf800000
	s_waitcnt vmcnt(0)
	v_lshlrev_b32_e32 v10, 24, v10
	v_and_b32_e32 v11, 0x7f000000, v10
	v_ffbh_u32_e32 v15, v11
	v_min_u32_e32 v15, 32, v15
	v_sub_u32_e64 v15, v15, 4 clamp
	v_lshlrev_b32_e32 v19, v15, v11
	v_lshlrev_b32_e32 v15, 23, v15
	v_lshrrev_b32_e32 v19, 4, v19
	v_add_u32_e32 v17, 0x1000000, v11
	v_sub_u32_e32 v15, v19, v15
	v_ashrrev_i32_e32 v17, 8, v17
	v_add_u32_e32 v15, 0x3c000000, v15
	v_and_or_b32 v15, v17, s14, v15
	v_cmp_ne_u32_e32 vcc, 0, v11
	v_cndmask_b32_e32 v11, 0, v15, vcc
	v_and_or_b32 v10, v10, s15, v11
	v_trunc_f32_e32 v10, v10
	v_mul_f32_e64 v11, |v10|, s16
	v_floor_f32_e32 v11, v11
	v_fma_f32 v15, v11, s17, |v10|
	v_cvt_u32_f32_e32 v15, v15
	v_cvt_u32_f32_e32 v11, v11
	v_ashrrev_i32_e32 v17, 31, v10
	v_xor_b32_e32 v10, v15, v17
	v_xor_b32_e32 v11, v11, v17
	v_sub_co_u32_e32 v10, vcc, v10, v17
	v_subb_co_u32_e32 v11, vcc, v11, v17, vcc
.LBB214_2195:
	s_mov_b64 s[14:15], 0
.LBB214_2196:
	s_andn2_b64 vcc, exec, s[14:15]
	s_cbranch_vccnz .LBB214_2198
; %bb.2197:
	global_load_ubyte v10, v[12:13], off
	s_movk_i32 s14, 0x7f00
	s_brev_b32 s15, 16
	s_brev_b32 s16, 1
	s_mov_b32 s17, 0x2f800000
	s_mov_b32 s20, 0xcf800000
	s_waitcnt vmcnt(0)
	v_lshlrev_b16_e32 v11, 8, v10
	v_lshlrev_b32_e32 v10, 25, v10
	v_lshrrev_b32_e32 v15, 4, v10
	v_and_or_b32 v17, v11, s14, 0.5
	v_or_b32_e32 v15, 0x70000000, v15
	v_add_f32_e32 v17, -0.5, v17
	v_mul_f32_e32 v15, 0x7800000, v15
	v_cmp_gt_u32_e32 vcc, s15, v10
	v_bfe_i32 v11, v11, 0, 16
	v_cndmask_b32_e32 v10, v15, v17, vcc
	v_and_or_b32 v10, v11, s16, v10
	v_trunc_f32_e32 v10, v10
	v_mul_f32_e64 v11, |v10|, s17
	v_floor_f32_e32 v11, v11
	v_fma_f32 v15, v11, s20, |v10|
	v_cvt_u32_f32_e32 v15, v15
	v_cvt_u32_f32_e32 v11, v11
	v_ashrrev_i32_e32 v17, 31, v10
	v_xor_b32_e32 v10, v15, v17
	v_xor_b32_e32 v11, v11, v17
	v_sub_co_u32_e32 v10, vcc, v10, v17
	v_subb_co_u32_e32 v11, vcc, v11, v17, vcc
.LBB214_2198:
	s_mov_b64 s[14:15], 0
	s_mov_b64 s[16:17], -1
.LBB214_2199:
	s_andn2_b64 vcc, exec, s[14:15]
	s_mov_b64 s[14:15], 0
	s_cbranch_vccnz .LBB214_2208
; %bb.2200:
	s_cmp_gt_i32 s23, 14
	s_cbranch_scc0 .LBB214_2203
; %bb.2201:
	s_cmp_eq_u32 s23, 15
	s_cbranch_scc0 .LBB214_2204
; %bb.2202:
	global_load_ushort v10, v[12:13], off
	s_mov_b32 s0, 0x2f800000
	s_mov_b32 s1, 0xcf800000
	s_mov_b64 s[16:17], -1
	s_waitcnt vmcnt(0)
	v_lshlrev_b32_e32 v10, 16, v10
	v_trunc_f32_e32 v10, v10
	v_mul_f32_e64 v11, |v10|, s0
	v_floor_f32_e32 v11, v11
	v_fma_f32 v15, v11, s1, |v10|
	v_cvt_u32_f32_e32 v15, v15
	v_cvt_u32_f32_e32 v11, v11
	v_ashrrev_i32_e32 v17, 31, v10
	s_mov_b64 s[0:1], 0
	v_xor_b32_e32 v10, v15, v17
	v_xor_b32_e32 v11, v11, v17
	v_sub_co_u32_e32 v10, vcc, v10, v17
	v_subb_co_u32_e32 v11, vcc, v11, v17, vcc
	s_branch .LBB214_2205
.LBB214_2203:
	s_mov_b64 s[20:21], -1
                                        ; implicit-def: $vgpr10_vgpr11
	s_branch .LBB214_2206
.LBB214_2204:
	s_mov_b64 s[0:1], -1
                                        ; implicit-def: $vgpr10_vgpr11
.LBB214_2205:
	s_mov_b64 s[20:21], 0
.LBB214_2206:
	s_and_b64 vcc, exec, s[20:21]
	s_cbranch_vccz .LBB214_2208
; %bb.2207:
	s_cmp_lg_u32 s23, 11
	s_mov_b64 s[14:15], -1
	s_cselect_b64 s[0:1], -1, 0
.LBB214_2208:
	s_and_b64 vcc, exec, s[0:1]
	s_cbranch_vccnz .LBB214_2273
; %bb.2209:
	s_andn2_b64 vcc, exec, s[14:15]
	s_cbranch_vccnz .LBB214_2211
.LBB214_2210:
	global_load_ubyte v10, v[12:13], off
	s_mov_b32 s0, 0
	s_waitcnt vmcnt(1)
	v_mov_b32_e32 v11, s0
	s_mov_b64 s[16:17], -1
	s_waitcnt vmcnt(0)
	v_cmp_ne_u16_e32 vcc, 0, v10
	v_cndmask_b32_e64 v10, 0, 1, vcc
.LBB214_2211:
	s_mov_b64 s[0:1], 0
.LBB214_2212:
	s_and_b64 vcc, exec, s[0:1]
	s_cbranch_vccz .LBB214_2261
; %bb.2213:
	s_and_b32 s14, 0xffff, s25
	s_cmp_lt_i32 s14, 5
	s_cbranch_scc1 .LBB214_2218
; %bb.2214:
	s_cmp_lt_i32 s14, 8
	s_cbranch_scc1 .LBB214_2219
; %bb.2215:
	;; [unrolled: 3-line block ×3, first 2 shown]
	s_cmp_gt_i32 s14, 9
	s_cbranch_scc0 .LBB214_2221
; %bb.2217:
	global_load_dwordx2 v[10:11], v[12:13], off
	s_movk_i32 s0, 0xffe0
	s_waitcnt vmcnt(0)
	v_trunc_f64_e32 v[10:11], v[10:11]
	v_ldexp_f64 v[19:20], v[10:11], s0
	s_mov_b32 s0, 0
	s_mov_b32 s1, 0xc1f00000
	v_floor_f64_e32 v[19:20], v[19:20]
	v_fma_f64 v[21:22], v[19:20], s[0:1], v[10:11]
	v_cvt_i32_f64_e32 v11, v[19:20]
	s_mov_b64 s[0:1], 0
	v_cvt_u32_f64_e32 v10, v[21:22]
	s_branch .LBB214_2222
.LBB214_2218:
	s_mov_b64 s[0:1], -1
                                        ; implicit-def: $vgpr10_vgpr11
	s_branch .LBB214_2240
.LBB214_2219:
	s_mov_b64 s[0:1], -1
                                        ; implicit-def: $vgpr10_vgpr11
	s_branch .LBB214_2228
.LBB214_2220:
	s_mov_b64 s[0:1], -1
                                        ; implicit-def: $vgpr10_vgpr11
	s_branch .LBB214_2225
.LBB214_2221:
	s_mov_b64 s[0:1], -1
                                        ; implicit-def: $vgpr10_vgpr11
.LBB214_2222:
	s_andn2_b64 vcc, exec, s[0:1]
	s_cbranch_vccnz .LBB214_2224
; %bb.2223:
	global_load_dword v10, v[12:13], off
	s_mov_b32 s0, 0x2f800000
	s_mov_b32 s1, 0xcf800000
	s_waitcnt vmcnt(0)
	v_trunc_f32_e32 v10, v10
	v_mul_f32_e64 v11, |v10|, s0
	v_floor_f32_e32 v11, v11
	v_cvt_u32_f32_e32 v15, v11
	v_fma_f32 v11, v11, s1, |v10|
	v_cvt_u32_f32_e32 v11, v11
	v_ashrrev_i32_e32 v17, 31, v10
	v_xor_b32_e32 v15, v15, v17
	v_xor_b32_e32 v10, v11, v17
	v_sub_co_u32_e32 v10, vcc, v10, v17
	v_subb_co_u32_e32 v11, vcc, v15, v17, vcc
.LBB214_2224:
	s_mov_b64 s[0:1], 0
.LBB214_2225:
	s_andn2_b64 vcc, exec, s[0:1]
	s_cbranch_vccnz .LBB214_2227
; %bb.2226:
	global_load_dword v10, v[12:13], off
	s_waitcnt vmcnt(0)
	v_cvt_f32_f16_e32 v10, v10
	v_cvt_i32_f32_e32 v10, v10
	v_ashrrev_i32_e32 v11, 31, v10
.LBB214_2227:
	s_mov_b64 s[0:1], 0
.LBB214_2228:
	s_andn2_b64 vcc, exec, s[0:1]
	s_cbranch_vccnz .LBB214_2239
; %bb.2229:
	s_cmp_lt_i32 s14, 6
	s_cbranch_scc1 .LBB214_2232
; %bb.2230:
	s_cmp_gt_i32 s14, 6
	s_cbranch_scc0 .LBB214_2233
; %bb.2231:
	global_load_dwordx2 v[10:11], v[12:13], off
	s_movk_i32 s0, 0xffe0
	s_waitcnt vmcnt(0)
	v_trunc_f64_e32 v[10:11], v[10:11]
	v_ldexp_f64 v[19:20], v[10:11], s0
	s_mov_b32 s0, 0
	s_mov_b32 s1, 0xc1f00000
	v_floor_f64_e32 v[19:20], v[19:20]
	v_fma_f64 v[21:22], v[19:20], s[0:1], v[10:11]
	v_cvt_i32_f64_e32 v11, v[19:20]
	s_mov_b64 s[0:1], 0
	v_cvt_u32_f64_e32 v10, v[21:22]
	s_branch .LBB214_2234
.LBB214_2232:
	s_mov_b64 s[0:1], -1
                                        ; implicit-def: $vgpr10_vgpr11
	s_branch .LBB214_2237
.LBB214_2233:
	s_mov_b64 s[0:1], -1
                                        ; implicit-def: $vgpr10_vgpr11
.LBB214_2234:
	s_andn2_b64 vcc, exec, s[0:1]
	s_cbranch_vccnz .LBB214_2236
; %bb.2235:
	global_load_dword v10, v[12:13], off
	s_mov_b32 s0, 0x2f800000
	s_mov_b32 s1, 0xcf800000
	s_waitcnt vmcnt(0)
	v_trunc_f32_e32 v10, v10
	v_mul_f32_e64 v11, |v10|, s0
	v_floor_f32_e32 v11, v11
	v_cvt_u32_f32_e32 v15, v11
	v_fma_f32 v11, v11, s1, |v10|
	v_cvt_u32_f32_e32 v11, v11
	v_ashrrev_i32_e32 v17, 31, v10
	v_xor_b32_e32 v15, v15, v17
	v_xor_b32_e32 v10, v11, v17
	v_sub_co_u32_e32 v10, vcc, v10, v17
	v_subb_co_u32_e32 v11, vcc, v15, v17, vcc
.LBB214_2236:
	s_mov_b64 s[0:1], 0
.LBB214_2237:
	s_andn2_b64 vcc, exec, s[0:1]
	s_cbranch_vccnz .LBB214_2239
; %bb.2238:
	global_load_ushort v10, v[12:13], off
	s_waitcnt vmcnt(0)
	v_cvt_f32_f16_e32 v10, v10
	v_cvt_i32_f32_e32 v10, v10
	v_ashrrev_i32_e32 v11, 31, v10
.LBB214_2239:
	s_mov_b64 s[0:1], 0
.LBB214_2240:
	s_andn2_b64 vcc, exec, s[0:1]
	s_cbranch_vccnz .LBB214_2260
; %bb.2241:
	s_cmp_lt_i32 s14, 2
	s_cbranch_scc1 .LBB214_2245
; %bb.2242:
	s_cmp_lt_i32 s14, 3
	s_cbranch_scc1 .LBB214_2246
; %bb.2243:
	s_cmp_gt_i32 s14, 3
	s_cbranch_scc0 .LBB214_2247
; %bb.2244:
	global_load_dwordx2 v[10:11], v[12:13], off
	s_mov_b64 s[0:1], 0
	s_branch .LBB214_2248
.LBB214_2245:
	s_mov_b64 s[0:1], -1
                                        ; implicit-def: $vgpr10_vgpr11
	s_branch .LBB214_2254
.LBB214_2246:
	s_mov_b64 s[0:1], -1
                                        ; implicit-def: $vgpr10_vgpr11
	s_branch .LBB214_2251
.LBB214_2247:
	s_mov_b64 s[0:1], -1
                                        ; implicit-def: $vgpr10_vgpr11
.LBB214_2248:
	s_andn2_b64 vcc, exec, s[0:1]
	s_cbranch_vccnz .LBB214_2250
; %bb.2249:
	global_load_dword v10, v[12:13], off
	s_waitcnt vmcnt(0)
	v_ashrrev_i32_e32 v11, 31, v10
.LBB214_2250:
	s_mov_b64 s[0:1], 0
.LBB214_2251:
	s_andn2_b64 vcc, exec, s[0:1]
	s_cbranch_vccnz .LBB214_2253
; %bb.2252:
	global_load_ushort v10, v[12:13], off
	s_waitcnt vmcnt(0)
	v_bfe_i32 v10, v10, 0, 16
	v_ashrrev_i32_e32 v11, 31, v10
.LBB214_2253:
	s_mov_b64 s[0:1], 0
.LBB214_2254:
	s_andn2_b64 vcc, exec, s[0:1]
	s_cbranch_vccnz .LBB214_2260
; %bb.2255:
	s_cmp_gt_i32 s14, 0
	s_cbranch_scc0 .LBB214_2257
; %bb.2256:
	global_load_sbyte v10, v[12:13], off
	s_mov_b64 s[0:1], 0
	s_waitcnt vmcnt(0)
	v_bfe_i32 v10, v10, 0, 16
	v_ashrrev_i32_e32 v11, 31, v10
	s_branch .LBB214_2258
.LBB214_2257:
	s_mov_b64 s[0:1], -1
                                        ; implicit-def: $vgpr10_vgpr11
.LBB214_2258:
	s_andn2_b64 vcc, exec, s[0:1]
	s_cbranch_vccnz .LBB214_2260
; %bb.2259:
	global_load_ubyte v10, v[12:13], off
	s_mov_b32 s0, 0
	s_waitcnt vmcnt(1)
	v_mov_b32_e32 v11, s0
	s_waitcnt vmcnt(0)
	v_and_b32_e32 v10, 0xffff, v10
.LBB214_2260:
	s_mov_b64 s[16:17], -1
.LBB214_2261:
	s_andn2_b64 vcc, exec, s[16:17]
	s_cbranch_vccnz .LBB214_2947
; %bb.2262:
	v_add_u32_e32 v12, s13, v14
	v_ashrrev_i32_e32 v13, 31, v12
	v_mov_b32_e32 v15, s11
	v_add_co_u32_e32 v14, vcc, s10, v12
	s_cmp_lt_i32 s24, 11
	v_addc_co_u32_e32 v15, vcc, v15, v13, vcc
	s_cbranch_scc1 .LBB214_2269
; %bb.2263:
	s_and_b32 s13, 0xffff, s24
	s_cmp_gt_i32 s13, 25
	s_mov_b64 s[10:11], 0
	s_cbranch_scc0 .LBB214_2270
; %bb.2264:
	s_cmp_gt_i32 s13, 28
	s_cbranch_scc0 .LBB214_2271
; %bb.2265:
	s_cmp_gt_i32 s13, 43
	;; [unrolled: 3-line block ×3, first 2 shown]
	s_cbranch_scc0 .LBB214_2274
; %bb.2267:
	s_cmp_eq_u32 s13, 46
	s_mov_b64 s[16:17], 0
	s_cbranch_scc0 .LBB214_2275
; %bb.2268:
	global_load_dword v12, v[14:15], off
	s_mov_b32 s0, 0x2f800000
	s_mov_b32 s1, 0xcf800000
	s_mov_b64 s[14:15], -1
	s_waitcnt vmcnt(0)
	v_lshlrev_b32_e32 v12, 16, v12
	v_trunc_f32_e32 v12, v12
	v_mul_f32_e64 v13, |v12|, s0
	v_floor_f32_e32 v13, v13
	v_fma_f32 v17, v13, s1, |v12|
	v_cvt_u32_f32_e32 v17, v17
	v_cvt_u32_f32_e32 v13, v13
	v_ashrrev_i32_e32 v19, 31, v12
	s_mov_b64 s[0:1], 0
	v_xor_b32_e32 v12, v17, v19
	v_xor_b32_e32 v13, v13, v19
	v_sub_co_u32_e32 v12, vcc, v12, v19
	v_subb_co_u32_e32 v13, vcc, v13, v19, vcc
	s_branch .LBB214_2276
.LBB214_2269:
	s_mov_b64 s[0:1], -1
	s_mov_b64 s[14:15], 0
                                        ; implicit-def: $vgpr12_vgpr13
	s_branch .LBB214_2338
.LBB214_2270:
	s_mov_b64 s[16:17], -1
	s_mov_b64 s[14:15], 0
	s_mov_b64 s[0:1], 0
                                        ; implicit-def: $vgpr12_vgpr13
	s_branch .LBB214_2305
.LBB214_2271:
	s_mov_b64 s[16:17], -1
	s_mov_b64 s[14:15], 0
	s_mov_b64 s[0:1], 0
                                        ; implicit-def: $vgpr12_vgpr13
	s_branch .LBB214_2286
.LBB214_2272:
	s_mov_b64 s[16:17], -1
	s_mov_b64 s[14:15], 0
	s_mov_b64 s[0:1], 0
                                        ; implicit-def: $vgpr12_vgpr13
	s_branch .LBB214_2281
.LBB214_2273:
	s_trap 2
	s_or_b64 s[18:19], s[18:19], exec
	s_cbranch_execz .LBB214_2210
	s_branch .LBB214_2211
.LBB214_2274:
	s_mov_b64 s[16:17], -1
	s_mov_b64 s[14:15], 0
	s_mov_b64 s[0:1], 0
                                        ; implicit-def: $vgpr12_vgpr13
	s_branch .LBB214_2276
.LBB214_2275:
	s_mov_b64 s[0:1], -1
                                        ; implicit-def: $vgpr12_vgpr13
	s_mov_b64 s[14:15], 0
.LBB214_2276:
	s_and_b64 vcc, exec, s[16:17]
	s_cbranch_vccz .LBB214_2280
; %bb.2277:
	s_cmp_eq_u32 s13, 44
	s_cbranch_scc0 .LBB214_2279
; %bb.2278:
	global_load_ubyte v12, v[14:15], off
	s_mov_b32 s0, 0x2f800000
	s_mov_b32 s1, 0xcf800000
	s_mov_b64 s[14:15], -1
	s_waitcnt vmcnt(0)
	v_lshlrev_b32_e32 v13, 23, v12
	v_trunc_f32_e32 v13, v13
	v_mul_f32_e64 v17, |v13|, s0
	v_floor_f32_e32 v17, v17
	v_fma_f32 v19, v17, s1, |v13|
	v_cvt_u32_f32_e32 v19, v19
	v_cvt_u32_f32_e32 v17, v17
	v_ashrrev_i32_e32 v13, 31, v13
	s_mov_b64 s[0:1], 0
	v_xor_b32_e32 v19, v19, v13
	v_xor_b32_e32 v17, v17, v13
	v_sub_co_u32_e32 v19, vcc, v19, v13
	v_subb_co_u32_e32 v13, vcc, v17, v13, vcc
	v_cmp_ne_u32_e32 vcc, 0, v12
	v_cndmask_b32_e32 v13, 0, v13, vcc
	v_cndmask_b32_e32 v12, 0, v19, vcc
	s_branch .LBB214_2280
.LBB214_2279:
	s_mov_b64 s[0:1], -1
                                        ; implicit-def: $vgpr12_vgpr13
.LBB214_2280:
	s_mov_b64 s[16:17], 0
.LBB214_2281:
	s_and_b64 vcc, exec, s[16:17]
	s_cbranch_vccz .LBB214_2285
; %bb.2282:
	s_cmp_eq_u32 s13, 29
	s_cbranch_scc0 .LBB214_2284
; %bb.2283:
	global_load_dwordx2 v[12:13], v[14:15], off
	s_mov_b64 s[0:1], 0
	s_mov_b64 s[14:15], -1
	s_branch .LBB214_2285
.LBB214_2284:
	s_mov_b64 s[0:1], -1
                                        ; implicit-def: $vgpr12_vgpr13
.LBB214_2285:
	s_mov_b64 s[16:17], 0
.LBB214_2286:
	s_and_b64 vcc, exec, s[16:17]
	s_cbranch_vccz .LBB214_2304
; %bb.2287:
	s_cmp_lt_i32 s13, 27
	s_cbranch_scc1 .LBB214_2290
; %bb.2288:
	s_cmp_gt_i32 s13, 27
	s_cbranch_scc0 .LBB214_2291
; %bb.2289:
	global_load_dword v12, v[14:15], off
	s_waitcnt vmcnt(1)
	v_mov_b32_e32 v13, 0
	s_mov_b64 s[14:15], 0
	s_branch .LBB214_2292
.LBB214_2290:
	s_mov_b64 s[14:15], -1
                                        ; implicit-def: $vgpr12_vgpr13
	s_branch .LBB214_2295
.LBB214_2291:
	s_mov_b64 s[14:15], -1
                                        ; implicit-def: $vgpr12_vgpr13
.LBB214_2292:
	s_andn2_b64 vcc, exec, s[14:15]
	s_cbranch_vccnz .LBB214_2294
; %bb.2293:
	global_load_ushort v12, v[14:15], off
	s_mov_b32 s14, 0
	s_waitcnt vmcnt(1)
	v_mov_b32_e32 v13, s14
	s_waitcnt vmcnt(0)
	v_and_b32_e32 v12, 0xffff, v12
.LBB214_2294:
	s_mov_b64 s[14:15], 0
.LBB214_2295:
	s_andn2_b64 vcc, exec, s[14:15]
	s_cbranch_vccnz .LBB214_2303
; %bb.2296:
	global_load_ubyte v17, v[14:15], off
	s_movk_i32 s14, 0x7f
	s_mov_b64 s[16:17], 0
	s_waitcnt vmcnt(0)
	v_cmp_lt_i16_e32 vcc, s14, v17
	s_and_saveexec_b64 s[14:15], vcc
	s_xor_b64 s[14:15], exec, s[14:15]
; %bb.2297:
	s_movk_i32 s16, 0x80
	v_cmp_ne_u16_e32 vcc, s16, v17
	s_and_b64 s[16:17], vcc, exec
; %bb.2298:
	s_andn2_saveexec_b64 s[14:15], s[14:15]
; %bb.2299:
	v_cmp_ne_u16_e32 vcc, 0, v17
	s_andn2_b64 s[16:17], s[16:17], exec
	s_and_b64 s[20:21], vcc, exec
	s_or_b64 s[16:17], s[16:17], s[20:21]
; %bb.2300:
	s_or_b64 exec, exec, s[14:15]
	v_mov_b32_e32 v12, 0
	v_mov_b32_e32 v13, 0
	s_and_saveexec_b64 s[14:15], s[16:17]
	s_cbranch_execz .LBB214_2302
; %bb.2301:
	v_and_b32_e32 v13, 0xffff, v17
	v_lshlrev_b32_e32 v12, 24, v17
	v_and_b32_e32 v17, 7, v13
	v_ffbh_u32_e32 v20, v17
	v_min_u32_e32 v20, 32, v20
	v_subrev_u32_e32 v21, 28, v20
	v_bfe_u32 v19, v13, 3, 4
	v_lshlrev_b32_e32 v13, v21, v13
	v_sub_u32_e32 v20, 29, v20
	v_and_b32_e32 v13, 7, v13
	v_cmp_eq_u32_e32 vcc, 0, v19
	v_cndmask_b32_e32 v19, v19, v20, vcc
	v_cndmask_b32_e32 v13, v17, v13, vcc
	v_mov_b32_e32 v17, 0x3b800000
	v_lshlrev_b32_e32 v13, 20, v13
	v_and_b32_e32 v12, 0x80000000, v12
	v_lshl_add_u32 v17, v19, 23, v17
	v_or3_b32 v12, v12, v17, v13
	v_trunc_f32_e32 v12, v12
	s_mov_b32 s16, 0x2f800000
	v_mul_f32_e64 v13, |v12|, s16
	v_floor_f32_e32 v13, v13
	s_mov_b32 s16, 0xcf800000
	v_fma_f32 v17, v13, s16, |v12|
	v_cvt_u32_f32_e32 v17, v17
	v_cvt_u32_f32_e32 v13, v13
	v_ashrrev_i32_e32 v19, 31, v12
	v_xor_b32_e32 v12, v17, v19
	v_xor_b32_e32 v13, v13, v19
	v_sub_co_u32_e32 v12, vcc, v12, v19
	v_subb_co_u32_e32 v13, vcc, v13, v19, vcc
.LBB214_2302:
	s_or_b64 exec, exec, s[14:15]
.LBB214_2303:
	s_mov_b64 s[14:15], -1
.LBB214_2304:
	s_mov_b64 s[16:17], 0
.LBB214_2305:
	s_and_b64 vcc, exec, s[16:17]
	s_cbranch_vccz .LBB214_2334
; %bb.2306:
	s_cmp_gt_i32 s13, 22
	s_cbranch_scc0 .LBB214_2316
; %bb.2307:
	s_cmp_lt_i32 s13, 24
	s_cbranch_scc1 .LBB214_2317
; %bb.2308:
	s_cmp_gt_i32 s13, 24
	s_cbranch_scc0 .LBB214_2318
; %bb.2309:
	global_load_ubyte v17, v[14:15], off
	s_movk_i32 s10, 0x7f
	s_mov_b64 s[14:15], 0
	s_waitcnt vmcnt(0)
	v_cmp_lt_i16_e32 vcc, s10, v17
	s_and_saveexec_b64 s[10:11], vcc
	s_xor_b64 s[10:11], exec, s[10:11]
; %bb.2310:
	s_movk_i32 s14, 0x80
	v_cmp_ne_u16_e32 vcc, s14, v17
	s_and_b64 s[14:15], vcc, exec
; %bb.2311:
	s_andn2_saveexec_b64 s[10:11], s[10:11]
; %bb.2312:
	v_cmp_ne_u16_e32 vcc, 0, v17
	s_andn2_b64 s[14:15], s[14:15], exec
	s_and_b64 s[16:17], vcc, exec
	s_or_b64 s[14:15], s[14:15], s[16:17]
; %bb.2313:
	s_or_b64 exec, exec, s[10:11]
	v_mov_b32_e32 v12, 0
	v_mov_b32_e32 v13, 0
	s_and_saveexec_b64 s[10:11], s[14:15]
	s_cbranch_execz .LBB214_2315
; %bb.2314:
	v_and_b32_e32 v13, 0xffff, v17
	v_lshlrev_b32_e32 v12, 24, v17
	v_and_b32_e32 v17, 3, v13
	v_ffbh_u32_e32 v20, v17
	v_min_u32_e32 v20, 32, v20
	v_subrev_u32_e32 v21, 29, v20
	v_bfe_u32 v19, v13, 2, 5
	v_lshlrev_b32_e32 v13, v21, v13
	v_sub_u32_e32 v20, 30, v20
	v_and_b32_e32 v13, 3, v13
	v_cmp_eq_u32_e32 vcc, 0, v19
	v_cndmask_b32_e32 v19, v19, v20, vcc
	v_cndmask_b32_e32 v13, v17, v13, vcc
	v_mov_b32_e32 v17, 0x37800000
	v_lshlrev_b32_e32 v13, 21, v13
	v_and_b32_e32 v12, 0x80000000, v12
	v_lshl_add_u32 v17, v19, 23, v17
	v_or3_b32 v12, v12, v17, v13
	v_trunc_f32_e32 v12, v12
	s_mov_b32 s14, 0x2f800000
	v_mul_f32_e64 v13, |v12|, s14
	v_floor_f32_e32 v13, v13
	s_mov_b32 s14, 0xcf800000
	v_fma_f32 v17, v13, s14, |v12|
	v_cvt_u32_f32_e32 v17, v17
	v_cvt_u32_f32_e32 v13, v13
	v_ashrrev_i32_e32 v19, 31, v12
	v_xor_b32_e32 v12, v17, v19
	v_xor_b32_e32 v13, v13, v19
	v_sub_co_u32_e32 v12, vcc, v12, v19
	v_subb_co_u32_e32 v13, vcc, v13, v19, vcc
.LBB214_2315:
	s_or_b64 exec, exec, s[10:11]
	s_mov_b64 s[10:11], 0
	s_branch .LBB214_2319
.LBB214_2316:
	s_mov_b64 s[10:11], -1
                                        ; implicit-def: $vgpr12_vgpr13
	s_branch .LBB214_2325
.LBB214_2317:
	s_mov_b64 s[10:11], -1
                                        ; implicit-def: $vgpr12_vgpr13
	s_branch .LBB214_2322
.LBB214_2318:
	s_mov_b64 s[10:11], -1
                                        ; implicit-def: $vgpr12_vgpr13
.LBB214_2319:
	s_and_b64 vcc, exec, s[10:11]
	s_cbranch_vccz .LBB214_2321
; %bb.2320:
	global_load_ubyte v12, v[14:15], off
	s_mov_b32 s10, 0x7f800000
	s_brev_b32 s11, 1
	s_mov_b32 s14, 0x2f800000
	s_mov_b32 s15, 0xcf800000
	s_waitcnt vmcnt(0)
	v_lshlrev_b32_e32 v12, 24, v12
	v_and_b32_e32 v13, 0x7f000000, v12
	v_ffbh_u32_e32 v17, v13
	v_min_u32_e32 v17, 32, v17
	v_sub_u32_e64 v17, v17, 4 clamp
	v_lshlrev_b32_e32 v20, v17, v13
	v_lshlrev_b32_e32 v17, 23, v17
	v_lshrrev_b32_e32 v20, 4, v20
	v_add_u32_e32 v19, 0x1000000, v13
	v_sub_u32_e32 v17, v20, v17
	v_ashrrev_i32_e32 v19, 8, v19
	v_add_u32_e32 v17, 0x3c000000, v17
	v_and_or_b32 v17, v19, s10, v17
	v_cmp_ne_u32_e32 vcc, 0, v13
	v_cndmask_b32_e32 v13, 0, v17, vcc
	v_and_or_b32 v12, v12, s11, v13
	v_trunc_f32_e32 v12, v12
	v_mul_f32_e64 v13, |v12|, s14
	v_floor_f32_e32 v13, v13
	v_fma_f32 v17, v13, s15, |v12|
	v_cvt_u32_f32_e32 v17, v17
	v_cvt_u32_f32_e32 v13, v13
	v_ashrrev_i32_e32 v19, 31, v12
	v_xor_b32_e32 v12, v17, v19
	v_xor_b32_e32 v13, v13, v19
	v_sub_co_u32_e32 v12, vcc, v12, v19
	v_subb_co_u32_e32 v13, vcc, v13, v19, vcc
.LBB214_2321:
	s_mov_b64 s[10:11], 0
.LBB214_2322:
	s_andn2_b64 vcc, exec, s[10:11]
	s_cbranch_vccnz .LBB214_2324
; %bb.2323:
	global_load_ubyte v12, v[14:15], off
	s_movk_i32 s10, 0x7f00
	s_brev_b32 s11, 16
	s_brev_b32 s14, 1
	s_mov_b32 s15, 0x2f800000
	s_mov_b32 s16, 0xcf800000
	s_waitcnt vmcnt(0)
	v_lshlrev_b16_e32 v13, 8, v12
	v_lshlrev_b32_e32 v12, 25, v12
	v_lshrrev_b32_e32 v17, 4, v12
	v_and_or_b32 v19, v13, s10, 0.5
	v_or_b32_e32 v17, 0x70000000, v17
	v_add_f32_e32 v19, -0.5, v19
	v_mul_f32_e32 v17, 0x7800000, v17
	v_cmp_gt_u32_e32 vcc, s11, v12
	v_bfe_i32 v13, v13, 0, 16
	v_cndmask_b32_e32 v12, v17, v19, vcc
	v_and_or_b32 v12, v13, s14, v12
	v_trunc_f32_e32 v12, v12
	v_mul_f32_e64 v13, |v12|, s15
	v_floor_f32_e32 v13, v13
	v_fma_f32 v17, v13, s16, |v12|
	v_cvt_u32_f32_e32 v17, v17
	v_cvt_u32_f32_e32 v13, v13
	v_ashrrev_i32_e32 v19, 31, v12
	v_xor_b32_e32 v12, v17, v19
	v_xor_b32_e32 v13, v13, v19
	v_sub_co_u32_e32 v12, vcc, v12, v19
	v_subb_co_u32_e32 v13, vcc, v13, v19, vcc
.LBB214_2324:
	s_mov_b64 s[10:11], 0
	s_mov_b64 s[14:15], -1
.LBB214_2325:
	s_andn2_b64 vcc, exec, s[10:11]
	s_mov_b64 s[10:11], 0
	s_cbranch_vccnz .LBB214_2334
; %bb.2326:
	s_cmp_gt_i32 s13, 14
	s_cbranch_scc0 .LBB214_2329
; %bb.2327:
	s_cmp_eq_u32 s13, 15
	s_cbranch_scc0 .LBB214_2330
; %bb.2328:
	global_load_ushort v12, v[14:15], off
	s_mov_b32 s0, 0x2f800000
	s_mov_b32 s1, 0xcf800000
	s_mov_b64 s[14:15], -1
	s_waitcnt vmcnt(0)
	v_lshlrev_b32_e32 v12, 16, v12
	v_trunc_f32_e32 v12, v12
	v_mul_f32_e64 v13, |v12|, s0
	v_floor_f32_e32 v13, v13
	v_fma_f32 v17, v13, s1, |v12|
	v_cvt_u32_f32_e32 v17, v17
	v_cvt_u32_f32_e32 v13, v13
	v_ashrrev_i32_e32 v19, 31, v12
	s_mov_b64 s[0:1], 0
	v_xor_b32_e32 v12, v17, v19
	v_xor_b32_e32 v13, v13, v19
	v_sub_co_u32_e32 v12, vcc, v12, v19
	v_subb_co_u32_e32 v13, vcc, v13, v19, vcc
	s_branch .LBB214_2331
.LBB214_2329:
	s_mov_b64 s[16:17], -1
                                        ; implicit-def: $vgpr12_vgpr13
	s_branch .LBB214_2332
.LBB214_2330:
	s_mov_b64 s[0:1], -1
                                        ; implicit-def: $vgpr12_vgpr13
.LBB214_2331:
	s_mov_b64 s[16:17], 0
.LBB214_2332:
	s_and_b64 vcc, exec, s[16:17]
	s_cbranch_vccz .LBB214_2334
; %bb.2333:
	s_cmp_lg_u32 s13, 11
	s_mov_b64 s[10:11], -1
	s_cselect_b64 s[0:1], -1, 0
.LBB214_2334:
	s_and_b64 vcc, exec, s[0:1]
	s_cbranch_vccnz .LBB214_2399
; %bb.2335:
	s_andn2_b64 vcc, exec, s[10:11]
	s_cbranch_vccnz .LBB214_2337
.LBB214_2336:
	global_load_ubyte v12, v[14:15], off
	s_mov_b32 s0, 0
	s_waitcnt vmcnt(1)
	v_mov_b32_e32 v13, s0
	s_mov_b64 s[14:15], -1
	s_waitcnt vmcnt(0)
	v_cmp_ne_u16_e32 vcc, 0, v12
	v_cndmask_b32_e64 v12, 0, 1, vcc
.LBB214_2337:
	s_mov_b64 s[0:1], 0
.LBB214_2338:
	s_and_b64 vcc, exec, s[0:1]
	s_cbranch_vccz .LBB214_2387
; %bb.2339:
	s_and_b32 s10, 0xffff, s24
	s_cmp_lt_i32 s10, 5
	s_cbranch_scc1 .LBB214_2344
; %bb.2340:
	s_cmp_lt_i32 s10, 8
	s_cbranch_scc1 .LBB214_2345
; %bb.2341:
	;; [unrolled: 3-line block ×3, first 2 shown]
	s_cmp_gt_i32 s10, 9
	s_cbranch_scc0 .LBB214_2347
; %bb.2343:
	global_load_dwordx2 v[12:13], v[14:15], off
	s_movk_i32 s0, 0xffe0
	s_waitcnt vmcnt(0)
	v_trunc_f64_e32 v[12:13], v[12:13]
	v_ldexp_f64 v[19:20], v[12:13], s0
	s_mov_b32 s0, 0
	s_mov_b32 s1, 0xc1f00000
	v_floor_f64_e32 v[19:20], v[19:20]
	v_fma_f64 v[21:22], v[19:20], s[0:1], v[12:13]
	v_cvt_i32_f64_e32 v13, v[19:20]
	s_mov_b64 s[0:1], 0
	v_cvt_u32_f64_e32 v12, v[21:22]
	s_branch .LBB214_2348
.LBB214_2344:
	s_mov_b64 s[0:1], -1
                                        ; implicit-def: $vgpr12_vgpr13
	s_branch .LBB214_2366
.LBB214_2345:
	s_mov_b64 s[0:1], -1
                                        ; implicit-def: $vgpr12_vgpr13
	s_branch .LBB214_2354
.LBB214_2346:
	s_mov_b64 s[0:1], -1
                                        ; implicit-def: $vgpr12_vgpr13
	s_branch .LBB214_2351
.LBB214_2347:
	s_mov_b64 s[0:1], -1
                                        ; implicit-def: $vgpr12_vgpr13
.LBB214_2348:
	s_andn2_b64 vcc, exec, s[0:1]
	s_cbranch_vccnz .LBB214_2350
; %bb.2349:
	global_load_dword v12, v[14:15], off
	s_mov_b32 s0, 0x2f800000
	s_mov_b32 s1, 0xcf800000
	s_waitcnt vmcnt(0)
	v_trunc_f32_e32 v12, v12
	v_mul_f32_e64 v13, |v12|, s0
	v_floor_f32_e32 v13, v13
	v_cvt_u32_f32_e32 v17, v13
	v_fma_f32 v13, v13, s1, |v12|
	v_cvt_u32_f32_e32 v13, v13
	v_ashrrev_i32_e32 v19, 31, v12
	v_xor_b32_e32 v17, v17, v19
	v_xor_b32_e32 v12, v13, v19
	v_sub_co_u32_e32 v12, vcc, v12, v19
	v_subb_co_u32_e32 v13, vcc, v17, v19, vcc
.LBB214_2350:
	s_mov_b64 s[0:1], 0
.LBB214_2351:
	s_andn2_b64 vcc, exec, s[0:1]
	s_cbranch_vccnz .LBB214_2353
; %bb.2352:
	global_load_dword v12, v[14:15], off
	s_waitcnt vmcnt(0)
	v_cvt_f32_f16_e32 v12, v12
	v_cvt_i32_f32_e32 v12, v12
	v_ashrrev_i32_e32 v13, 31, v12
.LBB214_2353:
	s_mov_b64 s[0:1], 0
.LBB214_2354:
	s_andn2_b64 vcc, exec, s[0:1]
	s_cbranch_vccnz .LBB214_2365
; %bb.2355:
	s_cmp_lt_i32 s10, 6
	s_cbranch_scc1 .LBB214_2358
; %bb.2356:
	s_cmp_gt_i32 s10, 6
	s_cbranch_scc0 .LBB214_2359
; %bb.2357:
	global_load_dwordx2 v[12:13], v[14:15], off
	s_movk_i32 s0, 0xffe0
	s_waitcnt vmcnt(0)
	v_trunc_f64_e32 v[12:13], v[12:13]
	v_ldexp_f64 v[19:20], v[12:13], s0
	s_mov_b32 s0, 0
	s_mov_b32 s1, 0xc1f00000
	v_floor_f64_e32 v[19:20], v[19:20]
	v_fma_f64 v[21:22], v[19:20], s[0:1], v[12:13]
	v_cvt_i32_f64_e32 v13, v[19:20]
	s_mov_b64 s[0:1], 0
	v_cvt_u32_f64_e32 v12, v[21:22]
	s_branch .LBB214_2360
.LBB214_2358:
	s_mov_b64 s[0:1], -1
                                        ; implicit-def: $vgpr12_vgpr13
	s_branch .LBB214_2363
.LBB214_2359:
	s_mov_b64 s[0:1], -1
                                        ; implicit-def: $vgpr12_vgpr13
.LBB214_2360:
	s_andn2_b64 vcc, exec, s[0:1]
	s_cbranch_vccnz .LBB214_2362
; %bb.2361:
	global_load_dword v12, v[14:15], off
	s_mov_b32 s0, 0x2f800000
	s_mov_b32 s1, 0xcf800000
	s_waitcnt vmcnt(0)
	v_trunc_f32_e32 v12, v12
	v_mul_f32_e64 v13, |v12|, s0
	v_floor_f32_e32 v13, v13
	v_cvt_u32_f32_e32 v17, v13
	v_fma_f32 v13, v13, s1, |v12|
	v_cvt_u32_f32_e32 v13, v13
	v_ashrrev_i32_e32 v19, 31, v12
	v_xor_b32_e32 v17, v17, v19
	v_xor_b32_e32 v12, v13, v19
	v_sub_co_u32_e32 v12, vcc, v12, v19
	v_subb_co_u32_e32 v13, vcc, v17, v19, vcc
.LBB214_2362:
	s_mov_b64 s[0:1], 0
.LBB214_2363:
	s_andn2_b64 vcc, exec, s[0:1]
	s_cbranch_vccnz .LBB214_2365
; %bb.2364:
	global_load_ushort v12, v[14:15], off
	s_waitcnt vmcnt(0)
	v_cvt_f32_f16_e32 v12, v12
	v_cvt_i32_f32_e32 v12, v12
	v_ashrrev_i32_e32 v13, 31, v12
.LBB214_2365:
	s_mov_b64 s[0:1], 0
.LBB214_2366:
	s_andn2_b64 vcc, exec, s[0:1]
	s_cbranch_vccnz .LBB214_2386
; %bb.2367:
	s_cmp_lt_i32 s10, 2
	s_cbranch_scc1 .LBB214_2371
; %bb.2368:
	s_cmp_lt_i32 s10, 3
	s_cbranch_scc1 .LBB214_2372
; %bb.2369:
	s_cmp_gt_i32 s10, 3
	s_cbranch_scc0 .LBB214_2373
; %bb.2370:
	global_load_dwordx2 v[12:13], v[14:15], off
	s_mov_b64 s[0:1], 0
	s_branch .LBB214_2374
.LBB214_2371:
	s_mov_b64 s[0:1], -1
                                        ; implicit-def: $vgpr12_vgpr13
	s_branch .LBB214_2380
.LBB214_2372:
	s_mov_b64 s[0:1], -1
                                        ; implicit-def: $vgpr12_vgpr13
	s_branch .LBB214_2377
.LBB214_2373:
	s_mov_b64 s[0:1], -1
                                        ; implicit-def: $vgpr12_vgpr13
.LBB214_2374:
	s_andn2_b64 vcc, exec, s[0:1]
	s_cbranch_vccnz .LBB214_2376
; %bb.2375:
	global_load_dword v12, v[14:15], off
	s_waitcnt vmcnt(0)
	v_ashrrev_i32_e32 v13, 31, v12
.LBB214_2376:
	s_mov_b64 s[0:1], 0
.LBB214_2377:
	s_andn2_b64 vcc, exec, s[0:1]
	s_cbranch_vccnz .LBB214_2379
; %bb.2378:
	global_load_ushort v12, v[14:15], off
	s_waitcnt vmcnt(0)
	v_bfe_i32 v12, v12, 0, 16
	v_ashrrev_i32_e32 v13, 31, v12
.LBB214_2379:
	s_mov_b64 s[0:1], 0
.LBB214_2380:
	s_andn2_b64 vcc, exec, s[0:1]
	s_cbranch_vccnz .LBB214_2386
; %bb.2381:
	s_cmp_gt_i32 s10, 0
	s_cbranch_scc0 .LBB214_2383
; %bb.2382:
	global_load_sbyte v12, v[14:15], off
	s_mov_b64 s[0:1], 0
	s_waitcnt vmcnt(0)
	v_bfe_i32 v12, v12, 0, 16
	v_ashrrev_i32_e32 v13, 31, v12
	s_branch .LBB214_2384
.LBB214_2383:
	s_mov_b64 s[0:1], -1
                                        ; implicit-def: $vgpr12_vgpr13
.LBB214_2384:
	s_andn2_b64 vcc, exec, s[0:1]
	s_cbranch_vccnz .LBB214_2386
; %bb.2385:
	global_load_ubyte v12, v[14:15], off
	s_mov_b32 s0, 0
	s_waitcnt vmcnt(1)
	v_mov_b32_e32 v13, s0
	s_waitcnt vmcnt(0)
	v_and_b32_e32 v12, 0xffff, v12
.LBB214_2386:
	s_mov_b64 s[14:15], -1
.LBB214_2387:
	s_andn2_b64 vcc, exec, s[14:15]
	s_cbranch_vccnz .LBB214_2947
; %bb.2388:
	v_add_u32_e32 v14, s22, v16
	v_ashrrev_i32_e32 v15, 31, v14
	v_mov_b32_e32 v17, s3
	v_add_co_u32_e32 v16, vcc, s2, v14
	s_cmp_lt_i32 s25, 11
	v_addc_co_u32_e32 v17, vcc, v17, v15, vcc
	s_cbranch_scc1 .LBB214_2395
; %bb.2389:
	s_and_b32 s13, 0xffff, s25
	s_cmp_gt_i32 s13, 25
	s_mov_b64 s[2:3], 0
	s_cbranch_scc0 .LBB214_2396
; %bb.2390:
	s_cmp_gt_i32 s13, 28
	s_cbranch_scc0 .LBB214_2397
; %bb.2391:
	s_cmp_gt_i32 s13, 43
	;; [unrolled: 3-line block ×3, first 2 shown]
	s_cbranch_scc0 .LBB214_2400
; %bb.2393:
	s_cmp_eq_u32 s13, 46
	s_mov_b64 s[14:15], 0
	s_cbranch_scc0 .LBB214_2401
; %bb.2394:
	global_load_dword v14, v[16:17], off
	s_mov_b32 s0, 0x2f800000
	s_mov_b32 s1, 0xcf800000
	s_mov_b64 s[10:11], -1
	s_waitcnt vmcnt(0)
	v_lshlrev_b32_e32 v14, 16, v14
	v_trunc_f32_e32 v14, v14
	v_mul_f32_e64 v15, |v14|, s0
	v_floor_f32_e32 v15, v15
	v_fma_f32 v19, v15, s1, |v14|
	v_cvt_u32_f32_e32 v19, v19
	v_cvt_u32_f32_e32 v15, v15
	v_ashrrev_i32_e32 v20, 31, v14
	s_mov_b64 s[0:1], 0
	v_xor_b32_e32 v14, v19, v20
	v_xor_b32_e32 v15, v15, v20
	v_sub_co_u32_e32 v14, vcc, v14, v20
	v_subb_co_u32_e32 v15, vcc, v15, v20, vcc
	s_branch .LBB214_2402
.LBB214_2395:
	s_mov_b64 s[0:1], -1
	s_mov_b64 s[10:11], 0
                                        ; implicit-def: $vgpr14_vgpr15
	s_branch .LBB214_2464
.LBB214_2396:
	s_mov_b64 s[14:15], -1
	s_mov_b64 s[10:11], 0
	s_mov_b64 s[0:1], 0
                                        ; implicit-def: $vgpr14_vgpr15
	s_branch .LBB214_2431
.LBB214_2397:
	s_mov_b64 s[14:15], -1
	s_mov_b64 s[10:11], 0
	s_mov_b64 s[0:1], 0
                                        ; implicit-def: $vgpr14_vgpr15
	s_branch .LBB214_2412
.LBB214_2398:
	s_mov_b64 s[14:15], -1
	s_mov_b64 s[10:11], 0
	s_mov_b64 s[0:1], 0
                                        ; implicit-def: $vgpr14_vgpr15
	s_branch .LBB214_2407
.LBB214_2399:
	s_trap 2
	s_or_b64 s[18:19], s[18:19], exec
	s_cbranch_execz .LBB214_2336
	s_branch .LBB214_2337
.LBB214_2400:
	s_mov_b64 s[14:15], -1
	s_mov_b64 s[10:11], 0
	s_mov_b64 s[0:1], 0
                                        ; implicit-def: $vgpr14_vgpr15
	s_branch .LBB214_2402
.LBB214_2401:
	s_mov_b64 s[0:1], -1
                                        ; implicit-def: $vgpr14_vgpr15
	s_mov_b64 s[10:11], 0
.LBB214_2402:
	s_and_b64 vcc, exec, s[14:15]
	s_cbranch_vccz .LBB214_2406
; %bb.2403:
	s_cmp_eq_u32 s13, 44
	s_cbranch_scc0 .LBB214_2405
; %bb.2404:
	global_load_ubyte v14, v[16:17], off
	s_mov_b32 s0, 0x2f800000
	s_mov_b32 s1, 0xcf800000
	s_mov_b64 s[10:11], -1
	s_waitcnt vmcnt(0)
	v_lshlrev_b32_e32 v15, 23, v14
	v_trunc_f32_e32 v15, v15
	v_mul_f32_e64 v19, |v15|, s0
	v_floor_f32_e32 v19, v19
	v_fma_f32 v20, v19, s1, |v15|
	v_cvt_u32_f32_e32 v20, v20
	v_cvt_u32_f32_e32 v19, v19
	v_ashrrev_i32_e32 v15, 31, v15
	s_mov_b64 s[0:1], 0
	v_xor_b32_e32 v20, v20, v15
	v_xor_b32_e32 v19, v19, v15
	v_sub_co_u32_e32 v20, vcc, v20, v15
	v_subb_co_u32_e32 v15, vcc, v19, v15, vcc
	v_cmp_ne_u32_e32 vcc, 0, v14
	v_cndmask_b32_e32 v15, 0, v15, vcc
	v_cndmask_b32_e32 v14, 0, v20, vcc
	s_branch .LBB214_2406
.LBB214_2405:
	s_mov_b64 s[0:1], -1
                                        ; implicit-def: $vgpr14_vgpr15
.LBB214_2406:
	s_mov_b64 s[14:15], 0
.LBB214_2407:
	s_and_b64 vcc, exec, s[14:15]
	s_cbranch_vccz .LBB214_2411
; %bb.2408:
	s_cmp_eq_u32 s13, 29
	s_cbranch_scc0 .LBB214_2410
; %bb.2409:
	global_load_dwordx2 v[14:15], v[16:17], off
	s_mov_b64 s[0:1], 0
	s_mov_b64 s[10:11], -1
	s_branch .LBB214_2411
.LBB214_2410:
	s_mov_b64 s[0:1], -1
                                        ; implicit-def: $vgpr14_vgpr15
.LBB214_2411:
	s_mov_b64 s[14:15], 0
.LBB214_2412:
	s_and_b64 vcc, exec, s[14:15]
	s_cbranch_vccz .LBB214_2430
; %bb.2413:
	s_cmp_lt_i32 s13, 27
	s_cbranch_scc1 .LBB214_2416
; %bb.2414:
	s_cmp_gt_i32 s13, 27
	s_cbranch_scc0 .LBB214_2417
; %bb.2415:
	global_load_dword v14, v[16:17], off
	s_waitcnt vmcnt(1)
	v_mov_b32_e32 v15, 0
	s_mov_b64 s[10:11], 0
	s_branch .LBB214_2418
.LBB214_2416:
	s_mov_b64 s[10:11], -1
                                        ; implicit-def: $vgpr14_vgpr15
	s_branch .LBB214_2421
.LBB214_2417:
	s_mov_b64 s[10:11], -1
                                        ; implicit-def: $vgpr14_vgpr15
.LBB214_2418:
	s_andn2_b64 vcc, exec, s[10:11]
	s_cbranch_vccnz .LBB214_2420
; %bb.2419:
	global_load_ushort v14, v[16:17], off
	s_mov_b32 s10, 0
	s_waitcnt vmcnt(1)
	v_mov_b32_e32 v15, s10
	s_waitcnt vmcnt(0)
	v_and_b32_e32 v14, 0xffff, v14
.LBB214_2420:
	s_mov_b64 s[10:11], 0
.LBB214_2421:
	s_andn2_b64 vcc, exec, s[10:11]
	s_cbranch_vccnz .LBB214_2429
; %bb.2422:
	global_load_ubyte v19, v[16:17], off
	s_movk_i32 s10, 0x7f
	s_mov_b64 s[14:15], 0
	s_waitcnt vmcnt(0)
	v_cmp_lt_i16_e32 vcc, s10, v19
	s_and_saveexec_b64 s[10:11], vcc
	s_xor_b64 s[10:11], exec, s[10:11]
; %bb.2423:
	s_movk_i32 s14, 0x80
	v_cmp_ne_u16_e32 vcc, s14, v19
	s_and_b64 s[14:15], vcc, exec
; %bb.2424:
	s_andn2_saveexec_b64 s[10:11], s[10:11]
; %bb.2425:
	v_cmp_ne_u16_e32 vcc, 0, v19
	s_andn2_b64 s[14:15], s[14:15], exec
	s_and_b64 s[16:17], vcc, exec
	s_or_b64 s[14:15], s[14:15], s[16:17]
; %bb.2426:
	s_or_b64 exec, exec, s[10:11]
	v_mov_b32_e32 v14, 0
	v_mov_b32_e32 v15, 0
	s_and_saveexec_b64 s[10:11], s[14:15]
	s_cbranch_execz .LBB214_2428
; %bb.2427:
	v_and_b32_e32 v15, 0xffff, v19
	v_lshlrev_b32_e32 v14, 24, v19
	v_and_b32_e32 v19, 7, v15
	v_ffbh_u32_e32 v21, v19
	v_min_u32_e32 v21, 32, v21
	v_subrev_u32_e32 v22, 28, v21
	v_bfe_u32 v20, v15, 3, 4
	v_lshlrev_b32_e32 v15, v22, v15
	v_sub_u32_e32 v21, 29, v21
	v_and_b32_e32 v15, 7, v15
	v_cmp_eq_u32_e32 vcc, 0, v20
	v_cndmask_b32_e32 v20, v20, v21, vcc
	v_cndmask_b32_e32 v15, v19, v15, vcc
	v_mov_b32_e32 v19, 0x3b800000
	v_lshlrev_b32_e32 v15, 20, v15
	v_and_b32_e32 v14, 0x80000000, v14
	v_lshl_add_u32 v19, v20, 23, v19
	v_or3_b32 v14, v14, v19, v15
	v_trunc_f32_e32 v14, v14
	s_mov_b32 s14, 0x2f800000
	v_mul_f32_e64 v15, |v14|, s14
	v_floor_f32_e32 v15, v15
	s_mov_b32 s14, 0xcf800000
	v_fma_f32 v19, v15, s14, |v14|
	v_cvt_u32_f32_e32 v19, v19
	v_cvt_u32_f32_e32 v15, v15
	v_ashrrev_i32_e32 v20, 31, v14
	v_xor_b32_e32 v14, v19, v20
	v_xor_b32_e32 v15, v15, v20
	v_sub_co_u32_e32 v14, vcc, v14, v20
	v_subb_co_u32_e32 v15, vcc, v15, v20, vcc
.LBB214_2428:
	s_or_b64 exec, exec, s[10:11]
.LBB214_2429:
	s_mov_b64 s[10:11], -1
.LBB214_2430:
	s_mov_b64 s[14:15], 0
.LBB214_2431:
	s_and_b64 vcc, exec, s[14:15]
	s_cbranch_vccz .LBB214_2460
; %bb.2432:
	s_cmp_gt_i32 s13, 22
	s_cbranch_scc0 .LBB214_2442
; %bb.2433:
	s_cmp_lt_i32 s13, 24
	s_cbranch_scc1 .LBB214_2443
; %bb.2434:
	s_cmp_gt_i32 s13, 24
	s_cbranch_scc0 .LBB214_2444
; %bb.2435:
	global_load_ubyte v19, v[16:17], off
	s_movk_i32 s2, 0x7f
	s_mov_b64 s[10:11], 0
	s_waitcnt vmcnt(0)
	v_cmp_lt_i16_e32 vcc, s2, v19
	s_and_saveexec_b64 s[2:3], vcc
	s_xor_b64 s[2:3], exec, s[2:3]
; %bb.2436:
	s_movk_i32 s10, 0x80
	v_cmp_ne_u16_e32 vcc, s10, v19
	s_and_b64 s[10:11], vcc, exec
; %bb.2437:
	s_andn2_saveexec_b64 s[2:3], s[2:3]
; %bb.2438:
	v_cmp_ne_u16_e32 vcc, 0, v19
	s_andn2_b64 s[10:11], s[10:11], exec
	s_and_b64 s[14:15], vcc, exec
	s_or_b64 s[10:11], s[10:11], s[14:15]
; %bb.2439:
	s_or_b64 exec, exec, s[2:3]
	v_mov_b32_e32 v14, 0
	v_mov_b32_e32 v15, 0
	s_and_saveexec_b64 s[2:3], s[10:11]
	s_cbranch_execz .LBB214_2441
; %bb.2440:
	v_and_b32_e32 v15, 0xffff, v19
	v_lshlrev_b32_e32 v14, 24, v19
	v_and_b32_e32 v19, 3, v15
	v_ffbh_u32_e32 v21, v19
	v_min_u32_e32 v21, 32, v21
	v_subrev_u32_e32 v22, 29, v21
	v_bfe_u32 v20, v15, 2, 5
	v_lshlrev_b32_e32 v15, v22, v15
	v_sub_u32_e32 v21, 30, v21
	v_and_b32_e32 v15, 3, v15
	v_cmp_eq_u32_e32 vcc, 0, v20
	v_cndmask_b32_e32 v20, v20, v21, vcc
	v_cndmask_b32_e32 v15, v19, v15, vcc
	v_mov_b32_e32 v19, 0x37800000
	v_lshlrev_b32_e32 v15, 21, v15
	v_and_b32_e32 v14, 0x80000000, v14
	v_lshl_add_u32 v19, v20, 23, v19
	v_or3_b32 v14, v14, v19, v15
	v_trunc_f32_e32 v14, v14
	s_mov_b32 s10, 0x2f800000
	v_mul_f32_e64 v15, |v14|, s10
	v_floor_f32_e32 v15, v15
	s_mov_b32 s10, 0xcf800000
	v_fma_f32 v19, v15, s10, |v14|
	v_cvt_u32_f32_e32 v19, v19
	v_cvt_u32_f32_e32 v15, v15
	v_ashrrev_i32_e32 v20, 31, v14
	v_xor_b32_e32 v14, v19, v20
	v_xor_b32_e32 v15, v15, v20
	v_sub_co_u32_e32 v14, vcc, v14, v20
	v_subb_co_u32_e32 v15, vcc, v15, v20, vcc
.LBB214_2441:
	s_or_b64 exec, exec, s[2:3]
	s_mov_b64 s[2:3], 0
	s_branch .LBB214_2445
.LBB214_2442:
	s_mov_b64 s[2:3], -1
                                        ; implicit-def: $vgpr14_vgpr15
	s_branch .LBB214_2451
.LBB214_2443:
	s_mov_b64 s[2:3], -1
                                        ; implicit-def: $vgpr14_vgpr15
	s_branch .LBB214_2448
.LBB214_2444:
	s_mov_b64 s[2:3], -1
                                        ; implicit-def: $vgpr14_vgpr15
.LBB214_2445:
	s_and_b64 vcc, exec, s[2:3]
	s_cbranch_vccz .LBB214_2447
; %bb.2446:
	global_load_ubyte v14, v[16:17], off
	s_mov_b32 s2, 0x7f800000
	s_brev_b32 s3, 1
	s_mov_b32 s10, 0x2f800000
	s_mov_b32 s11, 0xcf800000
	s_waitcnt vmcnt(0)
	v_lshlrev_b32_e32 v14, 24, v14
	v_and_b32_e32 v15, 0x7f000000, v14
	v_ffbh_u32_e32 v19, v15
	v_min_u32_e32 v19, 32, v19
	v_sub_u32_e64 v19, v19, 4 clamp
	v_lshlrev_b32_e32 v21, v19, v15
	v_lshlrev_b32_e32 v19, 23, v19
	v_lshrrev_b32_e32 v21, 4, v21
	v_add_u32_e32 v20, 0x1000000, v15
	v_sub_u32_e32 v19, v21, v19
	v_ashrrev_i32_e32 v20, 8, v20
	v_add_u32_e32 v19, 0x3c000000, v19
	v_and_or_b32 v19, v20, s2, v19
	v_cmp_ne_u32_e32 vcc, 0, v15
	v_cndmask_b32_e32 v15, 0, v19, vcc
	v_and_or_b32 v14, v14, s3, v15
	v_trunc_f32_e32 v14, v14
	v_mul_f32_e64 v15, |v14|, s10
	v_floor_f32_e32 v15, v15
	v_fma_f32 v19, v15, s11, |v14|
	v_cvt_u32_f32_e32 v19, v19
	v_cvt_u32_f32_e32 v15, v15
	v_ashrrev_i32_e32 v20, 31, v14
	v_xor_b32_e32 v14, v19, v20
	v_xor_b32_e32 v15, v15, v20
	v_sub_co_u32_e32 v14, vcc, v14, v20
	v_subb_co_u32_e32 v15, vcc, v15, v20, vcc
.LBB214_2447:
	s_mov_b64 s[2:3], 0
.LBB214_2448:
	s_andn2_b64 vcc, exec, s[2:3]
	s_cbranch_vccnz .LBB214_2450
; %bb.2449:
	global_load_ubyte v14, v[16:17], off
	s_movk_i32 s2, 0x7f00
	s_brev_b32 s3, 16
	s_brev_b32 s10, 1
	s_mov_b32 s11, 0x2f800000
	s_mov_b32 s14, 0xcf800000
	s_waitcnt vmcnt(0)
	v_lshlrev_b16_e32 v15, 8, v14
	v_lshlrev_b32_e32 v14, 25, v14
	v_lshrrev_b32_e32 v19, 4, v14
	v_and_or_b32 v20, v15, s2, 0.5
	v_or_b32_e32 v19, 0x70000000, v19
	v_add_f32_e32 v20, -0.5, v20
	v_mul_f32_e32 v19, 0x7800000, v19
	v_cmp_gt_u32_e32 vcc, s3, v14
	v_bfe_i32 v15, v15, 0, 16
	v_cndmask_b32_e32 v14, v19, v20, vcc
	v_and_or_b32 v14, v15, s10, v14
	v_trunc_f32_e32 v14, v14
	v_mul_f32_e64 v15, |v14|, s11
	v_floor_f32_e32 v15, v15
	v_fma_f32 v19, v15, s14, |v14|
	v_cvt_u32_f32_e32 v19, v19
	v_cvt_u32_f32_e32 v15, v15
	v_ashrrev_i32_e32 v20, 31, v14
	v_xor_b32_e32 v14, v19, v20
	v_xor_b32_e32 v15, v15, v20
	v_sub_co_u32_e32 v14, vcc, v14, v20
	v_subb_co_u32_e32 v15, vcc, v15, v20, vcc
.LBB214_2450:
	s_mov_b64 s[2:3], 0
	s_mov_b64 s[10:11], -1
.LBB214_2451:
	s_andn2_b64 vcc, exec, s[2:3]
	s_mov_b64 s[2:3], 0
	s_cbranch_vccnz .LBB214_2460
; %bb.2452:
	s_cmp_gt_i32 s13, 14
	s_cbranch_scc0 .LBB214_2455
; %bb.2453:
	s_cmp_eq_u32 s13, 15
	s_cbranch_scc0 .LBB214_2456
; %bb.2454:
	global_load_ushort v14, v[16:17], off
	s_mov_b32 s0, 0x2f800000
	s_mov_b32 s1, 0xcf800000
	s_mov_b64 s[10:11], -1
	s_waitcnt vmcnt(0)
	v_lshlrev_b32_e32 v14, 16, v14
	v_trunc_f32_e32 v14, v14
	v_mul_f32_e64 v15, |v14|, s0
	v_floor_f32_e32 v15, v15
	v_fma_f32 v19, v15, s1, |v14|
	v_cvt_u32_f32_e32 v19, v19
	v_cvt_u32_f32_e32 v15, v15
	v_ashrrev_i32_e32 v20, 31, v14
	s_mov_b64 s[0:1], 0
	v_xor_b32_e32 v14, v19, v20
	v_xor_b32_e32 v15, v15, v20
	v_sub_co_u32_e32 v14, vcc, v14, v20
	v_subb_co_u32_e32 v15, vcc, v15, v20, vcc
	s_branch .LBB214_2457
.LBB214_2455:
	s_mov_b64 s[14:15], -1
                                        ; implicit-def: $vgpr14_vgpr15
	s_branch .LBB214_2458
.LBB214_2456:
	s_mov_b64 s[0:1], -1
                                        ; implicit-def: $vgpr14_vgpr15
.LBB214_2457:
	s_mov_b64 s[14:15], 0
.LBB214_2458:
	s_and_b64 vcc, exec, s[14:15]
	s_cbranch_vccz .LBB214_2460
; %bb.2459:
	s_cmp_lg_u32 s13, 11
	s_mov_b64 s[2:3], -1
	s_cselect_b64 s[0:1], -1, 0
.LBB214_2460:
	s_and_b64 vcc, exec, s[0:1]
	s_cbranch_vccnz .LBB214_2993
; %bb.2461:
	s_andn2_b64 vcc, exec, s[2:3]
	s_cbranch_vccnz .LBB214_2463
.LBB214_2462:
	global_load_ubyte v14, v[16:17], off
	s_mov_b32 s0, 0
	s_waitcnt vmcnt(1)
	v_mov_b32_e32 v15, s0
	s_mov_b64 s[10:11], -1
	s_waitcnt vmcnt(0)
	v_cmp_ne_u16_e32 vcc, 0, v14
	v_cndmask_b32_e64 v14, 0, 1, vcc
.LBB214_2463:
	s_mov_b64 s[0:1], 0
.LBB214_2464:
	s_and_b64 vcc, exec, s[0:1]
	s_cbranch_vccz .LBB214_2513
; %bb.2465:
	s_and_b32 s2, 0xffff, s25
	s_cmp_lt_i32 s2, 5
	s_cbranch_scc1 .LBB214_2470
; %bb.2466:
	s_cmp_lt_i32 s2, 8
	s_cbranch_scc1 .LBB214_2471
; %bb.2467:
	;; [unrolled: 3-line block ×3, first 2 shown]
	s_cmp_gt_i32 s2, 9
	s_cbranch_scc0 .LBB214_2473
; %bb.2469:
	global_load_dwordx2 v[14:15], v[16:17], off
	s_movk_i32 s0, 0xffe0
	s_waitcnt vmcnt(0)
	v_trunc_f64_e32 v[14:15], v[14:15]
	v_ldexp_f64 v[19:20], v[14:15], s0
	s_mov_b32 s0, 0
	s_mov_b32 s1, 0xc1f00000
	v_floor_f64_e32 v[19:20], v[19:20]
	v_fma_f64 v[21:22], v[19:20], s[0:1], v[14:15]
	v_cvt_i32_f64_e32 v15, v[19:20]
	s_mov_b64 s[0:1], 0
	v_cvt_u32_f64_e32 v14, v[21:22]
	s_branch .LBB214_2474
.LBB214_2470:
	s_mov_b64 s[0:1], -1
                                        ; implicit-def: $vgpr14_vgpr15
	s_branch .LBB214_2492
.LBB214_2471:
	s_mov_b64 s[0:1], -1
                                        ; implicit-def: $vgpr14_vgpr15
	s_branch .LBB214_2480
.LBB214_2472:
	s_mov_b64 s[0:1], -1
                                        ; implicit-def: $vgpr14_vgpr15
	s_branch .LBB214_2477
.LBB214_2473:
	s_mov_b64 s[0:1], -1
                                        ; implicit-def: $vgpr14_vgpr15
.LBB214_2474:
	s_andn2_b64 vcc, exec, s[0:1]
	s_cbranch_vccnz .LBB214_2476
; %bb.2475:
	global_load_dword v14, v[16:17], off
	s_mov_b32 s0, 0x2f800000
	s_mov_b32 s1, 0xcf800000
	s_waitcnt vmcnt(0)
	v_trunc_f32_e32 v14, v14
	v_mul_f32_e64 v15, |v14|, s0
	v_floor_f32_e32 v15, v15
	v_cvt_u32_f32_e32 v19, v15
	v_fma_f32 v15, v15, s1, |v14|
	v_cvt_u32_f32_e32 v15, v15
	v_ashrrev_i32_e32 v20, 31, v14
	v_xor_b32_e32 v19, v19, v20
	v_xor_b32_e32 v14, v15, v20
	v_sub_co_u32_e32 v14, vcc, v14, v20
	v_subb_co_u32_e32 v15, vcc, v19, v20, vcc
.LBB214_2476:
	s_mov_b64 s[0:1], 0
.LBB214_2477:
	s_andn2_b64 vcc, exec, s[0:1]
	s_cbranch_vccnz .LBB214_2479
; %bb.2478:
	global_load_dword v14, v[16:17], off
	s_waitcnt vmcnt(0)
	v_cvt_f32_f16_e32 v14, v14
	v_cvt_i32_f32_e32 v14, v14
	v_ashrrev_i32_e32 v15, 31, v14
.LBB214_2479:
	s_mov_b64 s[0:1], 0
.LBB214_2480:
	s_andn2_b64 vcc, exec, s[0:1]
	s_cbranch_vccnz .LBB214_2491
; %bb.2481:
	s_cmp_lt_i32 s2, 6
	s_cbranch_scc1 .LBB214_2484
; %bb.2482:
	s_cmp_gt_i32 s2, 6
	s_cbranch_scc0 .LBB214_2485
; %bb.2483:
	global_load_dwordx2 v[14:15], v[16:17], off
	s_movk_i32 s0, 0xffe0
	s_waitcnt vmcnt(0)
	v_trunc_f64_e32 v[14:15], v[14:15]
	v_ldexp_f64 v[19:20], v[14:15], s0
	s_mov_b32 s0, 0
	s_mov_b32 s1, 0xc1f00000
	v_floor_f64_e32 v[19:20], v[19:20]
	v_fma_f64 v[21:22], v[19:20], s[0:1], v[14:15]
	v_cvt_i32_f64_e32 v15, v[19:20]
	s_mov_b64 s[0:1], 0
	v_cvt_u32_f64_e32 v14, v[21:22]
	s_branch .LBB214_2486
.LBB214_2484:
	s_mov_b64 s[0:1], -1
                                        ; implicit-def: $vgpr14_vgpr15
	s_branch .LBB214_2489
.LBB214_2485:
	s_mov_b64 s[0:1], -1
                                        ; implicit-def: $vgpr14_vgpr15
.LBB214_2486:
	s_andn2_b64 vcc, exec, s[0:1]
	s_cbranch_vccnz .LBB214_2488
; %bb.2487:
	global_load_dword v14, v[16:17], off
	s_mov_b32 s0, 0x2f800000
	s_mov_b32 s1, 0xcf800000
	s_waitcnt vmcnt(0)
	v_trunc_f32_e32 v14, v14
	v_mul_f32_e64 v15, |v14|, s0
	v_floor_f32_e32 v15, v15
	v_cvt_u32_f32_e32 v19, v15
	v_fma_f32 v15, v15, s1, |v14|
	v_cvt_u32_f32_e32 v15, v15
	v_ashrrev_i32_e32 v20, 31, v14
	v_xor_b32_e32 v19, v19, v20
	v_xor_b32_e32 v14, v15, v20
	v_sub_co_u32_e32 v14, vcc, v14, v20
	v_subb_co_u32_e32 v15, vcc, v19, v20, vcc
.LBB214_2488:
	s_mov_b64 s[0:1], 0
.LBB214_2489:
	s_andn2_b64 vcc, exec, s[0:1]
	s_cbranch_vccnz .LBB214_2491
; %bb.2490:
	global_load_ushort v14, v[16:17], off
	s_waitcnt vmcnt(0)
	v_cvt_f32_f16_e32 v14, v14
	v_cvt_i32_f32_e32 v14, v14
	v_ashrrev_i32_e32 v15, 31, v14
.LBB214_2491:
	s_mov_b64 s[0:1], 0
.LBB214_2492:
	s_andn2_b64 vcc, exec, s[0:1]
	s_cbranch_vccnz .LBB214_2512
; %bb.2493:
	s_cmp_lt_i32 s2, 2
	s_cbranch_scc1 .LBB214_2497
; %bb.2494:
	s_cmp_lt_i32 s2, 3
	s_cbranch_scc1 .LBB214_2498
; %bb.2495:
	s_cmp_gt_i32 s2, 3
	s_cbranch_scc0 .LBB214_2499
; %bb.2496:
	global_load_dwordx2 v[14:15], v[16:17], off
	s_mov_b64 s[0:1], 0
	s_branch .LBB214_2500
.LBB214_2497:
	s_mov_b64 s[0:1], -1
                                        ; implicit-def: $vgpr14_vgpr15
	s_branch .LBB214_2506
.LBB214_2498:
	s_mov_b64 s[0:1], -1
                                        ; implicit-def: $vgpr14_vgpr15
	s_branch .LBB214_2503
.LBB214_2499:
	s_mov_b64 s[0:1], -1
                                        ; implicit-def: $vgpr14_vgpr15
.LBB214_2500:
	s_andn2_b64 vcc, exec, s[0:1]
	s_cbranch_vccnz .LBB214_2502
; %bb.2501:
	global_load_dword v14, v[16:17], off
	s_waitcnt vmcnt(0)
	v_ashrrev_i32_e32 v15, 31, v14
.LBB214_2502:
	s_mov_b64 s[0:1], 0
.LBB214_2503:
	s_andn2_b64 vcc, exec, s[0:1]
	s_cbranch_vccnz .LBB214_2505
; %bb.2504:
	global_load_ushort v14, v[16:17], off
	s_waitcnt vmcnt(0)
	v_bfe_i32 v14, v14, 0, 16
	v_ashrrev_i32_e32 v15, 31, v14
.LBB214_2505:
	s_mov_b64 s[0:1], 0
.LBB214_2506:
	s_andn2_b64 vcc, exec, s[0:1]
	s_cbranch_vccnz .LBB214_2512
; %bb.2507:
	s_cmp_gt_i32 s2, 0
	s_cbranch_scc0 .LBB214_2509
; %bb.2508:
	global_load_sbyte v14, v[16:17], off
	s_mov_b64 s[0:1], 0
	s_waitcnt vmcnt(0)
	v_bfe_i32 v14, v14, 0, 16
	v_ashrrev_i32_e32 v15, 31, v14
	s_branch .LBB214_2510
.LBB214_2509:
	s_mov_b64 s[0:1], -1
                                        ; implicit-def: $vgpr14_vgpr15
.LBB214_2510:
	s_andn2_b64 vcc, exec, s[0:1]
	s_cbranch_vccnz .LBB214_2512
; %bb.2511:
	global_load_ubyte v14, v[16:17], off
	s_mov_b32 s0, 0
	s_waitcnt vmcnt(1)
	v_mov_b32_e32 v15, s0
	s_waitcnt vmcnt(0)
	v_and_b32_e32 v14, 0xffff, v14
.LBB214_2512:
	s_mov_b64 s[10:11], -1
.LBB214_2513:
	s_andn2_b64 vcc, exec, s[10:11]
	s_cbranch_vccnz .LBB214_2947
; %bb.2514:
	v_mul_lo_u32 v16, s12, v18
	s_waitcnt vmcnt(0)
	v_cmp_gt_u64_e32 vcc, 63, v[2:3]
	v_mov_b32_e32 v17, s9
	v_cndmask_b32_e32 v2, 63, v2, vcc
	v_ashrrev_i64 v[0:1], v2, v[0:1]
	v_ashrrev_i32_e32 v3, 31, v16
	s_and_b32 s20, s33, 0xff
	v_add_co_u32_e32 v2, vcc, s8, v16
	s_cmp_lt_i32 s20, 11
	v_addc_co_u32_e32 v3, vcc, v17, v3, vcc
	s_cbranch_scc1 .LBB214_2592
; %bb.2515:
	s_and_b32 s13, 0xffff, s20
	s_mov_b64 s[14:15], -1
	s_mov_b64 s[2:3], 0
	s_cmp_gt_i32 s13, 25
	s_mov_b64 s[10:11], 0
	s_mov_b64 s[0:1], 0
	s_cbranch_scc0 .LBB214_2548
; %bb.2516:
	s_cmp_gt_i32 s13, 28
	s_cbranch_scc0 .LBB214_2531
; %bb.2517:
	s_cmp_gt_i32 s13, 43
	;; [unrolled: 3-line block ×3, first 2 shown]
	s_cbranch_scc0 .LBB214_2521
; %bb.2519:
	s_mov_b64 s[0:1], -1
	s_mov_b64 s[14:15], 0
	s_cmp_eq_u32 s13, 46
	s_cbranch_scc0 .LBB214_2521
; %bb.2520:
	v_xor_b32_e32 v18, v0, v1
	v_ffbh_i32_e32 v17, v1
	v_ashrrev_i32_e32 v18, 31, v18
	v_add_u32_e32 v17, -1, v17
	v_add_u32_e32 v18, 32, v18
	v_min_u32_e32 v19, v17, v18
	v_lshlrev_b64 v[17:18], v19, v[0:1]
	s_movk_i32 s0, 0x7fff
	v_min_u32_e32 v17, 1, v17
	v_or_b32_e32 v17, v18, v17
	v_cvt_f32_i32_e32 v17, v17
	v_sub_u32_e32 v18, 32, v19
	s_mov_b64 s[10:11], -1
	v_ldexp_f32 v17, v17, v18
	v_bfe_u32 v18, v17, 16, 1
	v_add3_u32 v17, v17, v18, s0
	v_lshrrev_b32_e32 v17, 16, v17
	global_store_dword v[2:3], v17, off
	s_mov_b64 s[0:1], 0
.LBB214_2521:
	s_and_b64 vcc, exec, s[14:15]
	s_cbranch_vccz .LBB214_2526
; %bb.2522:
	s_cmp_eq_u32 s13, 44
	s_mov_b64 s[0:1], -1
	s_cbranch_scc0 .LBB214_2526
; %bb.2523:
	v_xor_b32_e32 v18, v0, v1
	v_ffbh_i32_e32 v17, v1
	v_ashrrev_i32_e32 v18, 31, v18
	v_add_u32_e32 v17, -1, v17
	v_add_u32_e32 v18, 32, v18
	v_min_u32_e32 v19, v17, v18
	v_lshlrev_b64 v[17:18], v19, v[0:1]
	s_movk_i32 s0, 0xff
	v_min_u32_e32 v17, 1, v17
	v_or_b32_e32 v17, v18, v17
	v_cvt_f32_i32_e32 v17, v17
	v_sub_u32_e32 v18, 32, v19
	v_mov_b32_e32 v19, 0xff
	v_ldexp_f32 v17, v17, v18
	v_bfe_u32 v18, v17, 23, 8
	v_cmp_ne_u32_e32 vcc, s0, v18
	s_and_saveexec_b64 s[10:11], vcc
; %bb.2524:
	s_mov_b32 s0, 0x3fffff
	v_lshrrev_b32_e32 v19, 23, v17
	v_and_b32_e32 v20, 0x400000, v17
	v_and_or_b32 v17, v17, s0, v18
	v_cmp_ne_u32_e32 vcc, 0, v20
	v_cmp_ne_u32_e64 s[0:1], 0, v17
	s_and_b64 s[0:1], vcc, s[0:1]
	v_cndmask_b32_e64 v17, 0, 1, s[0:1]
	v_add_u32_e32 v19, v19, v17
; %bb.2525:
	s_or_b64 exec, exec, s[10:11]
	s_mov_b64 s[0:1], 0
	s_mov_b64 s[10:11], -1
	global_store_byte v[2:3], v19, off
.LBB214_2526:
	s_mov_b64 s[14:15], 0
.LBB214_2527:
	s_and_b64 vcc, exec, s[14:15]
	s_cbranch_vccz .LBB214_2530
; %bb.2528:
	s_cmp_eq_u32 s13, 29
	s_mov_b64 s[0:1], -1
	s_cbranch_scc0 .LBB214_2530
; %bb.2529:
	global_store_dwordx2 v[2:3], v[0:1], off
	s_mov_b64 s[0:1], 0
	s_mov_b64 s[10:11], -1
.LBB214_2530:
	s_mov_b64 s[14:15], 0
.LBB214_2531:
	s_and_b64 vcc, exec, s[14:15]
	s_cbranch_vccz .LBB214_2547
; %bb.2532:
	s_cmp_lt_i32 s13, 27
	s_mov_b64 s[10:11], -1
	s_cbranch_scc1 .LBB214_2538
; %bb.2533:
	s_cmp_gt_i32 s13, 27
	s_cbranch_scc0 .LBB214_2535
; %bb.2534:
	s_mov_b64 s[10:11], 0
	global_store_dword v[2:3], v0, off
.LBB214_2535:
	s_andn2_b64 vcc, exec, s[10:11]
	s_cbranch_vccnz .LBB214_2537
; %bb.2536:
	global_store_short v[2:3], v0, off
.LBB214_2537:
	s_mov_b64 s[10:11], 0
.LBB214_2538:
	s_andn2_b64 vcc, exec, s[10:11]
	s_cbranch_vccnz .LBB214_2546
; %bb.2539:
	v_xor_b32_e32 v18, v0, v1
	v_ffbh_i32_e32 v17, v1
	v_ashrrev_i32_e32 v18, 31, v18
	v_add_u32_e32 v17, -1, v17
	v_add_u32_e32 v18, 32, v18
	v_min_u32_e32 v19, v17, v18
	v_lshlrev_b64 v[17:18], v19, v[0:1]
	s_mov_b32 s10, 0x43800000
	v_min_u32_e32 v17, 1, v17
	v_or_b32_e32 v17, v18, v17
	v_cvt_f32_i32_e32 v17, v17
	v_sub_u32_e32 v18, 32, v19
	v_mov_b32_e32 v19, 0x80
	v_ldexp_f32 v17, v17, v18
	v_and_b32_e32 v18, 0x7fffffff, v17
	v_cmp_gt_u32_e32 vcc, s10, v18
	s_and_saveexec_b64 s[10:11], vcc
	s_cbranch_execz .LBB214_2545
; %bb.2540:
	s_mov_b32 s14, 0x3bffffff
	v_cmp_lt_u32_e32 vcc, s14, v18
	s_mov_b64 s[14:15], 0
                                        ; implicit-def: $vgpr18
	s_and_saveexec_b64 s[16:17], vcc
	s_xor_b64 s[16:17], exec, s[16:17]
	s_cbranch_execz .LBB214_2994
; %bb.2541:
	v_bfe_u32 v18, v17, 20, 1
	s_mov_b32 s21, 0x487ffff
	v_add3_u32 v18, v17, v18, s21
	s_mov_b64 s[14:15], exec
	v_lshrrev_b32_e32 v18, 20, v18
	s_andn2_saveexec_b64 s[16:17], s[16:17]
	s_cbranch_execnz .LBB214_2995
.LBB214_2542:
	s_or_b64 exec, exec, s[16:17]
	v_mov_b32_e32 v19, 0
	s_and_saveexec_b64 s[16:17], s[14:15]
.LBB214_2543:
	v_lshrrev_b32_e32 v17, 24, v17
	s_movk_i32 s14, 0x80
	v_and_or_b32 v19, v17, s14, v18
.LBB214_2544:
	s_or_b64 exec, exec, s[16:17]
.LBB214_2545:
	s_or_b64 exec, exec, s[10:11]
	global_store_byte v[2:3], v19, off
.LBB214_2546:
	s_mov_b64 s[10:11], -1
.LBB214_2547:
	s_mov_b64 s[14:15], 0
.LBB214_2548:
	s_and_b64 vcc, exec, s[14:15]
	s_cbranch_vccz .LBB214_2588
; %bb.2549:
	s_cmp_gt_i32 s13, 22
	s_mov_b64 s[2:3], -1
	s_cbranch_scc0 .LBB214_2581
; %bb.2550:
	s_cmp_lt_i32 s13, 24
	s_cbranch_scc1 .LBB214_2570
; %bb.2551:
	s_cmp_gt_i32 s13, 24
	s_cbranch_scc0 .LBB214_2559
; %bb.2552:
	v_xor_b32_e32 v18, v0, v1
	v_ffbh_i32_e32 v17, v1
	v_ashrrev_i32_e32 v18, 31, v18
	v_add_u32_e32 v17, -1, v17
	v_add_u32_e32 v18, 32, v18
	v_min_u32_e32 v19, v17, v18
	v_lshlrev_b64 v[17:18], v19, v[0:1]
	s_mov_b32 s2, 0x47800000
	v_min_u32_e32 v17, 1, v17
	v_or_b32_e32 v17, v18, v17
	v_cvt_f32_i32_e32 v17, v17
	v_sub_u32_e32 v18, 32, v19
	v_mov_b32_e32 v19, 0x80
	v_ldexp_f32 v17, v17, v18
	v_and_b32_e32 v18, 0x7fffffff, v17
	v_cmp_gt_u32_e32 vcc, s2, v18
	s_and_saveexec_b64 s[2:3], vcc
	s_cbranch_execz .LBB214_2558
; %bb.2553:
	s_mov_b32 s10, 0x37ffffff
	v_cmp_lt_u32_e32 vcc, s10, v18
	s_mov_b64 s[10:11], 0
                                        ; implicit-def: $vgpr18
	s_and_saveexec_b64 s[14:15], vcc
	s_xor_b64 s[14:15], exec, s[14:15]
	s_cbranch_execz .LBB214_2997
; %bb.2554:
	v_bfe_u32 v18, v17, 21, 1
	s_mov_b32 s16, 0x88fffff
	v_add3_u32 v18, v17, v18, s16
	s_mov_b64 s[10:11], exec
	v_lshrrev_b32_e32 v18, 21, v18
	s_andn2_saveexec_b64 s[14:15], s[14:15]
	s_cbranch_execnz .LBB214_2998
.LBB214_2555:
	s_or_b64 exec, exec, s[14:15]
	v_mov_b32_e32 v19, 0
	s_and_saveexec_b64 s[14:15], s[10:11]
.LBB214_2556:
	v_lshrrev_b32_e32 v17, 24, v17
	s_movk_i32 s10, 0x80
	v_and_or_b32 v19, v17, s10, v18
.LBB214_2557:
	s_or_b64 exec, exec, s[14:15]
.LBB214_2558:
	s_or_b64 exec, exec, s[2:3]
	s_mov_b64 s[2:3], 0
	global_store_byte v[2:3], v19, off
.LBB214_2559:
	s_and_b64 vcc, exec, s[2:3]
	s_cbranch_vccz .LBB214_2569
; %bb.2560:
	v_xor_b32_e32 v18, v0, v1
	v_ffbh_i32_e32 v17, v1
	v_ashrrev_i32_e32 v18, 31, v18
	v_add_u32_e32 v17, -1, v17
	v_add_u32_e32 v18, 32, v18
	v_min_u32_e32 v19, v17, v18
	v_lshlrev_b64 v[17:18], v19, v[0:1]
	s_mov_b32 s2, 0x43f00000
	v_min_u32_e32 v17, 1, v17
	v_or_b32_e32 v17, v18, v17
	v_cvt_f32_i32_e32 v17, v17
	v_sub_u32_e32 v18, 32, v19
	v_ldexp_f32 v17, v17, v18
	v_and_b32_e32 v19, 0x7fffffff, v17
	v_cmp_gt_u32_e32 vcc, s2, v19
                                        ; implicit-def: $vgpr18
	s_and_saveexec_b64 s[2:3], vcc
	s_xor_b64 s[2:3], exec, s[2:3]
	s_cbranch_execz .LBB214_2566
; %bb.2561:
	s_mov_b32 s10, 0x3c7fffff
	v_cmp_lt_u32_e32 vcc, s10, v19
                                        ; implicit-def: $vgpr18
	s_and_saveexec_b64 s[10:11], vcc
	s_xor_b64 s[10:11], exec, s[10:11]
; %bb.2562:
	v_bfe_u32 v18, v17, 20, 1
	s_mov_b32 s14, 0x407ffff
	v_add3_u32 v18, v17, v18, s14
	v_lshrrev_b32_e32 v19, 20, v18
	v_and_b32_e32 v18, 0xff00000, v18
	s_mov_b32 s14, 0x7f00000
	v_mov_b32_e32 v20, 0x7e
	v_cmp_ne_u32_e32 vcc, s14, v18
	v_cndmask_b32_e32 v18, v20, v19, vcc
; %bb.2563:
	s_andn2_saveexec_b64 s[10:11], s[10:11]
; %bb.2564:
	s_mov_b32 s14, 0x46800000
	v_add_f32_e64 v18, |v17|, s14
; %bb.2565:
	s_or_b64 exec, exec, s[10:11]
                                        ; implicit-def: $vgpr19
.LBB214_2566:
	s_andn2_saveexec_b64 s[2:3], s[2:3]
; %bb.2567:
	s_mov_b32 s10, 0x7f800000
	v_mov_b32_e32 v18, 0x7e
	v_mov_b32_e32 v20, 0x7f
	v_cmp_lt_u32_e32 vcc, s10, v19
	v_cndmask_b32_e32 v18, v18, v20, vcc
; %bb.2568:
	s_or_b64 exec, exec, s[2:3]
	v_lshrrev_b32_e32 v17, 24, v17
	s_movk_i32 s2, 0x80
	v_and_or_b32 v17, v17, s2, v18
	global_store_byte v[2:3], v17, off
.LBB214_2569:
	s_mov_b64 s[2:3], 0
.LBB214_2570:
	s_andn2_b64 vcc, exec, s[2:3]
	s_cbranch_vccnz .LBB214_2580
; %bb.2571:
	v_xor_b32_e32 v18, v0, v1
	v_ffbh_i32_e32 v17, v1
	v_ashrrev_i32_e32 v18, 31, v18
	v_add_u32_e32 v17, -1, v17
	v_add_u32_e32 v18, 32, v18
	v_min_u32_e32 v19, v17, v18
	v_lshlrev_b64 v[17:18], v19, v[0:1]
	s_mov_b32 s2, 0x47800000
	v_min_u32_e32 v17, 1, v17
	v_or_b32_e32 v17, v18, v17
	v_cvt_f32_i32_e32 v17, v17
	v_sub_u32_e32 v18, 32, v19
	v_ldexp_f32 v17, v17, v18
	v_and_b32_e32 v19, 0x7fffffff, v17
	v_cmp_gt_u32_e32 vcc, s2, v19
                                        ; implicit-def: $vgpr18
	s_and_saveexec_b64 s[2:3], vcc
	s_xor_b64 s[2:3], exec, s[2:3]
	s_cbranch_execz .LBB214_2577
; %bb.2572:
	s_mov_b32 s10, 0x387fffff
	v_cmp_lt_u32_e32 vcc, s10, v19
                                        ; implicit-def: $vgpr18
	s_and_saveexec_b64 s[10:11], vcc
	s_xor_b64 s[10:11], exec, s[10:11]
; %bb.2573:
	v_bfe_u32 v18, v17, 21, 1
	s_mov_b32 s14, 0x80fffff
	v_add3_u32 v18, v17, v18, s14
	v_lshrrev_b32_e32 v18, 21, v18
; %bb.2574:
	s_andn2_saveexec_b64 s[10:11], s[10:11]
; %bb.2575:
	s_mov_b32 s14, 0x43000000
	v_add_f32_e64 v18, |v17|, s14
; %bb.2576:
	s_or_b64 exec, exec, s[10:11]
                                        ; implicit-def: $vgpr19
.LBB214_2577:
	s_andn2_saveexec_b64 s[2:3], s[2:3]
; %bb.2578:
	s_mov_b32 s10, 0x7f800000
	v_mov_b32_e32 v18, 0x7c
	v_mov_b32_e32 v20, 0x7f
	v_cmp_lt_u32_e32 vcc, s10, v19
	v_cndmask_b32_e32 v18, v18, v20, vcc
; %bb.2579:
	s_or_b64 exec, exec, s[2:3]
	v_lshrrev_b32_e32 v17, 24, v17
	s_movk_i32 s2, 0x80
	v_and_or_b32 v17, v17, s2, v18
	global_store_byte v[2:3], v17, off
.LBB214_2580:
	s_mov_b64 s[2:3], 0
	s_mov_b64 s[10:11], -1
.LBB214_2581:
	s_andn2_b64 vcc, exec, s[2:3]
	s_mov_b64 s[2:3], 0
	s_cbranch_vccnz .LBB214_2588
; %bb.2582:
	s_cmp_gt_i32 s13, 14
	s_mov_b64 s[14:15], -1
	s_cbranch_scc0 .LBB214_2586
; %bb.2583:
	s_cmp_eq_u32 s13, 15
	s_mov_b64 s[0:1], -1
	s_cbranch_scc0 .LBB214_2585
; %bb.2584:
	v_xor_b32_e32 v18, v0, v1
	v_ffbh_i32_e32 v17, v1
	v_ashrrev_i32_e32 v18, 31, v18
	v_add_u32_e32 v17, -1, v17
	v_add_u32_e32 v18, 32, v18
	v_min_u32_e32 v19, v17, v18
	v_lshlrev_b64 v[17:18], v19, v[0:1]
	s_movk_i32 s0, 0x7fff
	v_min_u32_e32 v17, 1, v17
	v_or_b32_e32 v17, v18, v17
	v_cvt_f32_i32_e32 v17, v17
	v_sub_u32_e32 v18, 32, v19
	s_mov_b64 s[10:11], -1
	v_ldexp_f32 v17, v17, v18
	v_bfe_u32 v18, v17, 16, 1
	v_add3_u32 v17, v17, v18, s0
	global_store_short_d16_hi v[2:3], v17, off
	s_mov_b64 s[0:1], 0
.LBB214_2585:
	s_mov_b64 s[14:15], 0
.LBB214_2586:
	s_and_b64 vcc, exec, s[14:15]
	s_cbranch_vccz .LBB214_2588
; %bb.2587:
	s_cmp_lg_u32 s13, 11
	s_mov_b64 s[2:3], -1
	s_cselect_b64 s[0:1], -1, 0
.LBB214_2588:
	s_and_b64 vcc, exec, s[0:1]
	s_cbranch_vccnz .LBB214_2996
; %bb.2589:
	s_andn2_b64 vcc, exec, s[2:3]
	s_cbranch_vccnz .LBB214_2591
.LBB214_2590:
	v_cmp_ne_u64_e32 vcc, 0, v[0:1]
	s_mov_b64 s[10:11], -1
	v_cndmask_b32_e64 v17, 0, 1, vcc
	global_store_byte v[2:3], v17, off
.LBB214_2591:
	s_mov_b64 s[0:1], 0
	s_branch .LBB214_2593
.LBB214_2592:
	s_mov_b64 s[0:1], -1
	s_mov_b64 s[10:11], 0
.LBB214_2593:
	s_and_b64 vcc, exec, s[0:1]
	s_cbranch_vccz .LBB214_2632
; %bb.2594:
	s_and_b32 s2, 0xffff, s20
	s_cmp_lt_i32 s2, 5
	s_mov_b64 s[0:1], -1
	s_cbranch_scc1 .LBB214_2615
; %bb.2595:
	s_cmp_lt_i32 s2, 8
	s_cbranch_scc1 .LBB214_2605
; %bb.2596:
	s_cmp_lt_i32 s2, 9
	s_cbranch_scc1 .LBB214_2602
; %bb.2597:
	s_cmp_gt_i32 s2, 9
	s_cbranch_scc0 .LBB214_2599
; %bb.2598:
	v_cvt_f64_i32_e32 v[17:18], v1
	v_cvt_f64_u32_e32 v[19:20], v0
	s_mov_b64 s[0:1], 0
	v_ldexp_f64 v[17:18], v[17:18], 32
	v_add_f64 v[17:18], v[17:18], v[19:20]
	v_mov_b32_e32 v19, 0
	v_mov_b32_e32 v20, v19
	global_store_dwordx4 v[2:3], v[17:20], off
.LBB214_2599:
	s_andn2_b64 vcc, exec, s[0:1]
	s_cbranch_vccnz .LBB214_2601
; %bb.2600:
	v_xor_b32_e32 v18, v0, v1
	v_ffbh_i32_e32 v17, v1
	v_ashrrev_i32_e32 v18, 31, v18
	v_add_u32_e32 v17, -1, v17
	v_add_u32_e32 v18, 32, v18
	v_min_u32_e32 v19, v17, v18
	v_lshlrev_b64 v[17:18], v19, v[0:1]
	v_min_u32_e32 v17, 1, v17
	v_or_b32_e32 v17, v18, v17
	v_cvt_f32_i32_e32 v17, v17
	v_sub_u32_e32 v18, 32, v19
	v_ldexp_f32 v17, v17, v18
	v_mov_b32_e32 v18, 0
	global_store_dwordx2 v[2:3], v[17:18], off
.LBB214_2601:
	s_mov_b64 s[0:1], 0
.LBB214_2602:
	s_andn2_b64 vcc, exec, s[0:1]
	s_cbranch_vccnz .LBB214_2604
; %bb.2603:
	v_xor_b32_e32 v18, v0, v1
	v_ffbh_i32_e32 v17, v1
	v_ashrrev_i32_e32 v18, 31, v18
	v_add_u32_e32 v17, -1, v17
	v_add_u32_e32 v18, 32, v18
	v_min_u32_e32 v19, v17, v18
	v_lshlrev_b64 v[17:18], v19, v[0:1]
	v_min_u32_e32 v17, 1, v17
	v_or_b32_e32 v17, v18, v17
	v_cvt_f32_i32_e32 v17, v17
	v_sub_u32_e32 v18, 32, v19
	v_ldexp_f32 v17, v17, v18
	v_cvt_f16_f32_e32 v17, v17
	global_store_dword v[2:3], v17, off
.LBB214_2604:
	s_mov_b64 s[0:1], 0
.LBB214_2605:
	s_andn2_b64 vcc, exec, s[0:1]
	s_cbranch_vccnz .LBB214_2614
; %bb.2606:
	s_cmp_lt_i32 s2, 6
	s_mov_b64 s[0:1], -1
	s_cbranch_scc1 .LBB214_2612
; %bb.2607:
	s_cmp_gt_i32 s2, 6
	s_cbranch_scc0 .LBB214_2609
; %bb.2608:
	v_cvt_f64_i32_e32 v[17:18], v1
	v_cvt_f64_u32_e32 v[19:20], v0
	s_mov_b64 s[0:1], 0
	v_ldexp_f64 v[17:18], v[17:18], 32
	v_add_f64 v[17:18], v[17:18], v[19:20]
	global_store_dwordx2 v[2:3], v[17:18], off
.LBB214_2609:
	s_andn2_b64 vcc, exec, s[0:1]
	s_cbranch_vccnz .LBB214_2611
; %bb.2610:
	v_xor_b32_e32 v18, v0, v1
	v_ffbh_i32_e32 v17, v1
	v_ashrrev_i32_e32 v18, 31, v18
	v_add_u32_e32 v17, -1, v17
	v_add_u32_e32 v18, 32, v18
	v_min_u32_e32 v19, v17, v18
	v_lshlrev_b64 v[17:18], v19, v[0:1]
	v_min_u32_e32 v17, 1, v17
	v_or_b32_e32 v17, v18, v17
	v_cvt_f32_i32_e32 v17, v17
	v_sub_u32_e32 v18, 32, v19
	v_ldexp_f32 v17, v17, v18
	global_store_dword v[2:3], v17, off
.LBB214_2611:
	s_mov_b64 s[0:1], 0
.LBB214_2612:
	s_andn2_b64 vcc, exec, s[0:1]
	s_cbranch_vccnz .LBB214_2614
; %bb.2613:
	v_xor_b32_e32 v18, v0, v1
	v_ffbh_i32_e32 v17, v1
	v_ashrrev_i32_e32 v18, 31, v18
	v_add_u32_e32 v17, -1, v17
	v_add_u32_e32 v18, 32, v18
	v_min_u32_e32 v19, v17, v18
	v_lshlrev_b64 v[17:18], v19, v[0:1]
	v_min_u32_e32 v17, 1, v17
	v_or_b32_e32 v17, v18, v17
	v_cvt_f32_i32_e32 v17, v17
	v_sub_u32_e32 v18, 32, v19
	v_ldexp_f32 v17, v17, v18
	v_cvt_f16_f32_e32 v17, v17
	global_store_short v[2:3], v17, off
.LBB214_2614:
	s_mov_b64 s[0:1], 0
.LBB214_2615:
	s_andn2_b64 vcc, exec, s[0:1]
	s_cbranch_vccnz .LBB214_2631
; %bb.2616:
	s_cmp_lt_i32 s2, 2
	s_mov_b64 s[0:1], -1
	s_cbranch_scc1 .LBB214_2626
; %bb.2617:
	s_cmp_lt_i32 s2, 3
	s_cbranch_scc1 .LBB214_2623
; %bb.2618:
	s_cmp_gt_i32 s2, 3
	s_cbranch_scc0 .LBB214_2620
; %bb.2619:
	global_store_dwordx2 v[2:3], v[0:1], off
	s_mov_b64 s[0:1], 0
.LBB214_2620:
	s_andn2_b64 vcc, exec, s[0:1]
	s_cbranch_vccnz .LBB214_2622
; %bb.2621:
	global_store_dword v[2:3], v0, off
.LBB214_2622:
	s_mov_b64 s[0:1], 0
.LBB214_2623:
	s_andn2_b64 vcc, exec, s[0:1]
	s_cbranch_vccnz .LBB214_2625
; %bb.2624:
	global_store_short v[2:3], v0, off
.LBB214_2625:
	s_mov_b64 s[0:1], 0
.LBB214_2626:
	s_andn2_b64 vcc, exec, s[0:1]
	s_cbranch_vccnz .LBB214_2631
; %bb.2627:
	s_cmp_gt_i32 s2, 0
	s_mov_b64 s[0:1], -1
	s_cbranch_scc0 .LBB214_2629
; %bb.2628:
	global_store_byte v[2:3], v0, off
	s_mov_b64 s[0:1], 0
.LBB214_2629:
	s_andn2_b64 vcc, exec, s[0:1]
	s_cbranch_vccnz .LBB214_2631
; %bb.2630:
	global_store_byte v[2:3], v0, off
.LBB214_2631:
	s_mov_b64 s[10:11], -1
.LBB214_2632:
	s_andn2_b64 vcc, exec, s[10:11]
	s_cbranch_vccnz .LBB214_2947
; %bb.2633:
	v_cmp_gt_u64_e32 vcc, 63, v[6:7]
	s_lshl_b32 s16, s12, 7
	v_cndmask_b32_e32 v0, 63, v6, vcc
	v_ashrrev_i64 v[0:1], v0, v[4:5]
	v_add_u32_e32 v4, s16, v16
	v_ashrrev_i32_e32 v3, 31, v4
	v_mov_b32_e32 v5, s9
	v_add_co_u32_e32 v2, vcc, s8, v4
	s_cmp_lt_i32 s20, 11
	v_addc_co_u32_e32 v3, vcc, v5, v3, vcc
	s_cbranch_scc1 .LBB214_2711
; %bb.2634:
	s_and_b32 s17, 0xffff, s20
	s_mov_b64 s[12:13], -1
	s_mov_b64 s[2:3], 0
	s_cmp_gt_i32 s17, 25
	s_mov_b64 s[10:11], 0
	s_mov_b64 s[0:1], 0
	s_cbranch_scc0 .LBB214_2667
; %bb.2635:
	s_cmp_gt_i32 s17, 28
	s_cbranch_scc0 .LBB214_2650
; %bb.2636:
	s_cmp_gt_i32 s17, 43
	;; [unrolled: 3-line block ×3, first 2 shown]
	s_cbranch_scc0 .LBB214_2640
; %bb.2638:
	s_mov_b64 s[0:1], -1
	s_mov_b64 s[12:13], 0
	s_cmp_eq_u32 s17, 46
	s_cbranch_scc0 .LBB214_2640
; %bb.2639:
	v_xor_b32_e32 v6, v0, v1
	v_ffbh_i32_e32 v5, v1
	v_ashrrev_i32_e32 v6, 31, v6
	v_add_u32_e32 v5, -1, v5
	v_add_u32_e32 v6, 32, v6
	v_min_u32_e32 v7, v5, v6
	v_lshlrev_b64 v[5:6], v7, v[0:1]
	s_movk_i32 s0, 0x7fff
	v_min_u32_e32 v5, 1, v5
	v_or_b32_e32 v5, v6, v5
	v_cvt_f32_i32_e32 v5, v5
	v_sub_u32_e32 v6, 32, v7
	s_mov_b64 s[10:11], -1
	v_ldexp_f32 v5, v5, v6
	v_bfe_u32 v6, v5, 16, 1
	v_add3_u32 v5, v5, v6, s0
	v_lshrrev_b32_e32 v5, 16, v5
	global_store_dword v[2:3], v5, off
	s_mov_b64 s[0:1], 0
.LBB214_2640:
	s_and_b64 vcc, exec, s[12:13]
	s_cbranch_vccz .LBB214_2645
; %bb.2641:
	s_cmp_eq_u32 s17, 44
	s_mov_b64 s[0:1], -1
	s_cbranch_scc0 .LBB214_2645
; %bb.2642:
	v_xor_b32_e32 v6, v0, v1
	v_ffbh_i32_e32 v5, v1
	v_ashrrev_i32_e32 v6, 31, v6
	v_add_u32_e32 v5, -1, v5
	v_add_u32_e32 v6, 32, v6
	v_min_u32_e32 v7, v5, v6
	v_lshlrev_b64 v[5:6], v7, v[0:1]
	s_movk_i32 s0, 0xff
	v_min_u32_e32 v5, 1, v5
	v_or_b32_e32 v5, v6, v5
	v_cvt_f32_i32_e32 v5, v5
	v_sub_u32_e32 v6, 32, v7
	v_mov_b32_e32 v7, 0xff
	v_ldexp_f32 v5, v5, v6
	v_bfe_u32 v6, v5, 23, 8
	v_cmp_ne_u32_e32 vcc, s0, v6
	s_and_saveexec_b64 s[10:11], vcc
; %bb.2643:
	s_mov_b32 s0, 0x3fffff
	v_lshrrev_b32_e32 v7, 23, v5
	v_and_b32_e32 v16, 0x400000, v5
	v_and_or_b32 v5, v5, s0, v6
	v_cmp_ne_u32_e32 vcc, 0, v16
	v_cmp_ne_u32_e64 s[0:1], 0, v5
	s_and_b64 s[0:1], vcc, s[0:1]
	v_cndmask_b32_e64 v5, 0, 1, s[0:1]
	v_add_u32_e32 v7, v7, v5
; %bb.2644:
	s_or_b64 exec, exec, s[10:11]
	s_mov_b64 s[0:1], 0
	s_mov_b64 s[10:11], -1
	global_store_byte v[2:3], v7, off
.LBB214_2645:
	s_mov_b64 s[12:13], 0
.LBB214_2646:
	s_and_b64 vcc, exec, s[12:13]
	s_cbranch_vccz .LBB214_2649
; %bb.2647:
	s_cmp_eq_u32 s17, 29
	s_mov_b64 s[0:1], -1
	s_cbranch_scc0 .LBB214_2649
; %bb.2648:
	global_store_dwordx2 v[2:3], v[0:1], off
	s_mov_b64 s[0:1], 0
	s_mov_b64 s[10:11], -1
.LBB214_2649:
	s_mov_b64 s[12:13], 0
.LBB214_2650:
	s_and_b64 vcc, exec, s[12:13]
	s_cbranch_vccz .LBB214_2666
; %bb.2651:
	s_cmp_lt_i32 s17, 27
	s_mov_b64 s[10:11], -1
	s_cbranch_scc1 .LBB214_2657
; %bb.2652:
	s_cmp_gt_i32 s17, 27
	s_cbranch_scc0 .LBB214_2654
; %bb.2653:
	s_mov_b64 s[10:11], 0
	global_store_dword v[2:3], v0, off
.LBB214_2654:
	s_andn2_b64 vcc, exec, s[10:11]
	s_cbranch_vccnz .LBB214_2656
; %bb.2655:
	global_store_short v[2:3], v0, off
.LBB214_2656:
	s_mov_b64 s[10:11], 0
.LBB214_2657:
	s_andn2_b64 vcc, exec, s[10:11]
	s_cbranch_vccnz .LBB214_2665
; %bb.2658:
	v_xor_b32_e32 v6, v0, v1
	v_ffbh_i32_e32 v5, v1
	v_ashrrev_i32_e32 v6, 31, v6
	v_add_u32_e32 v5, -1, v5
	v_add_u32_e32 v6, 32, v6
	v_min_u32_e32 v7, v5, v6
	v_lshlrev_b64 v[5:6], v7, v[0:1]
	s_mov_b32 s10, 0x43800000
	v_min_u32_e32 v5, 1, v5
	v_or_b32_e32 v5, v6, v5
	v_cvt_f32_i32_e32 v5, v5
	v_sub_u32_e32 v6, 32, v7
	v_mov_b32_e32 v7, 0x80
	v_ldexp_f32 v5, v5, v6
	v_and_b32_e32 v6, 0x7fffffff, v5
	v_cmp_gt_u32_e32 vcc, s10, v6
	s_and_saveexec_b64 s[10:11], vcc
	s_cbranch_execz .LBB214_2664
; %bb.2659:
	s_mov_b32 s12, 0x3bffffff
	v_cmp_lt_u32_e32 vcc, s12, v6
	s_mov_b64 s[12:13], 0
                                        ; implicit-def: $vgpr6
	s_and_saveexec_b64 s[14:15], vcc
	s_xor_b64 s[14:15], exec, s[14:15]
	s_cbranch_execz .LBB214_2999
; %bb.2660:
	v_bfe_u32 v6, v5, 20, 1
	s_mov_b32 s21, 0x487ffff
	v_add3_u32 v6, v5, v6, s21
	s_mov_b64 s[12:13], exec
	v_lshrrev_b32_e32 v6, 20, v6
	s_andn2_saveexec_b64 s[14:15], s[14:15]
	s_cbranch_execnz .LBB214_3000
.LBB214_2661:
	s_or_b64 exec, exec, s[14:15]
	v_mov_b32_e32 v7, 0
	s_and_saveexec_b64 s[14:15], s[12:13]
.LBB214_2662:
	v_lshrrev_b32_e32 v5, 24, v5
	s_movk_i32 s12, 0x80
	v_and_or_b32 v7, v5, s12, v6
.LBB214_2663:
	s_or_b64 exec, exec, s[14:15]
.LBB214_2664:
	s_or_b64 exec, exec, s[10:11]
	global_store_byte v[2:3], v7, off
.LBB214_2665:
	s_mov_b64 s[10:11], -1
.LBB214_2666:
	s_mov_b64 s[12:13], 0
.LBB214_2667:
	s_and_b64 vcc, exec, s[12:13]
	s_cbranch_vccz .LBB214_2707
; %bb.2668:
	s_cmp_gt_i32 s17, 22
	s_mov_b64 s[2:3], -1
	s_cbranch_scc0 .LBB214_2700
; %bb.2669:
	s_cmp_lt_i32 s17, 24
	s_cbranch_scc1 .LBB214_2689
; %bb.2670:
	s_cmp_gt_i32 s17, 24
	s_cbranch_scc0 .LBB214_2678
; %bb.2671:
	v_xor_b32_e32 v6, v0, v1
	v_ffbh_i32_e32 v5, v1
	v_ashrrev_i32_e32 v6, 31, v6
	v_add_u32_e32 v5, -1, v5
	v_add_u32_e32 v6, 32, v6
	v_min_u32_e32 v7, v5, v6
	v_lshlrev_b64 v[5:6], v7, v[0:1]
	s_mov_b32 s2, 0x47800000
	v_min_u32_e32 v5, 1, v5
	v_or_b32_e32 v5, v6, v5
	v_cvt_f32_i32_e32 v5, v5
	v_sub_u32_e32 v6, 32, v7
	v_mov_b32_e32 v7, 0x80
	v_ldexp_f32 v5, v5, v6
	v_and_b32_e32 v6, 0x7fffffff, v5
	v_cmp_gt_u32_e32 vcc, s2, v6
	s_and_saveexec_b64 s[2:3], vcc
	s_cbranch_execz .LBB214_2677
; %bb.2672:
	s_mov_b32 s10, 0x37ffffff
	v_cmp_lt_u32_e32 vcc, s10, v6
	s_mov_b64 s[10:11], 0
                                        ; implicit-def: $vgpr6
	s_and_saveexec_b64 s[12:13], vcc
	s_xor_b64 s[12:13], exec, s[12:13]
	s_cbranch_execz .LBB214_3002
; %bb.2673:
	v_bfe_u32 v6, v5, 21, 1
	s_mov_b32 s14, 0x88fffff
	v_add3_u32 v6, v5, v6, s14
	s_mov_b64 s[10:11], exec
	v_lshrrev_b32_e32 v6, 21, v6
	s_andn2_saveexec_b64 s[12:13], s[12:13]
	s_cbranch_execnz .LBB214_3003
.LBB214_2674:
	s_or_b64 exec, exec, s[12:13]
	v_mov_b32_e32 v7, 0
	s_and_saveexec_b64 s[12:13], s[10:11]
.LBB214_2675:
	v_lshrrev_b32_e32 v5, 24, v5
	s_movk_i32 s10, 0x80
	v_and_or_b32 v7, v5, s10, v6
.LBB214_2676:
	s_or_b64 exec, exec, s[12:13]
.LBB214_2677:
	s_or_b64 exec, exec, s[2:3]
	s_mov_b64 s[2:3], 0
	global_store_byte v[2:3], v7, off
.LBB214_2678:
	s_and_b64 vcc, exec, s[2:3]
	s_cbranch_vccz .LBB214_2688
; %bb.2679:
	v_xor_b32_e32 v6, v0, v1
	v_ffbh_i32_e32 v5, v1
	v_ashrrev_i32_e32 v6, 31, v6
	v_add_u32_e32 v5, -1, v5
	v_add_u32_e32 v6, 32, v6
	v_min_u32_e32 v7, v5, v6
	v_lshlrev_b64 v[5:6], v7, v[0:1]
	s_mov_b32 s2, 0x43f00000
	v_min_u32_e32 v5, 1, v5
	v_or_b32_e32 v5, v6, v5
	v_cvt_f32_i32_e32 v5, v5
	v_sub_u32_e32 v6, 32, v7
	v_ldexp_f32 v5, v5, v6
	v_and_b32_e32 v7, 0x7fffffff, v5
	v_cmp_gt_u32_e32 vcc, s2, v7
                                        ; implicit-def: $vgpr6
	s_and_saveexec_b64 s[2:3], vcc
	s_xor_b64 s[2:3], exec, s[2:3]
	s_cbranch_execz .LBB214_2685
; %bb.2680:
	s_mov_b32 s10, 0x3c7fffff
	v_cmp_lt_u32_e32 vcc, s10, v7
                                        ; implicit-def: $vgpr6
	s_and_saveexec_b64 s[10:11], vcc
	s_xor_b64 s[10:11], exec, s[10:11]
; %bb.2681:
	v_bfe_u32 v6, v5, 20, 1
	s_mov_b32 s12, 0x407ffff
	v_add3_u32 v6, v5, v6, s12
	v_lshrrev_b32_e32 v7, 20, v6
	v_and_b32_e32 v6, 0xff00000, v6
	s_mov_b32 s12, 0x7f00000
	v_mov_b32_e32 v16, 0x7e
	v_cmp_ne_u32_e32 vcc, s12, v6
	v_cndmask_b32_e32 v6, v16, v7, vcc
; %bb.2682:
	s_andn2_saveexec_b64 s[10:11], s[10:11]
; %bb.2683:
	s_mov_b32 s12, 0x46800000
	v_add_f32_e64 v6, |v5|, s12
; %bb.2684:
	s_or_b64 exec, exec, s[10:11]
                                        ; implicit-def: $vgpr7
.LBB214_2685:
	s_andn2_saveexec_b64 s[2:3], s[2:3]
; %bb.2686:
	s_mov_b32 s10, 0x7f800000
	v_mov_b32_e32 v6, 0x7e
	v_mov_b32_e32 v16, 0x7f
	v_cmp_lt_u32_e32 vcc, s10, v7
	v_cndmask_b32_e32 v6, v6, v16, vcc
; %bb.2687:
	s_or_b64 exec, exec, s[2:3]
	v_lshrrev_b32_e32 v5, 24, v5
	s_movk_i32 s2, 0x80
	v_and_or_b32 v5, v5, s2, v6
	global_store_byte v[2:3], v5, off
.LBB214_2688:
	s_mov_b64 s[2:3], 0
.LBB214_2689:
	s_andn2_b64 vcc, exec, s[2:3]
	s_cbranch_vccnz .LBB214_2699
; %bb.2690:
	v_xor_b32_e32 v6, v0, v1
	v_ffbh_i32_e32 v5, v1
	v_ashrrev_i32_e32 v6, 31, v6
	v_add_u32_e32 v5, -1, v5
	v_add_u32_e32 v6, 32, v6
	v_min_u32_e32 v7, v5, v6
	v_lshlrev_b64 v[5:6], v7, v[0:1]
	s_mov_b32 s2, 0x47800000
	v_min_u32_e32 v5, 1, v5
	v_or_b32_e32 v5, v6, v5
	v_cvt_f32_i32_e32 v5, v5
	v_sub_u32_e32 v6, 32, v7
	v_ldexp_f32 v5, v5, v6
	v_and_b32_e32 v7, 0x7fffffff, v5
	v_cmp_gt_u32_e32 vcc, s2, v7
                                        ; implicit-def: $vgpr6
	s_and_saveexec_b64 s[2:3], vcc
	s_xor_b64 s[2:3], exec, s[2:3]
	s_cbranch_execz .LBB214_2696
; %bb.2691:
	s_mov_b32 s10, 0x387fffff
	v_cmp_lt_u32_e32 vcc, s10, v7
                                        ; implicit-def: $vgpr6
	s_and_saveexec_b64 s[10:11], vcc
	s_xor_b64 s[10:11], exec, s[10:11]
; %bb.2692:
	v_bfe_u32 v6, v5, 21, 1
	s_mov_b32 s12, 0x80fffff
	v_add3_u32 v6, v5, v6, s12
	v_lshrrev_b32_e32 v6, 21, v6
; %bb.2693:
	s_andn2_saveexec_b64 s[10:11], s[10:11]
; %bb.2694:
	s_mov_b32 s12, 0x43000000
	v_add_f32_e64 v6, |v5|, s12
; %bb.2695:
	s_or_b64 exec, exec, s[10:11]
                                        ; implicit-def: $vgpr7
.LBB214_2696:
	s_andn2_saveexec_b64 s[2:3], s[2:3]
; %bb.2697:
	s_mov_b32 s10, 0x7f800000
	v_mov_b32_e32 v6, 0x7c
	v_mov_b32_e32 v16, 0x7f
	v_cmp_lt_u32_e32 vcc, s10, v7
	v_cndmask_b32_e32 v6, v6, v16, vcc
; %bb.2698:
	s_or_b64 exec, exec, s[2:3]
	v_lshrrev_b32_e32 v5, 24, v5
	s_movk_i32 s2, 0x80
	v_and_or_b32 v5, v5, s2, v6
	global_store_byte v[2:3], v5, off
.LBB214_2699:
	s_mov_b64 s[2:3], 0
	s_mov_b64 s[10:11], -1
.LBB214_2700:
	s_andn2_b64 vcc, exec, s[2:3]
	s_mov_b64 s[2:3], 0
	s_cbranch_vccnz .LBB214_2707
; %bb.2701:
	s_cmp_gt_i32 s17, 14
	s_mov_b64 s[12:13], -1
	s_cbranch_scc0 .LBB214_2705
; %bb.2702:
	s_cmp_eq_u32 s17, 15
	s_mov_b64 s[0:1], -1
	s_cbranch_scc0 .LBB214_2704
; %bb.2703:
	v_xor_b32_e32 v6, v0, v1
	v_ffbh_i32_e32 v5, v1
	v_ashrrev_i32_e32 v6, 31, v6
	v_add_u32_e32 v5, -1, v5
	v_add_u32_e32 v6, 32, v6
	v_min_u32_e32 v7, v5, v6
	v_lshlrev_b64 v[5:6], v7, v[0:1]
	s_movk_i32 s0, 0x7fff
	v_min_u32_e32 v5, 1, v5
	v_or_b32_e32 v5, v6, v5
	v_cvt_f32_i32_e32 v5, v5
	v_sub_u32_e32 v6, 32, v7
	s_mov_b64 s[10:11], -1
	v_ldexp_f32 v5, v5, v6
	v_bfe_u32 v6, v5, 16, 1
	v_add3_u32 v5, v5, v6, s0
	global_store_short_d16_hi v[2:3], v5, off
	s_mov_b64 s[0:1], 0
.LBB214_2704:
	s_mov_b64 s[12:13], 0
.LBB214_2705:
	s_and_b64 vcc, exec, s[12:13]
	s_cbranch_vccz .LBB214_2707
; %bb.2706:
	s_cmp_lg_u32 s17, 11
	s_mov_b64 s[2:3], -1
	s_cselect_b64 s[0:1], -1, 0
.LBB214_2707:
	s_and_b64 vcc, exec, s[0:1]
	s_cbranch_vccnz .LBB214_3001
; %bb.2708:
	s_andn2_b64 vcc, exec, s[2:3]
	s_cbranch_vccnz .LBB214_2710
.LBB214_2709:
	v_cmp_ne_u64_e32 vcc, 0, v[0:1]
	s_mov_b64 s[10:11], -1
	v_cndmask_b32_e64 v5, 0, 1, vcc
	global_store_byte v[2:3], v5, off
.LBB214_2710:
	s_mov_b64 s[0:1], 0
	s_branch .LBB214_2712
.LBB214_2711:
	s_mov_b64 s[0:1], -1
	s_mov_b64 s[10:11], 0
.LBB214_2712:
	s_and_b64 vcc, exec, s[0:1]
	s_cbranch_vccz .LBB214_2751
; %bb.2713:
	s_and_b32 s2, 0xffff, s20
	s_cmp_lt_i32 s2, 5
	s_mov_b64 s[0:1], -1
	s_cbranch_scc1 .LBB214_2734
; %bb.2714:
	s_cmp_lt_i32 s2, 8
	s_cbranch_scc1 .LBB214_2724
; %bb.2715:
	s_cmp_lt_i32 s2, 9
	s_cbranch_scc1 .LBB214_2721
; %bb.2716:
	s_cmp_gt_i32 s2, 9
	s_cbranch_scc0 .LBB214_2718
; %bb.2717:
	v_cvt_f64_i32_e32 v[5:6], v1
	v_cvt_f64_u32_e32 v[16:17], v0
	v_mov_b32_e32 v18, 0
	v_mov_b32_e32 v19, v18
	v_ldexp_f64 v[5:6], v[5:6], 32
	s_mov_b64 s[0:1], 0
	v_add_f64 v[16:17], v[5:6], v[16:17]
	global_store_dwordx4 v[2:3], v[16:19], off
.LBB214_2718:
	s_andn2_b64 vcc, exec, s[0:1]
	s_cbranch_vccnz .LBB214_2720
; %bb.2719:
	v_xor_b32_e32 v6, v0, v1
	v_ffbh_i32_e32 v5, v1
	v_ashrrev_i32_e32 v6, 31, v6
	v_add_u32_e32 v5, -1, v5
	v_add_u32_e32 v6, 32, v6
	v_min_u32_e32 v7, v5, v6
	v_lshlrev_b64 v[5:6], v7, v[0:1]
	v_min_u32_e32 v5, 1, v5
	v_or_b32_e32 v5, v6, v5
	v_cvt_f32_i32_e32 v5, v5
	v_sub_u32_e32 v6, 32, v7
	v_ldexp_f32 v5, v5, v6
	v_mov_b32_e32 v6, 0
	global_store_dwordx2 v[2:3], v[5:6], off
.LBB214_2720:
	s_mov_b64 s[0:1], 0
.LBB214_2721:
	s_andn2_b64 vcc, exec, s[0:1]
	s_cbranch_vccnz .LBB214_2723
; %bb.2722:
	v_xor_b32_e32 v6, v0, v1
	v_ffbh_i32_e32 v5, v1
	v_ashrrev_i32_e32 v6, 31, v6
	v_add_u32_e32 v5, -1, v5
	v_add_u32_e32 v6, 32, v6
	v_min_u32_e32 v7, v5, v6
	v_lshlrev_b64 v[5:6], v7, v[0:1]
	v_min_u32_e32 v5, 1, v5
	v_or_b32_e32 v5, v6, v5
	v_cvt_f32_i32_e32 v5, v5
	v_sub_u32_e32 v6, 32, v7
	v_ldexp_f32 v5, v5, v6
	v_cvt_f16_f32_e32 v5, v5
	global_store_dword v[2:3], v5, off
.LBB214_2723:
	s_mov_b64 s[0:1], 0
.LBB214_2724:
	s_andn2_b64 vcc, exec, s[0:1]
	s_cbranch_vccnz .LBB214_2733
; %bb.2725:
	s_cmp_lt_i32 s2, 6
	s_mov_b64 s[0:1], -1
	s_cbranch_scc1 .LBB214_2731
; %bb.2726:
	s_cmp_gt_i32 s2, 6
	s_cbranch_scc0 .LBB214_2728
; %bb.2727:
	v_cvt_f64_i32_e32 v[5:6], v1
	v_cvt_f64_u32_e32 v[16:17], v0
	s_mov_b64 s[0:1], 0
	v_ldexp_f64 v[5:6], v[5:6], 32
	v_add_f64 v[5:6], v[5:6], v[16:17]
	global_store_dwordx2 v[2:3], v[5:6], off
.LBB214_2728:
	s_andn2_b64 vcc, exec, s[0:1]
	s_cbranch_vccnz .LBB214_2730
; %bb.2729:
	v_xor_b32_e32 v6, v0, v1
	v_ffbh_i32_e32 v5, v1
	v_ashrrev_i32_e32 v6, 31, v6
	v_add_u32_e32 v5, -1, v5
	v_add_u32_e32 v6, 32, v6
	v_min_u32_e32 v7, v5, v6
	v_lshlrev_b64 v[5:6], v7, v[0:1]
	v_min_u32_e32 v5, 1, v5
	v_or_b32_e32 v5, v6, v5
	v_cvt_f32_i32_e32 v5, v5
	v_sub_u32_e32 v6, 32, v7
	v_ldexp_f32 v5, v5, v6
	global_store_dword v[2:3], v5, off
.LBB214_2730:
	s_mov_b64 s[0:1], 0
.LBB214_2731:
	s_andn2_b64 vcc, exec, s[0:1]
	s_cbranch_vccnz .LBB214_2733
; %bb.2732:
	v_xor_b32_e32 v6, v0, v1
	v_ffbh_i32_e32 v5, v1
	v_ashrrev_i32_e32 v6, 31, v6
	v_add_u32_e32 v5, -1, v5
	v_add_u32_e32 v6, 32, v6
	v_min_u32_e32 v7, v5, v6
	v_lshlrev_b64 v[5:6], v7, v[0:1]
	v_min_u32_e32 v5, 1, v5
	v_or_b32_e32 v5, v6, v5
	v_cvt_f32_i32_e32 v5, v5
	v_sub_u32_e32 v6, 32, v7
	v_ldexp_f32 v5, v5, v6
	v_cvt_f16_f32_e32 v5, v5
	global_store_short v[2:3], v5, off
.LBB214_2733:
	s_mov_b64 s[0:1], 0
.LBB214_2734:
	s_andn2_b64 vcc, exec, s[0:1]
	s_cbranch_vccnz .LBB214_2750
; %bb.2735:
	s_cmp_lt_i32 s2, 2
	s_mov_b64 s[0:1], -1
	s_cbranch_scc1 .LBB214_2745
; %bb.2736:
	s_cmp_lt_i32 s2, 3
	s_cbranch_scc1 .LBB214_2742
; %bb.2737:
	s_cmp_gt_i32 s2, 3
	s_cbranch_scc0 .LBB214_2739
; %bb.2738:
	global_store_dwordx2 v[2:3], v[0:1], off
	s_mov_b64 s[0:1], 0
.LBB214_2739:
	s_andn2_b64 vcc, exec, s[0:1]
	s_cbranch_vccnz .LBB214_2741
; %bb.2740:
	global_store_dword v[2:3], v0, off
.LBB214_2741:
	s_mov_b64 s[0:1], 0
.LBB214_2742:
	s_andn2_b64 vcc, exec, s[0:1]
	s_cbranch_vccnz .LBB214_2744
; %bb.2743:
	global_store_short v[2:3], v0, off
.LBB214_2744:
	s_mov_b64 s[0:1], 0
.LBB214_2745:
	s_andn2_b64 vcc, exec, s[0:1]
	s_cbranch_vccnz .LBB214_2750
; %bb.2746:
	s_cmp_gt_i32 s2, 0
	s_mov_b64 s[0:1], -1
	s_cbranch_scc0 .LBB214_2748
; %bb.2747:
	global_store_byte v[2:3], v0, off
	s_mov_b64 s[0:1], 0
.LBB214_2748:
	s_andn2_b64 vcc, exec, s[0:1]
	s_cbranch_vccnz .LBB214_2750
; %bb.2749:
	global_store_byte v[2:3], v0, off
.LBB214_2750:
	s_mov_b64 s[10:11], -1
.LBB214_2751:
	s_andn2_b64 vcc, exec, s[10:11]
	s_cbranch_vccnz .LBB214_2947
; %bb.2752:
	v_cmp_gt_u64_e32 vcc, 63, v[10:11]
	v_add_u32_e32 v4, s16, v4
	v_cndmask_b32_e32 v0, 63, v10, vcc
	v_ashrrev_i64 v[0:1], v0, v[8:9]
	v_ashrrev_i32_e32 v3, 31, v4
	v_mov_b32_e32 v5, s9
	v_add_co_u32_e32 v2, vcc, s8, v4
	s_cmp_lt_i32 s20, 11
	v_addc_co_u32_e32 v3, vcc, v5, v3, vcc
	s_cbranch_scc1 .LBB214_2830
; %bb.2753:
	s_and_b32 s17, 0xffff, s20
	s_mov_b64 s[12:13], -1
	s_mov_b64 s[2:3], 0
	s_cmp_gt_i32 s17, 25
	s_mov_b64 s[10:11], 0
	s_mov_b64 s[0:1], 0
	s_cbranch_scc0 .LBB214_2786
; %bb.2754:
	s_cmp_gt_i32 s17, 28
	s_cbranch_scc0 .LBB214_2769
; %bb.2755:
	s_cmp_gt_i32 s17, 43
	;; [unrolled: 3-line block ×3, first 2 shown]
	s_cbranch_scc0 .LBB214_2759
; %bb.2757:
	s_mov_b64 s[0:1], -1
	s_mov_b64 s[12:13], 0
	s_cmp_eq_u32 s17, 46
	s_cbranch_scc0 .LBB214_2759
; %bb.2758:
	v_xor_b32_e32 v6, v0, v1
	v_ffbh_i32_e32 v5, v1
	v_ashrrev_i32_e32 v6, 31, v6
	v_add_u32_e32 v5, -1, v5
	v_add_u32_e32 v6, 32, v6
	v_min_u32_e32 v7, v5, v6
	v_lshlrev_b64 v[5:6], v7, v[0:1]
	s_movk_i32 s0, 0x7fff
	v_min_u32_e32 v5, 1, v5
	v_or_b32_e32 v5, v6, v5
	v_cvt_f32_i32_e32 v5, v5
	v_sub_u32_e32 v6, 32, v7
	s_mov_b64 s[10:11], -1
	v_ldexp_f32 v5, v5, v6
	v_bfe_u32 v6, v5, 16, 1
	v_add3_u32 v5, v5, v6, s0
	v_lshrrev_b32_e32 v5, 16, v5
	global_store_dword v[2:3], v5, off
	s_mov_b64 s[0:1], 0
.LBB214_2759:
	s_and_b64 vcc, exec, s[12:13]
	s_cbranch_vccz .LBB214_2764
; %bb.2760:
	s_cmp_eq_u32 s17, 44
	s_mov_b64 s[0:1], -1
	s_cbranch_scc0 .LBB214_2764
; %bb.2761:
	v_xor_b32_e32 v6, v0, v1
	v_ffbh_i32_e32 v5, v1
	v_ashrrev_i32_e32 v6, 31, v6
	v_add_u32_e32 v5, -1, v5
	v_add_u32_e32 v6, 32, v6
	v_min_u32_e32 v7, v5, v6
	v_lshlrev_b64 v[5:6], v7, v[0:1]
	s_movk_i32 s0, 0xff
	v_min_u32_e32 v5, 1, v5
	v_or_b32_e32 v5, v6, v5
	v_cvt_f32_i32_e32 v5, v5
	v_sub_u32_e32 v6, 32, v7
	v_mov_b32_e32 v7, 0xff
	v_ldexp_f32 v5, v5, v6
	v_bfe_u32 v6, v5, 23, 8
	v_cmp_ne_u32_e32 vcc, s0, v6
	s_and_saveexec_b64 s[10:11], vcc
; %bb.2762:
	s_mov_b32 s0, 0x3fffff
	v_lshrrev_b32_e32 v7, 23, v5
	v_and_b32_e32 v8, 0x400000, v5
	v_and_or_b32 v5, v5, s0, v6
	v_cmp_ne_u32_e32 vcc, 0, v8
	v_cmp_ne_u32_e64 s[0:1], 0, v5
	s_and_b64 s[0:1], vcc, s[0:1]
	v_cndmask_b32_e64 v5, 0, 1, s[0:1]
	v_add_u32_e32 v7, v7, v5
; %bb.2763:
	s_or_b64 exec, exec, s[10:11]
	s_mov_b64 s[0:1], 0
	s_mov_b64 s[10:11], -1
	global_store_byte v[2:3], v7, off
.LBB214_2764:
	s_mov_b64 s[12:13], 0
.LBB214_2765:
	s_and_b64 vcc, exec, s[12:13]
	s_cbranch_vccz .LBB214_2768
; %bb.2766:
	s_cmp_eq_u32 s17, 29
	s_mov_b64 s[0:1], -1
	s_cbranch_scc0 .LBB214_2768
; %bb.2767:
	global_store_dwordx2 v[2:3], v[0:1], off
	s_mov_b64 s[0:1], 0
	s_mov_b64 s[10:11], -1
.LBB214_2768:
	s_mov_b64 s[12:13], 0
.LBB214_2769:
	s_and_b64 vcc, exec, s[12:13]
	s_cbranch_vccz .LBB214_2785
; %bb.2770:
	s_cmp_lt_i32 s17, 27
	s_mov_b64 s[10:11], -1
	s_cbranch_scc1 .LBB214_2776
; %bb.2771:
	s_cmp_gt_i32 s17, 27
	s_cbranch_scc0 .LBB214_2773
; %bb.2772:
	s_mov_b64 s[10:11], 0
	global_store_dword v[2:3], v0, off
.LBB214_2773:
	s_andn2_b64 vcc, exec, s[10:11]
	s_cbranch_vccnz .LBB214_2775
; %bb.2774:
	global_store_short v[2:3], v0, off
.LBB214_2775:
	s_mov_b64 s[10:11], 0
.LBB214_2776:
	s_andn2_b64 vcc, exec, s[10:11]
	s_cbranch_vccnz .LBB214_2784
; %bb.2777:
	v_xor_b32_e32 v6, v0, v1
	v_ffbh_i32_e32 v5, v1
	v_ashrrev_i32_e32 v6, 31, v6
	v_add_u32_e32 v5, -1, v5
	v_add_u32_e32 v6, 32, v6
	v_min_u32_e32 v7, v5, v6
	v_lshlrev_b64 v[5:6], v7, v[0:1]
	s_mov_b32 s10, 0x43800000
	v_min_u32_e32 v5, 1, v5
	v_or_b32_e32 v5, v6, v5
	v_cvt_f32_i32_e32 v5, v5
	v_sub_u32_e32 v6, 32, v7
	v_mov_b32_e32 v7, 0x80
	v_ldexp_f32 v5, v5, v6
	v_and_b32_e32 v6, 0x7fffffff, v5
	v_cmp_gt_u32_e32 vcc, s10, v6
	s_and_saveexec_b64 s[10:11], vcc
	s_cbranch_execz .LBB214_2783
; %bb.2778:
	s_mov_b32 s12, 0x3bffffff
	v_cmp_lt_u32_e32 vcc, s12, v6
	s_mov_b64 s[12:13], 0
                                        ; implicit-def: $vgpr6
	s_and_saveexec_b64 s[14:15], vcc
	s_xor_b64 s[14:15], exec, s[14:15]
	s_cbranch_execz .LBB214_3004
; %bb.2779:
	v_bfe_u32 v6, v5, 20, 1
	s_mov_b32 s21, 0x487ffff
	v_add3_u32 v6, v5, v6, s21
	s_mov_b64 s[12:13], exec
	v_lshrrev_b32_e32 v6, 20, v6
	s_andn2_saveexec_b64 s[14:15], s[14:15]
	s_cbranch_execnz .LBB214_3005
.LBB214_2780:
	s_or_b64 exec, exec, s[14:15]
	v_mov_b32_e32 v7, 0
	s_and_saveexec_b64 s[14:15], s[12:13]
.LBB214_2781:
	v_lshrrev_b32_e32 v5, 24, v5
	s_movk_i32 s12, 0x80
	v_and_or_b32 v7, v5, s12, v6
.LBB214_2782:
	s_or_b64 exec, exec, s[14:15]
.LBB214_2783:
	s_or_b64 exec, exec, s[10:11]
	global_store_byte v[2:3], v7, off
.LBB214_2784:
	s_mov_b64 s[10:11], -1
.LBB214_2785:
	s_mov_b64 s[12:13], 0
.LBB214_2786:
	s_and_b64 vcc, exec, s[12:13]
	s_cbranch_vccz .LBB214_2826
; %bb.2787:
	s_cmp_gt_i32 s17, 22
	s_mov_b64 s[2:3], -1
	s_cbranch_scc0 .LBB214_2819
; %bb.2788:
	s_cmp_lt_i32 s17, 24
	s_cbranch_scc1 .LBB214_2808
; %bb.2789:
	s_cmp_gt_i32 s17, 24
	s_cbranch_scc0 .LBB214_2797
; %bb.2790:
	v_xor_b32_e32 v6, v0, v1
	v_ffbh_i32_e32 v5, v1
	v_ashrrev_i32_e32 v6, 31, v6
	v_add_u32_e32 v5, -1, v5
	v_add_u32_e32 v6, 32, v6
	v_min_u32_e32 v7, v5, v6
	v_lshlrev_b64 v[5:6], v7, v[0:1]
	s_mov_b32 s2, 0x47800000
	v_min_u32_e32 v5, 1, v5
	v_or_b32_e32 v5, v6, v5
	v_cvt_f32_i32_e32 v5, v5
	v_sub_u32_e32 v6, 32, v7
	v_mov_b32_e32 v7, 0x80
	v_ldexp_f32 v5, v5, v6
	v_and_b32_e32 v6, 0x7fffffff, v5
	v_cmp_gt_u32_e32 vcc, s2, v6
	s_and_saveexec_b64 s[2:3], vcc
	s_cbranch_execz .LBB214_2796
; %bb.2791:
	s_mov_b32 s10, 0x37ffffff
	v_cmp_lt_u32_e32 vcc, s10, v6
	s_mov_b64 s[10:11], 0
                                        ; implicit-def: $vgpr6
	s_and_saveexec_b64 s[12:13], vcc
	s_xor_b64 s[12:13], exec, s[12:13]
	s_cbranch_execz .LBB214_3007
; %bb.2792:
	v_bfe_u32 v6, v5, 21, 1
	s_mov_b32 s14, 0x88fffff
	v_add3_u32 v6, v5, v6, s14
	s_mov_b64 s[10:11], exec
	v_lshrrev_b32_e32 v6, 21, v6
	s_andn2_saveexec_b64 s[12:13], s[12:13]
	s_cbranch_execnz .LBB214_3008
.LBB214_2793:
	s_or_b64 exec, exec, s[12:13]
	v_mov_b32_e32 v7, 0
	s_and_saveexec_b64 s[12:13], s[10:11]
.LBB214_2794:
	v_lshrrev_b32_e32 v5, 24, v5
	s_movk_i32 s10, 0x80
	v_and_or_b32 v7, v5, s10, v6
.LBB214_2795:
	s_or_b64 exec, exec, s[12:13]
.LBB214_2796:
	s_or_b64 exec, exec, s[2:3]
	s_mov_b64 s[2:3], 0
	global_store_byte v[2:3], v7, off
.LBB214_2797:
	s_and_b64 vcc, exec, s[2:3]
	s_cbranch_vccz .LBB214_2807
; %bb.2798:
	v_xor_b32_e32 v6, v0, v1
	v_ffbh_i32_e32 v5, v1
	v_ashrrev_i32_e32 v6, 31, v6
	v_add_u32_e32 v5, -1, v5
	v_add_u32_e32 v6, 32, v6
	v_min_u32_e32 v7, v5, v6
	v_lshlrev_b64 v[5:6], v7, v[0:1]
	s_mov_b32 s2, 0x43f00000
	v_min_u32_e32 v5, 1, v5
	v_or_b32_e32 v5, v6, v5
	v_cvt_f32_i32_e32 v5, v5
	v_sub_u32_e32 v6, 32, v7
	v_ldexp_f32 v5, v5, v6
	v_and_b32_e32 v7, 0x7fffffff, v5
	v_cmp_gt_u32_e32 vcc, s2, v7
                                        ; implicit-def: $vgpr6
	s_and_saveexec_b64 s[2:3], vcc
	s_xor_b64 s[2:3], exec, s[2:3]
	s_cbranch_execz .LBB214_2804
; %bb.2799:
	s_mov_b32 s10, 0x3c7fffff
	v_cmp_lt_u32_e32 vcc, s10, v7
                                        ; implicit-def: $vgpr6
	s_and_saveexec_b64 s[10:11], vcc
	s_xor_b64 s[10:11], exec, s[10:11]
; %bb.2800:
	v_bfe_u32 v6, v5, 20, 1
	s_mov_b32 s12, 0x407ffff
	v_add3_u32 v6, v5, v6, s12
	v_lshrrev_b32_e32 v7, 20, v6
	v_and_b32_e32 v6, 0xff00000, v6
	s_mov_b32 s12, 0x7f00000
	v_mov_b32_e32 v8, 0x7e
	v_cmp_ne_u32_e32 vcc, s12, v6
	v_cndmask_b32_e32 v6, v8, v7, vcc
; %bb.2801:
	s_andn2_saveexec_b64 s[10:11], s[10:11]
; %bb.2802:
	s_mov_b32 s12, 0x46800000
	v_add_f32_e64 v6, |v5|, s12
; %bb.2803:
	s_or_b64 exec, exec, s[10:11]
                                        ; implicit-def: $vgpr7
.LBB214_2804:
	s_andn2_saveexec_b64 s[2:3], s[2:3]
; %bb.2805:
	s_mov_b32 s10, 0x7f800000
	v_mov_b32_e32 v6, 0x7e
	v_mov_b32_e32 v8, 0x7f
	v_cmp_lt_u32_e32 vcc, s10, v7
	v_cndmask_b32_e32 v6, v6, v8, vcc
; %bb.2806:
	s_or_b64 exec, exec, s[2:3]
	v_lshrrev_b32_e32 v5, 24, v5
	s_movk_i32 s2, 0x80
	v_and_or_b32 v5, v5, s2, v6
	global_store_byte v[2:3], v5, off
.LBB214_2807:
	s_mov_b64 s[2:3], 0
.LBB214_2808:
	s_andn2_b64 vcc, exec, s[2:3]
	s_cbranch_vccnz .LBB214_2818
; %bb.2809:
	v_xor_b32_e32 v6, v0, v1
	v_ffbh_i32_e32 v5, v1
	v_ashrrev_i32_e32 v6, 31, v6
	v_add_u32_e32 v5, -1, v5
	v_add_u32_e32 v6, 32, v6
	v_min_u32_e32 v7, v5, v6
	v_lshlrev_b64 v[5:6], v7, v[0:1]
	s_mov_b32 s2, 0x47800000
	v_min_u32_e32 v5, 1, v5
	v_or_b32_e32 v5, v6, v5
	v_cvt_f32_i32_e32 v5, v5
	v_sub_u32_e32 v6, 32, v7
	v_ldexp_f32 v5, v5, v6
	v_and_b32_e32 v7, 0x7fffffff, v5
	v_cmp_gt_u32_e32 vcc, s2, v7
                                        ; implicit-def: $vgpr6
	s_and_saveexec_b64 s[2:3], vcc
	s_xor_b64 s[2:3], exec, s[2:3]
	s_cbranch_execz .LBB214_2815
; %bb.2810:
	s_mov_b32 s10, 0x387fffff
	v_cmp_lt_u32_e32 vcc, s10, v7
                                        ; implicit-def: $vgpr6
	s_and_saveexec_b64 s[10:11], vcc
	s_xor_b64 s[10:11], exec, s[10:11]
; %bb.2811:
	v_bfe_u32 v6, v5, 21, 1
	s_mov_b32 s12, 0x80fffff
	v_add3_u32 v6, v5, v6, s12
	v_lshrrev_b32_e32 v6, 21, v6
; %bb.2812:
	s_andn2_saveexec_b64 s[10:11], s[10:11]
; %bb.2813:
	s_mov_b32 s12, 0x43000000
	v_add_f32_e64 v6, |v5|, s12
; %bb.2814:
	s_or_b64 exec, exec, s[10:11]
                                        ; implicit-def: $vgpr7
.LBB214_2815:
	s_andn2_saveexec_b64 s[2:3], s[2:3]
; %bb.2816:
	s_mov_b32 s10, 0x7f800000
	v_mov_b32_e32 v6, 0x7c
	v_mov_b32_e32 v8, 0x7f
	v_cmp_lt_u32_e32 vcc, s10, v7
	v_cndmask_b32_e32 v6, v6, v8, vcc
; %bb.2817:
	s_or_b64 exec, exec, s[2:3]
	v_lshrrev_b32_e32 v5, 24, v5
	s_movk_i32 s2, 0x80
	v_and_or_b32 v5, v5, s2, v6
	global_store_byte v[2:3], v5, off
.LBB214_2818:
	s_mov_b64 s[2:3], 0
	s_mov_b64 s[10:11], -1
.LBB214_2819:
	s_andn2_b64 vcc, exec, s[2:3]
	s_mov_b64 s[2:3], 0
	s_cbranch_vccnz .LBB214_2826
; %bb.2820:
	s_cmp_gt_i32 s17, 14
	s_mov_b64 s[12:13], -1
	s_cbranch_scc0 .LBB214_2824
; %bb.2821:
	s_cmp_eq_u32 s17, 15
	s_mov_b64 s[0:1], -1
	s_cbranch_scc0 .LBB214_2823
; %bb.2822:
	v_xor_b32_e32 v6, v0, v1
	v_ffbh_i32_e32 v5, v1
	v_ashrrev_i32_e32 v6, 31, v6
	v_add_u32_e32 v5, -1, v5
	v_add_u32_e32 v6, 32, v6
	v_min_u32_e32 v7, v5, v6
	v_lshlrev_b64 v[5:6], v7, v[0:1]
	s_movk_i32 s0, 0x7fff
	v_min_u32_e32 v5, 1, v5
	v_or_b32_e32 v5, v6, v5
	v_cvt_f32_i32_e32 v5, v5
	v_sub_u32_e32 v6, 32, v7
	s_mov_b64 s[10:11], -1
	v_ldexp_f32 v5, v5, v6
	v_bfe_u32 v6, v5, 16, 1
	v_add3_u32 v5, v5, v6, s0
	global_store_short_d16_hi v[2:3], v5, off
	s_mov_b64 s[0:1], 0
.LBB214_2823:
	s_mov_b64 s[12:13], 0
.LBB214_2824:
	s_and_b64 vcc, exec, s[12:13]
	s_cbranch_vccz .LBB214_2826
; %bb.2825:
	s_cmp_lg_u32 s17, 11
	s_mov_b64 s[2:3], -1
	s_cselect_b64 s[0:1], -1, 0
.LBB214_2826:
	s_and_b64 vcc, exec, s[0:1]
	s_cbranch_vccnz .LBB214_3006
; %bb.2827:
	s_andn2_b64 vcc, exec, s[2:3]
	s_cbranch_vccnz .LBB214_2829
.LBB214_2828:
	v_cmp_ne_u64_e32 vcc, 0, v[0:1]
	s_mov_b64 s[10:11], -1
	v_cndmask_b32_e64 v5, 0, 1, vcc
	global_store_byte v[2:3], v5, off
.LBB214_2829:
	s_mov_b64 s[0:1], 0
	s_branch .LBB214_2831
.LBB214_2830:
	s_mov_b64 s[0:1], -1
	s_mov_b64 s[10:11], 0
.LBB214_2831:
	s_and_b64 vcc, exec, s[0:1]
	s_cbranch_vccz .LBB214_2870
; %bb.2832:
	s_and_b32 s2, 0xffff, s20
	s_cmp_lt_i32 s2, 5
	s_mov_b64 s[0:1], -1
	s_cbranch_scc1 .LBB214_2853
; %bb.2833:
	s_cmp_lt_i32 s2, 8
	s_cbranch_scc1 .LBB214_2843
; %bb.2834:
	s_cmp_lt_i32 s2, 9
	s_cbranch_scc1 .LBB214_2840
; %bb.2835:
	s_cmp_gt_i32 s2, 9
	s_cbranch_scc0 .LBB214_2837
; %bb.2836:
	v_cvt_f64_i32_e32 v[5:6], v1
	v_cvt_f64_u32_e32 v[7:8], v0
	s_mov_b64 s[0:1], 0
	v_ldexp_f64 v[5:6], v[5:6], 32
	v_add_f64 v[5:6], v[5:6], v[7:8]
	v_mov_b32_e32 v7, 0
	v_mov_b32_e32 v8, v7
	global_store_dwordx4 v[2:3], v[5:8], off
.LBB214_2837:
	s_andn2_b64 vcc, exec, s[0:1]
	s_cbranch_vccnz .LBB214_2839
; %bb.2838:
	v_xor_b32_e32 v6, v0, v1
	v_ffbh_i32_e32 v5, v1
	v_ashrrev_i32_e32 v6, 31, v6
	v_add_u32_e32 v5, -1, v5
	v_add_u32_e32 v6, 32, v6
	v_min_u32_e32 v7, v5, v6
	v_lshlrev_b64 v[5:6], v7, v[0:1]
	v_min_u32_e32 v5, 1, v5
	v_or_b32_e32 v5, v6, v5
	v_cvt_f32_i32_e32 v5, v5
	v_sub_u32_e32 v6, 32, v7
	v_ldexp_f32 v5, v5, v6
	v_mov_b32_e32 v6, 0
	global_store_dwordx2 v[2:3], v[5:6], off
.LBB214_2839:
	s_mov_b64 s[0:1], 0
.LBB214_2840:
	s_andn2_b64 vcc, exec, s[0:1]
	s_cbranch_vccnz .LBB214_2842
; %bb.2841:
	v_xor_b32_e32 v6, v0, v1
	v_ffbh_i32_e32 v5, v1
	v_ashrrev_i32_e32 v6, 31, v6
	v_add_u32_e32 v5, -1, v5
	v_add_u32_e32 v6, 32, v6
	v_min_u32_e32 v7, v5, v6
	v_lshlrev_b64 v[5:6], v7, v[0:1]
	v_min_u32_e32 v5, 1, v5
	v_or_b32_e32 v5, v6, v5
	v_cvt_f32_i32_e32 v5, v5
	v_sub_u32_e32 v6, 32, v7
	v_ldexp_f32 v5, v5, v6
	v_cvt_f16_f32_e32 v5, v5
	global_store_dword v[2:3], v5, off
.LBB214_2842:
	s_mov_b64 s[0:1], 0
.LBB214_2843:
	s_andn2_b64 vcc, exec, s[0:1]
	s_cbranch_vccnz .LBB214_2852
; %bb.2844:
	s_cmp_lt_i32 s2, 6
	s_mov_b64 s[0:1], -1
	s_cbranch_scc1 .LBB214_2850
; %bb.2845:
	s_cmp_gt_i32 s2, 6
	s_cbranch_scc0 .LBB214_2847
; %bb.2846:
	v_cvt_f64_i32_e32 v[5:6], v1
	v_cvt_f64_u32_e32 v[7:8], v0
	s_mov_b64 s[0:1], 0
	v_ldexp_f64 v[5:6], v[5:6], 32
	v_add_f64 v[5:6], v[5:6], v[7:8]
	global_store_dwordx2 v[2:3], v[5:6], off
.LBB214_2847:
	s_andn2_b64 vcc, exec, s[0:1]
	s_cbranch_vccnz .LBB214_2849
; %bb.2848:
	v_xor_b32_e32 v6, v0, v1
	v_ffbh_i32_e32 v5, v1
	v_ashrrev_i32_e32 v6, 31, v6
	v_add_u32_e32 v5, -1, v5
	v_add_u32_e32 v6, 32, v6
	v_min_u32_e32 v7, v5, v6
	v_lshlrev_b64 v[5:6], v7, v[0:1]
	v_min_u32_e32 v5, 1, v5
	v_or_b32_e32 v5, v6, v5
	v_cvt_f32_i32_e32 v5, v5
	v_sub_u32_e32 v6, 32, v7
	v_ldexp_f32 v5, v5, v6
	global_store_dword v[2:3], v5, off
.LBB214_2849:
	s_mov_b64 s[0:1], 0
.LBB214_2850:
	s_andn2_b64 vcc, exec, s[0:1]
	s_cbranch_vccnz .LBB214_2852
; %bb.2851:
	v_xor_b32_e32 v6, v0, v1
	v_ffbh_i32_e32 v5, v1
	v_ashrrev_i32_e32 v6, 31, v6
	v_add_u32_e32 v5, -1, v5
	v_add_u32_e32 v6, 32, v6
	v_min_u32_e32 v7, v5, v6
	v_lshlrev_b64 v[5:6], v7, v[0:1]
	v_min_u32_e32 v5, 1, v5
	v_or_b32_e32 v5, v6, v5
	v_cvt_f32_i32_e32 v5, v5
	v_sub_u32_e32 v6, 32, v7
	v_ldexp_f32 v5, v5, v6
	v_cvt_f16_f32_e32 v5, v5
	global_store_short v[2:3], v5, off
.LBB214_2852:
	s_mov_b64 s[0:1], 0
.LBB214_2853:
	s_andn2_b64 vcc, exec, s[0:1]
	s_cbranch_vccnz .LBB214_2869
; %bb.2854:
	s_cmp_lt_i32 s2, 2
	s_mov_b64 s[0:1], -1
	s_cbranch_scc1 .LBB214_2864
; %bb.2855:
	s_cmp_lt_i32 s2, 3
	s_cbranch_scc1 .LBB214_2861
; %bb.2856:
	s_cmp_gt_i32 s2, 3
	s_cbranch_scc0 .LBB214_2858
; %bb.2857:
	global_store_dwordx2 v[2:3], v[0:1], off
	s_mov_b64 s[0:1], 0
.LBB214_2858:
	s_andn2_b64 vcc, exec, s[0:1]
	s_cbranch_vccnz .LBB214_2860
; %bb.2859:
	global_store_dword v[2:3], v0, off
.LBB214_2860:
	s_mov_b64 s[0:1], 0
.LBB214_2861:
	s_andn2_b64 vcc, exec, s[0:1]
	s_cbranch_vccnz .LBB214_2863
; %bb.2862:
	global_store_short v[2:3], v0, off
.LBB214_2863:
	s_mov_b64 s[0:1], 0
.LBB214_2864:
	s_andn2_b64 vcc, exec, s[0:1]
	s_cbranch_vccnz .LBB214_2869
; %bb.2865:
	s_cmp_gt_i32 s2, 0
	s_mov_b64 s[0:1], -1
	s_cbranch_scc0 .LBB214_2867
; %bb.2866:
	global_store_byte v[2:3], v0, off
	s_mov_b64 s[0:1], 0
.LBB214_2867:
	s_andn2_b64 vcc, exec, s[0:1]
	s_cbranch_vccnz .LBB214_2869
; %bb.2868:
	global_store_byte v[2:3], v0, off
.LBB214_2869:
	s_mov_b64 s[10:11], -1
.LBB214_2870:
	s_andn2_b64 vcc, exec, s[10:11]
	s_cbranch_vccnz .LBB214_2947
; %bb.2871:
	v_cmp_gt_u64_e32 vcc, 63, v[14:15]
	s_cmp_lt_i32 s20, 11
	v_cndmask_b32_e32 v0, 63, v14, vcc
	v_ashrrev_i64 v[2:3], v0, v[12:13]
	v_add_u32_e32 v0, s16, v4
	v_ashrrev_i32_e32 v1, 31, v0
	v_mov_b32_e32 v4, s9
	v_add_co_u32_e32 v0, vcc, s8, v0
	v_addc_co_u32_e32 v1, vcc, v4, v1, vcc
	s_cbranch_scc1 .LBB214_2992
; %bb.2872:
	s_and_b32 s14, 0xffff, s20
	s_mov_b64 s[8:9], -1
	s_mov_b64 s[2:3], 0
	s_cmp_gt_i32 s14, 25
	s_mov_b64 s[0:1], 0
	s_cbranch_scc0 .LBB214_2905
; %bb.2873:
	s_cmp_gt_i32 s14, 28
	s_cbranch_scc0 .LBB214_2889
; %bb.2874:
	s_cmp_gt_i32 s14, 43
	;; [unrolled: 3-line block ×3, first 2 shown]
	s_cbranch_scc0 .LBB214_2879
; %bb.2876:
	s_cmp_eq_u32 s14, 46
	s_mov_b64 s[0:1], -1
	s_cbranch_scc0 .LBB214_2878
; %bb.2877:
	v_xor_b32_e32 v5, v2, v3
	v_ffbh_i32_e32 v4, v3
	v_ashrrev_i32_e32 v5, 31, v5
	v_add_u32_e32 v4, -1, v4
	v_add_u32_e32 v5, 32, v5
	v_min_u32_e32 v6, v4, v5
	v_lshlrev_b64 v[4:5], v6, v[2:3]
	s_movk_i32 s0, 0x7fff
	v_min_u32_e32 v4, 1, v4
	v_or_b32_e32 v4, v5, v4
	v_cvt_f32_i32_e32 v4, v4
	v_sub_u32_e32 v5, 32, v6
	v_ldexp_f32 v4, v4, v5
	v_bfe_u32 v5, v4, 16, 1
	v_add3_u32 v4, v4, v5, s0
	v_lshrrev_b32_e32 v4, 16, v4
	global_store_dword v[0:1], v4, off
	s_mov_b64 s[0:1], 0
.LBB214_2878:
	s_mov_b64 s[8:9], 0
.LBB214_2879:
	s_and_b64 vcc, exec, s[8:9]
	s_cbranch_vccz .LBB214_2884
; %bb.2880:
	s_cmp_eq_u32 s14, 44
	s_mov_b64 s[0:1], -1
	s_cbranch_scc0 .LBB214_2884
; %bb.2881:
	v_xor_b32_e32 v5, v2, v3
	v_ffbh_i32_e32 v4, v3
	v_ashrrev_i32_e32 v5, 31, v5
	v_add_u32_e32 v4, -1, v4
	v_add_u32_e32 v5, 32, v5
	v_min_u32_e32 v6, v4, v5
	v_lshlrev_b64 v[4:5], v6, v[2:3]
	s_movk_i32 s0, 0xff
	v_min_u32_e32 v4, 1, v4
	v_or_b32_e32 v4, v5, v4
	v_cvt_f32_i32_e32 v4, v4
	v_sub_u32_e32 v5, 32, v6
	v_mov_b32_e32 v6, 0xff
	v_ldexp_f32 v4, v4, v5
	v_bfe_u32 v5, v4, 23, 8
	v_cmp_ne_u32_e32 vcc, s0, v5
	s_and_saveexec_b64 s[8:9], vcc
; %bb.2882:
	s_mov_b32 s0, 0x3fffff
	v_lshrrev_b32_e32 v6, 23, v4
	v_and_b32_e32 v7, 0x400000, v4
	v_and_or_b32 v4, v4, s0, v5
	v_cmp_ne_u32_e32 vcc, 0, v7
	v_cmp_ne_u32_e64 s[0:1], 0, v4
	s_and_b64 s[0:1], vcc, s[0:1]
	v_cndmask_b32_e64 v4, 0, 1, s[0:1]
	v_add_u32_e32 v6, v6, v4
; %bb.2883:
	s_or_b64 exec, exec, s[8:9]
	s_mov_b64 s[0:1], 0
	global_store_byte v[0:1], v6, off
.LBB214_2884:
	s_mov_b64 s[8:9], 0
.LBB214_2885:
	s_and_b64 vcc, exec, s[8:9]
	s_cbranch_vccz .LBB214_2888
; %bb.2886:
	s_cmp_eq_u32 s14, 29
	s_mov_b64 s[0:1], -1
	s_cbranch_scc0 .LBB214_2888
; %bb.2887:
	global_store_dwordx2 v[0:1], v[2:3], off
	s_mov_b64 s[0:1], 0
.LBB214_2888:
	s_mov_b64 s[8:9], 0
.LBB214_2889:
	s_and_b64 vcc, exec, s[8:9]
	s_cbranch_vccz .LBB214_2904
; %bb.2890:
	s_cmp_lt_i32 s14, 27
	s_mov_b64 s[8:9], -1
	s_cbranch_scc1 .LBB214_2896
; %bb.2891:
	s_cmp_gt_i32 s14, 27
	s_cbranch_scc0 .LBB214_2893
; %bb.2892:
	global_store_dword v[0:1], v2, off
	s_mov_b64 s[8:9], 0
.LBB214_2893:
	s_andn2_b64 vcc, exec, s[8:9]
	s_cbranch_vccnz .LBB214_2895
; %bb.2894:
	global_store_short v[0:1], v2, off
.LBB214_2895:
	s_mov_b64 s[8:9], 0
.LBB214_2896:
	s_andn2_b64 vcc, exec, s[8:9]
	s_cbranch_vccnz .LBB214_2904
; %bb.2897:
	v_xor_b32_e32 v5, v2, v3
	v_ffbh_i32_e32 v4, v3
	v_ashrrev_i32_e32 v5, 31, v5
	v_add_u32_e32 v4, -1, v4
	v_add_u32_e32 v5, 32, v5
	v_min_u32_e32 v6, v4, v5
	v_lshlrev_b64 v[4:5], v6, v[2:3]
	s_mov_b32 s8, 0x43800000
	v_min_u32_e32 v4, 1, v4
	v_or_b32_e32 v4, v5, v4
	v_cvt_f32_i32_e32 v4, v4
	v_sub_u32_e32 v5, 32, v6
	v_mov_b32_e32 v6, 0x80
	v_ldexp_f32 v4, v4, v5
	v_and_b32_e32 v5, 0x7fffffff, v4
	v_cmp_gt_u32_e32 vcc, s8, v5
	s_and_saveexec_b64 s[8:9], vcc
	s_cbranch_execz .LBB214_2903
; %bb.2898:
	s_mov_b32 s10, 0x3bffffff
	v_cmp_lt_u32_e32 vcc, s10, v5
	s_mov_b64 s[10:11], 0
                                        ; implicit-def: $vgpr5
	s_and_saveexec_b64 s[12:13], vcc
	s_xor_b64 s[12:13], exec, s[12:13]
	s_cbranch_execz .LBB214_3009
; %bb.2899:
	v_bfe_u32 v5, v4, 20, 1
	s_mov_b32 s15, 0x487ffff
	v_add3_u32 v5, v4, v5, s15
	s_mov_b64 s[10:11], exec
	v_lshrrev_b32_e32 v5, 20, v5
	s_andn2_saveexec_b64 s[12:13], s[12:13]
	s_cbranch_execnz .LBB214_3010
.LBB214_2900:
	s_or_b64 exec, exec, s[12:13]
	v_mov_b32_e32 v6, 0
	s_and_saveexec_b64 s[12:13], s[10:11]
.LBB214_2901:
	v_lshrrev_b32_e32 v4, 24, v4
	s_movk_i32 s10, 0x80
	v_and_or_b32 v6, v4, s10, v5
.LBB214_2902:
	s_or_b64 exec, exec, s[12:13]
.LBB214_2903:
	s_or_b64 exec, exec, s[8:9]
	global_store_byte v[0:1], v6, off
.LBB214_2904:
	s_mov_b64 s[8:9], 0
.LBB214_2905:
	s_and_b64 vcc, exec, s[8:9]
	s_cbranch_vccz .LBB214_2945
; %bb.2906:
	s_cmp_gt_i32 s14, 22
	s_mov_b64 s[2:3], -1
	s_cbranch_scc0 .LBB214_2938
; %bb.2907:
	s_cmp_lt_i32 s14, 24
	s_cbranch_scc1 .LBB214_2927
; %bb.2908:
	s_cmp_gt_i32 s14, 24
	s_cbranch_scc0 .LBB214_2916
; %bb.2909:
	v_xor_b32_e32 v5, v2, v3
	v_ffbh_i32_e32 v4, v3
	v_ashrrev_i32_e32 v5, 31, v5
	v_add_u32_e32 v4, -1, v4
	v_add_u32_e32 v5, 32, v5
	v_min_u32_e32 v6, v4, v5
	v_lshlrev_b64 v[4:5], v6, v[2:3]
	s_mov_b32 s2, 0x47800000
	v_min_u32_e32 v4, 1, v4
	v_or_b32_e32 v4, v5, v4
	v_cvt_f32_i32_e32 v4, v4
	v_sub_u32_e32 v5, 32, v6
	v_mov_b32_e32 v6, 0x80
	v_ldexp_f32 v4, v4, v5
	v_and_b32_e32 v5, 0x7fffffff, v4
	v_cmp_gt_u32_e32 vcc, s2, v5
	s_and_saveexec_b64 s[2:3], vcc
	s_cbranch_execz .LBB214_2915
; %bb.2910:
	s_mov_b32 s8, 0x37ffffff
	v_cmp_lt_u32_e32 vcc, s8, v5
	s_mov_b64 s[8:9], 0
                                        ; implicit-def: $vgpr5
	s_and_saveexec_b64 s[10:11], vcc
	s_xor_b64 s[10:11], exec, s[10:11]
	s_cbranch_execz .LBB214_3012
; %bb.2911:
	v_bfe_u32 v5, v4, 21, 1
	s_mov_b32 s12, 0x88fffff
	v_add3_u32 v5, v4, v5, s12
	s_mov_b64 s[8:9], exec
	v_lshrrev_b32_e32 v5, 21, v5
	s_andn2_saveexec_b64 s[10:11], s[10:11]
	s_cbranch_execnz .LBB214_3013
.LBB214_2912:
	s_or_b64 exec, exec, s[10:11]
	v_mov_b32_e32 v6, 0
	s_and_saveexec_b64 s[10:11], s[8:9]
.LBB214_2913:
	v_lshrrev_b32_e32 v4, 24, v4
	s_movk_i32 s8, 0x80
	v_and_or_b32 v6, v4, s8, v5
.LBB214_2914:
	s_or_b64 exec, exec, s[10:11]
.LBB214_2915:
	s_or_b64 exec, exec, s[2:3]
	s_mov_b64 s[2:3], 0
	global_store_byte v[0:1], v6, off
.LBB214_2916:
	s_and_b64 vcc, exec, s[2:3]
	s_cbranch_vccz .LBB214_2926
; %bb.2917:
	v_xor_b32_e32 v5, v2, v3
	v_ffbh_i32_e32 v4, v3
	v_ashrrev_i32_e32 v5, 31, v5
	v_add_u32_e32 v4, -1, v4
	v_add_u32_e32 v5, 32, v5
	v_min_u32_e32 v6, v4, v5
	v_lshlrev_b64 v[4:5], v6, v[2:3]
	s_mov_b32 s2, 0x43f00000
	v_min_u32_e32 v4, 1, v4
	v_or_b32_e32 v4, v5, v4
	v_cvt_f32_i32_e32 v4, v4
	v_sub_u32_e32 v5, 32, v6
	v_ldexp_f32 v4, v4, v5
	v_and_b32_e32 v6, 0x7fffffff, v4
	v_cmp_gt_u32_e32 vcc, s2, v6
                                        ; implicit-def: $vgpr5
	s_and_saveexec_b64 s[2:3], vcc
	s_xor_b64 s[2:3], exec, s[2:3]
	s_cbranch_execz .LBB214_2923
; %bb.2918:
	s_mov_b32 s8, 0x3c7fffff
	v_cmp_lt_u32_e32 vcc, s8, v6
                                        ; implicit-def: $vgpr5
	s_and_saveexec_b64 s[8:9], vcc
	s_xor_b64 s[8:9], exec, s[8:9]
; %bb.2919:
	v_bfe_u32 v5, v4, 20, 1
	s_mov_b32 s10, 0x407ffff
	v_add3_u32 v5, v4, v5, s10
	v_lshrrev_b32_e32 v6, 20, v5
	v_and_b32_e32 v5, 0xff00000, v5
	s_mov_b32 s10, 0x7f00000
	v_mov_b32_e32 v7, 0x7e
	v_cmp_ne_u32_e32 vcc, s10, v5
	v_cndmask_b32_e32 v5, v7, v6, vcc
; %bb.2920:
	s_andn2_saveexec_b64 s[8:9], s[8:9]
; %bb.2921:
	s_mov_b32 s10, 0x46800000
	v_add_f32_e64 v5, |v4|, s10
; %bb.2922:
	s_or_b64 exec, exec, s[8:9]
                                        ; implicit-def: $vgpr6
.LBB214_2923:
	s_andn2_saveexec_b64 s[2:3], s[2:3]
; %bb.2924:
	s_mov_b32 s8, 0x7f800000
	v_mov_b32_e32 v5, 0x7e
	v_mov_b32_e32 v7, 0x7f
	v_cmp_lt_u32_e32 vcc, s8, v6
	v_cndmask_b32_e32 v5, v5, v7, vcc
; %bb.2925:
	s_or_b64 exec, exec, s[2:3]
	v_lshrrev_b32_e32 v4, 24, v4
	s_movk_i32 s2, 0x80
	v_and_or_b32 v4, v4, s2, v5
	global_store_byte v[0:1], v4, off
.LBB214_2926:
	s_mov_b64 s[2:3], 0
.LBB214_2927:
	s_andn2_b64 vcc, exec, s[2:3]
	s_cbranch_vccnz .LBB214_2937
; %bb.2928:
	v_xor_b32_e32 v5, v2, v3
	v_ffbh_i32_e32 v4, v3
	v_ashrrev_i32_e32 v5, 31, v5
	v_add_u32_e32 v4, -1, v4
	v_add_u32_e32 v5, 32, v5
	v_min_u32_e32 v6, v4, v5
	v_lshlrev_b64 v[4:5], v6, v[2:3]
	s_mov_b32 s2, 0x47800000
	v_min_u32_e32 v4, 1, v4
	v_or_b32_e32 v4, v5, v4
	v_cvt_f32_i32_e32 v4, v4
	v_sub_u32_e32 v5, 32, v6
	v_ldexp_f32 v4, v4, v5
	v_and_b32_e32 v6, 0x7fffffff, v4
	v_cmp_gt_u32_e32 vcc, s2, v6
                                        ; implicit-def: $vgpr5
	s_and_saveexec_b64 s[2:3], vcc
	s_xor_b64 s[2:3], exec, s[2:3]
	s_cbranch_execz .LBB214_2934
; %bb.2929:
	s_mov_b32 s8, 0x387fffff
	v_cmp_lt_u32_e32 vcc, s8, v6
                                        ; implicit-def: $vgpr5
	s_and_saveexec_b64 s[8:9], vcc
	s_xor_b64 s[8:9], exec, s[8:9]
; %bb.2930:
	v_bfe_u32 v5, v4, 21, 1
	s_mov_b32 s10, 0x80fffff
	v_add3_u32 v5, v4, v5, s10
	v_lshrrev_b32_e32 v5, 21, v5
; %bb.2931:
	s_andn2_saveexec_b64 s[8:9], s[8:9]
; %bb.2932:
	s_mov_b32 s10, 0x43000000
	v_add_f32_e64 v5, |v4|, s10
; %bb.2933:
	s_or_b64 exec, exec, s[8:9]
                                        ; implicit-def: $vgpr6
.LBB214_2934:
	s_andn2_saveexec_b64 s[2:3], s[2:3]
; %bb.2935:
	s_mov_b32 s8, 0x7f800000
	v_mov_b32_e32 v5, 0x7c
	v_mov_b32_e32 v7, 0x7f
	v_cmp_lt_u32_e32 vcc, s8, v6
	v_cndmask_b32_e32 v5, v5, v7, vcc
; %bb.2936:
	s_or_b64 exec, exec, s[2:3]
	v_lshrrev_b32_e32 v4, 24, v4
	s_movk_i32 s2, 0x80
	v_and_or_b32 v4, v4, s2, v5
	global_store_byte v[0:1], v4, off
.LBB214_2937:
	s_mov_b64 s[2:3], 0
.LBB214_2938:
	s_andn2_b64 vcc, exec, s[2:3]
	s_mov_b64 s[2:3], 0
	s_cbranch_vccnz .LBB214_2945
; %bb.2939:
	s_cmp_gt_i32 s14, 14
	s_mov_b64 s[8:9], -1
	s_cbranch_scc0 .LBB214_2943
; %bb.2940:
	s_cmp_eq_u32 s14, 15
	s_mov_b64 s[0:1], -1
	s_cbranch_scc0 .LBB214_2942
; %bb.2941:
	v_xor_b32_e32 v5, v2, v3
	v_ffbh_i32_e32 v4, v3
	v_ashrrev_i32_e32 v5, 31, v5
	v_add_u32_e32 v4, -1, v4
	v_add_u32_e32 v5, 32, v5
	v_min_u32_e32 v6, v4, v5
	v_lshlrev_b64 v[4:5], v6, v[2:3]
	s_movk_i32 s0, 0x7fff
	v_min_u32_e32 v4, 1, v4
	v_or_b32_e32 v4, v5, v4
	v_cvt_f32_i32_e32 v4, v4
	v_sub_u32_e32 v5, 32, v6
	v_ldexp_f32 v4, v4, v5
	v_bfe_u32 v5, v4, 16, 1
	v_add3_u32 v4, v4, v5, s0
	global_store_short_d16_hi v[0:1], v4, off
	s_mov_b64 s[0:1], 0
.LBB214_2942:
	s_mov_b64 s[8:9], 0
.LBB214_2943:
	s_and_b64 vcc, exec, s[8:9]
	s_cbranch_vccz .LBB214_2945
; %bb.2944:
	s_cmp_lg_u32 s14, 11
	s_mov_b64 s[2:3], -1
	s_cselect_b64 s[0:1], -1, 0
.LBB214_2945:
	s_and_b64 vcc, exec, s[0:1]
	s_cbranch_vccnz .LBB214_3011
.LBB214_2946:
	s_mov_b64 s[0:1], 0
	s_branch .LBB214_2948
.LBB214_2947:
	s_mov_b64 s[0:1], 0
	s_mov_b64 s[2:3], 0
                                        ; implicit-def: $sgpr20
                                        ; implicit-def: $vgpr0_vgpr1
                                        ; implicit-def: $vgpr2_vgpr3
.LBB214_2948:
	s_and_b64 s[16:17], s[2:3], exec
	s_andn2_b64 s[2:3], s[6:7], exec
	s_and_b64 s[6:7], s[18:19], exec
	s_and_b64 s[0:1], s[0:1], exec
	s_or_b64 s[6:7], s[2:3], s[6:7]
.LBB214_2949:
	s_or_b64 exec, exec, s[4:5]
	s_and_saveexec_b64 s[2:3], s[6:7]
	s_cbranch_execz .LBB214_2952
; %bb.2950:
	; divergent unreachable
	s_or_b64 exec, exec, s[2:3]
	s_and_saveexec_b64 s[2:3], s[16:17]
	s_xor_b64 s[2:3], exec, s[2:3]
	s_cbranch_execnz .LBB214_2953
.LBB214_2951:
	s_or_b64 exec, exec, s[2:3]
	s_and_saveexec_b64 s[2:3], s[0:1]
	s_cbranch_execnz .LBB214_2954
	s_branch .LBB214_2991
.LBB214_2952:
	s_or_b64 exec, exec, s[2:3]
	s_and_saveexec_b64 s[2:3], s[16:17]
	s_xor_b64 s[2:3], exec, s[2:3]
	s_cbranch_execz .LBB214_2951
.LBB214_2953:
	s_waitcnt vmcnt(0)
	v_cmp_ne_u64_e32 vcc, 0, v[2:3]
	v_cndmask_b32_e64 v4, 0, 1, vcc
	global_store_byte v[0:1], v4, off
	s_or_b64 exec, exec, s[2:3]
	s_and_saveexec_b64 s[2:3], s[0:1]
	s_cbranch_execz .LBB214_2991
.LBB214_2954:
	s_sext_i32_i16 s2, s20
	s_cmp_lt_i32 s2, 5
	s_mov_b64 s[0:1], -1
	s_cbranch_scc1 .LBB214_2975
; %bb.2955:
	s_cmp_lt_i32 s2, 8
	s_cbranch_scc1 .LBB214_2965
; %bb.2956:
	s_cmp_lt_i32 s2, 9
	s_cbranch_scc1 .LBB214_2962
; %bb.2957:
	s_cmp_gt_i32 s2, 9
	s_cbranch_scc0 .LBB214_2959
; %bb.2958:
	s_waitcnt vmcnt(0)
	v_cvt_f64_i32_e32 v[4:5], v3
	v_cvt_f64_u32_e32 v[6:7], v2
	s_mov_b64 s[0:1], 0
	v_ldexp_f64 v[4:5], v[4:5], 32
	v_add_f64 v[4:5], v[4:5], v[6:7]
	v_mov_b32_e32 v6, 0
	v_mov_b32_e32 v7, v6
	global_store_dwordx4 v[0:1], v[4:7], off
.LBB214_2959:
	s_andn2_b64 vcc, exec, s[0:1]
	s_cbranch_vccnz .LBB214_2961
; %bb.2960:
	s_waitcnt vmcnt(0)
	v_xor_b32_e32 v5, v2, v3
	v_ffbh_i32_e32 v4, v3
	v_ashrrev_i32_e32 v5, 31, v5
	v_add_u32_e32 v4, -1, v4
	v_add_u32_e32 v5, 32, v5
	v_min_u32_e32 v6, v4, v5
	v_lshlrev_b64 v[4:5], v6, v[2:3]
	v_min_u32_e32 v4, 1, v4
	v_or_b32_e32 v4, v5, v4
	v_cvt_f32_i32_e32 v4, v4
	v_sub_u32_e32 v5, 32, v6
	v_ldexp_f32 v4, v4, v5
	v_mov_b32_e32 v5, 0
	global_store_dwordx2 v[0:1], v[4:5], off
.LBB214_2961:
	s_mov_b64 s[0:1], 0
.LBB214_2962:
	s_andn2_b64 vcc, exec, s[0:1]
	s_cbranch_vccnz .LBB214_2964
; %bb.2963:
	s_waitcnt vmcnt(0)
	v_xor_b32_e32 v5, v2, v3
	v_ffbh_i32_e32 v4, v3
	v_ashrrev_i32_e32 v5, 31, v5
	v_add_u32_e32 v4, -1, v4
	v_add_u32_e32 v5, 32, v5
	v_min_u32_e32 v6, v4, v5
	v_lshlrev_b64 v[4:5], v6, v[2:3]
	v_min_u32_e32 v4, 1, v4
	v_or_b32_e32 v4, v5, v4
	v_cvt_f32_i32_e32 v4, v4
	v_sub_u32_e32 v5, 32, v6
	v_ldexp_f32 v4, v4, v5
	v_cvt_f16_f32_e32 v4, v4
	global_store_dword v[0:1], v4, off
.LBB214_2964:
	s_mov_b64 s[0:1], 0
.LBB214_2965:
	s_andn2_b64 vcc, exec, s[0:1]
	s_cbranch_vccnz .LBB214_2974
; %bb.2966:
	s_sext_i32_i16 s2, s20
	s_cmp_lt_i32 s2, 6
	s_mov_b64 s[0:1], -1
	s_cbranch_scc1 .LBB214_2972
; %bb.2967:
	s_cmp_gt_i32 s2, 6
	s_cbranch_scc0 .LBB214_2969
; %bb.2968:
	s_waitcnt vmcnt(0)
	v_cvt_f64_i32_e32 v[4:5], v3
	v_cvt_f64_u32_e32 v[6:7], v2
	s_mov_b64 s[0:1], 0
	v_ldexp_f64 v[4:5], v[4:5], 32
	v_add_f64 v[4:5], v[4:5], v[6:7]
	global_store_dwordx2 v[0:1], v[4:5], off
.LBB214_2969:
	s_andn2_b64 vcc, exec, s[0:1]
	s_cbranch_vccnz .LBB214_2971
; %bb.2970:
	s_waitcnt vmcnt(0)
	v_xor_b32_e32 v5, v2, v3
	v_ffbh_i32_e32 v4, v3
	v_ashrrev_i32_e32 v5, 31, v5
	v_add_u32_e32 v4, -1, v4
	v_add_u32_e32 v5, 32, v5
	v_min_u32_e32 v6, v4, v5
	v_lshlrev_b64 v[4:5], v6, v[2:3]
	v_min_u32_e32 v4, 1, v4
	v_or_b32_e32 v4, v5, v4
	v_cvt_f32_i32_e32 v4, v4
	v_sub_u32_e32 v5, 32, v6
	v_ldexp_f32 v4, v4, v5
	global_store_dword v[0:1], v4, off
.LBB214_2971:
	s_mov_b64 s[0:1], 0
.LBB214_2972:
	s_andn2_b64 vcc, exec, s[0:1]
	s_cbranch_vccnz .LBB214_2974
; %bb.2973:
	s_waitcnt vmcnt(0)
	v_xor_b32_e32 v5, v2, v3
	v_ffbh_i32_e32 v4, v3
	v_ashrrev_i32_e32 v5, 31, v5
	v_add_u32_e32 v4, -1, v4
	v_add_u32_e32 v5, 32, v5
	v_min_u32_e32 v6, v4, v5
	v_lshlrev_b64 v[4:5], v6, v[2:3]
	v_min_u32_e32 v4, 1, v4
	v_or_b32_e32 v4, v5, v4
	v_cvt_f32_i32_e32 v4, v4
	v_sub_u32_e32 v5, 32, v6
	v_ldexp_f32 v4, v4, v5
	v_cvt_f16_f32_e32 v4, v4
	global_store_short v[0:1], v4, off
.LBB214_2974:
	s_mov_b64 s[0:1], 0
.LBB214_2975:
	s_andn2_b64 vcc, exec, s[0:1]
	s_cbranch_vccnz .LBB214_2991
; %bb.2976:
	s_sext_i32_i16 s2, s20
	s_cmp_lt_i32 s2, 2
	s_mov_b64 s[0:1], -1
	s_cbranch_scc1 .LBB214_2986
; %bb.2977:
	s_cmp_lt_i32 s2, 3
	s_cbranch_scc1 .LBB214_2983
; %bb.2978:
	s_cmp_gt_i32 s2, 3
	s_cbranch_scc0 .LBB214_2980
; %bb.2979:
	s_waitcnt vmcnt(0)
	global_store_dwordx2 v[0:1], v[2:3], off
	s_mov_b64 s[0:1], 0
.LBB214_2980:
	s_andn2_b64 vcc, exec, s[0:1]
	s_cbranch_vccnz .LBB214_2982
; %bb.2981:
	s_waitcnt vmcnt(0)
	global_store_dword v[0:1], v2, off
.LBB214_2982:
	s_mov_b64 s[0:1], 0
.LBB214_2983:
	s_andn2_b64 vcc, exec, s[0:1]
	s_cbranch_vccnz .LBB214_2985
; %bb.2984:
	s_waitcnt vmcnt(0)
	global_store_short v[0:1], v2, off
.LBB214_2985:
	s_mov_b64 s[0:1], 0
.LBB214_2986:
	s_andn2_b64 vcc, exec, s[0:1]
	s_cbranch_vccnz .LBB214_2991
; %bb.2987:
	s_sext_i32_i16 s0, s20
	s_cmp_gt_i32 s0, 0
	s_mov_b64 s[0:1], -1
	s_cbranch_scc0 .LBB214_2989
; %bb.2988:
	s_waitcnt vmcnt(0)
	global_store_byte v[0:1], v2, off
	s_mov_b64 s[0:1], 0
.LBB214_2989:
	s_andn2_b64 vcc, exec, s[0:1]
	s_cbranch_vccnz .LBB214_2991
; %bb.2990:
	s_waitcnt vmcnt(0)
	global_store_byte v[0:1], v2, off
	s_endpgm
.LBB214_2991:
	s_endpgm
.LBB214_2992:
	s_mov_b64 s[2:3], 0
	s_mov_b64 s[0:1], -1
	s_branch .LBB214_2948
.LBB214_2993:
	s_trap 2
	s_or_b64 s[18:19], s[18:19], exec
	s_cbranch_execz .LBB214_2462
	s_branch .LBB214_2463
.LBB214_2994:
	s_andn2_saveexec_b64 s[16:17], s[16:17]
	s_cbranch_execz .LBB214_2542
.LBB214_2995:
	s_mov_b32 s21, 0x46000000
	v_add_f32_e64 v18, |v17|, s21
	v_and_b32_e32 v18, 0xff, v18
	v_cmp_ne_u32_e32 vcc, 0, v18
	s_andn2_b64 s[14:15], s[14:15], exec
	s_and_b64 s[22:23], vcc, exec
	s_or_b64 s[14:15], s[14:15], s[22:23]
	s_or_b64 exec, exec, s[16:17]
	v_mov_b32_e32 v19, 0
	s_and_saveexec_b64 s[16:17], s[14:15]
	s_cbranch_execnz .LBB214_2543
	s_branch .LBB214_2544
.LBB214_2996:
	s_trap 2
	s_or_b64 s[18:19], s[18:19], exec
	s_cbranch_execz .LBB214_2590
	s_branch .LBB214_2591
.LBB214_2997:
	s_andn2_saveexec_b64 s[14:15], s[14:15]
	s_cbranch_execz .LBB214_2555
.LBB214_2998:
	s_mov_b32 s16, 0x42800000
	v_add_f32_e64 v18, |v17|, s16
	v_and_b32_e32 v18, 0xff, v18
	v_cmp_ne_u32_e32 vcc, 0, v18
	s_andn2_b64 s[10:11], s[10:11], exec
	s_and_b64 s[16:17], vcc, exec
	s_or_b64 s[10:11], s[10:11], s[16:17]
	s_or_b64 exec, exec, s[14:15]
	v_mov_b32_e32 v19, 0
	s_and_saveexec_b64 s[14:15], s[10:11]
	s_cbranch_execnz .LBB214_2556
	s_branch .LBB214_2557
.LBB214_2999:
	s_andn2_saveexec_b64 s[14:15], s[14:15]
	s_cbranch_execz .LBB214_2661
.LBB214_3000:
	s_mov_b32 s21, 0x46000000
	v_add_f32_e64 v6, |v5|, s21
	v_and_b32_e32 v6, 0xff, v6
	v_cmp_ne_u32_e32 vcc, 0, v6
	s_andn2_b64 s[12:13], s[12:13], exec
	s_and_b64 s[22:23], vcc, exec
	s_or_b64 s[12:13], s[12:13], s[22:23]
	s_or_b64 exec, exec, s[14:15]
	v_mov_b32_e32 v7, 0
	s_and_saveexec_b64 s[14:15], s[12:13]
	s_cbranch_execnz .LBB214_2662
	s_branch .LBB214_2663
.LBB214_3001:
	s_trap 2
	s_or_b64 s[18:19], s[18:19], exec
	s_cbranch_execz .LBB214_2709
	s_branch .LBB214_2710
.LBB214_3002:
	s_andn2_saveexec_b64 s[12:13], s[12:13]
	s_cbranch_execz .LBB214_2674
.LBB214_3003:
	s_mov_b32 s14, 0x42800000
	v_add_f32_e64 v6, |v5|, s14
	v_and_b32_e32 v6, 0xff, v6
	v_cmp_ne_u32_e32 vcc, 0, v6
	s_andn2_b64 s[10:11], s[10:11], exec
	s_and_b64 s[14:15], vcc, exec
	s_or_b64 s[10:11], s[10:11], s[14:15]
	s_or_b64 exec, exec, s[12:13]
	v_mov_b32_e32 v7, 0
	s_and_saveexec_b64 s[12:13], s[10:11]
	s_cbranch_execnz .LBB214_2675
	s_branch .LBB214_2676
.LBB214_3004:
	s_andn2_saveexec_b64 s[14:15], s[14:15]
	s_cbranch_execz .LBB214_2780
.LBB214_3005:
	s_mov_b32 s21, 0x46000000
	v_add_f32_e64 v6, |v5|, s21
	v_and_b32_e32 v6, 0xff, v6
	v_cmp_ne_u32_e32 vcc, 0, v6
	s_andn2_b64 s[12:13], s[12:13], exec
	s_and_b64 s[22:23], vcc, exec
	s_or_b64 s[12:13], s[12:13], s[22:23]
	s_or_b64 exec, exec, s[14:15]
	v_mov_b32_e32 v7, 0
	s_and_saveexec_b64 s[14:15], s[12:13]
	s_cbranch_execnz .LBB214_2781
	s_branch .LBB214_2782
.LBB214_3006:
	s_trap 2
	s_or_b64 s[18:19], s[18:19], exec
	s_cbranch_execz .LBB214_2828
	s_branch .LBB214_2829
.LBB214_3007:
	s_andn2_saveexec_b64 s[12:13], s[12:13]
	s_cbranch_execz .LBB214_2793
.LBB214_3008:
	s_mov_b32 s14, 0x42800000
	v_add_f32_e64 v6, |v5|, s14
	v_and_b32_e32 v6, 0xff, v6
	v_cmp_ne_u32_e32 vcc, 0, v6
	s_andn2_b64 s[10:11], s[10:11], exec
	s_and_b64 s[14:15], vcc, exec
	s_or_b64 s[10:11], s[10:11], s[14:15]
	s_or_b64 exec, exec, s[12:13]
	v_mov_b32_e32 v7, 0
	s_and_saveexec_b64 s[12:13], s[10:11]
	s_cbranch_execnz .LBB214_2794
	s_branch .LBB214_2795
.LBB214_3009:
	s_andn2_saveexec_b64 s[12:13], s[12:13]
	s_cbranch_execz .LBB214_2900
.LBB214_3010:
	s_mov_b32 s15, 0x46000000
	v_add_f32_e64 v5, |v4|, s15
	v_and_b32_e32 v5, 0xff, v5
	v_cmp_ne_u32_e32 vcc, 0, v5
	s_andn2_b64 s[10:11], s[10:11], exec
	s_and_b64 s[16:17], vcc, exec
	s_or_b64 s[10:11], s[10:11], s[16:17]
	s_or_b64 exec, exec, s[12:13]
	v_mov_b32_e32 v6, 0
	s_and_saveexec_b64 s[12:13], s[10:11]
	s_cbranch_execnz .LBB214_2901
	s_branch .LBB214_2902
.LBB214_3011:
	s_mov_b64 s[2:3], 0
	s_or_b64 s[18:19], s[18:19], exec
	s_trap 2
	s_branch .LBB214_2946
.LBB214_3012:
	s_andn2_saveexec_b64 s[10:11], s[10:11]
	s_cbranch_execz .LBB214_2912
.LBB214_3013:
	s_mov_b32 s12, 0x42800000
	v_add_f32_e64 v5, |v4|, s12
	v_and_b32_e32 v5, 0xff, v5
	v_cmp_ne_u32_e32 vcc, 0, v5
	s_andn2_b64 s[8:9], s[8:9], exec
	s_and_b64 s[12:13], vcc, exec
	s_or_b64 s[8:9], s[8:9], s[12:13]
	s_or_b64 exec, exec, s[10:11]
	v_mov_b32_e32 v6, 0
	s_and_saveexec_b64 s[10:11], s[8:9]
	s_cbranch_execnz .LBB214_2913
	s_branch .LBB214_2914
	.section	.rodata,"a",@progbits
	.p2align	6, 0x0
	.amdhsa_kernel _ZN2at6native32elementwise_kernel_manual_unrollILi128ELi4EZNS0_15gpu_kernel_implINS0_13BinaryFunctorIlllZZZNS0_18rshift_kernel_cudaERNS_18TensorIteratorBaseEENKUlvE_clEvENKUlvE2_clEvEUlllE_EEEEvS5_RKT_EUlibE_EEviT1_
		.amdhsa_group_segment_fixed_size 0
		.amdhsa_private_segment_fixed_size 0
		.amdhsa_kernarg_size 48
		.amdhsa_user_sgpr_count 6
		.amdhsa_user_sgpr_private_segment_buffer 1
		.amdhsa_user_sgpr_dispatch_ptr 0
		.amdhsa_user_sgpr_queue_ptr 0
		.amdhsa_user_sgpr_kernarg_segment_ptr 1
		.amdhsa_user_sgpr_dispatch_id 0
		.amdhsa_user_sgpr_flat_scratch_init 0
		.amdhsa_user_sgpr_private_segment_size 0
		.amdhsa_uses_dynamic_stack 0
		.amdhsa_system_sgpr_private_segment_wavefront_offset 0
		.amdhsa_system_sgpr_workgroup_id_x 1
		.amdhsa_system_sgpr_workgroup_id_y 0
		.amdhsa_system_sgpr_workgroup_id_z 0
		.amdhsa_system_sgpr_workgroup_info 0
		.amdhsa_system_vgpr_workitem_id 0
		.amdhsa_next_free_vgpr 23
		.amdhsa_next_free_sgpr 56
		.amdhsa_reserve_vcc 1
		.amdhsa_reserve_flat_scratch 0
		.amdhsa_float_round_mode_32 0
		.amdhsa_float_round_mode_16_64 0
		.amdhsa_float_denorm_mode_32 3
		.amdhsa_float_denorm_mode_16_64 3
		.amdhsa_dx10_clamp 1
		.amdhsa_ieee_mode 1
		.amdhsa_fp16_overflow 0
		.amdhsa_exception_fp_ieee_invalid_op 0
		.amdhsa_exception_fp_denorm_src 0
		.amdhsa_exception_fp_ieee_div_zero 0
		.amdhsa_exception_fp_ieee_overflow 0
		.amdhsa_exception_fp_ieee_underflow 0
		.amdhsa_exception_fp_ieee_inexact 0
		.amdhsa_exception_int_div_zero 0
	.end_amdhsa_kernel
	.section	.text._ZN2at6native32elementwise_kernel_manual_unrollILi128ELi4EZNS0_15gpu_kernel_implINS0_13BinaryFunctorIlllZZZNS0_18rshift_kernel_cudaERNS_18TensorIteratorBaseEENKUlvE_clEvENKUlvE2_clEvEUlllE_EEEEvS5_RKT_EUlibE_EEviT1_,"axG",@progbits,_ZN2at6native32elementwise_kernel_manual_unrollILi128ELi4EZNS0_15gpu_kernel_implINS0_13BinaryFunctorIlllZZZNS0_18rshift_kernel_cudaERNS_18TensorIteratorBaseEENKUlvE_clEvENKUlvE2_clEvEUlllE_EEEEvS5_RKT_EUlibE_EEviT1_,comdat
.Lfunc_end214:
	.size	_ZN2at6native32elementwise_kernel_manual_unrollILi128ELi4EZNS0_15gpu_kernel_implINS0_13BinaryFunctorIlllZZZNS0_18rshift_kernel_cudaERNS_18TensorIteratorBaseEENKUlvE_clEvENKUlvE2_clEvEUlllE_EEEEvS5_RKT_EUlibE_EEviT1_, .Lfunc_end214-_ZN2at6native32elementwise_kernel_manual_unrollILi128ELi4EZNS0_15gpu_kernel_implINS0_13BinaryFunctorIlllZZZNS0_18rshift_kernel_cudaERNS_18TensorIteratorBaseEENKUlvE_clEvENKUlvE2_clEvEUlllE_EEEEvS5_RKT_EUlibE_EEviT1_
                                        ; -- End function
	.set _ZN2at6native32elementwise_kernel_manual_unrollILi128ELi4EZNS0_15gpu_kernel_implINS0_13BinaryFunctorIlllZZZNS0_18rshift_kernel_cudaERNS_18TensorIteratorBaseEENKUlvE_clEvENKUlvE2_clEvEUlllE_EEEEvS5_RKT_EUlibE_EEviT1_.num_vgpr, 23
	.set _ZN2at6native32elementwise_kernel_manual_unrollILi128ELi4EZNS0_15gpu_kernel_implINS0_13BinaryFunctorIlllZZZNS0_18rshift_kernel_cudaERNS_18TensorIteratorBaseEENKUlvE_clEvENKUlvE2_clEvEUlllE_EEEEvS5_RKT_EUlibE_EEviT1_.num_agpr, 0
	.set _ZN2at6native32elementwise_kernel_manual_unrollILi128ELi4EZNS0_15gpu_kernel_implINS0_13BinaryFunctorIlllZZZNS0_18rshift_kernel_cudaERNS_18TensorIteratorBaseEENKUlvE_clEvENKUlvE2_clEvEUlllE_EEEEvS5_RKT_EUlibE_EEviT1_.numbered_sgpr, 56
	.set _ZN2at6native32elementwise_kernel_manual_unrollILi128ELi4EZNS0_15gpu_kernel_implINS0_13BinaryFunctorIlllZZZNS0_18rshift_kernel_cudaERNS_18TensorIteratorBaseEENKUlvE_clEvENKUlvE2_clEvEUlllE_EEEEvS5_RKT_EUlibE_EEviT1_.num_named_barrier, 0
	.set _ZN2at6native32elementwise_kernel_manual_unrollILi128ELi4EZNS0_15gpu_kernel_implINS0_13BinaryFunctorIlllZZZNS0_18rshift_kernel_cudaERNS_18TensorIteratorBaseEENKUlvE_clEvENKUlvE2_clEvEUlllE_EEEEvS5_RKT_EUlibE_EEviT1_.private_seg_size, 0
	.set _ZN2at6native32elementwise_kernel_manual_unrollILi128ELi4EZNS0_15gpu_kernel_implINS0_13BinaryFunctorIlllZZZNS0_18rshift_kernel_cudaERNS_18TensorIteratorBaseEENKUlvE_clEvENKUlvE2_clEvEUlllE_EEEEvS5_RKT_EUlibE_EEviT1_.uses_vcc, 1
	.set _ZN2at6native32elementwise_kernel_manual_unrollILi128ELi4EZNS0_15gpu_kernel_implINS0_13BinaryFunctorIlllZZZNS0_18rshift_kernel_cudaERNS_18TensorIteratorBaseEENKUlvE_clEvENKUlvE2_clEvEUlllE_EEEEvS5_RKT_EUlibE_EEviT1_.uses_flat_scratch, 0
	.set _ZN2at6native32elementwise_kernel_manual_unrollILi128ELi4EZNS0_15gpu_kernel_implINS0_13BinaryFunctorIlllZZZNS0_18rshift_kernel_cudaERNS_18TensorIteratorBaseEENKUlvE_clEvENKUlvE2_clEvEUlllE_EEEEvS5_RKT_EUlibE_EEviT1_.has_dyn_sized_stack, 0
	.set _ZN2at6native32elementwise_kernel_manual_unrollILi128ELi4EZNS0_15gpu_kernel_implINS0_13BinaryFunctorIlllZZZNS0_18rshift_kernel_cudaERNS_18TensorIteratorBaseEENKUlvE_clEvENKUlvE2_clEvEUlllE_EEEEvS5_RKT_EUlibE_EEviT1_.has_recursion, 0
	.set _ZN2at6native32elementwise_kernel_manual_unrollILi128ELi4EZNS0_15gpu_kernel_implINS0_13BinaryFunctorIlllZZZNS0_18rshift_kernel_cudaERNS_18TensorIteratorBaseEENKUlvE_clEvENKUlvE2_clEvEUlllE_EEEEvS5_RKT_EUlibE_EEviT1_.has_indirect_call, 0
	.section	.AMDGPU.csdata,"",@progbits
; Kernel info:
; codeLenInByte = 59996
; TotalNumSgprs: 60
; NumVgprs: 23
; ScratchSize: 0
; MemoryBound: 1
; FloatMode: 240
; IeeeMode: 1
; LDSByteSize: 0 bytes/workgroup (compile time only)
; SGPRBlocks: 7
; VGPRBlocks: 5
; NumSGPRsForWavesPerEU: 60
; NumVGPRsForWavesPerEU: 23
; Occupancy: 10
; WaveLimiterHint : 0
; COMPUTE_PGM_RSRC2:SCRATCH_EN: 0
; COMPUTE_PGM_RSRC2:USER_SGPR: 6
; COMPUTE_PGM_RSRC2:TRAP_HANDLER: 0
; COMPUTE_PGM_RSRC2:TGID_X_EN: 1
; COMPUTE_PGM_RSRC2:TGID_Y_EN: 0
; COMPUTE_PGM_RSRC2:TGID_Z_EN: 0
; COMPUTE_PGM_RSRC2:TIDIG_COMP_CNT: 0
	.section	.text._ZN2at6native32elementwise_kernel_manual_unrollILi128ELi4EZNS0_15gpu_kernel_implINS0_13BinaryFunctorIlllZZZNS0_18rshift_kernel_cudaERNS_18TensorIteratorBaseEENKUlvE_clEvENKUlvE2_clEvEUlllE_EEEEvS5_RKT_EUlibE0_EEviT1_,"axG",@progbits,_ZN2at6native32elementwise_kernel_manual_unrollILi128ELi4EZNS0_15gpu_kernel_implINS0_13BinaryFunctorIlllZZZNS0_18rshift_kernel_cudaERNS_18TensorIteratorBaseEENKUlvE_clEvENKUlvE2_clEvEUlllE_EEEEvS5_RKT_EUlibE0_EEviT1_,comdat
	.globl	_ZN2at6native32elementwise_kernel_manual_unrollILi128ELi4EZNS0_15gpu_kernel_implINS0_13BinaryFunctorIlllZZZNS0_18rshift_kernel_cudaERNS_18TensorIteratorBaseEENKUlvE_clEvENKUlvE2_clEvEUlllE_EEEEvS5_RKT_EUlibE0_EEviT1_ ; -- Begin function _ZN2at6native32elementwise_kernel_manual_unrollILi128ELi4EZNS0_15gpu_kernel_implINS0_13BinaryFunctorIlllZZZNS0_18rshift_kernel_cudaERNS_18TensorIteratorBaseEENKUlvE_clEvENKUlvE2_clEvEUlllE_EEEEvS5_RKT_EUlibE0_EEviT1_
	.p2align	8
	.type	_ZN2at6native32elementwise_kernel_manual_unrollILi128ELi4EZNS0_15gpu_kernel_implINS0_13BinaryFunctorIlllZZZNS0_18rshift_kernel_cudaERNS_18TensorIteratorBaseEENKUlvE_clEvENKUlvE2_clEvEUlllE_EEEEvS5_RKT_EUlibE0_EEviT1_,@function
_ZN2at6native32elementwise_kernel_manual_unrollILi128ELi4EZNS0_15gpu_kernel_implINS0_13BinaryFunctorIlllZZZNS0_18rshift_kernel_cudaERNS_18TensorIteratorBaseEENKUlvE_clEvENKUlvE2_clEvEUlllE_EEEEvS5_RKT_EUlibE0_EEviT1_: ; @_ZN2at6native32elementwise_kernel_manual_unrollILi128ELi4EZNS0_15gpu_kernel_implINS0_13BinaryFunctorIlllZZZNS0_18rshift_kernel_cudaERNS_18TensorIteratorBaseEENKUlvE_clEvENKUlvE2_clEvEUlllE_EEEEvS5_RKT_EUlibE0_EEviT1_
; %bb.0:
	s_load_dword s66, s[4:5], 0x0
	s_load_dword s33, s[4:5], 0x8
	s_add_u32 s2, s4, 8
	s_addc_u32 s3, s5, 0
	v_lshl_or_b32 v10, s6, 9, v0
	v_or_b32_e32 v21, 0x180, v10
	s_waitcnt lgkmcnt(0)
	s_add_i32 s68, s33, -1
	s_cmp_gt_u32 s68, 1
	v_cmp_le_i32_e32 vcc, s66, v21
	s_cselect_b64 s[20:21], -1, 0
	s_mov_b64 s[6:7], 0
	s_mov_b64 s[12:13], 0
	s_and_saveexec_b64 s[0:1], vcc
	s_xor_b64 s[22:23], exec, s[0:1]
	s_cbranch_execz .LBB215_1557
; %bb.1:
	v_mov_b32_e32 v0, 0
	global_load_ushort v1, v0, s[2:3] offset:417
	global_load_sbyte v2, v0, s[2:3] offset:419
	s_load_dwordx4 s[16:19], s[2:3], 0x4
	s_load_dwordx2 s[28:29], s[2:3], 0x14
	s_load_dwordx4 s[12:15], s[2:3], 0xc4
	s_load_dwordx2 s[26:27], s[2:3], 0xd4
	s_load_dwordx2 s[24:25], s[2:3], 0x198
	s_load_dwordx4 s[8:11], s[2:3], 0x188
	s_cmp_lg_u32 s33, 0
	s_cselect_b64 s[34:35], -1, 0
	s_min_u32 s72, s68, 15
	s_cmp_gt_u32 s33, 1
	v_cmp_gt_i32_e32 vcc, s66, v10
	s_mov_b64 s[0:1], -1
	s_mov_b64 s[46:47], 0
	s_mov_b64 s[40:41], 0
	;; [unrolled: 1-line block ×3, first 2 shown]
	s_cselect_b64 s[30:31], -1, 0
	s_mov_b64 s[36:37], 0
	s_waitcnt vmcnt(1)
	v_readfirstlane_b32 s69, v1
	s_waitcnt vmcnt(0)
	v_readfirstlane_b32 s70, v2
	s_lshr_b32 s71, s69, 8
	s_and_saveexec_b64 s[42:43], vcc
	s_cbranch_execz .LBB215_386
; %bb.2:
	s_andn2_b64 vcc, exec, s[20:21]
	s_cbranch_vccnz .LBB215_8
; %bb.3:
	s_andn2_b64 vcc, exec, s[34:35]
	s_cbranch_vccnz .LBB215_9
; %bb.4:
	s_add_i32 s0, s72, 1
	s_and_b32 s36, s0, 30
	s_add_u32 s0, s2, 0xffffffe8
	s_addc_u32 s1, s3, -1
	v_mov_b32_e32 v3, 0
	v_mov_b32_e32 v5, 0
	;; [unrolled: 1-line block ×4, first 2 shown]
.LBB215_5:                              ; =>This Inner Loop Header: Depth=1
	s_load_dwordx4 s[48:51], s[0:1], 0x1c
	s_load_dwordx2 s[38:39], s[0:1], 0x2c
	s_load_dwordx2 s[40:41], s[0:1], 0xec
	s_load_dwordx4 s[52:55], s[0:1], 0xdc
	s_add_u32 s0, s0, 24
	s_waitcnt lgkmcnt(0)
	v_mul_hi_u32 v2, s49, v1
	s_addc_u32 s1, s1, 0
	s_add_i32 s36, s36, -2
	s_cmp_lg_u32 s36, 0
	v_add_u32_e32 v2, v1, v2
	v_lshrrev_b32_e32 v2, s50, v2
	v_mul_lo_u32 v4, v2, s48
	v_mul_hi_u32 v6, s38, v2
	v_sub_u32_e32 v4, v1, v4
	v_add_u32_e32 v1, v2, v6
	v_lshrrev_b32_e32 v1, s39, v1
	v_mul_lo_u32 v8, v1, s51
	v_mul_lo_u32 v6, v4, s52
	;; [unrolled: 1-line block ×4, first 2 shown]
	v_sub_u32_e32 v2, v2, v8
	v_mul_lo_u32 v8, v2, s55
	v_mul_lo_u32 v9, v2, s40
	;; [unrolled: 1-line block ×3, first 2 shown]
	v_add3_u32 v0, v6, v0, v8
	v_add3_u32 v5, v7, v5, v9
	;; [unrolled: 1-line block ×3, first 2 shown]
	s_cbranch_scc1 .LBB215_5
; %bb.6:
	s_bitcmp1_b32 s72, 0
	s_cselect_b64 s[36:37], -1, 0
	s_and_b64 vcc, exec, s[36:37]
	s_cbranch_vccnz .LBB215_10
; %bb.7:
	s_load_dwordx2 s[36:37], s[0:1], 0x1c
	s_load_dword s40, s[0:1], 0x24
	s_load_dwordx2 s[38:39], s[0:1], 0xdc
	s_waitcnt lgkmcnt(0)
	v_mul_hi_u32 v2, s37, v1
	v_add_u32_e32 v2, v1, v2
	v_lshrrev_b32_e32 v2, s40, v2
	v_mul_lo_u32 v2, v2, s36
	s_load_dword s36, s[0:1], 0xe4
	v_sub_u32_e32 v2, v1, v2
	v_mad_u64_u32 v[0:1], s[0:1], v2, s38, v[0:1]
	v_mad_u64_u32 v[5:6], s[0:1], v2, s39, v[5:6]
	s_waitcnt lgkmcnt(0)
	v_mad_u64_u32 v[3:4], s[0:1], v2, s36, v[3:4]
	s_cbranch_execz .LBB215_11
	s_branch .LBB215_13
.LBB215_8:
                                        ; implicit-def: $vgpr0
                                        ; implicit-def: $vgpr5
                                        ; implicit-def: $vgpr3
	s_andn2_b64 vcc, exec, s[0:1]
	s_cbranch_vccz .LBB215_11
	s_branch .LBB215_13
.LBB215_9:
	v_mov_b32_e32 v0, 0
	v_mov_b32_e32 v5, 0
	;; [unrolled: 1-line block ×3, first 2 shown]
.LBB215_10:
	s_cbranch_execnz .LBB215_13
.LBB215_11:
	s_waitcnt lgkmcnt(0)
	v_mul_hi_u32 v0, s17, v10
	s_andn2_b64 vcc, exec, s[30:31]
	v_add_u32_e32 v0, v10, v0
	v_lshrrev_b32_e32 v1, s18, v0
	v_mul_lo_u32 v0, v1, s16
	v_sub_u32_e32 v2, v10, v0
	v_mul_lo_u32 v0, v2, s12
	v_mul_lo_u32 v5, v2, s13
	;; [unrolled: 1-line block ×3, first 2 shown]
	s_cbranch_vccnz .LBB215_13
; %bb.12:
	v_mul_hi_u32 v2, s28, v1
	v_add_u32_e32 v2, v1, v2
	v_lshrrev_b32_e32 v2, s29, v2
	v_mul_lo_u32 v2, v2, s19
	v_sub_u32_e32 v2, v1, v2
	v_mad_u64_u32 v[0:1], s[0:1], v2, s15, v[0:1]
	v_mad_u64_u32 v[5:6], s[0:1], v2, s26, v[5:6]
	;; [unrolled: 1-line block ×3, first 2 shown]
.LBB215_13:
	s_waitcnt lgkmcnt(0)
	v_mov_b32_e32 v1, s11
	s_and_b32 s38, s71, 0xff
	v_add_co_u32_e32 v4, vcc, s10, v5
	s_cmp_lt_i32 s38, 11
	v_addc_co_u32_e32 v5, vcc, 0, v1, vcc
	s_cbranch_scc1 .LBB215_20
; %bb.14:
	s_and_b32 s39, 0xffff, s38
	s_cmp_gt_i32 s39, 25
	s_cbranch_scc0 .LBB215_29
; %bb.15:
	s_cmp_gt_i32 s39, 28
	s_cbranch_scc0 .LBB215_39
; %bb.16:
	;; [unrolled: 3-line block ×4, first 2 shown]
	s_cmp_eq_u32 s39, 46
	s_mov_b64 s[36:37], 0
	s_cbranch_scc0 .LBB215_48
; %bb.19:
	global_load_dword v1, v[4:5], off
	s_mov_b32 s0, 0x2f800000
	s_mov_b32 s1, 0xcf800000
	s_mov_b64 s[40:41], 0
	s_waitcnt vmcnt(0)
	v_lshlrev_b32_e32 v1, 16, v1
	v_trunc_f32_e32 v1, v1
	v_mul_f32_e64 v2, |v1|, s0
	v_floor_f32_e32 v2, v2
	v_fma_f32 v6, v2, s1, |v1|
	v_cvt_u32_f32_e32 v6, v6
	v_cvt_u32_f32_e32 v2, v2
	v_ashrrev_i32_e32 v7, 31, v1
	s_mov_b64 s[0:1], -1
	v_xor_b32_e32 v1, v6, v7
	v_xor_b32_e32 v2, v2, v7
	v_sub_co_u32_e32 v1, vcc, v1, v7
	v_subb_co_u32_e32 v2, vcc, v2, v7, vcc
	s_branch .LBB215_50
.LBB215_20:
	s_mov_b64 s[40:41], 0
                                        ; implicit-def: $vgpr1_vgpr2
	s_mov_b64 s[0:1], 0
	s_cbranch_execnz .LBB215_112
.LBB215_21:
	s_andn2_b64 vcc, exec, s[0:1]
	s_cbranch_vccnz .LBB215_159
.LBB215_22:
	v_mov_b32_e32 v4, s25
	s_and_b32 s44, s70, 0xff
	v_add_co_u32_e32 v3, vcc, s24, v3
	s_cmp_lt_i32 s44, 11
	v_addc_co_u32_e32 v4, vcc, 0, v4, vcc
	s_cbranch_scc1 .LBB215_30
; %bb.23:
	s_and_b32 s45, 0xffff, s44
	s_cmp_gt_i32 s45, 25
	s_cbranch_scc0 .LBB215_40
; %bb.24:
	s_cmp_gt_i32 s45, 28
	s_cbranch_scc0 .LBB215_43
; %bb.25:
	;; [unrolled: 3-line block ×4, first 2 shown]
	s_cmp_eq_u32 s45, 46
	s_mov_b64 s[36:37], 0
	s_cbranch_scc0 .LBB215_160
; %bb.28:
	global_load_dword v5, v[3:4], off
	s_mov_b32 s0, 0x2f800000
	s_mov_b32 s1, 0xcf800000
	s_mov_b64 s[38:39], 0
	s_waitcnt vmcnt(0)
	v_lshlrev_b32_e32 v5, 16, v5
	v_trunc_f32_e32 v5, v5
	v_mul_f32_e64 v6, |v5|, s0
	v_floor_f32_e32 v6, v6
	v_fma_f32 v7, v6, s1, |v5|
	v_cvt_u32_f32_e32 v7, v7
	v_cvt_u32_f32_e32 v6, v6
	v_ashrrev_i32_e32 v8, 31, v5
	s_mov_b64 s[0:1], -1
	v_xor_b32_e32 v5, v7, v8
	v_xor_b32_e32 v6, v6, v8
	v_sub_co_u32_e32 v5, vcc, v5, v8
	v_subb_co_u32_e32 v6, vcc, v6, v8, vcc
	s_branch .LBB215_162
.LBB215_29:
	s_mov_b64 s[40:41], 0
	s_mov_b64 s[0:1], 0
                                        ; implicit-def: $vgpr1_vgpr2
	s_cbranch_execnz .LBB215_81
	s_branch .LBB215_111
.LBB215_30:
	s_mov_b64 s[38:39], 0
                                        ; implicit-def: $vgpr5_vgpr6
	s_mov_b64 s[0:1], 0
	s_cbranch_execnz .LBB215_335
.LBB215_31:
	s_andn2_b64 vcc, exec, s[0:1]
	s_cbranch_vccnz .LBB215_383
.LBB215_32:
	s_waitcnt vmcnt(0)
	v_cmp_gt_u64_e32 vcc, 63, v[5:6]
	v_mov_b32_e32 v4, s9
	v_cndmask_b32_e32 v3, 63, v5, vcc
	v_ashrrev_i64 v[1:2], v3, v[1:2]
	s_and_b32 s50, s69, 0xff
	v_add_co_u32_e32 v3, vcc, s8, v0
	s_cmp_lt_i32 s50, 11
	v_addc_co_u32_e32 v4, vcc, 0, v4, vcc
	s_cbranch_scc1 .LBB215_41
; %bb.33:
	s_and_b32 s51, 0xffff, s50
	s_cmp_gt_i32 s51, 25
	s_cbranch_scc0 .LBB215_44
; %bb.34:
	s_cmp_gt_i32 s51, 28
	s_cbranch_scc0 .LBB215_47
; %bb.35:
	;; [unrolled: 3-line block ×4, first 2 shown]
	s_mov_b64 s[44:45], 0
	s_mov_b64 s[0:1], -1
	s_cmp_eq_u32 s51, 46
	s_mov_b64 s[36:37], 0
	s_cbranch_scc0 .LBB215_166
; %bb.38:
	v_xor_b32_e32 v5, v1, v2
	v_ffbh_i32_e32 v0, v2
	v_ashrrev_i32_e32 v5, 31, v5
	v_add_u32_e32 v0, -1, v0
	v_add_u32_e32 v5, 32, v5
	v_min_u32_e32 v0, v0, v5
	v_lshlrev_b64 v[5:6], v0, v[1:2]
	v_sub_u32_e32 v0, 32, v0
	v_min_u32_e32 v5, 1, v5
	v_or_b32_e32 v5, v6, v5
	v_cvt_f32_i32_e32 v5, v5
	s_movk_i32 s0, 0x7fff
	s_mov_b64 s[36:37], -1
	v_ldexp_f32 v0, v5, v0
	v_bfe_u32 v5, v0, 16, 1
	v_add3_u32 v0, v0, v5, s0
	v_lshrrev_b32_e32 v0, 16, v0
	global_store_dword v[3:4], v0, off
	s_mov_b64 s[0:1], 0
	s_branch .LBB215_166
.LBB215_39:
	s_mov_b64 s[36:37], -1
	s_mov_b64 s[40:41], 0
	s_mov_b64 s[0:1], 0
                                        ; implicit-def: $vgpr1_vgpr2
	s_branch .LBB215_62
.LBB215_40:
	s_mov_b64 s[36:37], -1
	s_mov_b64 s[38:39], 0
	s_mov_b64 s[0:1], 0
                                        ; implicit-def: $vgpr5_vgpr6
	s_branch .LBB215_303
.LBB215_41:
	s_mov_b64 s[44:45], -1
	s_mov_b64 s[0:1], 0
	s_mov_b64 s[36:37], 0
	s_branch .LBB215_235
.LBB215_42:
	s_mov_b64 s[36:37], -1
	s_mov_b64 s[40:41], 0
	s_mov_b64 s[0:1], 0
                                        ; implicit-def: $vgpr1_vgpr2
	s_branch .LBB215_57
.LBB215_43:
	s_mov_b64 s[36:37], -1
	s_mov_b64 s[38:39], 0
	s_mov_b64 s[0:1], 0
                                        ; implicit-def: $vgpr5_vgpr6
	s_branch .LBB215_284
.LBB215_44:
	s_mov_b64 s[44:45], -1
	s_mov_b64 s[0:1], 0
	s_mov_b64 s[36:37], 0
	s_branch .LBB215_193
.LBB215_45:
	s_mov_b64 s[36:37], -1
	s_mov_b64 s[40:41], 0
	s_branch .LBB215_49
.LBB215_46:
	s_mov_b64 s[36:37], -1
	s_mov_b64 s[38:39], 0
	s_mov_b64 s[0:1], 0
                                        ; implicit-def: $vgpr5_vgpr6
	s_branch .LBB215_279
.LBB215_47:
	s_mov_b64 s[44:45], -1
	s_mov_b64 s[0:1], 0
	s_mov_b64 s[36:37], 0
	s_branch .LBB215_176
.LBB215_48:
	s_mov_b64 s[40:41], -1
.LBB215_49:
	s_mov_b64 s[0:1], 0
                                        ; implicit-def: $vgpr1_vgpr2
.LBB215_50:
	s_and_b64 vcc, exec, s[36:37]
	s_cbranch_vccz .LBB215_56
; %bb.51:
	s_cmp_eq_u32 s39, 44
	s_cbranch_scc0 .LBB215_55
; %bb.52:
	global_load_ubyte v1, v[4:5], off
	s_mov_b32 s0, 0x2f800000
	s_mov_b32 s1, 0xcf800000
	s_mov_b64 s[40:41], 0
	s_waitcnt vmcnt(0)
	v_lshlrev_b32_e32 v2, 23, v1
	v_trunc_f32_e32 v2, v2
	v_mul_f32_e64 v6, |v2|, s0
	v_floor_f32_e32 v6, v6
	v_fma_f32 v7, v6, s1, |v2|
	v_cvt_u32_f32_e32 v7, v7
	v_cvt_u32_f32_e32 v6, v6
	v_ashrrev_i32_e32 v2, 31, v2
	s_mov_b64 s[0:1], -1
	v_xor_b32_e32 v7, v7, v2
	v_xor_b32_e32 v6, v6, v2
	v_sub_co_u32_e32 v7, vcc, v7, v2
	v_subb_co_u32_e32 v2, vcc, v6, v2, vcc
	v_cmp_ne_u32_e32 vcc, 0, v1
	v_cndmask_b32_e32 v2, 0, v2, vcc
	v_cndmask_b32_e32 v1, 0, v7, vcc
	s_branch .LBB215_56
.LBB215_53:
	s_mov_b64 s[36:37], -1
	s_mov_b64 s[38:39], 0
	s_branch .LBB215_161
.LBB215_54:
	s_mov_b64 s[44:45], -1
	s_mov_b64 s[0:1], 0
	s_mov_b64 s[36:37], 0
	s_branch .LBB215_172
.LBB215_55:
	s_mov_b64 s[40:41], -1
                                        ; implicit-def: $vgpr1_vgpr2
.LBB215_56:
	s_mov_b64 s[36:37], 0
.LBB215_57:
	s_and_b64 vcc, exec, s[36:37]
	s_cbranch_vccz .LBB215_61
; %bb.58:
	s_cmp_eq_u32 s39, 29
	s_cbranch_scc0 .LBB215_60
; %bb.59:
	global_load_dwordx2 v[1:2], v[4:5], off
	s_mov_b64 s[0:1], -1
	s_mov_b64 s[40:41], 0
	s_branch .LBB215_61
.LBB215_60:
	s_mov_b64 s[40:41], -1
                                        ; implicit-def: $vgpr1_vgpr2
.LBB215_61:
	s_mov_b64 s[36:37], 0
.LBB215_62:
	s_and_b64 vcc, exec, s[36:37]
	s_cbranch_vccz .LBB215_80
; %bb.63:
	s_cmp_lt_i32 s39, 27
	s_cbranch_scc1 .LBB215_66
; %bb.64:
	s_cmp_gt_i32 s39, 27
	s_cbranch_scc0 .LBB215_67
; %bb.65:
	global_load_dword v1, v[4:5], off
	s_waitcnt vmcnt(1)
	v_mov_b32_e32 v2, 0
	s_mov_b64 s[0:1], 0
	s_branch .LBB215_68
.LBB215_66:
	s_mov_b64 s[0:1], -1
                                        ; implicit-def: $vgpr1_vgpr2
	s_branch .LBB215_71
.LBB215_67:
	s_mov_b64 s[0:1], -1
                                        ; implicit-def: $vgpr1_vgpr2
.LBB215_68:
	s_andn2_b64 vcc, exec, s[0:1]
	s_cbranch_vccnz .LBB215_70
; %bb.69:
	global_load_ushort v1, v[4:5], off
	s_mov_b32 s0, 0
	s_waitcnt vmcnt(1)
	v_mov_b32_e32 v2, s0
	s_waitcnt vmcnt(0)
	v_and_b32_e32 v1, 0xffff, v1
.LBB215_70:
	s_mov_b64 s[0:1], 0
.LBB215_71:
	s_andn2_b64 vcc, exec, s[0:1]
	s_cbranch_vccnz .LBB215_79
; %bb.72:
	global_load_ubyte v6, v[4:5], off
	s_movk_i32 s0, 0x7f
	s_mov_b64 s[36:37], 0
	s_waitcnt vmcnt(0)
	v_cmp_lt_i16_e32 vcc, s0, v6
	s_and_saveexec_b64 s[0:1], vcc
	s_xor_b64 s[0:1], exec, s[0:1]
; %bb.73:
	s_movk_i32 s36, 0x80
	v_cmp_ne_u16_e32 vcc, s36, v6
	s_and_b64 s[36:37], vcc, exec
; %bb.74:
	s_andn2_saveexec_b64 s[0:1], s[0:1]
; %bb.75:
	v_cmp_ne_u16_e32 vcc, 0, v6
	s_andn2_b64 s[36:37], s[36:37], exec
	s_and_b64 s[44:45], vcc, exec
	s_or_b64 s[36:37], s[36:37], s[44:45]
; %bb.76:
	s_or_b64 exec, exec, s[0:1]
	v_mov_b32_e32 v1, 0
	v_mov_b32_e32 v2, 0
	s_and_saveexec_b64 s[0:1], s[36:37]
	s_cbranch_execz .LBB215_78
; %bb.77:
	v_and_b32_e32 v2, 0xffff, v6
	v_lshlrev_b32_e32 v1, 24, v6
	v_and_b32_e32 v6, 7, v2
	v_ffbh_u32_e32 v8, v6
	v_min_u32_e32 v8, 32, v8
	v_subrev_u32_e32 v9, 28, v8
	v_bfe_u32 v7, v2, 3, 4
	v_lshlrev_b32_e32 v2, v9, v2
	v_sub_u32_e32 v8, 29, v8
	v_and_b32_e32 v2, 7, v2
	v_cmp_eq_u32_e32 vcc, 0, v7
	v_cndmask_b32_e32 v7, v7, v8, vcc
	v_cndmask_b32_e32 v2, v6, v2, vcc
	v_mov_b32_e32 v6, 0x3b800000
	v_lshlrev_b32_e32 v2, 20, v2
	v_and_b32_e32 v1, 0x80000000, v1
	v_lshl_add_u32 v6, v7, 23, v6
	v_or3_b32 v1, v1, v6, v2
	v_trunc_f32_e32 v1, v1
	s_mov_b32 s36, 0x2f800000
	v_mul_f32_e64 v2, |v1|, s36
	v_floor_f32_e32 v2, v2
	s_mov_b32 s36, 0xcf800000
	v_fma_f32 v6, v2, s36, |v1|
	v_cvt_u32_f32_e32 v6, v6
	v_cvt_u32_f32_e32 v2, v2
	v_ashrrev_i32_e32 v7, 31, v1
	v_xor_b32_e32 v1, v6, v7
	v_xor_b32_e32 v2, v2, v7
	v_sub_co_u32_e32 v1, vcc, v1, v7
	v_subb_co_u32_e32 v2, vcc, v2, v7, vcc
.LBB215_78:
	s_or_b64 exec, exec, s[0:1]
.LBB215_79:
	s_mov_b64 s[0:1], -1
.LBB215_80:
	s_branch .LBB215_111
.LBB215_81:
	s_cmp_gt_i32 s39, 22
	s_cbranch_scc0 .LBB215_91
; %bb.82:
	s_cmp_lt_i32 s39, 24
	s_cbranch_scc1 .LBB215_92
; %bb.83:
	s_cmp_gt_i32 s39, 24
	s_cbranch_scc0 .LBB215_93
; %bb.84:
	global_load_ubyte v6, v[4:5], off
	s_movk_i32 s0, 0x7f
	s_mov_b64 s[36:37], 0
	s_waitcnt vmcnt(0)
	v_cmp_lt_i16_e32 vcc, s0, v6
	s_and_saveexec_b64 s[0:1], vcc
	s_xor_b64 s[0:1], exec, s[0:1]
; %bb.85:
	s_movk_i32 s36, 0x80
	v_cmp_ne_u16_e32 vcc, s36, v6
	s_and_b64 s[36:37], vcc, exec
; %bb.86:
	s_andn2_saveexec_b64 s[0:1], s[0:1]
; %bb.87:
	v_cmp_ne_u16_e32 vcc, 0, v6
	s_andn2_b64 s[36:37], s[36:37], exec
	s_and_b64 s[44:45], vcc, exec
	s_or_b64 s[36:37], s[36:37], s[44:45]
; %bb.88:
	s_or_b64 exec, exec, s[0:1]
	v_mov_b32_e32 v1, 0
	v_mov_b32_e32 v2, 0
	s_and_saveexec_b64 s[0:1], s[36:37]
	s_cbranch_execz .LBB215_90
; %bb.89:
	v_and_b32_e32 v2, 0xffff, v6
	v_lshlrev_b32_e32 v1, 24, v6
	v_and_b32_e32 v6, 3, v2
	v_ffbh_u32_e32 v8, v6
	v_min_u32_e32 v8, 32, v8
	v_subrev_u32_e32 v9, 29, v8
	v_bfe_u32 v7, v2, 2, 5
	v_lshlrev_b32_e32 v2, v9, v2
	v_sub_u32_e32 v8, 30, v8
	v_and_b32_e32 v2, 3, v2
	v_cmp_eq_u32_e32 vcc, 0, v7
	v_cndmask_b32_e32 v7, v7, v8, vcc
	v_cndmask_b32_e32 v2, v6, v2, vcc
	v_mov_b32_e32 v6, 0x37800000
	v_lshlrev_b32_e32 v2, 21, v2
	v_and_b32_e32 v1, 0x80000000, v1
	v_lshl_add_u32 v6, v7, 23, v6
	v_or3_b32 v1, v1, v6, v2
	v_trunc_f32_e32 v1, v1
	s_mov_b32 s36, 0x2f800000
	v_mul_f32_e64 v2, |v1|, s36
	v_floor_f32_e32 v2, v2
	s_mov_b32 s36, 0xcf800000
	v_fma_f32 v6, v2, s36, |v1|
	v_cvt_u32_f32_e32 v6, v6
	v_cvt_u32_f32_e32 v2, v2
	v_ashrrev_i32_e32 v7, 31, v1
	v_xor_b32_e32 v1, v6, v7
	v_xor_b32_e32 v2, v2, v7
	v_sub_co_u32_e32 v1, vcc, v1, v7
	v_subb_co_u32_e32 v2, vcc, v2, v7, vcc
.LBB215_90:
	s_or_b64 exec, exec, s[0:1]
	s_mov_b64 s[0:1], 0
	s_branch .LBB215_94
.LBB215_91:
	s_mov_b64 s[36:37], -1
                                        ; implicit-def: $vgpr1_vgpr2
	s_branch .LBB215_100
.LBB215_92:
	s_mov_b64 s[0:1], -1
                                        ; implicit-def: $vgpr1_vgpr2
	s_branch .LBB215_97
.LBB215_93:
	s_mov_b64 s[0:1], -1
                                        ; implicit-def: $vgpr1_vgpr2
.LBB215_94:
	s_and_b64 vcc, exec, s[0:1]
	s_cbranch_vccz .LBB215_96
; %bb.95:
	global_load_ubyte v1, v[4:5], off
	s_mov_b32 s0, 0x7f800000
	s_brev_b32 s1, 1
	s_mov_b32 s36, 0x2f800000
	s_mov_b32 s37, 0xcf800000
	s_waitcnt vmcnt(0)
	v_lshlrev_b32_e32 v1, 24, v1
	v_and_b32_e32 v2, 0x7f000000, v1
	v_ffbh_u32_e32 v6, v2
	v_min_u32_e32 v6, 32, v6
	v_sub_u32_e64 v6, v6, 4 clamp
	v_lshlrev_b32_e32 v8, v6, v2
	v_lshlrev_b32_e32 v6, 23, v6
	v_lshrrev_b32_e32 v8, 4, v8
	v_add_u32_e32 v7, 0x1000000, v2
	v_sub_u32_e32 v6, v8, v6
	v_ashrrev_i32_e32 v7, 8, v7
	v_add_u32_e32 v6, 0x3c000000, v6
	v_and_or_b32 v6, v7, s0, v6
	v_cmp_ne_u32_e32 vcc, 0, v2
	v_cndmask_b32_e32 v2, 0, v6, vcc
	v_and_or_b32 v1, v1, s1, v2
	v_trunc_f32_e32 v1, v1
	v_mul_f32_e64 v2, |v1|, s36
	v_floor_f32_e32 v2, v2
	v_fma_f32 v6, v2, s37, |v1|
	v_cvt_u32_f32_e32 v6, v6
	v_cvt_u32_f32_e32 v2, v2
	v_ashrrev_i32_e32 v7, 31, v1
	v_xor_b32_e32 v1, v6, v7
	v_xor_b32_e32 v2, v2, v7
	v_sub_co_u32_e32 v1, vcc, v1, v7
	v_subb_co_u32_e32 v2, vcc, v2, v7, vcc
.LBB215_96:
	s_mov_b64 s[0:1], 0
.LBB215_97:
	s_andn2_b64 vcc, exec, s[0:1]
	s_cbranch_vccnz .LBB215_99
; %bb.98:
	global_load_ubyte v1, v[4:5], off
	s_movk_i32 s0, 0x7f00
	s_brev_b32 s1, 16
	s_brev_b32 s36, 1
	s_mov_b32 s37, 0x2f800000
	s_mov_b32 s44, 0xcf800000
	s_waitcnt vmcnt(0)
	v_lshlrev_b16_e32 v2, 8, v1
	v_lshlrev_b32_e32 v1, 25, v1
	v_lshrrev_b32_e32 v6, 4, v1
	v_and_or_b32 v7, v2, s0, 0.5
	v_or_b32_e32 v6, 0x70000000, v6
	v_add_f32_e32 v7, -0.5, v7
	v_mul_f32_e32 v6, 0x7800000, v6
	v_cmp_gt_u32_e32 vcc, s1, v1
	v_bfe_i32 v2, v2, 0, 16
	v_cndmask_b32_e32 v1, v6, v7, vcc
	v_and_or_b32 v1, v2, s36, v1
	v_trunc_f32_e32 v1, v1
	v_mul_f32_e64 v2, |v1|, s37
	v_floor_f32_e32 v2, v2
	v_fma_f32 v6, v2, s44, |v1|
	v_cvt_u32_f32_e32 v6, v6
	v_cvt_u32_f32_e32 v2, v2
	v_ashrrev_i32_e32 v7, 31, v1
	v_xor_b32_e32 v1, v6, v7
	v_xor_b32_e32 v2, v2, v7
	v_sub_co_u32_e32 v1, vcc, v1, v7
	v_subb_co_u32_e32 v2, vcc, v2, v7, vcc
.LBB215_99:
	s_mov_b64 s[36:37], 0
	s_mov_b64 s[0:1], -1
.LBB215_100:
	s_andn2_b64 vcc, exec, s[36:37]
	s_cbranch_vccnz .LBB215_111
; %bb.101:
	s_cmp_gt_i32 s39, 14
	s_cbranch_scc0 .LBB215_104
; %bb.102:
	s_cmp_eq_u32 s39, 15
	s_cbranch_scc0 .LBB215_105
; %bb.103:
	global_load_ushort v1, v[4:5], off
	s_mov_b32 s0, 0x2f800000
	s_mov_b32 s1, 0xcf800000
	s_mov_b64 s[40:41], 0
	s_waitcnt vmcnt(0)
	v_lshlrev_b32_e32 v1, 16, v1
	v_trunc_f32_e32 v1, v1
	v_mul_f32_e64 v2, |v1|, s0
	v_floor_f32_e32 v2, v2
	v_fma_f32 v6, v2, s1, |v1|
	v_cvt_u32_f32_e32 v6, v6
	v_cvt_u32_f32_e32 v2, v2
	v_ashrrev_i32_e32 v7, 31, v1
	s_mov_b64 s[0:1], -1
	v_xor_b32_e32 v1, v6, v7
	v_xor_b32_e32 v2, v2, v7
	v_sub_co_u32_e32 v1, vcc, v1, v7
	v_subb_co_u32_e32 v2, vcc, v2, v7, vcc
	s_branch .LBB215_106
.LBB215_104:
	s_mov_b64 s[36:37], -1
                                        ; implicit-def: $vgpr1_vgpr2
	s_branch .LBB215_107
.LBB215_105:
	s_mov_b64 s[40:41], -1
                                        ; implicit-def: $vgpr1_vgpr2
.LBB215_106:
	s_mov_b64 s[36:37], 0
.LBB215_107:
	s_and_b64 vcc, exec, s[36:37]
	s_cbranch_vccz .LBB215_111
; %bb.108:
	s_cmp_eq_u32 s39, 11
	s_cbranch_scc0 .LBB215_110
; %bb.109:
	global_load_ubyte v1, v[4:5], off
	s_mov_b32 s36, 0
	s_mov_b64 s[0:1], -1
	s_waitcnt vmcnt(1)
	v_mov_b32_e32 v2, s36
	s_mov_b64 s[40:41], 0
	s_waitcnt vmcnt(0)
	v_cmp_ne_u16_e32 vcc, 0, v1
	v_cndmask_b32_e64 v1, 0, 1, vcc
	s_branch .LBB215_111
.LBB215_110:
	s_mov_b64 s[40:41], -1
                                        ; implicit-def: $vgpr1_vgpr2
.LBB215_111:
	s_branch .LBB215_21
.LBB215_112:
	s_and_b32 s36, 0xffff, s38
	s_cmp_lt_i32 s36, 5
	s_cbranch_scc1 .LBB215_117
; %bb.113:
	s_cmp_lt_i32 s36, 8
	s_cbranch_scc1 .LBB215_118
; %bb.114:
	;; [unrolled: 3-line block ×3, first 2 shown]
	s_cmp_gt_i32 s36, 9
	s_cbranch_scc0 .LBB215_120
; %bb.116:
	global_load_dwordx2 v[1:2], v[4:5], off
	s_movk_i32 s0, 0xffe0
	s_waitcnt vmcnt(0)
	v_trunc_f64_e32 v[1:2], v[1:2]
	v_ldexp_f64 v[6:7], v[1:2], s0
	s_mov_b32 s0, 0
	s_mov_b32 s1, 0xc1f00000
	v_floor_f64_e32 v[6:7], v[6:7]
	v_fma_f64 v[8:9], v[6:7], s[0:1], v[1:2]
	v_cvt_i32_f64_e32 v2, v[6:7]
	s_mov_b64 s[0:1], 0
	v_cvt_u32_f64_e32 v1, v[8:9]
	s_branch .LBB215_121
.LBB215_117:
                                        ; implicit-def: $vgpr1_vgpr2
	s_branch .LBB215_139
.LBB215_118:
	s_mov_b64 s[0:1], -1
                                        ; implicit-def: $vgpr1_vgpr2
	s_branch .LBB215_127
.LBB215_119:
	s_mov_b64 s[0:1], -1
                                        ; implicit-def: $vgpr1_vgpr2
	s_branch .LBB215_124
.LBB215_120:
	s_mov_b64 s[0:1], -1
                                        ; implicit-def: $vgpr1_vgpr2
.LBB215_121:
	s_andn2_b64 vcc, exec, s[0:1]
	s_cbranch_vccnz .LBB215_123
; %bb.122:
	global_load_dword v1, v[4:5], off
	s_mov_b32 s0, 0x2f800000
	s_mov_b32 s1, 0xcf800000
	s_waitcnt vmcnt(0)
	v_trunc_f32_e32 v1, v1
	v_mul_f32_e64 v2, |v1|, s0
	v_floor_f32_e32 v2, v2
	v_cvt_u32_f32_e32 v6, v2
	v_fma_f32 v2, v2, s1, |v1|
	v_cvt_u32_f32_e32 v2, v2
	v_ashrrev_i32_e32 v7, 31, v1
	v_xor_b32_e32 v6, v6, v7
	v_xor_b32_e32 v1, v2, v7
	v_sub_co_u32_e32 v1, vcc, v1, v7
	v_subb_co_u32_e32 v2, vcc, v6, v7, vcc
.LBB215_123:
	s_mov_b64 s[0:1], 0
.LBB215_124:
	s_andn2_b64 vcc, exec, s[0:1]
	s_cbranch_vccnz .LBB215_126
; %bb.125:
	global_load_dword v1, v[4:5], off
	s_waitcnt vmcnt(0)
	v_cvt_f32_f16_e32 v1, v1
	v_cvt_i32_f32_e32 v1, v1
	v_ashrrev_i32_e32 v2, 31, v1
.LBB215_126:
	s_mov_b64 s[0:1], 0
.LBB215_127:
	s_andn2_b64 vcc, exec, s[0:1]
	s_cbranch_vccnz .LBB215_138
; %bb.128:
	s_cmp_lt_i32 s36, 6
	s_cbranch_scc1 .LBB215_131
; %bb.129:
	s_cmp_gt_i32 s36, 6
	s_cbranch_scc0 .LBB215_132
; %bb.130:
	global_load_dwordx2 v[1:2], v[4:5], off
	s_movk_i32 s0, 0xffe0
	s_waitcnt vmcnt(0)
	v_trunc_f64_e32 v[1:2], v[1:2]
	v_ldexp_f64 v[6:7], v[1:2], s0
	s_mov_b32 s0, 0
	s_mov_b32 s1, 0xc1f00000
	v_floor_f64_e32 v[6:7], v[6:7]
	v_fma_f64 v[8:9], v[6:7], s[0:1], v[1:2]
	v_cvt_i32_f64_e32 v2, v[6:7]
	s_mov_b64 s[0:1], 0
	v_cvt_u32_f64_e32 v1, v[8:9]
	s_branch .LBB215_133
.LBB215_131:
	s_mov_b64 s[0:1], -1
                                        ; implicit-def: $vgpr1_vgpr2
	s_branch .LBB215_136
.LBB215_132:
	s_mov_b64 s[0:1], -1
                                        ; implicit-def: $vgpr1_vgpr2
.LBB215_133:
	s_andn2_b64 vcc, exec, s[0:1]
	s_cbranch_vccnz .LBB215_135
; %bb.134:
	global_load_dword v1, v[4:5], off
	s_mov_b32 s0, 0x2f800000
	s_mov_b32 s1, 0xcf800000
	s_waitcnt vmcnt(0)
	v_trunc_f32_e32 v1, v1
	v_mul_f32_e64 v2, |v1|, s0
	v_floor_f32_e32 v2, v2
	v_cvt_u32_f32_e32 v6, v2
	v_fma_f32 v2, v2, s1, |v1|
	v_cvt_u32_f32_e32 v2, v2
	v_ashrrev_i32_e32 v7, 31, v1
	v_xor_b32_e32 v6, v6, v7
	v_xor_b32_e32 v1, v2, v7
	v_sub_co_u32_e32 v1, vcc, v1, v7
	v_subb_co_u32_e32 v2, vcc, v6, v7, vcc
.LBB215_135:
	s_mov_b64 s[0:1], 0
.LBB215_136:
	s_andn2_b64 vcc, exec, s[0:1]
	s_cbranch_vccnz .LBB215_138
; %bb.137:
	global_load_ushort v1, v[4:5], off
	s_waitcnt vmcnt(0)
	v_cvt_f32_f16_e32 v1, v1
	v_cvt_i32_f32_e32 v1, v1
	v_ashrrev_i32_e32 v2, 31, v1
.LBB215_138:
	s_cbranch_execnz .LBB215_158
.LBB215_139:
	s_cmp_lt_i32 s36, 2
	s_cbranch_scc1 .LBB215_143
; %bb.140:
	s_cmp_lt_i32 s36, 3
	s_cbranch_scc1 .LBB215_144
; %bb.141:
	s_cmp_gt_i32 s36, 3
	s_cbranch_scc0 .LBB215_145
; %bb.142:
	global_load_dwordx2 v[1:2], v[4:5], off
	s_mov_b64 s[0:1], 0
	s_branch .LBB215_146
.LBB215_143:
	s_mov_b64 s[0:1], -1
                                        ; implicit-def: $vgpr1_vgpr2
	s_branch .LBB215_152
.LBB215_144:
	s_mov_b64 s[0:1], -1
                                        ; implicit-def: $vgpr1_vgpr2
	s_branch .LBB215_149
.LBB215_145:
	s_mov_b64 s[0:1], -1
                                        ; implicit-def: $vgpr1_vgpr2
.LBB215_146:
	s_andn2_b64 vcc, exec, s[0:1]
	s_cbranch_vccnz .LBB215_148
; %bb.147:
	global_load_dword v1, v[4:5], off
	s_waitcnt vmcnt(0)
	v_ashrrev_i32_e32 v2, 31, v1
.LBB215_148:
	s_mov_b64 s[0:1], 0
.LBB215_149:
	s_andn2_b64 vcc, exec, s[0:1]
	s_cbranch_vccnz .LBB215_151
; %bb.150:
	global_load_ushort v1, v[4:5], off
	s_waitcnt vmcnt(0)
	v_bfe_i32 v1, v1, 0, 16
	v_ashrrev_i32_e32 v2, 31, v1
.LBB215_151:
	s_mov_b64 s[0:1], 0
.LBB215_152:
	s_andn2_b64 vcc, exec, s[0:1]
	s_cbranch_vccnz .LBB215_158
; %bb.153:
	s_cmp_gt_i32 s36, 0
	s_cbranch_scc0 .LBB215_155
; %bb.154:
	global_load_sbyte v1, v[4:5], off
	s_mov_b64 s[0:1], 0
	s_waitcnt vmcnt(0)
	v_bfe_i32 v1, v1, 0, 16
	v_ashrrev_i32_e32 v2, 31, v1
	s_branch .LBB215_156
.LBB215_155:
	s_mov_b64 s[0:1], -1
                                        ; implicit-def: $vgpr1_vgpr2
.LBB215_156:
	s_andn2_b64 vcc, exec, s[0:1]
	s_cbranch_vccnz .LBB215_158
; %bb.157:
	global_load_ubyte v1, v[4:5], off
	s_mov_b32 s0, 0
	s_waitcnt vmcnt(1)
	v_mov_b32_e32 v2, s0
	s_waitcnt vmcnt(0)
	v_and_b32_e32 v1, 0xffff, v1
.LBB215_158:
	s_branch .LBB215_22
.LBB215_159:
	s_mov_b64 s[0:1], 0
	s_mov_b64 s[38:39], 0
	s_branch .LBB215_384
.LBB215_160:
	s_mov_b64 s[38:39], -1
.LBB215_161:
	s_mov_b64 s[0:1], 0
                                        ; implicit-def: $vgpr5_vgpr6
.LBB215_162:
	s_and_b64 vcc, exec, s[36:37]
	s_cbranch_vccz .LBB215_278
; %bb.163:
	s_cmp_eq_u32 s45, 44
	s_cbranch_scc0 .LBB215_277
; %bb.164:
	global_load_ubyte v5, v[3:4], off
	s_mov_b32 s0, 0x2f800000
	s_mov_b32 s1, 0xcf800000
	s_mov_b64 s[38:39], 0
	s_waitcnt vmcnt(0)
	v_lshlrev_b32_e32 v6, 23, v5
	v_trunc_f32_e32 v6, v6
	v_mul_f32_e64 v7, |v6|, s0
	v_floor_f32_e32 v7, v7
	v_fma_f32 v8, v7, s1, |v6|
	v_cvt_u32_f32_e32 v8, v8
	v_cvt_u32_f32_e32 v7, v7
	v_ashrrev_i32_e32 v6, 31, v6
	s_mov_b64 s[0:1], -1
	v_xor_b32_e32 v8, v8, v6
	v_xor_b32_e32 v7, v7, v6
	v_sub_co_u32_e32 v8, vcc, v8, v6
	v_subb_co_u32_e32 v6, vcc, v7, v6, vcc
	v_cmp_ne_u32_e32 vcc, 0, v5
	v_cndmask_b32_e32 v6, 0, v6, vcc
	v_cndmask_b32_e32 v5, 0, v8, vcc
	s_branch .LBB215_278
.LBB215_165:
	s_mov_b64 s[44:45], -1
	s_mov_b64 s[0:1], 0
	s_mov_b64 s[36:37], 0
.LBB215_166:
	s_and_b64 vcc, exec, s[44:45]
	s_cbranch_vccz .LBB215_171
; %bb.167:
	s_cmp_eq_u32 s51, 44
	s_mov_b64 s[0:1], -1
	s_cbranch_scc0 .LBB215_171
; %bb.168:
	v_xor_b32_e32 v5, v1, v2
	v_ffbh_i32_e32 v0, v2
	v_ashrrev_i32_e32 v5, 31, v5
	v_add_u32_e32 v0, -1, v0
	v_add_u32_e32 v5, 32, v5
	v_min_u32_e32 v0, v0, v5
	v_lshlrev_b64 v[5:6], v0, v[1:2]
	v_sub_u32_e32 v0, 32, v0
	v_min_u32_e32 v5, 1, v5
	v_or_b32_e32 v5, v6, v5
	v_cvt_f32_i32_e32 v5, v5
	s_movk_i32 s0, 0xff
	v_mov_b32_e32 v6, 0xff
	v_ldexp_f32 v0, v5, v0
	v_bfe_u32 v5, v0, 23, 8
	v_cmp_ne_u32_e32 vcc, s0, v5
	s_and_saveexec_b64 s[36:37], vcc
; %bb.169:
	s_mov_b32 s0, 0x3fffff
	v_lshrrev_b32_e32 v6, 23, v0
	v_and_b32_e32 v7, 0x400000, v0
	v_and_or_b32 v0, v0, s0, v5
	v_cmp_ne_u32_e32 vcc, 0, v7
	v_cmp_ne_u32_e64 s[0:1], 0, v0
	s_and_b64 s[0:1], vcc, s[0:1]
	v_cndmask_b32_e64 v0, 0, 1, s[0:1]
	v_add_u32_e32 v6, v6, v0
; %bb.170:
	s_or_b64 exec, exec, s[36:37]
	s_mov_b64 s[36:37], -1
	s_mov_b64 s[0:1], 0
	global_store_byte v[3:4], v6, off
.LBB215_171:
	s_mov_b64 s[44:45], 0
.LBB215_172:
	s_and_b64 vcc, exec, s[44:45]
	s_cbranch_vccz .LBB215_175
; %bb.173:
	s_cmp_eq_u32 s51, 29
	s_mov_b64 s[0:1], -1
	s_cbranch_scc0 .LBB215_175
; %bb.174:
	global_store_dwordx2 v[3:4], v[1:2], off
	s_mov_b64 s[36:37], -1
	s_mov_b64 s[0:1], 0
.LBB215_175:
	s_mov_b64 s[44:45], 0
.LBB215_176:
	s_and_b64 vcc, exec, s[44:45]
	s_cbranch_vccz .LBB215_192
; %bb.177:
	s_cmp_lt_i32 s51, 27
	s_mov_b64 s[36:37], -1
	s_cbranch_scc1 .LBB215_183
; %bb.178:
	s_cmp_gt_i32 s51, 27
	s_cbranch_scc0 .LBB215_180
; %bb.179:
	s_mov_b64 s[36:37], 0
	global_store_dword v[3:4], v1, off
.LBB215_180:
	s_andn2_b64 vcc, exec, s[36:37]
	s_cbranch_vccnz .LBB215_182
; %bb.181:
	global_store_short v[3:4], v1, off
.LBB215_182:
	s_mov_b64 s[36:37], 0
.LBB215_183:
	s_andn2_b64 vcc, exec, s[36:37]
	s_cbranch_vccnz .LBB215_191
; %bb.184:
	v_xor_b32_e32 v5, v1, v2
	v_ffbh_i32_e32 v0, v2
	v_ashrrev_i32_e32 v5, 31, v5
	v_add_u32_e32 v0, -1, v0
	v_add_u32_e32 v5, 32, v5
	v_min_u32_e32 v0, v0, v5
	v_lshlrev_b64 v[5:6], v0, v[1:2]
	v_sub_u32_e32 v0, 32, v0
	v_min_u32_e32 v5, 1, v5
	v_or_b32_e32 v5, v6, v5
	v_cvt_f32_i32_e32 v5, v5
	s_mov_b32 s36, 0x43800000
	v_mov_b32_e32 v6, 0x80
	v_ldexp_f32 v0, v5, v0
	v_and_b32_e32 v5, 0x7fffffff, v0
	v_cmp_gt_u32_e32 vcc, s36, v5
	s_and_saveexec_b64 s[36:37], vcc
	s_cbranch_execz .LBB215_190
; %bb.185:
	s_mov_b32 s44, 0x3bffffff
	v_cmp_lt_u32_e32 vcc, s44, v5
	s_mov_b64 s[44:45], 0
                                        ; implicit-def: $vgpr5
	s_and_saveexec_b64 s[48:49], vcc
	s_xor_b64 s[48:49], exec, s[48:49]
	s_cbranch_execz .LBB215_426
; %bb.186:
	v_bfe_u32 v5, v0, 20, 1
	s_mov_b32 s52, 0x487ffff
	v_add3_u32 v5, v0, v5, s52
	s_mov_b64 s[44:45], exec
	v_lshrrev_b32_e32 v5, 20, v5
	s_andn2_saveexec_b64 s[48:49], s[48:49]
	s_cbranch_execnz .LBB215_427
.LBB215_187:
	s_or_b64 exec, exec, s[48:49]
	v_mov_b32_e32 v6, 0
	s_and_saveexec_b64 s[48:49], s[44:45]
.LBB215_188:
	v_lshrrev_b32_e32 v0, 24, v0
	s_movk_i32 s44, 0x80
	v_and_or_b32 v6, v0, s44, v5
.LBB215_189:
	s_or_b64 exec, exec, s[48:49]
.LBB215_190:
	s_or_b64 exec, exec, s[36:37]
	global_store_byte v[3:4], v6, off
.LBB215_191:
	s_mov_b64 s[36:37], -1
.LBB215_192:
	s_mov_b64 s[44:45], 0
.LBB215_193:
	s_and_b64 vcc, exec, s[44:45]
	s_cbranch_vccz .LBB215_234
; %bb.194:
	s_cmp_gt_i32 s51, 22
	s_mov_b64 s[44:45], -1
	s_cbranch_scc0 .LBB215_226
; %bb.195:
	s_cmp_lt_i32 s51, 24
	s_mov_b64 s[36:37], -1
	s_cbranch_scc1 .LBB215_215
; %bb.196:
	s_cmp_gt_i32 s51, 24
	s_cbranch_scc0 .LBB215_204
; %bb.197:
	v_xor_b32_e32 v5, v1, v2
	v_ffbh_i32_e32 v0, v2
	v_ashrrev_i32_e32 v5, 31, v5
	v_add_u32_e32 v0, -1, v0
	v_add_u32_e32 v5, 32, v5
	v_min_u32_e32 v0, v0, v5
	v_lshlrev_b64 v[5:6], v0, v[1:2]
	v_sub_u32_e32 v0, 32, v0
	v_min_u32_e32 v5, 1, v5
	v_or_b32_e32 v5, v6, v5
	v_cvt_f32_i32_e32 v5, v5
	s_mov_b32 s36, 0x47800000
	v_mov_b32_e32 v6, 0x80
	v_ldexp_f32 v0, v5, v0
	v_and_b32_e32 v5, 0x7fffffff, v0
	v_cmp_gt_u32_e32 vcc, s36, v5
	s_and_saveexec_b64 s[36:37], vcc
	s_cbranch_execz .LBB215_203
; %bb.198:
	s_mov_b32 s44, 0x37ffffff
	v_cmp_lt_u32_e32 vcc, s44, v5
	s_mov_b64 s[44:45], 0
                                        ; implicit-def: $vgpr5
	s_and_saveexec_b64 s[48:49], vcc
	s_xor_b64 s[48:49], exec, s[48:49]
	s_cbranch_execz .LBB215_541
; %bb.199:
	v_bfe_u32 v5, v0, 21, 1
	s_mov_b32 s52, 0x88fffff
	v_add3_u32 v5, v0, v5, s52
	s_mov_b64 s[44:45], exec
	v_lshrrev_b32_e32 v5, 21, v5
	s_andn2_saveexec_b64 s[48:49], s[48:49]
	s_cbranch_execnz .LBB215_542
.LBB215_200:
	s_or_b64 exec, exec, s[48:49]
	v_mov_b32_e32 v6, 0
	s_and_saveexec_b64 s[48:49], s[44:45]
.LBB215_201:
	v_lshrrev_b32_e32 v0, 24, v0
	s_movk_i32 s44, 0x80
	v_and_or_b32 v6, v0, s44, v5
.LBB215_202:
	s_or_b64 exec, exec, s[48:49]
.LBB215_203:
	s_or_b64 exec, exec, s[36:37]
	s_mov_b64 s[36:37], 0
	global_store_byte v[3:4], v6, off
.LBB215_204:
	s_and_b64 vcc, exec, s[36:37]
	s_cbranch_vccz .LBB215_214
; %bb.205:
	v_xor_b32_e32 v5, v1, v2
	v_ffbh_i32_e32 v0, v2
	v_ashrrev_i32_e32 v5, 31, v5
	v_add_u32_e32 v0, -1, v0
	v_add_u32_e32 v5, 32, v5
	v_min_u32_e32 v0, v0, v5
	v_lshlrev_b64 v[5:6], v0, v[1:2]
	v_sub_u32_e32 v0, 32, v0
	v_min_u32_e32 v5, 1, v5
	v_or_b32_e32 v5, v6, v5
	v_cvt_f32_i32_e32 v5, v5
	s_mov_b32 s36, 0x43f00000
	v_ldexp_f32 v0, v5, v0
	v_and_b32_e32 v6, 0x7fffffff, v0
	v_cmp_gt_u32_e32 vcc, s36, v6
                                        ; implicit-def: $vgpr5
	s_and_saveexec_b64 s[36:37], vcc
	s_xor_b64 s[36:37], exec, s[36:37]
	s_cbranch_execz .LBB215_211
; %bb.206:
	s_mov_b32 s44, 0x3c7fffff
	v_cmp_lt_u32_e32 vcc, s44, v6
                                        ; implicit-def: $vgpr5
	s_and_saveexec_b64 s[44:45], vcc
	s_xor_b64 s[44:45], exec, s[44:45]
; %bb.207:
	v_bfe_u32 v5, v0, 20, 1
	s_mov_b32 s48, 0x407ffff
	v_add3_u32 v5, v0, v5, s48
	v_lshrrev_b32_e32 v6, 20, v5
	v_and_b32_e32 v5, 0xff00000, v5
	s_mov_b32 s48, 0x7f00000
	v_mov_b32_e32 v7, 0x7e
	v_cmp_ne_u32_e32 vcc, s48, v5
	v_cndmask_b32_e32 v5, v7, v6, vcc
; %bb.208:
	s_andn2_saveexec_b64 s[44:45], s[44:45]
; %bb.209:
	s_mov_b32 s48, 0x46800000
	v_add_f32_e64 v5, |v0|, s48
; %bb.210:
	s_or_b64 exec, exec, s[44:45]
                                        ; implicit-def: $vgpr6
.LBB215_211:
	s_andn2_saveexec_b64 s[36:37], s[36:37]
; %bb.212:
	s_mov_b32 s44, 0x7f800000
	v_mov_b32_e32 v5, 0x7e
	v_mov_b32_e32 v7, 0x7f
	v_cmp_lt_u32_e32 vcc, s44, v6
	v_cndmask_b32_e32 v5, v5, v7, vcc
; %bb.213:
	s_or_b64 exec, exec, s[36:37]
	v_lshrrev_b32_e32 v0, 24, v0
	s_movk_i32 s36, 0x80
	v_and_or_b32 v0, v0, s36, v5
	global_store_byte v[3:4], v0, off
.LBB215_214:
	s_mov_b64 s[36:37], 0
.LBB215_215:
	s_andn2_b64 vcc, exec, s[36:37]
	s_cbranch_vccnz .LBB215_225
; %bb.216:
	v_xor_b32_e32 v5, v1, v2
	v_ffbh_i32_e32 v0, v2
	v_ashrrev_i32_e32 v5, 31, v5
	v_add_u32_e32 v0, -1, v0
	v_add_u32_e32 v5, 32, v5
	v_min_u32_e32 v0, v0, v5
	v_lshlrev_b64 v[5:6], v0, v[1:2]
	v_sub_u32_e32 v0, 32, v0
	v_min_u32_e32 v5, 1, v5
	v_or_b32_e32 v5, v6, v5
	v_cvt_f32_i32_e32 v5, v5
	s_mov_b32 s36, 0x47800000
	v_ldexp_f32 v0, v5, v0
	v_and_b32_e32 v6, 0x7fffffff, v0
	v_cmp_gt_u32_e32 vcc, s36, v6
                                        ; implicit-def: $vgpr5
	s_and_saveexec_b64 s[36:37], vcc
	s_xor_b64 s[36:37], exec, s[36:37]
	s_cbranch_execz .LBB215_222
; %bb.217:
	s_mov_b32 s44, 0x387fffff
	v_cmp_lt_u32_e32 vcc, s44, v6
                                        ; implicit-def: $vgpr5
	s_and_saveexec_b64 s[44:45], vcc
	s_xor_b64 s[44:45], exec, s[44:45]
; %bb.218:
	v_bfe_u32 v5, v0, 21, 1
	s_mov_b32 s48, 0x80fffff
	v_add3_u32 v5, v0, v5, s48
	v_lshrrev_b32_e32 v5, 21, v5
; %bb.219:
	s_andn2_saveexec_b64 s[44:45], s[44:45]
; %bb.220:
	s_mov_b32 s48, 0x43000000
	v_add_f32_e64 v5, |v0|, s48
; %bb.221:
	s_or_b64 exec, exec, s[44:45]
                                        ; implicit-def: $vgpr6
.LBB215_222:
	s_andn2_saveexec_b64 s[36:37], s[36:37]
; %bb.223:
	s_mov_b32 s44, 0x7f800000
	v_mov_b32_e32 v5, 0x7c
	v_mov_b32_e32 v7, 0x7f
	v_cmp_lt_u32_e32 vcc, s44, v6
	v_cndmask_b32_e32 v5, v5, v7, vcc
; %bb.224:
	s_or_b64 exec, exec, s[36:37]
	v_lshrrev_b32_e32 v0, 24, v0
	s_movk_i32 s36, 0x80
	v_and_or_b32 v0, v0, s36, v5
	global_store_byte v[3:4], v0, off
.LBB215_225:
	s_mov_b64 s[44:45], 0
	s_mov_b64 s[36:37], -1
.LBB215_226:
	s_andn2_b64 vcc, exec, s[44:45]
	s_cbranch_vccnz .LBB215_234
; %bb.227:
	s_cmp_gt_i32 s51, 14
	s_mov_b64 s[44:45], -1
	s_cbranch_scc0 .LBB215_231
; %bb.228:
	s_cmp_eq_u32 s51, 15
	s_mov_b64 s[0:1], -1
	s_cbranch_scc0 .LBB215_230
; %bb.229:
	v_xor_b32_e32 v5, v1, v2
	v_ffbh_i32_e32 v0, v2
	v_ashrrev_i32_e32 v5, 31, v5
	v_add_u32_e32 v0, -1, v0
	v_add_u32_e32 v5, 32, v5
	v_min_u32_e32 v0, v0, v5
	v_lshlrev_b64 v[5:6], v0, v[1:2]
	v_sub_u32_e32 v0, 32, v0
	v_min_u32_e32 v5, 1, v5
	v_or_b32_e32 v5, v6, v5
	v_cvt_f32_i32_e32 v5, v5
	s_movk_i32 s0, 0x7fff
	s_mov_b64 s[36:37], -1
	v_ldexp_f32 v0, v5, v0
	v_bfe_u32 v5, v0, 16, 1
	v_add3_u32 v0, v0, v5, s0
	global_store_short_d16_hi v[3:4], v0, off
	s_mov_b64 s[0:1], 0
.LBB215_230:
	s_mov_b64 s[44:45], 0
.LBB215_231:
	s_and_b64 vcc, exec, s[44:45]
	s_cbranch_vccz .LBB215_234
; %bb.232:
	s_cmp_eq_u32 s51, 11
	s_mov_b64 s[0:1], -1
	s_cbranch_scc0 .LBB215_234
; %bb.233:
	v_cmp_ne_u64_e32 vcc, 0, v[1:2]
	s_mov_b64 s[0:1], 0
	v_cndmask_b32_e64 v0, 0, 1, vcc
	s_mov_b64 s[36:37], -1
	global_store_byte v[3:4], v0, off
.LBB215_234:
	s_mov_b64 s[44:45], 0
.LBB215_235:
	s_and_b64 vcc, exec, s[44:45]
	s_cbranch_vccz .LBB215_274
; %bb.236:
	s_and_b32 s44, 0xffff, s50
	s_cmp_lt_i32 s44, 5
	s_mov_b64 s[36:37], -1
	s_cbranch_scc1 .LBB215_257
; %bb.237:
	s_cmp_lt_i32 s44, 8
	s_cbranch_scc1 .LBB215_247
; %bb.238:
	s_cmp_lt_i32 s44, 9
	s_cbranch_scc1 .LBB215_244
; %bb.239:
	s_cmp_gt_i32 s44, 9
	s_cbranch_scc0 .LBB215_241
; %bb.240:
	v_cvt_f64_i32_e32 v[5:6], v2
	v_cvt_f64_u32_e32 v[7:8], v1
	s_mov_b64 s[36:37], 0
	v_ldexp_f64 v[5:6], v[5:6], 32
	v_add_f64 v[5:6], v[5:6], v[7:8]
	v_mov_b32_e32 v7, 0
	v_mov_b32_e32 v8, v7
	global_store_dwordx4 v[3:4], v[5:8], off
.LBB215_241:
	s_andn2_b64 vcc, exec, s[36:37]
	s_cbranch_vccnz .LBB215_243
; %bb.242:
	v_xor_b32_e32 v5, v1, v2
	v_ffbh_i32_e32 v0, v2
	v_ashrrev_i32_e32 v5, 31, v5
	v_add_u32_e32 v0, -1, v0
	v_add_u32_e32 v5, 32, v5
	v_min_u32_e32 v0, v0, v5
	v_lshlrev_b64 v[5:6], v0, v[1:2]
	v_sub_u32_e32 v0, 32, v0
	v_min_u32_e32 v5, 1, v5
	v_or_b32_e32 v5, v6, v5
	v_cvt_f32_i32_e32 v5, v5
	v_mov_b32_e32 v6, 0
	v_ldexp_f32 v5, v5, v0
	global_store_dwordx2 v[3:4], v[5:6], off
.LBB215_243:
	s_mov_b64 s[36:37], 0
.LBB215_244:
	s_andn2_b64 vcc, exec, s[36:37]
	s_cbranch_vccnz .LBB215_246
; %bb.245:
	v_xor_b32_e32 v5, v1, v2
	v_ffbh_i32_e32 v0, v2
	v_ashrrev_i32_e32 v5, 31, v5
	v_add_u32_e32 v0, -1, v0
	v_add_u32_e32 v5, 32, v5
	v_min_u32_e32 v0, v0, v5
	v_lshlrev_b64 v[5:6], v0, v[1:2]
	v_sub_u32_e32 v0, 32, v0
	v_min_u32_e32 v5, 1, v5
	v_or_b32_e32 v5, v6, v5
	v_cvt_f32_i32_e32 v5, v5
	v_ldexp_f32 v0, v5, v0
	v_cvt_f16_f32_e32 v0, v0
	global_store_dword v[3:4], v0, off
.LBB215_246:
	s_mov_b64 s[36:37], 0
.LBB215_247:
	s_andn2_b64 vcc, exec, s[36:37]
	s_cbranch_vccnz .LBB215_256
; %bb.248:
	s_cmp_lt_i32 s44, 6
	s_mov_b64 s[36:37], -1
	s_cbranch_scc1 .LBB215_254
; %bb.249:
	s_cmp_gt_i32 s44, 6
	s_cbranch_scc0 .LBB215_251
; %bb.250:
	v_cvt_f64_i32_e32 v[5:6], v2
	v_cvt_f64_u32_e32 v[7:8], v1
	s_mov_b64 s[36:37], 0
	v_ldexp_f64 v[5:6], v[5:6], 32
	v_add_f64 v[5:6], v[5:6], v[7:8]
	global_store_dwordx2 v[3:4], v[5:6], off
.LBB215_251:
	s_andn2_b64 vcc, exec, s[36:37]
	s_cbranch_vccnz .LBB215_253
; %bb.252:
	v_xor_b32_e32 v5, v1, v2
	v_ffbh_i32_e32 v0, v2
	v_ashrrev_i32_e32 v5, 31, v5
	v_add_u32_e32 v0, -1, v0
	v_add_u32_e32 v5, 32, v5
	v_min_u32_e32 v0, v0, v5
	v_lshlrev_b64 v[5:6], v0, v[1:2]
	v_sub_u32_e32 v0, 32, v0
	v_min_u32_e32 v5, 1, v5
	v_or_b32_e32 v5, v6, v5
	v_cvt_f32_i32_e32 v5, v5
	v_ldexp_f32 v0, v5, v0
	global_store_dword v[3:4], v0, off
.LBB215_253:
	s_mov_b64 s[36:37], 0
.LBB215_254:
	s_andn2_b64 vcc, exec, s[36:37]
	s_cbranch_vccnz .LBB215_256
; %bb.255:
	v_xor_b32_e32 v5, v1, v2
	v_ffbh_i32_e32 v0, v2
	v_ashrrev_i32_e32 v5, 31, v5
	v_add_u32_e32 v0, -1, v0
	v_add_u32_e32 v5, 32, v5
	v_min_u32_e32 v0, v0, v5
	v_lshlrev_b64 v[5:6], v0, v[1:2]
	v_sub_u32_e32 v0, 32, v0
	v_min_u32_e32 v5, 1, v5
	v_or_b32_e32 v5, v6, v5
	v_cvt_f32_i32_e32 v5, v5
	v_ldexp_f32 v0, v5, v0
	v_cvt_f16_f32_e32 v0, v0
	global_store_short v[3:4], v0, off
.LBB215_256:
	s_mov_b64 s[36:37], 0
.LBB215_257:
	s_andn2_b64 vcc, exec, s[36:37]
	s_cbranch_vccnz .LBB215_273
; %bb.258:
	s_cmp_lt_i32 s44, 2
	s_mov_b64 s[36:37], -1
	s_cbranch_scc1 .LBB215_268
; %bb.259:
	s_cmp_lt_i32 s44, 3
	s_cbranch_scc1 .LBB215_265
; %bb.260:
	s_cmp_gt_i32 s44, 3
	s_cbranch_scc0 .LBB215_262
; %bb.261:
	global_store_dwordx2 v[3:4], v[1:2], off
	s_mov_b64 s[36:37], 0
.LBB215_262:
	s_andn2_b64 vcc, exec, s[36:37]
	s_cbranch_vccnz .LBB215_264
; %bb.263:
	global_store_dword v[3:4], v1, off
.LBB215_264:
	s_mov_b64 s[36:37], 0
.LBB215_265:
	s_andn2_b64 vcc, exec, s[36:37]
	s_cbranch_vccnz .LBB215_267
; %bb.266:
	global_store_short v[3:4], v1, off
.LBB215_267:
	s_mov_b64 s[36:37], 0
.LBB215_268:
	s_andn2_b64 vcc, exec, s[36:37]
	s_cbranch_vccnz .LBB215_273
; %bb.269:
	s_cmp_gt_i32 s44, 0
	s_mov_b64 s[36:37], -1
	s_cbranch_scc0 .LBB215_271
; %bb.270:
	global_store_byte v[3:4], v1, off
	s_mov_b64 s[36:37], 0
.LBB215_271:
	s_andn2_b64 vcc, exec, s[36:37]
	s_cbranch_vccnz .LBB215_273
; %bb.272:
	global_store_byte v[3:4], v1, off
.LBB215_273:
	s_mov_b64 s[36:37], -1
.LBB215_274:
	s_andn2_b64 vcc, exec, s[36:37]
	s_cbranch_vccnz .LBB215_276
; %bb.275:
	v_add_u32_e32 v10, 0x80, v10
	s_mov_b64 s[44:45], -1
	s_branch .LBB215_385
.LBB215_276:
	s_mov_b64 s[44:45], 0
                                        ; implicit-def: $vgpr10
	s_branch .LBB215_385
.LBB215_277:
	s_mov_b64 s[38:39], -1
                                        ; implicit-def: $vgpr5_vgpr6
.LBB215_278:
	s_mov_b64 s[36:37], 0
.LBB215_279:
	s_and_b64 vcc, exec, s[36:37]
	s_cbranch_vccz .LBB215_283
; %bb.280:
	s_cmp_eq_u32 s45, 29
	s_cbranch_scc0 .LBB215_282
; %bb.281:
	global_load_dwordx2 v[5:6], v[3:4], off
	s_mov_b64 s[0:1], -1
	s_mov_b64 s[38:39], 0
	s_branch .LBB215_283
.LBB215_282:
	s_mov_b64 s[38:39], -1
                                        ; implicit-def: $vgpr5_vgpr6
.LBB215_283:
	s_mov_b64 s[36:37], 0
.LBB215_284:
	s_and_b64 vcc, exec, s[36:37]
	s_cbranch_vccz .LBB215_302
; %bb.285:
	s_cmp_lt_i32 s45, 27
	s_cbranch_scc1 .LBB215_288
; %bb.286:
	s_cmp_gt_i32 s45, 27
	s_cbranch_scc0 .LBB215_289
; %bb.287:
	global_load_dword v5, v[3:4], off
	s_waitcnt vmcnt(1)
	v_mov_b32_e32 v6, 0
	s_mov_b64 s[0:1], 0
	s_branch .LBB215_290
.LBB215_288:
	s_mov_b64 s[0:1], -1
                                        ; implicit-def: $vgpr5_vgpr6
	s_branch .LBB215_293
.LBB215_289:
	s_mov_b64 s[0:1], -1
                                        ; implicit-def: $vgpr5_vgpr6
.LBB215_290:
	s_andn2_b64 vcc, exec, s[0:1]
	s_cbranch_vccnz .LBB215_292
; %bb.291:
	global_load_ushort v5, v[3:4], off
	s_mov_b32 s0, 0
	s_waitcnt vmcnt(1)
	v_mov_b32_e32 v6, s0
	s_waitcnt vmcnt(0)
	v_and_b32_e32 v5, 0xffff, v5
.LBB215_292:
	s_mov_b64 s[0:1], 0
.LBB215_293:
	s_andn2_b64 vcc, exec, s[0:1]
	s_cbranch_vccnz .LBB215_301
; %bb.294:
	global_load_ubyte v7, v[3:4], off
	s_movk_i32 s0, 0x7f
	s_mov_b64 s[36:37], 0
	s_waitcnt vmcnt(0)
	v_cmp_lt_i16_e32 vcc, s0, v7
	s_and_saveexec_b64 s[0:1], vcc
	s_xor_b64 s[0:1], exec, s[0:1]
; %bb.295:
	s_movk_i32 s36, 0x80
	v_cmp_ne_u16_e32 vcc, s36, v7
	s_and_b64 s[36:37], vcc, exec
; %bb.296:
	s_andn2_saveexec_b64 s[0:1], s[0:1]
; %bb.297:
	v_cmp_ne_u16_e32 vcc, 0, v7
	s_andn2_b64 s[36:37], s[36:37], exec
	s_and_b64 s[48:49], vcc, exec
	s_or_b64 s[36:37], s[36:37], s[48:49]
; %bb.298:
	s_or_b64 exec, exec, s[0:1]
	v_mov_b32_e32 v5, 0
	v_mov_b32_e32 v6, 0
	s_and_saveexec_b64 s[0:1], s[36:37]
	s_cbranch_execz .LBB215_300
; %bb.299:
	v_and_b32_e32 v6, 0xffff, v7
	v_lshlrev_b32_e32 v5, 24, v7
	v_and_b32_e32 v7, 7, v6
	v_ffbh_u32_e32 v9, v7
	v_min_u32_e32 v9, 32, v9
	v_subrev_u32_e32 v11, 28, v9
	v_bfe_u32 v8, v6, 3, 4
	v_lshlrev_b32_e32 v6, v11, v6
	v_sub_u32_e32 v9, 29, v9
	v_and_b32_e32 v6, 7, v6
	v_cmp_eq_u32_e32 vcc, 0, v8
	v_cndmask_b32_e32 v8, v8, v9, vcc
	v_cndmask_b32_e32 v6, v7, v6, vcc
	v_mov_b32_e32 v7, 0x3b800000
	v_lshlrev_b32_e32 v6, 20, v6
	v_and_b32_e32 v5, 0x80000000, v5
	v_lshl_add_u32 v7, v8, 23, v7
	v_or3_b32 v5, v5, v7, v6
	v_trunc_f32_e32 v5, v5
	s_mov_b32 s36, 0x2f800000
	v_mul_f32_e64 v6, |v5|, s36
	v_floor_f32_e32 v6, v6
	s_mov_b32 s36, 0xcf800000
	v_fma_f32 v7, v6, s36, |v5|
	v_cvt_u32_f32_e32 v7, v7
	v_cvt_u32_f32_e32 v6, v6
	v_ashrrev_i32_e32 v8, 31, v5
	v_xor_b32_e32 v5, v7, v8
	v_xor_b32_e32 v6, v6, v8
	v_sub_co_u32_e32 v5, vcc, v5, v8
	v_subb_co_u32_e32 v6, vcc, v6, v8, vcc
.LBB215_300:
	s_or_b64 exec, exec, s[0:1]
.LBB215_301:
	s_mov_b64 s[0:1], -1
.LBB215_302:
	s_mov_b64 s[36:37], 0
.LBB215_303:
	s_and_b64 vcc, exec, s[36:37]
	s_cbranch_vccz .LBB215_334
; %bb.304:
	s_cmp_gt_i32 s45, 22
	s_cbranch_scc0 .LBB215_314
; %bb.305:
	s_cmp_lt_i32 s45, 24
	s_cbranch_scc1 .LBB215_315
; %bb.306:
	s_cmp_gt_i32 s45, 24
	s_cbranch_scc0 .LBB215_316
; %bb.307:
	global_load_ubyte v7, v[3:4], off
	s_movk_i32 s0, 0x7f
	s_mov_b64 s[36:37], 0
	s_waitcnt vmcnt(0)
	v_cmp_lt_i16_e32 vcc, s0, v7
	s_and_saveexec_b64 s[0:1], vcc
	s_xor_b64 s[0:1], exec, s[0:1]
; %bb.308:
	s_movk_i32 s36, 0x80
	v_cmp_ne_u16_e32 vcc, s36, v7
	s_and_b64 s[36:37], vcc, exec
; %bb.309:
	s_andn2_saveexec_b64 s[0:1], s[0:1]
; %bb.310:
	v_cmp_ne_u16_e32 vcc, 0, v7
	s_andn2_b64 s[36:37], s[36:37], exec
	s_and_b64 s[48:49], vcc, exec
	s_or_b64 s[36:37], s[36:37], s[48:49]
; %bb.311:
	s_or_b64 exec, exec, s[0:1]
	v_mov_b32_e32 v5, 0
	v_mov_b32_e32 v6, 0
	s_and_saveexec_b64 s[0:1], s[36:37]
	s_cbranch_execz .LBB215_313
; %bb.312:
	v_and_b32_e32 v6, 0xffff, v7
	v_lshlrev_b32_e32 v5, 24, v7
	v_and_b32_e32 v7, 3, v6
	v_ffbh_u32_e32 v9, v7
	v_min_u32_e32 v9, 32, v9
	v_subrev_u32_e32 v11, 29, v9
	v_bfe_u32 v8, v6, 2, 5
	v_lshlrev_b32_e32 v6, v11, v6
	v_sub_u32_e32 v9, 30, v9
	v_and_b32_e32 v6, 3, v6
	v_cmp_eq_u32_e32 vcc, 0, v8
	v_cndmask_b32_e32 v8, v8, v9, vcc
	v_cndmask_b32_e32 v6, v7, v6, vcc
	v_mov_b32_e32 v7, 0x37800000
	v_lshlrev_b32_e32 v6, 21, v6
	v_and_b32_e32 v5, 0x80000000, v5
	v_lshl_add_u32 v7, v8, 23, v7
	v_or3_b32 v5, v5, v7, v6
	v_trunc_f32_e32 v5, v5
	s_mov_b32 s36, 0x2f800000
	v_mul_f32_e64 v6, |v5|, s36
	v_floor_f32_e32 v6, v6
	s_mov_b32 s36, 0xcf800000
	v_fma_f32 v7, v6, s36, |v5|
	v_cvt_u32_f32_e32 v7, v7
	v_cvt_u32_f32_e32 v6, v6
	v_ashrrev_i32_e32 v8, 31, v5
	v_xor_b32_e32 v5, v7, v8
	v_xor_b32_e32 v6, v6, v8
	v_sub_co_u32_e32 v5, vcc, v5, v8
	v_subb_co_u32_e32 v6, vcc, v6, v8, vcc
.LBB215_313:
	s_or_b64 exec, exec, s[0:1]
	s_mov_b64 s[0:1], 0
	s_branch .LBB215_317
.LBB215_314:
	s_mov_b64 s[36:37], -1
                                        ; implicit-def: $vgpr5_vgpr6
	s_branch .LBB215_323
.LBB215_315:
	s_mov_b64 s[0:1], -1
                                        ; implicit-def: $vgpr5_vgpr6
	s_branch .LBB215_320
.LBB215_316:
	s_mov_b64 s[0:1], -1
                                        ; implicit-def: $vgpr5_vgpr6
.LBB215_317:
	s_and_b64 vcc, exec, s[0:1]
	s_cbranch_vccz .LBB215_319
; %bb.318:
	global_load_ubyte v5, v[3:4], off
	s_mov_b32 s0, 0x7f800000
	s_brev_b32 s1, 1
	s_mov_b32 s36, 0x2f800000
	s_mov_b32 s37, 0xcf800000
	s_waitcnt vmcnt(0)
	v_lshlrev_b32_e32 v5, 24, v5
	v_and_b32_e32 v6, 0x7f000000, v5
	v_ffbh_u32_e32 v7, v6
	v_min_u32_e32 v7, 32, v7
	v_sub_u32_e64 v7, v7, 4 clamp
	v_lshlrev_b32_e32 v9, v7, v6
	v_lshlrev_b32_e32 v7, 23, v7
	v_lshrrev_b32_e32 v9, 4, v9
	v_add_u32_e32 v8, 0x1000000, v6
	v_sub_u32_e32 v7, v9, v7
	v_ashrrev_i32_e32 v8, 8, v8
	v_add_u32_e32 v7, 0x3c000000, v7
	v_and_or_b32 v7, v8, s0, v7
	v_cmp_ne_u32_e32 vcc, 0, v6
	v_cndmask_b32_e32 v6, 0, v7, vcc
	v_and_or_b32 v5, v5, s1, v6
	v_trunc_f32_e32 v5, v5
	v_mul_f32_e64 v6, |v5|, s36
	v_floor_f32_e32 v6, v6
	v_fma_f32 v7, v6, s37, |v5|
	v_cvt_u32_f32_e32 v7, v7
	v_cvt_u32_f32_e32 v6, v6
	v_ashrrev_i32_e32 v8, 31, v5
	v_xor_b32_e32 v5, v7, v8
	v_xor_b32_e32 v6, v6, v8
	v_sub_co_u32_e32 v5, vcc, v5, v8
	v_subb_co_u32_e32 v6, vcc, v6, v8, vcc
.LBB215_319:
	s_mov_b64 s[0:1], 0
.LBB215_320:
	s_andn2_b64 vcc, exec, s[0:1]
	s_cbranch_vccnz .LBB215_322
; %bb.321:
	global_load_ubyte v5, v[3:4], off
	s_movk_i32 s0, 0x7f00
	s_brev_b32 s1, 16
	s_brev_b32 s36, 1
	s_mov_b32 s37, 0x2f800000
	s_mov_b32 s48, 0xcf800000
	s_waitcnt vmcnt(0)
	v_lshlrev_b16_e32 v6, 8, v5
	v_lshlrev_b32_e32 v5, 25, v5
	v_lshrrev_b32_e32 v7, 4, v5
	v_and_or_b32 v8, v6, s0, 0.5
	v_or_b32_e32 v7, 0x70000000, v7
	v_add_f32_e32 v8, -0.5, v8
	v_mul_f32_e32 v7, 0x7800000, v7
	v_cmp_gt_u32_e32 vcc, s1, v5
	v_bfe_i32 v6, v6, 0, 16
	v_cndmask_b32_e32 v5, v7, v8, vcc
	v_and_or_b32 v5, v6, s36, v5
	v_trunc_f32_e32 v5, v5
	v_mul_f32_e64 v6, |v5|, s37
	v_floor_f32_e32 v6, v6
	v_fma_f32 v7, v6, s48, |v5|
	v_cvt_u32_f32_e32 v7, v7
	v_cvt_u32_f32_e32 v6, v6
	v_ashrrev_i32_e32 v8, 31, v5
	v_xor_b32_e32 v5, v7, v8
	v_xor_b32_e32 v6, v6, v8
	v_sub_co_u32_e32 v5, vcc, v5, v8
	v_subb_co_u32_e32 v6, vcc, v6, v8, vcc
.LBB215_322:
	s_mov_b64 s[36:37], 0
	s_mov_b64 s[0:1], -1
.LBB215_323:
	s_andn2_b64 vcc, exec, s[36:37]
	s_cbranch_vccnz .LBB215_334
; %bb.324:
	s_cmp_gt_i32 s45, 14
	s_cbranch_scc0 .LBB215_327
; %bb.325:
	s_cmp_eq_u32 s45, 15
	s_cbranch_scc0 .LBB215_328
; %bb.326:
	global_load_ushort v5, v[3:4], off
	s_mov_b32 s0, 0x2f800000
	s_mov_b32 s1, 0xcf800000
	s_mov_b64 s[38:39], 0
	s_waitcnt vmcnt(0)
	v_lshlrev_b32_e32 v5, 16, v5
	v_trunc_f32_e32 v5, v5
	v_mul_f32_e64 v6, |v5|, s0
	v_floor_f32_e32 v6, v6
	v_fma_f32 v7, v6, s1, |v5|
	v_cvt_u32_f32_e32 v7, v7
	v_cvt_u32_f32_e32 v6, v6
	v_ashrrev_i32_e32 v8, 31, v5
	s_mov_b64 s[0:1], -1
	v_xor_b32_e32 v5, v7, v8
	v_xor_b32_e32 v6, v6, v8
	v_sub_co_u32_e32 v5, vcc, v5, v8
	v_subb_co_u32_e32 v6, vcc, v6, v8, vcc
	s_branch .LBB215_329
.LBB215_327:
	s_mov_b64 s[36:37], -1
                                        ; implicit-def: $vgpr5_vgpr6
	s_branch .LBB215_330
.LBB215_328:
	s_mov_b64 s[38:39], -1
                                        ; implicit-def: $vgpr5_vgpr6
.LBB215_329:
	s_mov_b64 s[36:37], 0
.LBB215_330:
	s_and_b64 vcc, exec, s[36:37]
	s_cbranch_vccz .LBB215_334
; %bb.331:
	s_cmp_eq_u32 s45, 11
	s_cbranch_scc0 .LBB215_333
; %bb.332:
	global_load_ubyte v5, v[3:4], off
	s_mov_b32 s36, 0
	s_mov_b64 s[0:1], -1
	s_waitcnt vmcnt(1)
	v_mov_b32_e32 v6, s36
	s_mov_b64 s[38:39], 0
	s_waitcnt vmcnt(0)
	v_cmp_ne_u16_e32 vcc, 0, v5
	v_cndmask_b32_e64 v5, 0, 1, vcc
	s_branch .LBB215_334
.LBB215_333:
	s_mov_b64 s[38:39], -1
                                        ; implicit-def: $vgpr5_vgpr6
.LBB215_334:
	s_branch .LBB215_31
.LBB215_335:
	s_and_b32 s36, 0xffff, s44
	s_cmp_lt_i32 s36, 5
	s_cbranch_scc1 .LBB215_340
; %bb.336:
	s_cmp_lt_i32 s36, 8
	s_cbranch_scc1 .LBB215_341
; %bb.337:
	;; [unrolled: 3-line block ×3, first 2 shown]
	s_cmp_gt_i32 s36, 9
	s_cbranch_scc0 .LBB215_343
; %bb.339:
	global_load_dwordx2 v[5:6], v[3:4], off
	s_movk_i32 s0, 0xffe0
	s_waitcnt vmcnt(0)
	v_trunc_f64_e32 v[5:6], v[5:6]
	v_ldexp_f64 v[7:8], v[5:6], s0
	s_mov_b32 s0, 0
	s_mov_b32 s1, 0xc1f00000
	v_floor_f64_e32 v[7:8], v[7:8]
	v_fma_f64 v[11:12], v[7:8], s[0:1], v[5:6]
	v_cvt_i32_f64_e32 v6, v[7:8]
	s_mov_b64 s[0:1], 0
	v_cvt_u32_f64_e32 v5, v[11:12]
	s_branch .LBB215_344
.LBB215_340:
	s_mov_b64 s[0:1], -1
                                        ; implicit-def: $vgpr5_vgpr6
	s_branch .LBB215_362
.LBB215_341:
	s_mov_b64 s[0:1], -1
                                        ; implicit-def: $vgpr5_vgpr6
	s_branch .LBB215_350
.LBB215_342:
	s_mov_b64 s[0:1], -1
                                        ; implicit-def: $vgpr5_vgpr6
	s_branch .LBB215_347
.LBB215_343:
	s_mov_b64 s[0:1], -1
                                        ; implicit-def: $vgpr5_vgpr6
.LBB215_344:
	s_andn2_b64 vcc, exec, s[0:1]
	s_cbranch_vccnz .LBB215_346
; %bb.345:
	global_load_dword v5, v[3:4], off
	s_mov_b32 s0, 0x2f800000
	s_mov_b32 s1, 0xcf800000
	s_waitcnt vmcnt(0)
	v_trunc_f32_e32 v5, v5
	v_mul_f32_e64 v6, |v5|, s0
	v_floor_f32_e32 v6, v6
	v_cvt_u32_f32_e32 v7, v6
	v_fma_f32 v6, v6, s1, |v5|
	v_cvt_u32_f32_e32 v6, v6
	v_ashrrev_i32_e32 v8, 31, v5
	v_xor_b32_e32 v7, v7, v8
	v_xor_b32_e32 v5, v6, v8
	v_sub_co_u32_e32 v5, vcc, v5, v8
	v_subb_co_u32_e32 v6, vcc, v7, v8, vcc
.LBB215_346:
	s_mov_b64 s[0:1], 0
.LBB215_347:
	s_andn2_b64 vcc, exec, s[0:1]
	s_cbranch_vccnz .LBB215_349
; %bb.348:
	global_load_dword v5, v[3:4], off
	s_waitcnt vmcnt(0)
	v_cvt_f32_f16_e32 v5, v5
	v_cvt_i32_f32_e32 v5, v5
	v_ashrrev_i32_e32 v6, 31, v5
.LBB215_349:
	s_mov_b64 s[0:1], 0
.LBB215_350:
	s_andn2_b64 vcc, exec, s[0:1]
	s_cbranch_vccnz .LBB215_361
; %bb.351:
	s_cmp_lt_i32 s36, 6
	s_cbranch_scc1 .LBB215_354
; %bb.352:
	s_cmp_gt_i32 s36, 6
	s_cbranch_scc0 .LBB215_355
; %bb.353:
	global_load_dwordx2 v[5:6], v[3:4], off
	s_movk_i32 s0, 0xffe0
	s_waitcnt vmcnt(0)
	v_trunc_f64_e32 v[5:6], v[5:6]
	v_ldexp_f64 v[7:8], v[5:6], s0
	s_mov_b32 s0, 0
	s_mov_b32 s1, 0xc1f00000
	v_floor_f64_e32 v[7:8], v[7:8]
	v_fma_f64 v[11:12], v[7:8], s[0:1], v[5:6]
	v_cvt_i32_f64_e32 v6, v[7:8]
	s_mov_b64 s[0:1], 0
	v_cvt_u32_f64_e32 v5, v[11:12]
	s_branch .LBB215_356
.LBB215_354:
	s_mov_b64 s[0:1], -1
                                        ; implicit-def: $vgpr5_vgpr6
	s_branch .LBB215_359
.LBB215_355:
	s_mov_b64 s[0:1], -1
                                        ; implicit-def: $vgpr5_vgpr6
.LBB215_356:
	s_andn2_b64 vcc, exec, s[0:1]
	s_cbranch_vccnz .LBB215_358
; %bb.357:
	global_load_dword v5, v[3:4], off
	s_mov_b32 s0, 0x2f800000
	s_mov_b32 s1, 0xcf800000
	s_waitcnt vmcnt(0)
	v_trunc_f32_e32 v5, v5
	v_mul_f32_e64 v6, |v5|, s0
	v_floor_f32_e32 v6, v6
	v_cvt_u32_f32_e32 v7, v6
	v_fma_f32 v6, v6, s1, |v5|
	v_cvt_u32_f32_e32 v6, v6
	v_ashrrev_i32_e32 v8, 31, v5
	v_xor_b32_e32 v7, v7, v8
	v_xor_b32_e32 v5, v6, v8
	v_sub_co_u32_e32 v5, vcc, v5, v8
	v_subb_co_u32_e32 v6, vcc, v7, v8, vcc
.LBB215_358:
	s_mov_b64 s[0:1], 0
.LBB215_359:
	s_andn2_b64 vcc, exec, s[0:1]
	s_cbranch_vccnz .LBB215_361
; %bb.360:
	global_load_ushort v5, v[3:4], off
	s_waitcnt vmcnt(0)
	v_cvt_f32_f16_e32 v5, v5
	v_cvt_i32_f32_e32 v5, v5
	v_ashrrev_i32_e32 v6, 31, v5
.LBB215_361:
	s_mov_b64 s[0:1], 0
.LBB215_362:
	s_andn2_b64 vcc, exec, s[0:1]
	s_cbranch_vccnz .LBB215_382
; %bb.363:
	s_cmp_lt_i32 s36, 2
	s_cbranch_scc1 .LBB215_367
; %bb.364:
	s_cmp_lt_i32 s36, 3
	s_cbranch_scc1 .LBB215_368
; %bb.365:
	s_cmp_gt_i32 s36, 3
	s_cbranch_scc0 .LBB215_369
; %bb.366:
	global_load_dwordx2 v[5:6], v[3:4], off
	s_mov_b64 s[0:1], 0
	s_branch .LBB215_370
.LBB215_367:
	s_mov_b64 s[0:1], -1
                                        ; implicit-def: $vgpr5_vgpr6
	s_branch .LBB215_376
.LBB215_368:
	s_mov_b64 s[0:1], -1
                                        ; implicit-def: $vgpr5_vgpr6
	s_branch .LBB215_373
.LBB215_369:
	s_mov_b64 s[0:1], -1
                                        ; implicit-def: $vgpr5_vgpr6
.LBB215_370:
	s_andn2_b64 vcc, exec, s[0:1]
	s_cbranch_vccnz .LBB215_372
; %bb.371:
	global_load_dword v5, v[3:4], off
	s_waitcnt vmcnt(0)
	v_ashrrev_i32_e32 v6, 31, v5
.LBB215_372:
	s_mov_b64 s[0:1], 0
.LBB215_373:
	s_andn2_b64 vcc, exec, s[0:1]
	s_cbranch_vccnz .LBB215_375
; %bb.374:
	global_load_ushort v5, v[3:4], off
	s_waitcnt vmcnt(0)
	v_bfe_i32 v5, v5, 0, 16
	v_ashrrev_i32_e32 v6, 31, v5
.LBB215_375:
	s_mov_b64 s[0:1], 0
.LBB215_376:
	s_andn2_b64 vcc, exec, s[0:1]
	s_cbranch_vccnz .LBB215_382
; %bb.377:
	s_cmp_gt_i32 s36, 0
	s_cbranch_scc0 .LBB215_379
; %bb.378:
	global_load_sbyte v5, v[3:4], off
	s_mov_b64 s[0:1], 0
	s_waitcnt vmcnt(0)
	v_bfe_i32 v5, v5, 0, 16
	v_ashrrev_i32_e32 v6, 31, v5
	s_branch .LBB215_380
.LBB215_379:
	s_mov_b64 s[0:1], -1
                                        ; implicit-def: $vgpr5_vgpr6
.LBB215_380:
	s_andn2_b64 vcc, exec, s[0:1]
	s_cbranch_vccnz .LBB215_382
; %bb.381:
	global_load_ubyte v3, v[3:4], off
	s_mov_b32 s0, 0
	s_waitcnt vmcnt(1)
	v_mov_b32_e32 v6, s0
	s_waitcnt vmcnt(0)
	v_and_b32_e32 v5, 0xffff, v3
.LBB215_382:
	s_branch .LBB215_32
.LBB215_383:
	s_mov_b64 s[0:1], 0
.LBB215_384:
                                        ; implicit-def: $vgpr10
	s_mov_b64 s[44:45], 0
.LBB215_385:
	s_and_b64 s[36:37], s[0:1], exec
	s_and_b64 s[38:39], s[38:39], exec
	;; [unrolled: 1-line block ×3, first 2 shown]
	s_orn2_b64 s[0:1], s[44:45], exec
.LBB215_386:
	s_or_b64 exec, exec, s[42:43]
	s_mov_b64 s[50:51], 0
	s_mov_b64 s[48:49], 0
                                        ; implicit-def: $sgpr73
                                        ; implicit-def: $vgpr4_vgpr5
                                        ; implicit-def: $vgpr0
                                        ; implicit-def: $vgpr3
                                        ; implicit-def: $vgpr1_vgpr2
	s_and_saveexec_b64 s[42:43], s[0:1]
	s_cbranch_execz .LBB215_394
; %bb.387:
	v_cmp_gt_i32_e32 vcc, s66, v10
	s_mov_b64 s[0:1], -1
	s_mov_b64 s[44:45], s[40:41]
	s_mov_b64 s[46:47], s[38:39]
	;; [unrolled: 1-line block ×3, first 2 shown]
	s_and_saveexec_b64 s[50:51], vcc
	s_cbranch_execz .LBB215_779
; %bb.388:
	s_andn2_b64 vcc, exec, s[20:21]
	s_cbranch_vccnz .LBB215_397
; %bb.389:
	s_andn2_b64 vcc, exec, s[34:35]
	s_cbranch_vccnz .LBB215_398
; %bb.390:
	s_add_i32 s0, s72, 1
	s_and_b32 s44, s0, 30
	s_add_u32 s0, s2, 0xffffffe8
	s_addc_u32 s1, s3, -1
	v_mov_b32_e32 v3, 0
	s_waitcnt vmcnt(0)
	v_mov_b32_e32 v5, 0
	v_mov_b32_e32 v0, 0
	;; [unrolled: 1-line block ×3, first 2 shown]
.LBB215_391:                            ; =>This Inner Loop Header: Depth=1
	s_load_dwordx4 s[52:55], s[0:1], 0x1c
	s_load_dwordx2 s[46:47], s[0:1], 0x2c
	s_load_dwordx2 s[48:49], s[0:1], 0xec
	s_load_dwordx4 s[56:59], s[0:1], 0xdc
	s_add_u32 s0, s0, 24
	s_waitcnt lgkmcnt(0)
	v_mul_hi_u32 v2, s53, v1
	s_addc_u32 s1, s1, 0
	s_add_i32 s44, s44, -2
	s_cmp_eq_u32 s44, 0
	v_add_u32_e32 v2, v1, v2
	v_lshrrev_b32_e32 v2, s54, v2
	v_mul_lo_u32 v4, v2, s52
	v_mul_hi_u32 v6, s46, v2
	v_sub_u32_e32 v4, v1, v4
	v_add_u32_e32 v1, v2, v6
	v_lshrrev_b32_e32 v1, s47, v1
	v_mul_lo_u32 v8, v1, s55
	v_mul_lo_u32 v6, v4, s56
	;; [unrolled: 1-line block ×4, first 2 shown]
	v_sub_u32_e32 v2, v2, v8
	v_mul_lo_u32 v8, v2, s59
	v_mul_lo_u32 v9, v2, s48
	;; [unrolled: 1-line block ×3, first 2 shown]
	v_add3_u32 v0, v6, v0, v8
	v_add3_u32 v5, v7, v5, v9
	;; [unrolled: 1-line block ×3, first 2 shown]
	s_cbranch_scc0 .LBB215_391
; %bb.392:
	s_bitcmp1_b32 s72, 0
	s_cselect_b64 s[44:45], -1, 0
	s_and_b64 vcc, exec, s[44:45]
	s_cbranch_vccnz .LBB215_399
; %bb.393:
	s_load_dwordx2 s[44:45], s[0:1], 0x1c
	s_load_dword s48, s[0:1], 0x24
	s_load_dwordx2 s[46:47], s[0:1], 0xdc
	s_waitcnt lgkmcnt(0)
	v_mul_hi_u32 v2, s45, v1
	v_add_u32_e32 v2, v1, v2
	v_lshrrev_b32_e32 v2, s48, v2
	v_mul_lo_u32 v2, v2, s44
	s_load_dword s44, s[0:1], 0xe4
	v_sub_u32_e32 v2, v1, v2
	v_mad_u64_u32 v[0:1], s[0:1], v2, s46, v[0:1]
	v_mad_u64_u32 v[5:6], s[0:1], v2, s47, v[5:6]
	s_waitcnt lgkmcnt(0)
	v_mad_u64_u32 v[3:4], s[0:1], v2, s44, v[3:4]
	s_branch .LBB215_399
.LBB215_394:
	s_or_b64 exec, exec, s[42:43]
	s_waitcnt lgkmcnt(0)
	s_mov_b64 s[10:11], 0
	s_and_saveexec_b64 s[0:1], s[40:41]
	s_cbranch_execnz .LBB215_1265
.LBB215_395:
	s_or_b64 exec, exec, s[0:1]
	s_and_saveexec_b64 s[0:1], s[46:47]
	s_xor_b64 s[0:1], exec, s[0:1]
	s_cbranch_execz .LBB215_1266
.LBB215_396:
	s_waitcnt vmcnt(0)
	global_load_ubyte v1, v[4:5], off
	s_mov_b32 s12, 0
	v_mov_b32_e32 v2, s12
	s_or_b64 s[48:49], s[48:49], exec
	s_waitcnt vmcnt(0)
	v_cmp_ne_u16_e32 vcc, 0, v1
	v_cndmask_b32_e64 v1, 0, 1, vcc
	s_or_b64 exec, exec, s[0:1]
	s_and_saveexec_b64 s[0:1], s[50:51]
	s_cbranch_execz .LBB215_1312
	s_branch .LBB215_1267
.LBB215_397:
                                        ; implicit-def: $vgpr0
                                        ; implicit-def: $vgpr5
                                        ; implicit-def: $vgpr3
	s_andn2_b64 vcc, exec, s[0:1]
	s_cbranch_vccz .LBB215_400
	s_branch .LBB215_402
.LBB215_398:
	v_mov_b32_e32 v0, 0
	s_waitcnt vmcnt(0)
	v_mov_b32_e32 v5, 0
	v_mov_b32_e32 v3, 0
.LBB215_399:
	s_cbranch_execnz .LBB215_402
.LBB215_400:
	s_waitcnt lgkmcnt(0)
	v_mul_hi_u32 v0, s17, v10
	s_andn2_b64 vcc, exec, s[30:31]
	v_add_u32_e32 v0, v10, v0
	s_waitcnt vmcnt(0)
	v_lshrrev_b32_e32 v1, s18, v0
	v_mul_lo_u32 v0, v1, s16
	v_sub_u32_e32 v2, v10, v0
	v_mul_lo_u32 v0, v2, s12
	v_mul_lo_u32 v5, v2, s13
	;; [unrolled: 1-line block ×3, first 2 shown]
	s_cbranch_vccnz .LBB215_402
; %bb.401:
	v_mul_hi_u32 v2, s28, v1
	v_add_u32_e32 v2, v1, v2
	v_lshrrev_b32_e32 v2, s29, v2
	v_mul_lo_u32 v2, v2, s19
	v_sub_u32_e32 v2, v1, v2
	v_mad_u64_u32 v[0:1], s[0:1], v2, s15, v[0:1]
	v_mad_u64_u32 v[5:6], s[0:1], v2, s26, v[5:6]
	;; [unrolled: 1-line block ×3, first 2 shown]
.LBB215_402:
	s_waitcnt vmcnt(0) lgkmcnt(0)
	v_mov_b32_e32 v1, s11
	s_and_b32 s48, s71, 0xff
	v_add_co_u32_e32 v4, vcc, s10, v5
	s_cmp_lt_i32 s48, 11
	v_addc_co_u32_e32 v5, vcc, 0, v1, vcc
	s_cbranch_scc1 .LBB215_409
; %bb.403:
	s_and_b32 s49, 0xffff, s48
	s_cmp_gt_i32 s49, 25
	s_cbranch_scc0 .LBB215_418
; %bb.404:
	s_cmp_gt_i32 s49, 28
	s_cbranch_scc0 .LBB215_420
; %bb.405:
	;; [unrolled: 3-line block ×4, first 2 shown]
	s_cmp_eq_u32 s49, 46
	s_mov_b64 s[46:47], 0
	s_cbranch_scc0 .LBB215_428
; %bb.408:
	global_load_dword v1, v[4:5], off
	s_mov_b32 s0, 0x2f800000
	s_mov_b32 s1, 0xcf800000
	s_mov_b64 s[44:45], 0
	s_waitcnt vmcnt(0)
	v_lshlrev_b32_e32 v1, 16, v1
	v_trunc_f32_e32 v1, v1
	v_mul_f32_e64 v2, |v1|, s0
	v_floor_f32_e32 v2, v2
	v_fma_f32 v6, v2, s1, |v1|
	v_cvt_u32_f32_e32 v6, v6
	v_cvt_u32_f32_e32 v2, v2
	v_ashrrev_i32_e32 v7, 31, v1
	s_mov_b64 s[0:1], -1
	v_xor_b32_e32 v1, v6, v7
	v_xor_b32_e32 v2, v2, v7
	v_sub_co_u32_e32 v1, vcc, v1, v7
	v_subb_co_u32_e32 v2, vcc, v2, v7, vcc
	s_branch .LBB215_429
.LBB215_409:
	s_mov_b64 s[0:1], 0
                                        ; implicit-def: $vgpr1_vgpr2
	s_mov_b64 s[44:45], s[40:41]
	s_cbranch_execnz .LBB215_491
.LBB215_410:
	s_andn2_b64 vcc, exec, s[0:1]
	s_cbranch_vccnz .LBB215_539
.LBB215_411:
	v_mov_b32_e32 v4, s25
	s_and_b32 s52, s70, 0xff
	v_add_co_u32_e32 v3, vcc, s24, v3
	s_cmp_lt_i32 s52, 11
	v_addc_co_u32_e32 v4, vcc, 0, v4, vcc
	s_cbranch_scc1 .LBB215_419
; %bb.412:
	s_and_b32 s53, 0xffff, s52
	s_cmp_gt_i32 s53, 25
	s_cbranch_scc0 .LBB215_421
; %bb.413:
	s_cmp_gt_i32 s53, 28
	s_cbranch_scc0 .LBB215_423
; %bb.414:
	;; [unrolled: 3-line block ×4, first 2 shown]
	s_cmp_eq_u32 s53, 46
	s_mov_b64 s[48:49], 0
	s_cbranch_scc0 .LBB215_543
; %bb.417:
	global_load_dword v5, v[3:4], off
	s_mov_b32 s0, 0x2f800000
	s_mov_b32 s1, 0xcf800000
	s_mov_b64 s[46:47], 0
	s_waitcnt vmcnt(0)
	v_lshlrev_b32_e32 v5, 16, v5
	v_trunc_f32_e32 v5, v5
	v_mul_f32_e64 v6, |v5|, s0
	v_floor_f32_e32 v6, v6
	v_fma_f32 v7, v6, s1, |v5|
	v_cvt_u32_f32_e32 v7, v7
	v_cvt_u32_f32_e32 v6, v6
	v_ashrrev_i32_e32 v8, 31, v5
	s_mov_b64 s[0:1], -1
	v_xor_b32_e32 v5, v7, v8
	v_xor_b32_e32 v6, v6, v8
	v_sub_co_u32_e32 v5, vcc, v5, v8
	v_subb_co_u32_e32 v6, vcc, v6, v8, vcc
	s_branch .LBB215_544
.LBB215_418:
	s_mov_b64 s[46:47], -1
	s_mov_b64 s[0:1], 0
	s_mov_b64 s[44:45], s[40:41]
                                        ; implicit-def: $vgpr1_vgpr2
	s_branch .LBB215_459
.LBB215_419:
	s_mov_b64 s[48:49], -1
	s_mov_b64 s[0:1], 0
                                        ; implicit-def: $vgpr5_vgpr6
	s_mov_b64 s[46:47], s[38:39]
	s_branch .LBB215_605
.LBB215_420:
	s_mov_b64 s[46:47], -1
	s_mov_b64 s[0:1], 0
	s_mov_b64 s[44:45], s[40:41]
                                        ; implicit-def: $vgpr1_vgpr2
	s_branch .LBB215_440
.LBB215_421:
	s_mov_b64 s[48:49], -1
	s_mov_b64 s[0:1], 0
	s_mov_b64 s[46:47], s[38:39]
                                        ; implicit-def: $vgpr5_vgpr6
	s_branch .LBB215_573
.LBB215_422:
	s_mov_b64 s[46:47], -1
	s_mov_b64 s[0:1], 0
	s_mov_b64 s[44:45], s[40:41]
                                        ; implicit-def: $vgpr1_vgpr2
	s_branch .LBB215_435
.LBB215_423:
	s_mov_b64 s[48:49], -1
	s_mov_b64 s[0:1], 0
	s_mov_b64 s[46:47], s[38:39]
                                        ; implicit-def: $vgpr5_vgpr6
	s_branch .LBB215_554
.LBB215_424:
	s_mov_b64 s[46:47], -1
	s_mov_b64 s[0:1], 0
	s_mov_b64 s[44:45], s[40:41]
                                        ; implicit-def: $vgpr1_vgpr2
	s_branch .LBB215_429
.LBB215_425:
	s_mov_b64 s[48:49], -1
	s_mov_b64 s[0:1], 0
	s_mov_b64 s[46:47], s[38:39]
                                        ; implicit-def: $vgpr5_vgpr6
	s_branch .LBB215_549
.LBB215_426:
	s_andn2_saveexec_b64 s[48:49], s[48:49]
	s_cbranch_execz .LBB215_187
.LBB215_427:
	s_mov_b32 s52, 0x46000000
	v_add_f32_e64 v5, |v0|, s52
	v_and_b32_e32 v5, 0xff, v5
	v_cmp_ne_u32_e32 vcc, 0, v5
	s_andn2_b64 s[44:45], s[44:45], exec
	s_and_b64 s[52:53], vcc, exec
	s_or_b64 s[44:45], s[44:45], s[52:53]
	s_or_b64 exec, exec, s[48:49]
	v_mov_b32_e32 v6, 0
	s_and_saveexec_b64 s[48:49], s[44:45]
	s_cbranch_execnz .LBB215_188
	s_branch .LBB215_189
.LBB215_428:
	s_mov_b64 s[44:45], -1
                                        ; implicit-def: $vgpr1_vgpr2
	s_mov_b64 s[0:1], 0
.LBB215_429:
	s_and_b64 vcc, exec, s[46:47]
	s_cbranch_vccz .LBB215_434
; %bb.430:
	s_cmp_eq_u32 s49, 44
	s_cbranch_scc0 .LBB215_433
; %bb.431:
	global_load_ubyte v1, v[4:5], off
	s_mov_b32 s0, 0x2f800000
	s_mov_b32 s1, 0xcf800000
	s_mov_b64 s[44:45], 0
	s_waitcnt vmcnt(0)
	v_lshlrev_b32_e32 v2, 23, v1
	v_trunc_f32_e32 v2, v2
	v_mul_f32_e64 v6, |v2|, s0
	v_floor_f32_e32 v6, v6
	v_fma_f32 v7, v6, s1, |v2|
	v_cvt_u32_f32_e32 v7, v7
	v_cvt_u32_f32_e32 v6, v6
	v_ashrrev_i32_e32 v2, 31, v2
	s_mov_b64 s[0:1], -1
	v_xor_b32_e32 v7, v7, v2
	v_xor_b32_e32 v6, v6, v2
	v_sub_co_u32_e32 v7, vcc, v7, v2
	v_subb_co_u32_e32 v2, vcc, v6, v2, vcc
	v_cmp_ne_u32_e32 vcc, 0, v1
	v_cndmask_b32_e32 v2, 0, v2, vcc
	v_cndmask_b32_e32 v1, 0, v7, vcc
	s_branch .LBB215_434
.LBB215_432:
	s_mov_b64 s[48:49], -1
	s_mov_b64 s[0:1], 0
	s_mov_b64 s[46:47], s[38:39]
                                        ; implicit-def: $vgpr5_vgpr6
	s_branch .LBB215_544
.LBB215_433:
	s_mov_b64 s[44:45], -1
                                        ; implicit-def: $vgpr1_vgpr2
.LBB215_434:
	s_mov_b64 s[46:47], 0
.LBB215_435:
	s_and_b64 vcc, exec, s[46:47]
	s_cbranch_vccz .LBB215_439
; %bb.436:
	s_cmp_eq_u32 s49, 29
	s_cbranch_scc0 .LBB215_438
; %bb.437:
	global_load_dwordx2 v[1:2], v[4:5], off
	s_mov_b64 s[0:1], -1
	s_mov_b64 s[44:45], 0
	s_branch .LBB215_439
.LBB215_438:
	s_mov_b64 s[44:45], -1
                                        ; implicit-def: $vgpr1_vgpr2
.LBB215_439:
	s_mov_b64 s[46:47], 0
.LBB215_440:
	s_and_b64 vcc, exec, s[46:47]
	s_cbranch_vccz .LBB215_458
; %bb.441:
	s_cmp_lt_i32 s49, 27
	s_cbranch_scc1 .LBB215_444
; %bb.442:
	s_cmp_gt_i32 s49, 27
	s_cbranch_scc0 .LBB215_445
; %bb.443:
	global_load_dword v1, v[4:5], off
	s_waitcnt vmcnt(1)
	v_mov_b32_e32 v2, 0
	s_mov_b64 s[0:1], 0
	s_branch .LBB215_446
.LBB215_444:
	s_mov_b64 s[0:1], -1
                                        ; implicit-def: $vgpr1_vgpr2
	s_branch .LBB215_449
.LBB215_445:
	s_mov_b64 s[0:1], -1
                                        ; implicit-def: $vgpr1_vgpr2
.LBB215_446:
	s_andn2_b64 vcc, exec, s[0:1]
	s_cbranch_vccnz .LBB215_448
; %bb.447:
	global_load_ushort v1, v[4:5], off
	s_mov_b32 s0, 0
	s_waitcnt vmcnt(1)
	v_mov_b32_e32 v2, s0
	s_waitcnt vmcnt(0)
	v_and_b32_e32 v1, 0xffff, v1
.LBB215_448:
	s_mov_b64 s[0:1], 0
.LBB215_449:
	s_andn2_b64 vcc, exec, s[0:1]
	s_cbranch_vccnz .LBB215_457
; %bb.450:
	global_load_ubyte v6, v[4:5], off
	s_movk_i32 s0, 0x7f
	s_mov_b64 s[46:47], 0
	s_waitcnt vmcnt(0)
	v_cmp_lt_i16_e32 vcc, s0, v6
	s_and_saveexec_b64 s[0:1], vcc
	s_xor_b64 s[0:1], exec, s[0:1]
; %bb.451:
	s_movk_i32 s46, 0x80
	v_cmp_ne_u16_e32 vcc, s46, v6
	s_and_b64 s[46:47], vcc, exec
; %bb.452:
	s_andn2_saveexec_b64 s[0:1], s[0:1]
; %bb.453:
	v_cmp_ne_u16_e32 vcc, 0, v6
	s_andn2_b64 s[46:47], s[46:47], exec
	s_and_b64 s[52:53], vcc, exec
	s_or_b64 s[46:47], s[46:47], s[52:53]
; %bb.454:
	s_or_b64 exec, exec, s[0:1]
	v_mov_b32_e32 v1, 0
	v_mov_b32_e32 v2, 0
	s_and_saveexec_b64 s[0:1], s[46:47]
	s_cbranch_execz .LBB215_456
; %bb.455:
	v_and_b32_e32 v2, 0xffff, v6
	v_lshlrev_b32_e32 v1, 24, v6
	v_and_b32_e32 v6, 7, v2
	v_ffbh_u32_e32 v8, v6
	v_min_u32_e32 v8, 32, v8
	v_subrev_u32_e32 v9, 28, v8
	v_bfe_u32 v7, v2, 3, 4
	v_lshlrev_b32_e32 v2, v9, v2
	v_sub_u32_e32 v8, 29, v8
	v_and_b32_e32 v2, 7, v2
	v_cmp_eq_u32_e32 vcc, 0, v7
	v_cndmask_b32_e32 v7, v7, v8, vcc
	v_cndmask_b32_e32 v2, v6, v2, vcc
	v_mov_b32_e32 v6, 0x3b800000
	v_lshlrev_b32_e32 v2, 20, v2
	v_and_b32_e32 v1, 0x80000000, v1
	v_lshl_add_u32 v6, v7, 23, v6
	v_or3_b32 v1, v1, v6, v2
	v_trunc_f32_e32 v1, v1
	s_mov_b32 s46, 0x2f800000
	v_mul_f32_e64 v2, |v1|, s46
	v_floor_f32_e32 v2, v2
	s_mov_b32 s46, 0xcf800000
	v_fma_f32 v6, v2, s46, |v1|
	v_cvt_u32_f32_e32 v6, v6
	v_cvt_u32_f32_e32 v2, v2
	v_ashrrev_i32_e32 v7, 31, v1
	v_xor_b32_e32 v1, v6, v7
	v_xor_b32_e32 v2, v2, v7
	v_sub_co_u32_e32 v1, vcc, v1, v7
	v_subb_co_u32_e32 v2, vcc, v2, v7, vcc
.LBB215_456:
	s_or_b64 exec, exec, s[0:1]
.LBB215_457:
	s_mov_b64 s[0:1], -1
.LBB215_458:
	s_mov_b64 s[46:47], 0
.LBB215_459:
	s_and_b64 vcc, exec, s[46:47]
	s_cbranch_vccz .LBB215_490
; %bb.460:
	s_cmp_gt_i32 s49, 22
	s_cbranch_scc0 .LBB215_470
; %bb.461:
	s_cmp_lt_i32 s49, 24
	s_cbranch_scc1 .LBB215_471
; %bb.462:
	s_cmp_gt_i32 s49, 24
	s_cbranch_scc0 .LBB215_472
; %bb.463:
	global_load_ubyte v6, v[4:5], off
	s_movk_i32 s0, 0x7f
	s_mov_b64 s[46:47], 0
	s_waitcnt vmcnt(0)
	v_cmp_lt_i16_e32 vcc, s0, v6
	s_and_saveexec_b64 s[0:1], vcc
	s_xor_b64 s[0:1], exec, s[0:1]
; %bb.464:
	s_movk_i32 s46, 0x80
	v_cmp_ne_u16_e32 vcc, s46, v6
	s_and_b64 s[46:47], vcc, exec
; %bb.465:
	s_andn2_saveexec_b64 s[0:1], s[0:1]
; %bb.466:
	v_cmp_ne_u16_e32 vcc, 0, v6
	s_andn2_b64 s[46:47], s[46:47], exec
	s_and_b64 s[52:53], vcc, exec
	s_or_b64 s[46:47], s[46:47], s[52:53]
; %bb.467:
	s_or_b64 exec, exec, s[0:1]
	v_mov_b32_e32 v1, 0
	v_mov_b32_e32 v2, 0
	s_and_saveexec_b64 s[0:1], s[46:47]
	s_cbranch_execz .LBB215_469
; %bb.468:
	v_and_b32_e32 v2, 0xffff, v6
	v_lshlrev_b32_e32 v1, 24, v6
	v_and_b32_e32 v6, 3, v2
	v_ffbh_u32_e32 v8, v6
	v_min_u32_e32 v8, 32, v8
	v_subrev_u32_e32 v9, 29, v8
	v_bfe_u32 v7, v2, 2, 5
	v_lshlrev_b32_e32 v2, v9, v2
	v_sub_u32_e32 v8, 30, v8
	v_and_b32_e32 v2, 3, v2
	v_cmp_eq_u32_e32 vcc, 0, v7
	v_cndmask_b32_e32 v7, v7, v8, vcc
	v_cndmask_b32_e32 v2, v6, v2, vcc
	v_mov_b32_e32 v6, 0x37800000
	v_lshlrev_b32_e32 v2, 21, v2
	v_and_b32_e32 v1, 0x80000000, v1
	v_lshl_add_u32 v6, v7, 23, v6
	v_or3_b32 v1, v1, v6, v2
	v_trunc_f32_e32 v1, v1
	s_mov_b32 s46, 0x2f800000
	v_mul_f32_e64 v2, |v1|, s46
	v_floor_f32_e32 v2, v2
	s_mov_b32 s46, 0xcf800000
	v_fma_f32 v6, v2, s46, |v1|
	v_cvt_u32_f32_e32 v6, v6
	v_cvt_u32_f32_e32 v2, v2
	v_ashrrev_i32_e32 v7, 31, v1
	v_xor_b32_e32 v1, v6, v7
	v_xor_b32_e32 v2, v2, v7
	v_sub_co_u32_e32 v1, vcc, v1, v7
	v_subb_co_u32_e32 v2, vcc, v2, v7, vcc
.LBB215_469:
	s_or_b64 exec, exec, s[0:1]
	s_mov_b64 s[0:1], 0
	s_branch .LBB215_473
.LBB215_470:
	s_mov_b64 s[46:47], -1
                                        ; implicit-def: $vgpr1_vgpr2
	s_branch .LBB215_479
.LBB215_471:
	s_mov_b64 s[0:1], -1
                                        ; implicit-def: $vgpr1_vgpr2
	s_branch .LBB215_476
.LBB215_472:
	s_mov_b64 s[0:1], -1
                                        ; implicit-def: $vgpr1_vgpr2
.LBB215_473:
	s_and_b64 vcc, exec, s[0:1]
	s_cbranch_vccz .LBB215_475
; %bb.474:
	global_load_ubyte v1, v[4:5], off
	s_mov_b32 s0, 0x7f800000
	s_brev_b32 s1, 1
	s_mov_b32 s46, 0x2f800000
	s_mov_b32 s47, 0xcf800000
	s_waitcnt vmcnt(0)
	v_lshlrev_b32_e32 v1, 24, v1
	v_and_b32_e32 v2, 0x7f000000, v1
	v_ffbh_u32_e32 v6, v2
	v_min_u32_e32 v6, 32, v6
	v_sub_u32_e64 v6, v6, 4 clamp
	v_lshlrev_b32_e32 v8, v6, v2
	v_lshlrev_b32_e32 v6, 23, v6
	v_lshrrev_b32_e32 v8, 4, v8
	v_add_u32_e32 v7, 0x1000000, v2
	v_sub_u32_e32 v6, v8, v6
	v_ashrrev_i32_e32 v7, 8, v7
	v_add_u32_e32 v6, 0x3c000000, v6
	v_and_or_b32 v6, v7, s0, v6
	v_cmp_ne_u32_e32 vcc, 0, v2
	v_cndmask_b32_e32 v2, 0, v6, vcc
	v_and_or_b32 v1, v1, s1, v2
	v_trunc_f32_e32 v1, v1
	v_mul_f32_e64 v2, |v1|, s46
	v_floor_f32_e32 v2, v2
	v_fma_f32 v6, v2, s47, |v1|
	v_cvt_u32_f32_e32 v6, v6
	v_cvt_u32_f32_e32 v2, v2
	v_ashrrev_i32_e32 v7, 31, v1
	v_xor_b32_e32 v1, v6, v7
	v_xor_b32_e32 v2, v2, v7
	v_sub_co_u32_e32 v1, vcc, v1, v7
	v_subb_co_u32_e32 v2, vcc, v2, v7, vcc
.LBB215_475:
	s_mov_b64 s[0:1], 0
.LBB215_476:
	s_andn2_b64 vcc, exec, s[0:1]
	s_cbranch_vccnz .LBB215_478
; %bb.477:
	global_load_ubyte v1, v[4:5], off
	s_movk_i32 s0, 0x7f00
	s_brev_b32 s1, 16
	s_brev_b32 s46, 1
	s_mov_b32 s47, 0x2f800000
	s_mov_b32 s52, 0xcf800000
	s_waitcnt vmcnt(0)
	v_lshlrev_b16_e32 v2, 8, v1
	v_lshlrev_b32_e32 v1, 25, v1
	v_lshrrev_b32_e32 v6, 4, v1
	v_and_or_b32 v7, v2, s0, 0.5
	v_or_b32_e32 v6, 0x70000000, v6
	v_add_f32_e32 v7, -0.5, v7
	v_mul_f32_e32 v6, 0x7800000, v6
	v_cmp_gt_u32_e32 vcc, s1, v1
	v_bfe_i32 v2, v2, 0, 16
	v_cndmask_b32_e32 v1, v6, v7, vcc
	v_and_or_b32 v1, v2, s46, v1
	v_trunc_f32_e32 v1, v1
	v_mul_f32_e64 v2, |v1|, s47
	v_floor_f32_e32 v2, v2
	v_fma_f32 v6, v2, s52, |v1|
	v_cvt_u32_f32_e32 v6, v6
	v_cvt_u32_f32_e32 v2, v2
	v_ashrrev_i32_e32 v7, 31, v1
	v_xor_b32_e32 v1, v6, v7
	v_xor_b32_e32 v2, v2, v7
	v_sub_co_u32_e32 v1, vcc, v1, v7
	v_subb_co_u32_e32 v2, vcc, v2, v7, vcc
.LBB215_478:
	s_mov_b64 s[46:47], 0
	s_mov_b64 s[0:1], -1
.LBB215_479:
	s_andn2_b64 vcc, exec, s[46:47]
	s_cbranch_vccnz .LBB215_490
; %bb.480:
	s_cmp_gt_i32 s49, 14
	s_cbranch_scc0 .LBB215_483
; %bb.481:
	s_cmp_eq_u32 s49, 15
	s_cbranch_scc0 .LBB215_484
; %bb.482:
	global_load_ushort v1, v[4:5], off
	s_mov_b32 s0, 0x2f800000
	s_mov_b32 s1, 0xcf800000
	s_mov_b64 s[44:45], 0
	s_waitcnt vmcnt(0)
	v_lshlrev_b32_e32 v1, 16, v1
	v_trunc_f32_e32 v1, v1
	v_mul_f32_e64 v2, |v1|, s0
	v_floor_f32_e32 v2, v2
	v_fma_f32 v6, v2, s1, |v1|
	v_cvt_u32_f32_e32 v6, v6
	v_cvt_u32_f32_e32 v2, v2
	v_ashrrev_i32_e32 v7, 31, v1
	s_mov_b64 s[0:1], -1
	v_xor_b32_e32 v1, v6, v7
	v_xor_b32_e32 v2, v2, v7
	v_sub_co_u32_e32 v1, vcc, v1, v7
	v_subb_co_u32_e32 v2, vcc, v2, v7, vcc
	s_branch .LBB215_485
.LBB215_483:
	s_mov_b64 s[46:47], -1
                                        ; implicit-def: $vgpr1_vgpr2
	s_branch .LBB215_486
.LBB215_484:
	s_mov_b64 s[44:45], -1
                                        ; implicit-def: $vgpr1_vgpr2
.LBB215_485:
	s_mov_b64 s[46:47], 0
.LBB215_486:
	s_and_b64 vcc, exec, s[46:47]
	s_cbranch_vccz .LBB215_490
; %bb.487:
	s_cmp_eq_u32 s49, 11
	s_cbranch_scc0 .LBB215_489
; %bb.488:
	global_load_ubyte v1, v[4:5], off
	s_mov_b32 s44, 0
	s_mov_b64 s[0:1], -1
	s_waitcnt vmcnt(1)
	v_mov_b32_e32 v2, s44
	s_mov_b64 s[44:45], 0
	s_waitcnt vmcnt(0)
	v_cmp_ne_u16_e32 vcc, 0, v1
	v_cndmask_b32_e64 v1, 0, 1, vcc
	s_branch .LBB215_490
.LBB215_489:
	s_mov_b64 s[44:45], -1
                                        ; implicit-def: $vgpr1_vgpr2
.LBB215_490:
	s_branch .LBB215_410
.LBB215_491:
	s_and_b32 s46, 0xffff, s48
	s_cmp_lt_i32 s46, 5
	s_cbranch_scc1 .LBB215_496
; %bb.492:
	s_cmp_lt_i32 s46, 8
	s_cbranch_scc1 .LBB215_497
; %bb.493:
	s_cmp_lt_i32 s46, 9
	s_cbranch_scc1 .LBB215_498
; %bb.494:
	s_cmp_gt_i32 s46, 9
	s_cbranch_scc0 .LBB215_499
; %bb.495:
	global_load_dwordx2 v[1:2], v[4:5], off
	s_movk_i32 s0, 0xffe0
	s_waitcnt vmcnt(0)
	v_trunc_f64_e32 v[1:2], v[1:2]
	v_ldexp_f64 v[6:7], v[1:2], s0
	s_mov_b32 s0, 0
	s_mov_b32 s1, 0xc1f00000
	v_floor_f64_e32 v[6:7], v[6:7]
	v_fma_f64 v[8:9], v[6:7], s[0:1], v[1:2]
	v_cvt_i32_f64_e32 v2, v[6:7]
	s_mov_b64 s[0:1], 0
	v_cvt_u32_f64_e32 v1, v[8:9]
	s_branch .LBB215_500
.LBB215_496:
	s_mov_b64 s[0:1], -1
                                        ; implicit-def: $vgpr1_vgpr2
	s_branch .LBB215_518
.LBB215_497:
	s_mov_b64 s[0:1], -1
                                        ; implicit-def: $vgpr1_vgpr2
	s_branch .LBB215_506
.LBB215_498:
	s_mov_b64 s[0:1], -1
                                        ; implicit-def: $vgpr1_vgpr2
	s_branch .LBB215_503
.LBB215_499:
	s_mov_b64 s[0:1], -1
                                        ; implicit-def: $vgpr1_vgpr2
.LBB215_500:
	s_andn2_b64 vcc, exec, s[0:1]
	s_cbranch_vccnz .LBB215_502
; %bb.501:
	global_load_dword v1, v[4:5], off
	s_mov_b32 s0, 0x2f800000
	s_mov_b32 s1, 0xcf800000
	s_waitcnt vmcnt(0)
	v_trunc_f32_e32 v1, v1
	v_mul_f32_e64 v2, |v1|, s0
	v_floor_f32_e32 v2, v2
	v_cvt_u32_f32_e32 v6, v2
	v_fma_f32 v2, v2, s1, |v1|
	v_cvt_u32_f32_e32 v2, v2
	v_ashrrev_i32_e32 v7, 31, v1
	v_xor_b32_e32 v6, v6, v7
	v_xor_b32_e32 v1, v2, v7
	v_sub_co_u32_e32 v1, vcc, v1, v7
	v_subb_co_u32_e32 v2, vcc, v6, v7, vcc
.LBB215_502:
	s_mov_b64 s[0:1], 0
.LBB215_503:
	s_andn2_b64 vcc, exec, s[0:1]
	s_cbranch_vccnz .LBB215_505
; %bb.504:
	global_load_dword v1, v[4:5], off
	s_waitcnt vmcnt(0)
	v_cvt_f32_f16_e32 v1, v1
	v_cvt_i32_f32_e32 v1, v1
	v_ashrrev_i32_e32 v2, 31, v1
.LBB215_505:
	s_mov_b64 s[0:1], 0
.LBB215_506:
	s_andn2_b64 vcc, exec, s[0:1]
	s_cbranch_vccnz .LBB215_517
; %bb.507:
	s_cmp_lt_i32 s46, 6
	s_cbranch_scc1 .LBB215_510
; %bb.508:
	s_cmp_gt_i32 s46, 6
	s_cbranch_scc0 .LBB215_511
; %bb.509:
	global_load_dwordx2 v[1:2], v[4:5], off
	s_movk_i32 s0, 0xffe0
	s_waitcnt vmcnt(0)
	v_trunc_f64_e32 v[1:2], v[1:2]
	v_ldexp_f64 v[6:7], v[1:2], s0
	s_mov_b32 s0, 0
	s_mov_b32 s1, 0xc1f00000
	v_floor_f64_e32 v[6:7], v[6:7]
	v_fma_f64 v[8:9], v[6:7], s[0:1], v[1:2]
	v_cvt_i32_f64_e32 v2, v[6:7]
	s_mov_b64 s[0:1], 0
	v_cvt_u32_f64_e32 v1, v[8:9]
	s_branch .LBB215_512
.LBB215_510:
	s_mov_b64 s[0:1], -1
                                        ; implicit-def: $vgpr1_vgpr2
	s_branch .LBB215_515
.LBB215_511:
	s_mov_b64 s[0:1], -1
                                        ; implicit-def: $vgpr1_vgpr2
.LBB215_512:
	s_andn2_b64 vcc, exec, s[0:1]
	s_cbranch_vccnz .LBB215_514
; %bb.513:
	global_load_dword v1, v[4:5], off
	s_mov_b32 s0, 0x2f800000
	s_mov_b32 s1, 0xcf800000
	s_waitcnt vmcnt(0)
	v_trunc_f32_e32 v1, v1
	v_mul_f32_e64 v2, |v1|, s0
	v_floor_f32_e32 v2, v2
	v_cvt_u32_f32_e32 v6, v2
	v_fma_f32 v2, v2, s1, |v1|
	v_cvt_u32_f32_e32 v2, v2
	v_ashrrev_i32_e32 v7, 31, v1
	v_xor_b32_e32 v6, v6, v7
	v_xor_b32_e32 v1, v2, v7
	v_sub_co_u32_e32 v1, vcc, v1, v7
	v_subb_co_u32_e32 v2, vcc, v6, v7, vcc
.LBB215_514:
	s_mov_b64 s[0:1], 0
.LBB215_515:
	s_andn2_b64 vcc, exec, s[0:1]
	s_cbranch_vccnz .LBB215_517
; %bb.516:
	global_load_ushort v1, v[4:5], off
	s_waitcnt vmcnt(0)
	v_cvt_f32_f16_e32 v1, v1
	v_cvt_i32_f32_e32 v1, v1
	v_ashrrev_i32_e32 v2, 31, v1
.LBB215_517:
	s_mov_b64 s[0:1], 0
.LBB215_518:
	s_andn2_b64 vcc, exec, s[0:1]
	s_cbranch_vccnz .LBB215_538
; %bb.519:
	s_cmp_lt_i32 s46, 2
	s_cbranch_scc1 .LBB215_523
; %bb.520:
	s_cmp_lt_i32 s46, 3
	s_cbranch_scc1 .LBB215_524
; %bb.521:
	s_cmp_gt_i32 s46, 3
	s_cbranch_scc0 .LBB215_525
; %bb.522:
	global_load_dwordx2 v[1:2], v[4:5], off
	s_mov_b64 s[0:1], 0
	s_branch .LBB215_526
.LBB215_523:
	s_mov_b64 s[0:1], -1
                                        ; implicit-def: $vgpr1_vgpr2
	s_branch .LBB215_532
.LBB215_524:
	s_mov_b64 s[0:1], -1
                                        ; implicit-def: $vgpr1_vgpr2
	s_branch .LBB215_529
.LBB215_525:
	s_mov_b64 s[0:1], -1
                                        ; implicit-def: $vgpr1_vgpr2
.LBB215_526:
	s_andn2_b64 vcc, exec, s[0:1]
	s_cbranch_vccnz .LBB215_528
; %bb.527:
	global_load_dword v1, v[4:5], off
	s_waitcnt vmcnt(0)
	v_ashrrev_i32_e32 v2, 31, v1
.LBB215_528:
	s_mov_b64 s[0:1], 0
.LBB215_529:
	s_andn2_b64 vcc, exec, s[0:1]
	s_cbranch_vccnz .LBB215_531
; %bb.530:
	global_load_ushort v1, v[4:5], off
	s_waitcnt vmcnt(0)
	v_bfe_i32 v1, v1, 0, 16
	v_ashrrev_i32_e32 v2, 31, v1
.LBB215_531:
	s_mov_b64 s[0:1], 0
.LBB215_532:
	s_andn2_b64 vcc, exec, s[0:1]
	s_cbranch_vccnz .LBB215_538
; %bb.533:
	s_cmp_gt_i32 s46, 0
	s_cbranch_scc0 .LBB215_535
; %bb.534:
	global_load_sbyte v1, v[4:5], off
	s_mov_b64 s[0:1], 0
	s_waitcnt vmcnt(0)
	v_bfe_i32 v1, v1, 0, 16
	v_ashrrev_i32_e32 v2, 31, v1
	s_branch .LBB215_536
.LBB215_535:
	s_mov_b64 s[0:1], -1
                                        ; implicit-def: $vgpr1_vgpr2
.LBB215_536:
	s_andn2_b64 vcc, exec, s[0:1]
	s_cbranch_vccnz .LBB215_538
; %bb.537:
	global_load_ubyte v1, v[4:5], off
	s_mov_b32 s0, 0
	s_waitcnt vmcnt(1)
	v_mov_b32_e32 v2, s0
	s_waitcnt vmcnt(0)
	v_and_b32_e32 v1, 0xffff, v1
.LBB215_538:
	s_branch .LBB215_411
.LBB215_539:
	s_mov_b64 s[52:53], 0
	s_mov_b64 s[0:1], s[36:37]
	;; [unrolled: 1-line block ×3, first 2 shown]
.LBB215_540:
                                        ; implicit-def: $vgpr10
	s_branch .LBB215_778
.LBB215_541:
	s_andn2_saveexec_b64 s[48:49], s[48:49]
	s_cbranch_execz .LBB215_200
.LBB215_542:
	s_mov_b32 s52, 0x42800000
	v_add_f32_e64 v5, |v0|, s52
	v_and_b32_e32 v5, 0xff, v5
	v_cmp_ne_u32_e32 vcc, 0, v5
	s_andn2_b64 s[44:45], s[44:45], exec
	s_and_b64 s[52:53], vcc, exec
	s_or_b64 s[44:45], s[44:45], s[52:53]
	s_or_b64 exec, exec, s[48:49]
	v_mov_b32_e32 v6, 0
	s_and_saveexec_b64 s[48:49], s[44:45]
	s_cbranch_execnz .LBB215_201
	s_branch .LBB215_202
.LBB215_543:
	s_mov_b64 s[46:47], -1
                                        ; implicit-def: $vgpr5_vgpr6
	s_mov_b64 s[0:1], 0
.LBB215_544:
	s_and_b64 vcc, exec, s[48:49]
	s_cbranch_vccz .LBB215_548
; %bb.545:
	s_cmp_eq_u32 s53, 44
	s_cbranch_scc0 .LBB215_547
; %bb.546:
	global_load_ubyte v5, v[3:4], off
	s_mov_b32 s0, 0x2f800000
	s_mov_b32 s1, 0xcf800000
	s_mov_b64 s[46:47], 0
	s_waitcnt vmcnt(0)
	v_lshlrev_b32_e32 v6, 23, v5
	v_trunc_f32_e32 v6, v6
	v_mul_f32_e64 v7, |v6|, s0
	v_floor_f32_e32 v7, v7
	v_fma_f32 v8, v7, s1, |v6|
	v_cvt_u32_f32_e32 v8, v8
	v_cvt_u32_f32_e32 v7, v7
	v_ashrrev_i32_e32 v6, 31, v6
	s_mov_b64 s[0:1], -1
	v_xor_b32_e32 v8, v8, v6
	v_xor_b32_e32 v7, v7, v6
	v_sub_co_u32_e32 v8, vcc, v8, v6
	v_subb_co_u32_e32 v6, vcc, v7, v6, vcc
	v_cmp_ne_u32_e32 vcc, 0, v5
	v_cndmask_b32_e32 v6, 0, v6, vcc
	v_cndmask_b32_e32 v5, 0, v8, vcc
	s_branch .LBB215_548
.LBB215_547:
	s_mov_b64 s[46:47], -1
                                        ; implicit-def: $vgpr5_vgpr6
.LBB215_548:
	s_mov_b64 s[48:49], 0
.LBB215_549:
	s_and_b64 vcc, exec, s[48:49]
	s_cbranch_vccz .LBB215_553
; %bb.550:
	s_cmp_eq_u32 s53, 29
	s_cbranch_scc0 .LBB215_552
; %bb.551:
	global_load_dwordx2 v[5:6], v[3:4], off
	s_mov_b64 s[0:1], -1
	s_mov_b64 s[46:47], 0
	s_branch .LBB215_553
.LBB215_552:
	s_mov_b64 s[46:47], -1
                                        ; implicit-def: $vgpr5_vgpr6
.LBB215_553:
	s_mov_b64 s[48:49], 0
.LBB215_554:
	s_and_b64 vcc, exec, s[48:49]
	s_cbranch_vccz .LBB215_572
; %bb.555:
	s_cmp_lt_i32 s53, 27
	s_cbranch_scc1 .LBB215_558
; %bb.556:
	s_cmp_gt_i32 s53, 27
	s_cbranch_scc0 .LBB215_559
; %bb.557:
	global_load_dword v5, v[3:4], off
	s_waitcnt vmcnt(1)
	v_mov_b32_e32 v6, 0
	s_mov_b64 s[0:1], 0
	s_branch .LBB215_560
.LBB215_558:
	s_mov_b64 s[0:1], -1
                                        ; implicit-def: $vgpr5_vgpr6
	s_branch .LBB215_563
.LBB215_559:
	s_mov_b64 s[0:1], -1
                                        ; implicit-def: $vgpr5_vgpr6
.LBB215_560:
	s_andn2_b64 vcc, exec, s[0:1]
	s_cbranch_vccnz .LBB215_562
; %bb.561:
	global_load_ushort v5, v[3:4], off
	s_mov_b32 s0, 0
	s_waitcnt vmcnt(1)
	v_mov_b32_e32 v6, s0
	s_waitcnt vmcnt(0)
	v_and_b32_e32 v5, 0xffff, v5
.LBB215_562:
	s_mov_b64 s[0:1], 0
.LBB215_563:
	s_andn2_b64 vcc, exec, s[0:1]
	s_cbranch_vccnz .LBB215_571
; %bb.564:
	global_load_ubyte v7, v[3:4], off
	s_movk_i32 s0, 0x7f
	s_mov_b64 s[48:49], 0
	s_waitcnt vmcnt(0)
	v_cmp_lt_i16_e32 vcc, s0, v7
	s_and_saveexec_b64 s[0:1], vcc
	s_xor_b64 s[0:1], exec, s[0:1]
; %bb.565:
	s_movk_i32 s48, 0x80
	v_cmp_ne_u16_e32 vcc, s48, v7
	s_and_b64 s[48:49], vcc, exec
; %bb.566:
	s_andn2_saveexec_b64 s[0:1], s[0:1]
; %bb.567:
	v_cmp_ne_u16_e32 vcc, 0, v7
	s_andn2_b64 s[48:49], s[48:49], exec
	s_and_b64 s[54:55], vcc, exec
	s_or_b64 s[48:49], s[48:49], s[54:55]
; %bb.568:
	s_or_b64 exec, exec, s[0:1]
	v_mov_b32_e32 v5, 0
	v_mov_b32_e32 v6, 0
	s_and_saveexec_b64 s[0:1], s[48:49]
	s_cbranch_execz .LBB215_570
; %bb.569:
	v_and_b32_e32 v6, 0xffff, v7
	v_lshlrev_b32_e32 v5, 24, v7
	v_and_b32_e32 v7, 7, v6
	v_ffbh_u32_e32 v9, v7
	v_min_u32_e32 v9, 32, v9
	v_subrev_u32_e32 v11, 28, v9
	v_bfe_u32 v8, v6, 3, 4
	v_lshlrev_b32_e32 v6, v11, v6
	v_sub_u32_e32 v9, 29, v9
	v_and_b32_e32 v6, 7, v6
	v_cmp_eq_u32_e32 vcc, 0, v8
	v_cndmask_b32_e32 v8, v8, v9, vcc
	v_cndmask_b32_e32 v6, v7, v6, vcc
	v_mov_b32_e32 v7, 0x3b800000
	v_lshlrev_b32_e32 v6, 20, v6
	v_and_b32_e32 v5, 0x80000000, v5
	v_lshl_add_u32 v7, v8, 23, v7
	v_or3_b32 v5, v5, v7, v6
	v_trunc_f32_e32 v5, v5
	s_mov_b32 s48, 0x2f800000
	v_mul_f32_e64 v6, |v5|, s48
	v_floor_f32_e32 v6, v6
	s_mov_b32 s48, 0xcf800000
	v_fma_f32 v7, v6, s48, |v5|
	v_cvt_u32_f32_e32 v7, v7
	v_cvt_u32_f32_e32 v6, v6
	v_ashrrev_i32_e32 v8, 31, v5
	v_xor_b32_e32 v5, v7, v8
	v_xor_b32_e32 v6, v6, v8
	v_sub_co_u32_e32 v5, vcc, v5, v8
	v_subb_co_u32_e32 v6, vcc, v6, v8, vcc
.LBB215_570:
	s_or_b64 exec, exec, s[0:1]
.LBB215_571:
	s_mov_b64 s[0:1], -1
.LBB215_572:
	s_mov_b64 s[48:49], 0
.LBB215_573:
	s_and_b64 vcc, exec, s[48:49]
	s_cbranch_vccz .LBB215_604
; %bb.574:
	s_cmp_gt_i32 s53, 22
	s_cbranch_scc0 .LBB215_584
; %bb.575:
	s_cmp_lt_i32 s53, 24
	s_cbranch_scc1 .LBB215_585
; %bb.576:
	s_cmp_gt_i32 s53, 24
	s_cbranch_scc0 .LBB215_586
; %bb.577:
	global_load_ubyte v7, v[3:4], off
	s_movk_i32 s0, 0x7f
	s_mov_b64 s[48:49], 0
	s_waitcnt vmcnt(0)
	v_cmp_lt_i16_e32 vcc, s0, v7
	s_and_saveexec_b64 s[0:1], vcc
	s_xor_b64 s[0:1], exec, s[0:1]
; %bb.578:
	s_movk_i32 s48, 0x80
	v_cmp_ne_u16_e32 vcc, s48, v7
	s_and_b64 s[48:49], vcc, exec
; %bb.579:
	s_andn2_saveexec_b64 s[0:1], s[0:1]
; %bb.580:
	v_cmp_ne_u16_e32 vcc, 0, v7
	s_andn2_b64 s[48:49], s[48:49], exec
	s_and_b64 s[54:55], vcc, exec
	s_or_b64 s[48:49], s[48:49], s[54:55]
; %bb.581:
	s_or_b64 exec, exec, s[0:1]
	v_mov_b32_e32 v5, 0
	v_mov_b32_e32 v6, 0
	s_and_saveexec_b64 s[0:1], s[48:49]
	s_cbranch_execz .LBB215_583
; %bb.582:
	v_and_b32_e32 v6, 0xffff, v7
	v_lshlrev_b32_e32 v5, 24, v7
	v_and_b32_e32 v7, 3, v6
	v_ffbh_u32_e32 v9, v7
	v_min_u32_e32 v9, 32, v9
	v_subrev_u32_e32 v11, 29, v9
	v_bfe_u32 v8, v6, 2, 5
	v_lshlrev_b32_e32 v6, v11, v6
	v_sub_u32_e32 v9, 30, v9
	v_and_b32_e32 v6, 3, v6
	v_cmp_eq_u32_e32 vcc, 0, v8
	v_cndmask_b32_e32 v8, v8, v9, vcc
	v_cndmask_b32_e32 v6, v7, v6, vcc
	v_mov_b32_e32 v7, 0x37800000
	v_lshlrev_b32_e32 v6, 21, v6
	v_and_b32_e32 v5, 0x80000000, v5
	v_lshl_add_u32 v7, v8, 23, v7
	v_or3_b32 v5, v5, v7, v6
	v_trunc_f32_e32 v5, v5
	s_mov_b32 s48, 0x2f800000
	v_mul_f32_e64 v6, |v5|, s48
	v_floor_f32_e32 v6, v6
	s_mov_b32 s48, 0xcf800000
	v_fma_f32 v7, v6, s48, |v5|
	v_cvt_u32_f32_e32 v7, v7
	v_cvt_u32_f32_e32 v6, v6
	v_ashrrev_i32_e32 v8, 31, v5
	v_xor_b32_e32 v5, v7, v8
	v_xor_b32_e32 v6, v6, v8
	v_sub_co_u32_e32 v5, vcc, v5, v8
	v_subb_co_u32_e32 v6, vcc, v6, v8, vcc
.LBB215_583:
	s_or_b64 exec, exec, s[0:1]
	s_mov_b64 s[0:1], 0
	s_branch .LBB215_587
.LBB215_584:
	s_mov_b64 s[48:49], -1
                                        ; implicit-def: $vgpr5_vgpr6
	s_branch .LBB215_593
.LBB215_585:
	s_mov_b64 s[0:1], -1
                                        ; implicit-def: $vgpr5_vgpr6
	s_branch .LBB215_590
.LBB215_586:
	s_mov_b64 s[0:1], -1
                                        ; implicit-def: $vgpr5_vgpr6
.LBB215_587:
	s_and_b64 vcc, exec, s[0:1]
	s_cbranch_vccz .LBB215_589
; %bb.588:
	global_load_ubyte v5, v[3:4], off
	s_mov_b32 s0, 0x7f800000
	s_brev_b32 s1, 1
	s_mov_b32 s48, 0x2f800000
	s_mov_b32 s49, 0xcf800000
	s_waitcnt vmcnt(0)
	v_lshlrev_b32_e32 v5, 24, v5
	v_and_b32_e32 v6, 0x7f000000, v5
	v_ffbh_u32_e32 v7, v6
	v_min_u32_e32 v7, 32, v7
	v_sub_u32_e64 v7, v7, 4 clamp
	v_lshlrev_b32_e32 v9, v7, v6
	v_lshlrev_b32_e32 v7, 23, v7
	v_lshrrev_b32_e32 v9, 4, v9
	v_add_u32_e32 v8, 0x1000000, v6
	v_sub_u32_e32 v7, v9, v7
	v_ashrrev_i32_e32 v8, 8, v8
	v_add_u32_e32 v7, 0x3c000000, v7
	v_and_or_b32 v7, v8, s0, v7
	v_cmp_ne_u32_e32 vcc, 0, v6
	v_cndmask_b32_e32 v6, 0, v7, vcc
	v_and_or_b32 v5, v5, s1, v6
	v_trunc_f32_e32 v5, v5
	v_mul_f32_e64 v6, |v5|, s48
	v_floor_f32_e32 v6, v6
	v_fma_f32 v7, v6, s49, |v5|
	v_cvt_u32_f32_e32 v7, v7
	v_cvt_u32_f32_e32 v6, v6
	v_ashrrev_i32_e32 v8, 31, v5
	v_xor_b32_e32 v5, v7, v8
	v_xor_b32_e32 v6, v6, v8
	v_sub_co_u32_e32 v5, vcc, v5, v8
	v_subb_co_u32_e32 v6, vcc, v6, v8, vcc
.LBB215_589:
	s_mov_b64 s[0:1], 0
.LBB215_590:
	s_andn2_b64 vcc, exec, s[0:1]
	s_cbranch_vccnz .LBB215_592
; %bb.591:
	global_load_ubyte v5, v[3:4], off
	s_movk_i32 s0, 0x7f00
	s_brev_b32 s1, 16
	s_brev_b32 s48, 1
	s_mov_b32 s49, 0x2f800000
	s_mov_b32 s54, 0xcf800000
	s_waitcnt vmcnt(0)
	v_lshlrev_b16_e32 v6, 8, v5
	v_lshlrev_b32_e32 v5, 25, v5
	v_lshrrev_b32_e32 v7, 4, v5
	v_and_or_b32 v8, v6, s0, 0.5
	v_or_b32_e32 v7, 0x70000000, v7
	v_add_f32_e32 v8, -0.5, v8
	v_mul_f32_e32 v7, 0x7800000, v7
	v_cmp_gt_u32_e32 vcc, s1, v5
	v_bfe_i32 v6, v6, 0, 16
	v_cndmask_b32_e32 v5, v7, v8, vcc
	v_and_or_b32 v5, v6, s48, v5
	v_trunc_f32_e32 v5, v5
	v_mul_f32_e64 v6, |v5|, s49
	v_floor_f32_e32 v6, v6
	v_fma_f32 v7, v6, s54, |v5|
	v_cvt_u32_f32_e32 v7, v7
	v_cvt_u32_f32_e32 v6, v6
	v_ashrrev_i32_e32 v8, 31, v5
	v_xor_b32_e32 v5, v7, v8
	v_xor_b32_e32 v6, v6, v8
	v_sub_co_u32_e32 v5, vcc, v5, v8
	v_subb_co_u32_e32 v6, vcc, v6, v8, vcc
.LBB215_592:
	s_mov_b64 s[48:49], 0
	s_mov_b64 s[0:1], -1
.LBB215_593:
	s_andn2_b64 vcc, exec, s[48:49]
	s_cbranch_vccnz .LBB215_604
; %bb.594:
	s_cmp_gt_i32 s53, 14
	s_cbranch_scc0 .LBB215_597
; %bb.595:
	s_cmp_eq_u32 s53, 15
	s_cbranch_scc0 .LBB215_598
; %bb.596:
	global_load_ushort v5, v[3:4], off
	s_mov_b32 s0, 0x2f800000
	s_mov_b32 s1, 0xcf800000
	s_mov_b64 s[46:47], 0
	s_waitcnt vmcnt(0)
	v_lshlrev_b32_e32 v5, 16, v5
	v_trunc_f32_e32 v5, v5
	v_mul_f32_e64 v6, |v5|, s0
	v_floor_f32_e32 v6, v6
	v_fma_f32 v7, v6, s1, |v5|
	v_cvt_u32_f32_e32 v7, v7
	v_cvt_u32_f32_e32 v6, v6
	v_ashrrev_i32_e32 v8, 31, v5
	s_mov_b64 s[0:1], -1
	v_xor_b32_e32 v5, v7, v8
	v_xor_b32_e32 v6, v6, v8
	v_sub_co_u32_e32 v5, vcc, v5, v8
	v_subb_co_u32_e32 v6, vcc, v6, v8, vcc
	s_branch .LBB215_599
.LBB215_597:
	s_mov_b64 s[48:49], -1
                                        ; implicit-def: $vgpr5_vgpr6
	s_branch .LBB215_600
.LBB215_598:
	s_mov_b64 s[46:47], -1
                                        ; implicit-def: $vgpr5_vgpr6
.LBB215_599:
	s_mov_b64 s[48:49], 0
.LBB215_600:
	s_and_b64 vcc, exec, s[48:49]
	s_cbranch_vccz .LBB215_604
; %bb.601:
	s_cmp_eq_u32 s53, 11
	s_cbranch_scc0 .LBB215_603
; %bb.602:
	global_load_ubyte v5, v[3:4], off
	s_mov_b32 s46, 0
	s_mov_b64 s[0:1], -1
	s_waitcnt vmcnt(1)
	v_mov_b32_e32 v6, s46
	s_mov_b64 s[46:47], 0
	s_waitcnt vmcnt(0)
	v_cmp_ne_u16_e32 vcc, 0, v5
	v_cndmask_b32_e64 v5, 0, 1, vcc
	s_branch .LBB215_604
.LBB215_603:
	s_mov_b64 s[46:47], -1
                                        ; implicit-def: $vgpr5_vgpr6
.LBB215_604:
	s_mov_b64 s[48:49], 0
.LBB215_605:
	s_and_b64 vcc, exec, s[48:49]
	s_cbranch_vccz .LBB215_654
; %bb.606:
	s_and_b32 s48, 0xffff, s52
	s_cmp_lt_i32 s48, 5
	s_cbranch_scc1 .LBB215_611
; %bb.607:
	s_cmp_lt_i32 s48, 8
	s_cbranch_scc1 .LBB215_612
; %bb.608:
	s_cmp_lt_i32 s48, 9
	s_cbranch_scc1 .LBB215_613
; %bb.609:
	s_cmp_gt_i32 s48, 9
	s_cbranch_scc0 .LBB215_614
; %bb.610:
	global_load_dwordx2 v[5:6], v[3:4], off
	s_movk_i32 s0, 0xffe0
	s_waitcnt vmcnt(0)
	v_trunc_f64_e32 v[5:6], v[5:6]
	v_ldexp_f64 v[7:8], v[5:6], s0
	s_mov_b32 s0, 0
	s_mov_b32 s1, 0xc1f00000
	v_floor_f64_e32 v[7:8], v[7:8]
	v_fma_f64 v[11:12], v[7:8], s[0:1], v[5:6]
	v_cvt_i32_f64_e32 v6, v[7:8]
	s_mov_b64 s[0:1], 0
	v_cvt_u32_f64_e32 v5, v[11:12]
	s_branch .LBB215_615
.LBB215_611:
	s_mov_b64 s[0:1], -1
                                        ; implicit-def: $vgpr5_vgpr6
	s_branch .LBB215_633
.LBB215_612:
	s_mov_b64 s[0:1], -1
                                        ; implicit-def: $vgpr5_vgpr6
	s_branch .LBB215_621
.LBB215_613:
	s_mov_b64 s[0:1], -1
                                        ; implicit-def: $vgpr5_vgpr6
	s_branch .LBB215_618
.LBB215_614:
	s_mov_b64 s[0:1], -1
                                        ; implicit-def: $vgpr5_vgpr6
.LBB215_615:
	s_andn2_b64 vcc, exec, s[0:1]
	s_cbranch_vccnz .LBB215_617
; %bb.616:
	global_load_dword v5, v[3:4], off
	s_mov_b32 s0, 0x2f800000
	s_mov_b32 s1, 0xcf800000
	s_waitcnt vmcnt(0)
	v_trunc_f32_e32 v5, v5
	v_mul_f32_e64 v6, |v5|, s0
	v_floor_f32_e32 v6, v6
	v_cvt_u32_f32_e32 v7, v6
	v_fma_f32 v6, v6, s1, |v5|
	v_cvt_u32_f32_e32 v6, v6
	v_ashrrev_i32_e32 v8, 31, v5
	v_xor_b32_e32 v7, v7, v8
	v_xor_b32_e32 v5, v6, v8
	v_sub_co_u32_e32 v5, vcc, v5, v8
	v_subb_co_u32_e32 v6, vcc, v7, v8, vcc
.LBB215_617:
	s_mov_b64 s[0:1], 0
.LBB215_618:
	s_andn2_b64 vcc, exec, s[0:1]
	s_cbranch_vccnz .LBB215_620
; %bb.619:
	global_load_dword v5, v[3:4], off
	s_waitcnt vmcnt(0)
	v_cvt_f32_f16_e32 v5, v5
	v_cvt_i32_f32_e32 v5, v5
	v_ashrrev_i32_e32 v6, 31, v5
.LBB215_620:
	s_mov_b64 s[0:1], 0
.LBB215_621:
	s_andn2_b64 vcc, exec, s[0:1]
	s_cbranch_vccnz .LBB215_632
; %bb.622:
	s_cmp_lt_i32 s48, 6
	s_cbranch_scc1 .LBB215_625
; %bb.623:
	s_cmp_gt_i32 s48, 6
	s_cbranch_scc0 .LBB215_626
; %bb.624:
	global_load_dwordx2 v[5:6], v[3:4], off
	s_movk_i32 s0, 0xffe0
	s_waitcnt vmcnt(0)
	v_trunc_f64_e32 v[5:6], v[5:6]
	v_ldexp_f64 v[7:8], v[5:6], s0
	s_mov_b32 s0, 0
	s_mov_b32 s1, 0xc1f00000
	v_floor_f64_e32 v[7:8], v[7:8]
	v_fma_f64 v[11:12], v[7:8], s[0:1], v[5:6]
	v_cvt_i32_f64_e32 v6, v[7:8]
	s_mov_b64 s[0:1], 0
	v_cvt_u32_f64_e32 v5, v[11:12]
	s_branch .LBB215_627
.LBB215_625:
	s_mov_b64 s[0:1], -1
                                        ; implicit-def: $vgpr5_vgpr6
	s_branch .LBB215_630
.LBB215_626:
	s_mov_b64 s[0:1], -1
                                        ; implicit-def: $vgpr5_vgpr6
.LBB215_627:
	s_andn2_b64 vcc, exec, s[0:1]
	s_cbranch_vccnz .LBB215_629
; %bb.628:
	global_load_dword v5, v[3:4], off
	s_mov_b32 s0, 0x2f800000
	s_mov_b32 s1, 0xcf800000
	s_waitcnt vmcnt(0)
	v_trunc_f32_e32 v5, v5
	v_mul_f32_e64 v6, |v5|, s0
	v_floor_f32_e32 v6, v6
	v_cvt_u32_f32_e32 v7, v6
	v_fma_f32 v6, v6, s1, |v5|
	v_cvt_u32_f32_e32 v6, v6
	v_ashrrev_i32_e32 v8, 31, v5
	v_xor_b32_e32 v7, v7, v8
	v_xor_b32_e32 v5, v6, v8
	v_sub_co_u32_e32 v5, vcc, v5, v8
	v_subb_co_u32_e32 v6, vcc, v7, v8, vcc
.LBB215_629:
	s_mov_b64 s[0:1], 0
.LBB215_630:
	s_andn2_b64 vcc, exec, s[0:1]
	s_cbranch_vccnz .LBB215_632
; %bb.631:
	global_load_ushort v5, v[3:4], off
	s_waitcnt vmcnt(0)
	v_cvt_f32_f16_e32 v5, v5
	v_cvt_i32_f32_e32 v5, v5
	v_ashrrev_i32_e32 v6, 31, v5
.LBB215_632:
	s_mov_b64 s[0:1], 0
.LBB215_633:
	s_andn2_b64 vcc, exec, s[0:1]
	s_cbranch_vccnz .LBB215_653
; %bb.634:
	s_cmp_lt_i32 s48, 2
	s_cbranch_scc1 .LBB215_638
; %bb.635:
	s_cmp_lt_i32 s48, 3
	s_cbranch_scc1 .LBB215_639
; %bb.636:
	s_cmp_gt_i32 s48, 3
	s_cbranch_scc0 .LBB215_640
; %bb.637:
	global_load_dwordx2 v[5:6], v[3:4], off
	s_mov_b64 s[0:1], 0
	s_branch .LBB215_641
.LBB215_638:
	s_mov_b64 s[0:1], -1
                                        ; implicit-def: $vgpr5_vgpr6
	s_branch .LBB215_647
.LBB215_639:
	s_mov_b64 s[0:1], -1
                                        ; implicit-def: $vgpr5_vgpr6
	s_branch .LBB215_644
.LBB215_640:
	s_mov_b64 s[0:1], -1
                                        ; implicit-def: $vgpr5_vgpr6
.LBB215_641:
	s_andn2_b64 vcc, exec, s[0:1]
	s_cbranch_vccnz .LBB215_643
; %bb.642:
	global_load_dword v5, v[3:4], off
	s_waitcnt vmcnt(0)
	v_ashrrev_i32_e32 v6, 31, v5
.LBB215_643:
	s_mov_b64 s[0:1], 0
.LBB215_644:
	s_andn2_b64 vcc, exec, s[0:1]
	s_cbranch_vccnz .LBB215_646
; %bb.645:
	global_load_ushort v5, v[3:4], off
	s_waitcnt vmcnt(0)
	v_bfe_i32 v5, v5, 0, 16
	v_ashrrev_i32_e32 v6, 31, v5
.LBB215_646:
	s_mov_b64 s[0:1], 0
.LBB215_647:
	s_andn2_b64 vcc, exec, s[0:1]
	s_cbranch_vccnz .LBB215_653
; %bb.648:
	s_cmp_gt_i32 s48, 0
	s_cbranch_scc0 .LBB215_650
; %bb.649:
	global_load_sbyte v5, v[3:4], off
	s_mov_b64 s[0:1], 0
	s_waitcnt vmcnt(0)
	v_bfe_i32 v5, v5, 0, 16
	v_ashrrev_i32_e32 v6, 31, v5
	s_branch .LBB215_651
.LBB215_650:
	s_mov_b64 s[0:1], -1
                                        ; implicit-def: $vgpr5_vgpr6
.LBB215_651:
	s_andn2_b64 vcc, exec, s[0:1]
	s_cbranch_vccnz .LBB215_653
; %bb.652:
	global_load_ubyte v3, v[3:4], off
	s_mov_b32 s0, 0
	s_waitcnt vmcnt(1)
	v_mov_b32_e32 v6, s0
	s_waitcnt vmcnt(0)
	v_and_b32_e32 v5, 0xffff, v3
.LBB215_653:
	s_mov_b64 s[0:1], -1
.LBB215_654:
	s_andn2_b64 vcc, exec, s[0:1]
	s_cbranch_vccnz .LBB215_662
; %bb.655:
	s_waitcnt vmcnt(0)
	v_cmp_gt_u64_e32 vcc, 63, v[5:6]
	v_mov_b32_e32 v4, s9
	v_cndmask_b32_e32 v3, 63, v5, vcc
	v_ashrrev_i64 v[1:2], v3, v[1:2]
	s_and_b32 s56, s69, 0xff
	v_add_co_u32_e32 v3, vcc, s8, v0
	s_cmp_lt_i32 s56, 11
	v_addc_co_u32_e32 v4, vcc, 0, v4, vcc
	s_cbranch_scc1 .LBB215_663
; %bb.656:
	s_and_b32 s57, 0xffff, s56
	s_cmp_gt_i32 s57, 25
	s_cbranch_scc0 .LBB215_664
; %bb.657:
	s_cmp_gt_i32 s57, 28
	s_cbranch_scc0 .LBB215_665
; %bb.658:
	;; [unrolled: 3-line block ×4, first 2 shown]
	s_mov_b64 s[52:53], 0
	s_mov_b64 s[0:1], -1
	s_cmp_eq_u32 s57, 46
	s_mov_b64 s[48:49], 0
	s_cbranch_scc0 .LBB215_668
; %bb.661:
	v_xor_b32_e32 v5, v1, v2
	v_ffbh_i32_e32 v0, v2
	v_ashrrev_i32_e32 v5, 31, v5
	v_add_u32_e32 v0, -1, v0
	v_add_u32_e32 v5, 32, v5
	v_min_u32_e32 v0, v0, v5
	v_lshlrev_b64 v[5:6], v0, v[1:2]
	v_sub_u32_e32 v0, 32, v0
	v_min_u32_e32 v5, 1, v5
	v_or_b32_e32 v5, v6, v5
	v_cvt_f32_i32_e32 v5, v5
	s_movk_i32 s0, 0x7fff
	s_mov_b64 s[48:49], -1
	v_ldexp_f32 v0, v5, v0
	v_bfe_u32 v5, v0, 16, 1
	v_add3_u32 v0, v0, v5, s0
	v_lshrrev_b32_e32 v0, 16, v0
	global_store_dword v[3:4], v0, off
	s_mov_b64 s[0:1], 0
	s_branch .LBB215_668
.LBB215_662:
	s_mov_b64 s[52:53], 0
                                        ; implicit-def: $vgpr10
	s_mov_b64 s[0:1], s[36:37]
	s_branch .LBB215_778
.LBB215_663:
	s_mov_b64 s[52:53], -1
	s_mov_b64 s[48:49], 0
	s_mov_b64 s[0:1], s[36:37]
	s_branch .LBB215_737
.LBB215_664:
	s_mov_b64 s[52:53], -1
	s_mov_b64 s[48:49], 0
	s_mov_b64 s[0:1], s[36:37]
	s_branch .LBB215_695
.LBB215_665:
	s_mov_b64 s[52:53], -1
	s_mov_b64 s[48:49], 0
	s_mov_b64 s[0:1], s[36:37]
	s_branch .LBB215_678
.LBB215_666:
	s_mov_b64 s[52:53], -1
	s_mov_b64 s[48:49], 0
	s_mov_b64 s[0:1], s[36:37]
	s_branch .LBB215_674
.LBB215_667:
	s_mov_b64 s[52:53], -1
	s_mov_b64 s[48:49], 0
	s_mov_b64 s[0:1], s[36:37]
.LBB215_668:
	s_and_b64 vcc, exec, s[52:53]
	s_cbranch_vccz .LBB215_673
; %bb.669:
	s_cmp_eq_u32 s57, 44
	s_mov_b64 s[0:1], -1
	s_cbranch_scc0 .LBB215_673
; %bb.670:
	v_xor_b32_e32 v5, v1, v2
	v_ffbh_i32_e32 v0, v2
	v_ashrrev_i32_e32 v5, 31, v5
	v_add_u32_e32 v0, -1, v0
	v_add_u32_e32 v5, 32, v5
	v_min_u32_e32 v0, v0, v5
	v_lshlrev_b64 v[5:6], v0, v[1:2]
	v_sub_u32_e32 v0, 32, v0
	v_min_u32_e32 v5, 1, v5
	v_or_b32_e32 v5, v6, v5
	v_cvt_f32_i32_e32 v5, v5
	s_movk_i32 s0, 0xff
	v_mov_b32_e32 v6, 0xff
	v_ldexp_f32 v0, v5, v0
	v_bfe_u32 v5, v0, 23, 8
	v_cmp_ne_u32_e32 vcc, s0, v5
	s_and_saveexec_b64 s[48:49], vcc
; %bb.671:
	s_mov_b32 s0, 0x3fffff
	v_lshrrev_b32_e32 v6, 23, v0
	v_and_b32_e32 v7, 0x400000, v0
	v_and_or_b32 v0, v0, s0, v5
	v_cmp_ne_u32_e32 vcc, 0, v7
	v_cmp_ne_u32_e64 s[0:1], 0, v0
	s_and_b64 s[0:1], vcc, s[0:1]
	v_cndmask_b32_e64 v0, 0, 1, s[0:1]
	v_add_u32_e32 v6, v6, v0
; %bb.672:
	s_or_b64 exec, exec, s[48:49]
	s_mov_b64 s[48:49], -1
	s_mov_b64 s[0:1], 0
	global_store_byte v[3:4], v6, off
.LBB215_673:
	s_mov_b64 s[52:53], 0
.LBB215_674:
	s_and_b64 vcc, exec, s[52:53]
	s_cbranch_vccz .LBB215_677
; %bb.675:
	s_cmp_eq_u32 s57, 29
	s_mov_b64 s[0:1], -1
	s_cbranch_scc0 .LBB215_677
; %bb.676:
	global_store_dwordx2 v[3:4], v[1:2], off
	s_mov_b64 s[48:49], -1
	s_mov_b64 s[0:1], 0
.LBB215_677:
	s_mov_b64 s[52:53], 0
.LBB215_678:
	s_and_b64 vcc, exec, s[52:53]
	s_cbranch_vccz .LBB215_694
; %bb.679:
	s_cmp_lt_i32 s57, 27
	s_mov_b64 s[48:49], -1
	s_cbranch_scc1 .LBB215_685
; %bb.680:
	s_cmp_gt_i32 s57, 27
	s_cbranch_scc0 .LBB215_682
; %bb.681:
	s_mov_b64 s[48:49], 0
	global_store_dword v[3:4], v1, off
.LBB215_682:
	s_andn2_b64 vcc, exec, s[48:49]
	s_cbranch_vccnz .LBB215_684
; %bb.683:
	global_store_short v[3:4], v1, off
.LBB215_684:
	s_mov_b64 s[48:49], 0
.LBB215_685:
	s_andn2_b64 vcc, exec, s[48:49]
	s_cbranch_vccnz .LBB215_693
; %bb.686:
	v_xor_b32_e32 v5, v1, v2
	v_ffbh_i32_e32 v0, v2
	v_ashrrev_i32_e32 v5, 31, v5
	v_add_u32_e32 v0, -1, v0
	v_add_u32_e32 v5, 32, v5
	v_min_u32_e32 v0, v0, v5
	v_lshlrev_b64 v[5:6], v0, v[1:2]
	v_sub_u32_e32 v0, 32, v0
	v_min_u32_e32 v5, 1, v5
	v_or_b32_e32 v5, v6, v5
	v_cvt_f32_i32_e32 v5, v5
	s_mov_b32 s48, 0x43800000
	v_mov_b32_e32 v6, 0x80
	v_ldexp_f32 v0, v5, v0
	v_and_b32_e32 v5, 0x7fffffff, v0
	v_cmp_gt_u32_e32 vcc, s48, v5
	s_and_saveexec_b64 s[48:49], vcc
	s_cbranch_execz .LBB215_692
; %bb.687:
	s_mov_b32 s52, 0x3bffffff
	v_cmp_lt_u32_e32 vcc, s52, v5
	s_mov_b64 s[52:53], 0
                                        ; implicit-def: $vgpr5
	s_and_saveexec_b64 s[54:55], vcc
	s_xor_b64 s[54:55], exec, s[54:55]
	s_cbranch_execz .LBB215_806
; %bb.688:
	v_bfe_u32 v5, v0, 20, 1
	s_mov_b32 s58, 0x487ffff
	v_add3_u32 v5, v0, v5, s58
	s_mov_b64 s[52:53], exec
	v_lshrrev_b32_e32 v5, 20, v5
	s_andn2_saveexec_b64 s[54:55], s[54:55]
	s_cbranch_execnz .LBB215_807
.LBB215_689:
	s_or_b64 exec, exec, s[54:55]
	v_mov_b32_e32 v6, 0
	s_and_saveexec_b64 s[54:55], s[52:53]
.LBB215_690:
	v_lshrrev_b32_e32 v0, 24, v0
	s_movk_i32 s52, 0x80
	v_and_or_b32 v6, v0, s52, v5
.LBB215_691:
	s_or_b64 exec, exec, s[54:55]
.LBB215_692:
	s_or_b64 exec, exec, s[48:49]
	global_store_byte v[3:4], v6, off
.LBB215_693:
	s_mov_b64 s[48:49], -1
.LBB215_694:
	s_mov_b64 s[52:53], 0
.LBB215_695:
	s_and_b64 vcc, exec, s[52:53]
	s_cbranch_vccz .LBB215_736
; %bb.696:
	s_cmp_gt_i32 s57, 22
	s_mov_b64 s[52:53], -1
	s_cbranch_scc0 .LBB215_728
; %bb.697:
	s_cmp_lt_i32 s57, 24
	s_mov_b64 s[48:49], -1
	s_cbranch_scc1 .LBB215_717
; %bb.698:
	s_cmp_gt_i32 s57, 24
	s_cbranch_scc0 .LBB215_706
; %bb.699:
	v_xor_b32_e32 v5, v1, v2
	v_ffbh_i32_e32 v0, v2
	v_ashrrev_i32_e32 v5, 31, v5
	v_add_u32_e32 v0, -1, v0
	v_add_u32_e32 v5, 32, v5
	v_min_u32_e32 v0, v0, v5
	v_lshlrev_b64 v[5:6], v0, v[1:2]
	v_sub_u32_e32 v0, 32, v0
	v_min_u32_e32 v5, 1, v5
	v_or_b32_e32 v5, v6, v5
	v_cvt_f32_i32_e32 v5, v5
	s_mov_b32 s48, 0x47800000
	v_mov_b32_e32 v6, 0x80
	v_ldexp_f32 v0, v5, v0
	v_and_b32_e32 v5, 0x7fffffff, v0
	v_cmp_gt_u32_e32 vcc, s48, v5
	s_and_saveexec_b64 s[48:49], vcc
	s_cbranch_execz .LBB215_705
; %bb.700:
	s_mov_b32 s52, 0x37ffffff
	v_cmp_lt_u32_e32 vcc, s52, v5
	s_mov_b64 s[52:53], 0
                                        ; implicit-def: $vgpr5
	s_and_saveexec_b64 s[54:55], vcc
	s_xor_b64 s[54:55], exec, s[54:55]
	s_cbranch_execz .LBB215_934
; %bb.701:
	v_bfe_u32 v5, v0, 21, 1
	s_mov_b32 s58, 0x88fffff
	v_add3_u32 v5, v0, v5, s58
	s_mov_b64 s[52:53], exec
	v_lshrrev_b32_e32 v5, 21, v5
	s_andn2_saveexec_b64 s[54:55], s[54:55]
	s_cbranch_execnz .LBB215_935
.LBB215_702:
	s_or_b64 exec, exec, s[54:55]
	v_mov_b32_e32 v6, 0
	s_and_saveexec_b64 s[54:55], s[52:53]
.LBB215_703:
	v_lshrrev_b32_e32 v0, 24, v0
	s_movk_i32 s52, 0x80
	v_and_or_b32 v6, v0, s52, v5
.LBB215_704:
	s_or_b64 exec, exec, s[54:55]
.LBB215_705:
	s_or_b64 exec, exec, s[48:49]
	s_mov_b64 s[48:49], 0
	global_store_byte v[3:4], v6, off
.LBB215_706:
	s_and_b64 vcc, exec, s[48:49]
	s_cbranch_vccz .LBB215_716
; %bb.707:
	v_xor_b32_e32 v5, v1, v2
	v_ffbh_i32_e32 v0, v2
	v_ashrrev_i32_e32 v5, 31, v5
	v_add_u32_e32 v0, -1, v0
	v_add_u32_e32 v5, 32, v5
	v_min_u32_e32 v0, v0, v5
	v_lshlrev_b64 v[5:6], v0, v[1:2]
	v_sub_u32_e32 v0, 32, v0
	v_min_u32_e32 v5, 1, v5
	v_or_b32_e32 v5, v6, v5
	v_cvt_f32_i32_e32 v5, v5
	s_mov_b32 s48, 0x43f00000
	v_ldexp_f32 v0, v5, v0
	v_and_b32_e32 v6, 0x7fffffff, v0
	v_cmp_gt_u32_e32 vcc, s48, v6
                                        ; implicit-def: $vgpr5
	s_and_saveexec_b64 s[48:49], vcc
	s_xor_b64 s[48:49], exec, s[48:49]
	s_cbranch_execz .LBB215_713
; %bb.708:
	s_mov_b32 s52, 0x3c7fffff
	v_cmp_lt_u32_e32 vcc, s52, v6
                                        ; implicit-def: $vgpr5
	s_and_saveexec_b64 s[52:53], vcc
	s_xor_b64 s[52:53], exec, s[52:53]
; %bb.709:
	v_bfe_u32 v5, v0, 20, 1
	s_mov_b32 s54, 0x407ffff
	v_add3_u32 v5, v0, v5, s54
	v_lshrrev_b32_e32 v6, 20, v5
	v_and_b32_e32 v5, 0xff00000, v5
	s_mov_b32 s54, 0x7f00000
	v_mov_b32_e32 v7, 0x7e
	v_cmp_ne_u32_e32 vcc, s54, v5
	v_cndmask_b32_e32 v5, v7, v6, vcc
; %bb.710:
	s_andn2_saveexec_b64 s[52:53], s[52:53]
; %bb.711:
	s_mov_b32 s54, 0x46800000
	v_add_f32_e64 v5, |v0|, s54
; %bb.712:
	s_or_b64 exec, exec, s[52:53]
                                        ; implicit-def: $vgpr6
.LBB215_713:
	s_andn2_saveexec_b64 s[48:49], s[48:49]
; %bb.714:
	s_mov_b32 s52, 0x7f800000
	v_mov_b32_e32 v5, 0x7e
	v_mov_b32_e32 v7, 0x7f
	v_cmp_lt_u32_e32 vcc, s52, v6
	v_cndmask_b32_e32 v5, v5, v7, vcc
; %bb.715:
	s_or_b64 exec, exec, s[48:49]
	v_lshrrev_b32_e32 v0, 24, v0
	s_movk_i32 s48, 0x80
	v_and_or_b32 v0, v0, s48, v5
	global_store_byte v[3:4], v0, off
.LBB215_716:
	s_mov_b64 s[48:49], 0
.LBB215_717:
	s_andn2_b64 vcc, exec, s[48:49]
	s_cbranch_vccnz .LBB215_727
; %bb.718:
	v_xor_b32_e32 v5, v1, v2
	v_ffbh_i32_e32 v0, v2
	v_ashrrev_i32_e32 v5, 31, v5
	v_add_u32_e32 v0, -1, v0
	v_add_u32_e32 v5, 32, v5
	v_min_u32_e32 v0, v0, v5
	v_lshlrev_b64 v[5:6], v0, v[1:2]
	v_sub_u32_e32 v0, 32, v0
	v_min_u32_e32 v5, 1, v5
	v_or_b32_e32 v5, v6, v5
	v_cvt_f32_i32_e32 v5, v5
	s_mov_b32 s48, 0x47800000
	v_ldexp_f32 v0, v5, v0
	v_and_b32_e32 v6, 0x7fffffff, v0
	v_cmp_gt_u32_e32 vcc, s48, v6
                                        ; implicit-def: $vgpr5
	s_and_saveexec_b64 s[48:49], vcc
	s_xor_b64 s[48:49], exec, s[48:49]
	s_cbranch_execz .LBB215_724
; %bb.719:
	s_mov_b32 s52, 0x387fffff
	v_cmp_lt_u32_e32 vcc, s52, v6
                                        ; implicit-def: $vgpr5
	s_and_saveexec_b64 s[52:53], vcc
	s_xor_b64 s[52:53], exec, s[52:53]
; %bb.720:
	v_bfe_u32 v5, v0, 21, 1
	s_mov_b32 s54, 0x80fffff
	v_add3_u32 v5, v0, v5, s54
	v_lshrrev_b32_e32 v5, 21, v5
; %bb.721:
	s_andn2_saveexec_b64 s[52:53], s[52:53]
; %bb.722:
	s_mov_b32 s54, 0x43000000
	v_add_f32_e64 v5, |v0|, s54
; %bb.723:
	s_or_b64 exec, exec, s[52:53]
                                        ; implicit-def: $vgpr6
.LBB215_724:
	s_andn2_saveexec_b64 s[48:49], s[48:49]
; %bb.725:
	s_mov_b32 s52, 0x7f800000
	v_mov_b32_e32 v5, 0x7c
	v_mov_b32_e32 v7, 0x7f
	v_cmp_lt_u32_e32 vcc, s52, v6
	v_cndmask_b32_e32 v5, v5, v7, vcc
; %bb.726:
	s_or_b64 exec, exec, s[48:49]
	v_lshrrev_b32_e32 v0, 24, v0
	s_movk_i32 s48, 0x80
	v_and_or_b32 v0, v0, s48, v5
	global_store_byte v[3:4], v0, off
.LBB215_727:
	s_mov_b64 s[52:53], 0
	s_mov_b64 s[48:49], -1
.LBB215_728:
	s_andn2_b64 vcc, exec, s[52:53]
	s_cbranch_vccnz .LBB215_736
; %bb.729:
	s_cmp_gt_i32 s57, 14
	s_mov_b64 s[52:53], -1
	s_cbranch_scc0 .LBB215_733
; %bb.730:
	s_cmp_eq_u32 s57, 15
	s_mov_b64 s[0:1], -1
	s_cbranch_scc0 .LBB215_732
; %bb.731:
	v_xor_b32_e32 v5, v1, v2
	v_ffbh_i32_e32 v0, v2
	v_ashrrev_i32_e32 v5, 31, v5
	v_add_u32_e32 v0, -1, v0
	v_add_u32_e32 v5, 32, v5
	v_min_u32_e32 v0, v0, v5
	v_lshlrev_b64 v[5:6], v0, v[1:2]
	v_sub_u32_e32 v0, 32, v0
	v_min_u32_e32 v5, 1, v5
	v_or_b32_e32 v5, v6, v5
	v_cvt_f32_i32_e32 v5, v5
	s_movk_i32 s0, 0x7fff
	s_mov_b64 s[48:49], -1
	v_ldexp_f32 v0, v5, v0
	v_bfe_u32 v5, v0, 16, 1
	v_add3_u32 v0, v0, v5, s0
	global_store_short_d16_hi v[3:4], v0, off
	s_mov_b64 s[0:1], 0
.LBB215_732:
	s_mov_b64 s[52:53], 0
.LBB215_733:
	s_and_b64 vcc, exec, s[52:53]
	s_cbranch_vccz .LBB215_736
; %bb.734:
	s_cmp_eq_u32 s57, 11
	s_mov_b64 s[0:1], -1
	s_cbranch_scc0 .LBB215_736
; %bb.735:
	v_cmp_ne_u64_e32 vcc, 0, v[1:2]
	s_mov_b64 s[0:1], 0
	v_cndmask_b32_e64 v0, 0, 1, vcc
	s_mov_b64 s[48:49], -1
	global_store_byte v[3:4], v0, off
.LBB215_736:
	s_mov_b64 s[52:53], 0
.LBB215_737:
	s_and_b64 vcc, exec, s[52:53]
	s_cbranch_vccz .LBB215_776
; %bb.738:
	s_and_b32 s52, 0xffff, s56
	s_cmp_lt_i32 s52, 5
	s_mov_b64 s[48:49], -1
	s_cbranch_scc1 .LBB215_759
; %bb.739:
	s_cmp_lt_i32 s52, 8
	s_cbranch_scc1 .LBB215_749
; %bb.740:
	s_cmp_lt_i32 s52, 9
	s_cbranch_scc1 .LBB215_746
; %bb.741:
	s_cmp_gt_i32 s52, 9
	s_cbranch_scc0 .LBB215_743
; %bb.742:
	v_cvt_f64_i32_e32 v[5:6], v2
	v_cvt_f64_u32_e32 v[7:8], v1
	s_mov_b64 s[48:49], 0
	v_ldexp_f64 v[5:6], v[5:6], 32
	v_add_f64 v[5:6], v[5:6], v[7:8]
	v_mov_b32_e32 v7, 0
	v_mov_b32_e32 v8, v7
	global_store_dwordx4 v[3:4], v[5:8], off
.LBB215_743:
	s_andn2_b64 vcc, exec, s[48:49]
	s_cbranch_vccnz .LBB215_745
; %bb.744:
	v_xor_b32_e32 v5, v1, v2
	v_ffbh_i32_e32 v0, v2
	v_ashrrev_i32_e32 v5, 31, v5
	v_add_u32_e32 v0, -1, v0
	v_add_u32_e32 v5, 32, v5
	v_min_u32_e32 v0, v0, v5
	v_lshlrev_b64 v[5:6], v0, v[1:2]
	v_sub_u32_e32 v0, 32, v0
	v_min_u32_e32 v5, 1, v5
	v_or_b32_e32 v5, v6, v5
	v_cvt_f32_i32_e32 v5, v5
	v_mov_b32_e32 v6, 0
	v_ldexp_f32 v5, v5, v0
	global_store_dwordx2 v[3:4], v[5:6], off
.LBB215_745:
	s_mov_b64 s[48:49], 0
.LBB215_746:
	s_andn2_b64 vcc, exec, s[48:49]
	s_cbranch_vccnz .LBB215_748
; %bb.747:
	v_xor_b32_e32 v5, v1, v2
	v_ffbh_i32_e32 v0, v2
	v_ashrrev_i32_e32 v5, 31, v5
	v_add_u32_e32 v0, -1, v0
	v_add_u32_e32 v5, 32, v5
	v_min_u32_e32 v0, v0, v5
	v_lshlrev_b64 v[5:6], v0, v[1:2]
	v_sub_u32_e32 v0, 32, v0
	v_min_u32_e32 v5, 1, v5
	v_or_b32_e32 v5, v6, v5
	v_cvt_f32_i32_e32 v5, v5
	v_ldexp_f32 v0, v5, v0
	v_cvt_f16_f32_e32 v0, v0
	global_store_dword v[3:4], v0, off
.LBB215_748:
	s_mov_b64 s[48:49], 0
.LBB215_749:
	s_andn2_b64 vcc, exec, s[48:49]
	s_cbranch_vccnz .LBB215_758
; %bb.750:
	s_cmp_lt_i32 s52, 6
	s_mov_b64 s[48:49], -1
	s_cbranch_scc1 .LBB215_756
; %bb.751:
	s_cmp_gt_i32 s52, 6
	s_cbranch_scc0 .LBB215_753
; %bb.752:
	v_cvt_f64_i32_e32 v[5:6], v2
	v_cvt_f64_u32_e32 v[7:8], v1
	s_mov_b64 s[48:49], 0
	v_ldexp_f64 v[5:6], v[5:6], 32
	v_add_f64 v[5:6], v[5:6], v[7:8]
	global_store_dwordx2 v[3:4], v[5:6], off
.LBB215_753:
	s_andn2_b64 vcc, exec, s[48:49]
	s_cbranch_vccnz .LBB215_755
; %bb.754:
	v_xor_b32_e32 v5, v1, v2
	v_ffbh_i32_e32 v0, v2
	v_ashrrev_i32_e32 v5, 31, v5
	v_add_u32_e32 v0, -1, v0
	v_add_u32_e32 v5, 32, v5
	v_min_u32_e32 v0, v0, v5
	v_lshlrev_b64 v[5:6], v0, v[1:2]
	v_sub_u32_e32 v0, 32, v0
	v_min_u32_e32 v5, 1, v5
	v_or_b32_e32 v5, v6, v5
	v_cvt_f32_i32_e32 v5, v5
	v_ldexp_f32 v0, v5, v0
	global_store_dword v[3:4], v0, off
.LBB215_755:
	s_mov_b64 s[48:49], 0
.LBB215_756:
	s_andn2_b64 vcc, exec, s[48:49]
	s_cbranch_vccnz .LBB215_758
; %bb.757:
	v_xor_b32_e32 v5, v1, v2
	v_ffbh_i32_e32 v0, v2
	v_ashrrev_i32_e32 v5, 31, v5
	v_add_u32_e32 v0, -1, v0
	v_add_u32_e32 v5, 32, v5
	v_min_u32_e32 v0, v0, v5
	v_lshlrev_b64 v[5:6], v0, v[1:2]
	v_sub_u32_e32 v0, 32, v0
	v_min_u32_e32 v5, 1, v5
	v_or_b32_e32 v5, v6, v5
	v_cvt_f32_i32_e32 v5, v5
	v_ldexp_f32 v0, v5, v0
	v_cvt_f16_f32_e32 v0, v0
	global_store_short v[3:4], v0, off
.LBB215_758:
	s_mov_b64 s[48:49], 0
.LBB215_759:
	s_andn2_b64 vcc, exec, s[48:49]
	s_cbranch_vccnz .LBB215_775
; %bb.760:
	s_cmp_lt_i32 s52, 2
	s_mov_b64 s[48:49], -1
	s_cbranch_scc1 .LBB215_770
; %bb.761:
	s_cmp_lt_i32 s52, 3
	s_cbranch_scc1 .LBB215_767
; %bb.762:
	s_cmp_gt_i32 s52, 3
	s_cbranch_scc0 .LBB215_764
; %bb.763:
	s_mov_b64 s[48:49], 0
	global_store_dwordx2 v[3:4], v[1:2], off
.LBB215_764:
	s_andn2_b64 vcc, exec, s[48:49]
	s_cbranch_vccnz .LBB215_766
; %bb.765:
	global_store_dword v[3:4], v1, off
.LBB215_766:
	s_mov_b64 s[48:49], 0
.LBB215_767:
	s_andn2_b64 vcc, exec, s[48:49]
	s_cbranch_vccnz .LBB215_769
; %bb.768:
	global_store_short v[3:4], v1, off
.LBB215_769:
	s_mov_b64 s[48:49], 0
.LBB215_770:
	s_andn2_b64 vcc, exec, s[48:49]
	s_cbranch_vccnz .LBB215_775
; %bb.771:
	s_cmp_gt_i32 s52, 0
	s_mov_b64 s[48:49], -1
	s_cbranch_scc0 .LBB215_773
; %bb.772:
	s_mov_b64 s[48:49], 0
	global_store_byte v[3:4], v1, off
.LBB215_773:
	s_andn2_b64 vcc, exec, s[48:49]
	s_cbranch_vccnz .LBB215_775
; %bb.774:
	global_store_byte v[3:4], v1, off
.LBB215_775:
	s_mov_b64 s[48:49], -1
.LBB215_776:
	s_andn2_b64 vcc, exec, s[48:49]
	s_cbranch_vccnz .LBB215_788
; %bb.777:
	v_add_u32_e32 v10, 0x80, v10
	s_mov_b64 s[52:53], -1
.LBB215_778:
	s_andn2_b64 s[48:49], s[36:37], exec
	s_and_b64 s[0:1], s[0:1], exec
	s_or_b64 s[48:49], s[48:49], s[0:1]
	s_andn2_b64 s[0:1], s[38:39], exec
	s_and_b64 s[46:47], s[46:47], exec
	s_or_b64 s[46:47], s[0:1], s[46:47]
	;; [unrolled: 3-line block ×3, first 2 shown]
	s_orn2_b64 s[0:1], s[52:53], exec
.LBB215_779:
	s_or_b64 exec, exec, s[50:51]
	s_mov_b64 s[52:53], 0
	s_mov_b64 s[54:55], 0
	;; [unrolled: 1-line block ×3, first 2 shown]
                                        ; implicit-def: $sgpr73
                                        ; implicit-def: $vgpr4_vgpr5
                                        ; implicit-def: $vgpr0
                                        ; implicit-def: $vgpr3
                                        ; implicit-def: $vgpr1_vgpr2
	s_and_saveexec_b64 s[50:51], s[0:1]
	s_cbranch_execz .LBB215_1264
; %bb.780:
	v_cmp_gt_i32_e32 vcc, s66, v10
	s_mov_b64 s[64:65], -1
	s_mov_b64 s[0:1], s[44:45]
	s_mov_b64 s[56:57], s[46:47]
	;; [unrolled: 1-line block ×3, first 2 shown]
	s_and_saveexec_b64 s[52:53], vcc
	s_cbranch_execz .LBB215_1172
; %bb.781:
	s_andn2_b64 vcc, exec, s[20:21]
	s_cbranch_vccnz .LBB215_787
; %bb.782:
	s_andn2_b64 vcc, exec, s[34:35]
	s_cbranch_vccnz .LBB215_789
; %bb.783:
	s_add_i32 s0, s72, 1
	s_and_b32 s54, s0, 30
	s_add_u32 s0, s2, 0xffffffe8
	s_addc_u32 s1, s3, -1
	v_mov_b32_e32 v3, 0
	s_waitcnt vmcnt(0)
	v_mov_b32_e32 v5, 0
	v_mov_b32_e32 v0, 0
	;; [unrolled: 1-line block ×3, first 2 shown]
.LBB215_784:                            ; =>This Inner Loop Header: Depth=1
	s_load_dwordx4 s[56:59], s[0:1], 0x1c
	s_load_dwordx2 s[64:65], s[0:1], 0x2c
	s_load_dwordx2 s[74:75], s[0:1], 0xec
	s_load_dwordx4 s[60:63], s[0:1], 0xdc
	s_add_u32 s0, s0, 24
	s_waitcnt lgkmcnt(0)
	v_mul_hi_u32 v2, s57, v1
	s_addc_u32 s1, s1, 0
	s_add_i32 s54, s54, -2
	s_cmp_eq_u32 s54, 0
	v_add_u32_e32 v2, v1, v2
	v_lshrrev_b32_e32 v2, s58, v2
	v_mul_lo_u32 v4, v2, s56
	v_mul_hi_u32 v6, s64, v2
	v_sub_u32_e32 v4, v1, v4
	v_add_u32_e32 v1, v2, v6
	v_lshrrev_b32_e32 v1, s65, v1
	v_mul_lo_u32 v8, v1, s59
	v_mul_lo_u32 v6, v4, s60
	;; [unrolled: 1-line block ×4, first 2 shown]
	v_sub_u32_e32 v2, v2, v8
	v_mul_lo_u32 v8, v2, s63
	v_mul_lo_u32 v9, v2, s74
	;; [unrolled: 1-line block ×3, first 2 shown]
	v_add3_u32 v0, v6, v0, v8
	v_add3_u32 v5, v7, v5, v9
	;; [unrolled: 1-line block ×3, first 2 shown]
	s_cbranch_scc0 .LBB215_784
; %bb.785:
	s_bitcmp1_b32 s72, 0
	s_cselect_b64 s[54:55], -1, 0
	s_and_b64 vcc, exec, s[54:55]
	s_cbranch_vccnz .LBB215_790
; %bb.786:
	s_load_dwordx2 s[54:55], s[0:1], 0x1c
	s_load_dword s58, s[0:1], 0x24
	s_load_dwordx2 s[56:57], s[0:1], 0xdc
	s_waitcnt lgkmcnt(0)
	v_mul_hi_u32 v2, s55, v1
	v_add_u32_e32 v2, v1, v2
	v_lshrrev_b32_e32 v2, s58, v2
	v_mul_lo_u32 v2, v2, s54
	s_load_dword s54, s[0:1], 0xe4
	v_sub_u32_e32 v2, v1, v2
	v_mad_u64_u32 v[0:1], s[0:1], v2, s56, v[0:1]
	v_mad_u64_u32 v[5:6], s[0:1], v2, s57, v[5:6]
	s_waitcnt lgkmcnt(0)
	v_mad_u64_u32 v[3:4], s[0:1], v2, s54, v[3:4]
	s_branch .LBB215_790
.LBB215_787:
	s_mov_b64 s[0:1], -1
                                        ; implicit-def: $vgpr0
                                        ; implicit-def: $vgpr5
                                        ; implicit-def: $vgpr3
	s_branch .LBB215_791
.LBB215_788:
	s_mov_b64 s[52:53], 0
	s_branch .LBB215_540
.LBB215_789:
	v_mov_b32_e32 v0, 0
	s_waitcnt vmcnt(0)
	v_mov_b32_e32 v5, 0
	v_mov_b32_e32 v3, 0
.LBB215_790:
	s_mov_b64 s[0:1], 0
.LBB215_791:
	s_andn2_b64 vcc, exec, s[0:1]
	s_cbranch_vccnz .LBB215_794
; %bb.792:
	s_waitcnt lgkmcnt(0)
	v_mul_hi_u32 v0, s17, v10
	s_andn2_b64 vcc, exec, s[30:31]
	v_add_u32_e32 v0, v10, v0
	s_waitcnt vmcnt(0)
	v_lshrrev_b32_e32 v1, s18, v0
	v_mul_lo_u32 v0, v1, s16
	v_sub_u32_e32 v2, v10, v0
	v_mul_lo_u32 v0, v2, s12
	v_mul_lo_u32 v5, v2, s13
	;; [unrolled: 1-line block ×3, first 2 shown]
	s_cbranch_vccnz .LBB215_794
; %bb.793:
	v_mul_hi_u32 v2, s28, v1
	v_add_u32_e32 v2, v1, v2
	v_lshrrev_b32_e32 v2, s29, v2
	v_mul_lo_u32 v2, v2, s19
	v_sub_u32_e32 v2, v1, v2
	v_mad_u64_u32 v[0:1], s[0:1], v2, s15, v[0:1]
	v_mad_u64_u32 v[5:6], s[0:1], v2, s26, v[5:6]
	;; [unrolled: 1-line block ×3, first 2 shown]
.LBB215_794:
	s_waitcnt vmcnt(0) lgkmcnt(0)
	v_mov_b32_e32 v1, s11
	s_and_b32 s58, s71, 0xff
	v_add_co_u32_e32 v4, vcc, s10, v5
	s_cmp_lt_i32 s58, 11
	v_addc_co_u32_e32 v5, vcc, 0, v1, vcc
	s_cbranch_scc1 .LBB215_801
; %bb.795:
	s_and_b32 s59, 0xffff, s58
	s_cmp_gt_i32 s59, 25
	s_cbranch_scc0 .LBB215_802
; %bb.796:
	s_cmp_gt_i32 s59, 28
	s_cbranch_scc0 .LBB215_803
; %bb.797:
	;; [unrolled: 3-line block ×4, first 2 shown]
	s_cmp_eq_u32 s59, 46
	s_mov_b64 s[56:57], 0
	s_cbranch_scc0 .LBB215_808
; %bb.800:
	global_load_dword v1, v[4:5], off
	s_mov_b32 s0, 0x2f800000
	s_mov_b32 s1, 0xcf800000
	s_mov_b64 s[54:55], 0
	s_waitcnt vmcnt(0)
	v_lshlrev_b32_e32 v1, 16, v1
	v_trunc_f32_e32 v1, v1
	v_mul_f32_e64 v2, |v1|, s0
	v_floor_f32_e32 v2, v2
	v_fma_f32 v6, v2, s1, |v1|
	v_cvt_u32_f32_e32 v6, v6
	v_cvt_u32_f32_e32 v2, v2
	v_ashrrev_i32_e32 v7, 31, v1
	s_mov_b64 s[0:1], -1
	v_xor_b32_e32 v1, v6, v7
	v_xor_b32_e32 v2, v2, v7
	v_sub_co_u32_e32 v1, vcc, v1, v7
	v_subb_co_u32_e32 v2, vcc, v2, v7, vcc
	s_branch .LBB215_809
.LBB215_801:
	s_mov_b64 s[56:57], -1
	s_mov_b64 s[0:1], 0
                                        ; implicit-def: $vgpr1_vgpr2
	s_mov_b64 s[54:55], s[44:45]
	s_branch .LBB215_870
.LBB215_802:
	s_mov_b64 s[56:57], -1
	s_mov_b64 s[0:1], 0
	s_mov_b64 s[54:55], s[44:45]
                                        ; implicit-def: $vgpr1_vgpr2
	s_branch .LBB215_838
.LBB215_803:
	s_mov_b64 s[56:57], -1
	s_mov_b64 s[0:1], 0
	s_mov_b64 s[54:55], s[44:45]
                                        ; implicit-def: $vgpr1_vgpr2
	s_branch .LBB215_819
.LBB215_804:
	s_mov_b64 s[56:57], -1
	s_mov_b64 s[0:1], 0
	s_mov_b64 s[54:55], s[44:45]
                                        ; implicit-def: $vgpr1_vgpr2
	s_branch .LBB215_814
.LBB215_805:
	s_mov_b64 s[56:57], -1
	s_mov_b64 s[0:1], 0
	s_mov_b64 s[54:55], s[44:45]
                                        ; implicit-def: $vgpr1_vgpr2
	s_branch .LBB215_809
.LBB215_806:
	s_andn2_saveexec_b64 s[54:55], s[54:55]
	s_cbranch_execz .LBB215_689
.LBB215_807:
	s_mov_b32 s58, 0x46000000
	v_add_f32_e64 v5, |v0|, s58
	v_and_b32_e32 v5, 0xff, v5
	v_cmp_ne_u32_e32 vcc, 0, v5
	s_andn2_b64 s[52:53], s[52:53], exec
	s_and_b64 s[58:59], vcc, exec
	s_or_b64 s[52:53], s[52:53], s[58:59]
	s_or_b64 exec, exec, s[54:55]
	v_mov_b32_e32 v6, 0
	s_and_saveexec_b64 s[54:55], s[52:53]
	s_cbranch_execnz .LBB215_690
	s_branch .LBB215_691
.LBB215_808:
	s_mov_b64 s[54:55], -1
                                        ; implicit-def: $vgpr1_vgpr2
	s_mov_b64 s[0:1], 0
.LBB215_809:
	s_and_b64 vcc, exec, s[56:57]
	s_cbranch_vccz .LBB215_813
; %bb.810:
	s_cmp_eq_u32 s59, 44
	s_cbranch_scc0 .LBB215_812
; %bb.811:
	global_load_ubyte v1, v[4:5], off
	s_mov_b32 s0, 0x2f800000
	s_mov_b32 s1, 0xcf800000
	s_mov_b64 s[54:55], 0
	s_waitcnt vmcnt(0)
	v_lshlrev_b32_e32 v2, 23, v1
	v_trunc_f32_e32 v2, v2
	v_mul_f32_e64 v6, |v2|, s0
	v_floor_f32_e32 v6, v6
	v_fma_f32 v7, v6, s1, |v2|
	v_cvt_u32_f32_e32 v7, v7
	v_cvt_u32_f32_e32 v6, v6
	v_ashrrev_i32_e32 v2, 31, v2
	s_mov_b64 s[0:1], -1
	v_xor_b32_e32 v7, v7, v2
	v_xor_b32_e32 v6, v6, v2
	v_sub_co_u32_e32 v7, vcc, v7, v2
	v_subb_co_u32_e32 v2, vcc, v6, v2, vcc
	v_cmp_ne_u32_e32 vcc, 0, v1
	v_cndmask_b32_e32 v2, 0, v2, vcc
	v_cndmask_b32_e32 v1, 0, v7, vcc
	s_branch .LBB215_813
.LBB215_812:
	s_mov_b64 s[54:55], -1
                                        ; implicit-def: $vgpr1_vgpr2
.LBB215_813:
	s_mov_b64 s[56:57], 0
.LBB215_814:
	s_and_b64 vcc, exec, s[56:57]
	s_cbranch_vccz .LBB215_818
; %bb.815:
	s_cmp_eq_u32 s59, 29
	s_cbranch_scc0 .LBB215_817
; %bb.816:
	global_load_dwordx2 v[1:2], v[4:5], off
	s_mov_b64 s[0:1], -1
	s_mov_b64 s[54:55], 0
	s_branch .LBB215_818
.LBB215_817:
	s_mov_b64 s[54:55], -1
                                        ; implicit-def: $vgpr1_vgpr2
.LBB215_818:
	s_mov_b64 s[56:57], 0
.LBB215_819:
	s_and_b64 vcc, exec, s[56:57]
	s_cbranch_vccz .LBB215_837
; %bb.820:
	s_cmp_lt_i32 s59, 27
	s_cbranch_scc1 .LBB215_823
; %bb.821:
	s_cmp_gt_i32 s59, 27
	s_cbranch_scc0 .LBB215_824
; %bb.822:
	global_load_dword v1, v[4:5], off
	s_waitcnt vmcnt(1)
	v_mov_b32_e32 v2, 0
	s_mov_b64 s[0:1], 0
	s_branch .LBB215_825
.LBB215_823:
	s_mov_b64 s[0:1], -1
                                        ; implicit-def: $vgpr1_vgpr2
	s_branch .LBB215_828
.LBB215_824:
	s_mov_b64 s[0:1], -1
                                        ; implicit-def: $vgpr1_vgpr2
.LBB215_825:
	s_andn2_b64 vcc, exec, s[0:1]
	s_cbranch_vccnz .LBB215_827
; %bb.826:
	global_load_ushort v1, v[4:5], off
	s_mov_b32 s0, 0
	s_waitcnt vmcnt(1)
	v_mov_b32_e32 v2, s0
	s_waitcnt vmcnt(0)
	v_and_b32_e32 v1, 0xffff, v1
.LBB215_827:
	s_mov_b64 s[0:1], 0
.LBB215_828:
	s_andn2_b64 vcc, exec, s[0:1]
	s_cbranch_vccnz .LBB215_836
; %bb.829:
	global_load_ubyte v6, v[4:5], off
	s_movk_i32 s0, 0x7f
	s_mov_b64 s[56:57], 0
	s_waitcnt vmcnt(0)
	v_cmp_lt_i16_e32 vcc, s0, v6
	s_and_saveexec_b64 s[0:1], vcc
	s_xor_b64 s[0:1], exec, s[0:1]
; %bb.830:
	s_movk_i32 s56, 0x80
	v_cmp_ne_u16_e32 vcc, s56, v6
	s_and_b64 s[56:57], vcc, exec
; %bb.831:
	s_andn2_saveexec_b64 s[0:1], s[0:1]
; %bb.832:
	v_cmp_ne_u16_e32 vcc, 0, v6
	s_andn2_b64 s[56:57], s[56:57], exec
	s_and_b64 s[60:61], vcc, exec
	s_or_b64 s[56:57], s[56:57], s[60:61]
; %bb.833:
	s_or_b64 exec, exec, s[0:1]
	v_mov_b32_e32 v1, 0
	v_mov_b32_e32 v2, 0
	s_and_saveexec_b64 s[0:1], s[56:57]
	s_cbranch_execz .LBB215_835
; %bb.834:
	v_and_b32_e32 v2, 0xffff, v6
	v_lshlrev_b32_e32 v1, 24, v6
	v_and_b32_e32 v6, 7, v2
	v_ffbh_u32_e32 v8, v6
	v_min_u32_e32 v8, 32, v8
	v_subrev_u32_e32 v9, 28, v8
	v_bfe_u32 v7, v2, 3, 4
	v_lshlrev_b32_e32 v2, v9, v2
	v_sub_u32_e32 v8, 29, v8
	v_and_b32_e32 v2, 7, v2
	v_cmp_eq_u32_e32 vcc, 0, v7
	v_cndmask_b32_e32 v7, v7, v8, vcc
	v_cndmask_b32_e32 v2, v6, v2, vcc
	v_mov_b32_e32 v6, 0x3b800000
	v_lshlrev_b32_e32 v2, 20, v2
	v_and_b32_e32 v1, 0x80000000, v1
	v_lshl_add_u32 v6, v7, 23, v6
	v_or3_b32 v1, v1, v6, v2
	v_trunc_f32_e32 v1, v1
	s_mov_b32 s56, 0x2f800000
	v_mul_f32_e64 v2, |v1|, s56
	v_floor_f32_e32 v2, v2
	s_mov_b32 s56, 0xcf800000
	v_fma_f32 v6, v2, s56, |v1|
	v_cvt_u32_f32_e32 v6, v6
	v_cvt_u32_f32_e32 v2, v2
	v_ashrrev_i32_e32 v7, 31, v1
	v_xor_b32_e32 v1, v6, v7
	v_xor_b32_e32 v2, v2, v7
	v_sub_co_u32_e32 v1, vcc, v1, v7
	v_subb_co_u32_e32 v2, vcc, v2, v7, vcc
.LBB215_835:
	s_or_b64 exec, exec, s[0:1]
.LBB215_836:
	s_mov_b64 s[0:1], -1
.LBB215_837:
	s_mov_b64 s[56:57], 0
.LBB215_838:
	s_and_b64 vcc, exec, s[56:57]
	s_cbranch_vccz .LBB215_869
; %bb.839:
	s_cmp_gt_i32 s59, 22
	s_cbranch_scc0 .LBB215_849
; %bb.840:
	s_cmp_lt_i32 s59, 24
	s_cbranch_scc1 .LBB215_850
; %bb.841:
	s_cmp_gt_i32 s59, 24
	s_cbranch_scc0 .LBB215_851
; %bb.842:
	global_load_ubyte v6, v[4:5], off
	s_movk_i32 s0, 0x7f
	s_mov_b64 s[56:57], 0
	s_waitcnt vmcnt(0)
	v_cmp_lt_i16_e32 vcc, s0, v6
	s_and_saveexec_b64 s[0:1], vcc
	s_xor_b64 s[0:1], exec, s[0:1]
; %bb.843:
	s_movk_i32 s56, 0x80
	v_cmp_ne_u16_e32 vcc, s56, v6
	s_and_b64 s[56:57], vcc, exec
; %bb.844:
	s_andn2_saveexec_b64 s[0:1], s[0:1]
; %bb.845:
	v_cmp_ne_u16_e32 vcc, 0, v6
	s_andn2_b64 s[56:57], s[56:57], exec
	s_and_b64 s[60:61], vcc, exec
	s_or_b64 s[56:57], s[56:57], s[60:61]
; %bb.846:
	s_or_b64 exec, exec, s[0:1]
	v_mov_b32_e32 v1, 0
	v_mov_b32_e32 v2, 0
	s_and_saveexec_b64 s[0:1], s[56:57]
	s_cbranch_execz .LBB215_848
; %bb.847:
	v_and_b32_e32 v2, 0xffff, v6
	v_lshlrev_b32_e32 v1, 24, v6
	v_and_b32_e32 v6, 3, v2
	v_ffbh_u32_e32 v8, v6
	v_min_u32_e32 v8, 32, v8
	v_subrev_u32_e32 v9, 29, v8
	v_bfe_u32 v7, v2, 2, 5
	v_lshlrev_b32_e32 v2, v9, v2
	v_sub_u32_e32 v8, 30, v8
	v_and_b32_e32 v2, 3, v2
	v_cmp_eq_u32_e32 vcc, 0, v7
	v_cndmask_b32_e32 v7, v7, v8, vcc
	v_cndmask_b32_e32 v2, v6, v2, vcc
	v_mov_b32_e32 v6, 0x37800000
	v_lshlrev_b32_e32 v2, 21, v2
	v_and_b32_e32 v1, 0x80000000, v1
	v_lshl_add_u32 v6, v7, 23, v6
	v_or3_b32 v1, v1, v6, v2
	v_trunc_f32_e32 v1, v1
	s_mov_b32 s56, 0x2f800000
	v_mul_f32_e64 v2, |v1|, s56
	v_floor_f32_e32 v2, v2
	s_mov_b32 s56, 0xcf800000
	v_fma_f32 v6, v2, s56, |v1|
	v_cvt_u32_f32_e32 v6, v6
	v_cvt_u32_f32_e32 v2, v2
	v_ashrrev_i32_e32 v7, 31, v1
	v_xor_b32_e32 v1, v6, v7
	v_xor_b32_e32 v2, v2, v7
	v_sub_co_u32_e32 v1, vcc, v1, v7
	v_subb_co_u32_e32 v2, vcc, v2, v7, vcc
.LBB215_848:
	s_or_b64 exec, exec, s[0:1]
	s_mov_b64 s[0:1], 0
	s_branch .LBB215_852
.LBB215_849:
	s_mov_b64 s[56:57], -1
                                        ; implicit-def: $vgpr1_vgpr2
	s_branch .LBB215_858
.LBB215_850:
	s_mov_b64 s[0:1], -1
                                        ; implicit-def: $vgpr1_vgpr2
	s_branch .LBB215_855
.LBB215_851:
	s_mov_b64 s[0:1], -1
                                        ; implicit-def: $vgpr1_vgpr2
.LBB215_852:
	s_and_b64 vcc, exec, s[0:1]
	s_cbranch_vccz .LBB215_854
; %bb.853:
	global_load_ubyte v1, v[4:5], off
	s_mov_b32 s0, 0x7f800000
	s_brev_b32 s1, 1
	s_mov_b32 s56, 0x2f800000
	s_mov_b32 s57, 0xcf800000
	s_waitcnt vmcnt(0)
	v_lshlrev_b32_e32 v1, 24, v1
	v_and_b32_e32 v2, 0x7f000000, v1
	v_ffbh_u32_e32 v6, v2
	v_min_u32_e32 v6, 32, v6
	v_sub_u32_e64 v6, v6, 4 clamp
	v_lshlrev_b32_e32 v8, v6, v2
	v_lshlrev_b32_e32 v6, 23, v6
	v_lshrrev_b32_e32 v8, 4, v8
	v_add_u32_e32 v7, 0x1000000, v2
	v_sub_u32_e32 v6, v8, v6
	v_ashrrev_i32_e32 v7, 8, v7
	v_add_u32_e32 v6, 0x3c000000, v6
	v_and_or_b32 v6, v7, s0, v6
	v_cmp_ne_u32_e32 vcc, 0, v2
	v_cndmask_b32_e32 v2, 0, v6, vcc
	v_and_or_b32 v1, v1, s1, v2
	v_trunc_f32_e32 v1, v1
	v_mul_f32_e64 v2, |v1|, s56
	v_floor_f32_e32 v2, v2
	v_fma_f32 v6, v2, s57, |v1|
	v_cvt_u32_f32_e32 v6, v6
	v_cvt_u32_f32_e32 v2, v2
	v_ashrrev_i32_e32 v7, 31, v1
	v_xor_b32_e32 v1, v6, v7
	v_xor_b32_e32 v2, v2, v7
	v_sub_co_u32_e32 v1, vcc, v1, v7
	v_subb_co_u32_e32 v2, vcc, v2, v7, vcc
.LBB215_854:
	s_mov_b64 s[0:1], 0
.LBB215_855:
	s_andn2_b64 vcc, exec, s[0:1]
	s_cbranch_vccnz .LBB215_857
; %bb.856:
	global_load_ubyte v1, v[4:5], off
	s_movk_i32 s0, 0x7f00
	s_brev_b32 s1, 16
	s_brev_b32 s56, 1
	s_mov_b32 s57, 0x2f800000
	s_mov_b32 s60, 0xcf800000
	s_waitcnt vmcnt(0)
	v_lshlrev_b16_e32 v2, 8, v1
	v_lshlrev_b32_e32 v1, 25, v1
	v_lshrrev_b32_e32 v6, 4, v1
	v_and_or_b32 v7, v2, s0, 0.5
	v_or_b32_e32 v6, 0x70000000, v6
	v_add_f32_e32 v7, -0.5, v7
	v_mul_f32_e32 v6, 0x7800000, v6
	v_cmp_gt_u32_e32 vcc, s1, v1
	v_bfe_i32 v2, v2, 0, 16
	v_cndmask_b32_e32 v1, v6, v7, vcc
	v_and_or_b32 v1, v2, s56, v1
	v_trunc_f32_e32 v1, v1
	v_mul_f32_e64 v2, |v1|, s57
	v_floor_f32_e32 v2, v2
	v_fma_f32 v6, v2, s60, |v1|
	v_cvt_u32_f32_e32 v6, v6
	v_cvt_u32_f32_e32 v2, v2
	v_ashrrev_i32_e32 v7, 31, v1
	v_xor_b32_e32 v1, v6, v7
	v_xor_b32_e32 v2, v2, v7
	v_sub_co_u32_e32 v1, vcc, v1, v7
	v_subb_co_u32_e32 v2, vcc, v2, v7, vcc
.LBB215_857:
	s_mov_b64 s[56:57], 0
	s_mov_b64 s[0:1], -1
.LBB215_858:
	s_andn2_b64 vcc, exec, s[56:57]
	s_cbranch_vccnz .LBB215_869
; %bb.859:
	s_cmp_gt_i32 s59, 14
	s_cbranch_scc0 .LBB215_862
; %bb.860:
	s_cmp_eq_u32 s59, 15
	s_cbranch_scc0 .LBB215_863
; %bb.861:
	global_load_ushort v1, v[4:5], off
	s_mov_b32 s0, 0x2f800000
	s_mov_b32 s1, 0xcf800000
	s_mov_b64 s[54:55], 0
	s_waitcnt vmcnt(0)
	v_lshlrev_b32_e32 v1, 16, v1
	v_trunc_f32_e32 v1, v1
	v_mul_f32_e64 v2, |v1|, s0
	v_floor_f32_e32 v2, v2
	v_fma_f32 v6, v2, s1, |v1|
	v_cvt_u32_f32_e32 v6, v6
	v_cvt_u32_f32_e32 v2, v2
	v_ashrrev_i32_e32 v7, 31, v1
	s_mov_b64 s[0:1], -1
	v_xor_b32_e32 v1, v6, v7
	v_xor_b32_e32 v2, v2, v7
	v_sub_co_u32_e32 v1, vcc, v1, v7
	v_subb_co_u32_e32 v2, vcc, v2, v7, vcc
	s_branch .LBB215_864
.LBB215_862:
	s_mov_b64 s[56:57], -1
                                        ; implicit-def: $vgpr1_vgpr2
	s_branch .LBB215_865
.LBB215_863:
	s_mov_b64 s[54:55], -1
                                        ; implicit-def: $vgpr1_vgpr2
.LBB215_864:
	s_mov_b64 s[56:57], 0
.LBB215_865:
	s_and_b64 vcc, exec, s[56:57]
	s_cbranch_vccz .LBB215_869
; %bb.866:
	s_cmp_eq_u32 s59, 11
	s_cbranch_scc0 .LBB215_868
; %bb.867:
	global_load_ubyte v1, v[4:5], off
	s_mov_b32 s54, 0
	s_mov_b64 s[0:1], -1
	s_waitcnt vmcnt(1)
	v_mov_b32_e32 v2, s54
	s_mov_b64 s[54:55], 0
	s_waitcnt vmcnt(0)
	v_cmp_ne_u16_e32 vcc, 0, v1
	v_cndmask_b32_e64 v1, 0, 1, vcc
	s_branch .LBB215_869
.LBB215_868:
	s_mov_b64 s[54:55], -1
                                        ; implicit-def: $vgpr1_vgpr2
.LBB215_869:
	s_mov_b64 s[56:57], 0
.LBB215_870:
	s_and_b64 vcc, exec, s[56:57]
	s_cbranch_vccz .LBB215_919
; %bb.871:
	s_and_b32 s56, 0xffff, s58
	s_cmp_lt_i32 s56, 5
	s_cbranch_scc1 .LBB215_876
; %bb.872:
	s_cmp_lt_i32 s56, 8
	s_cbranch_scc1 .LBB215_877
; %bb.873:
	;; [unrolled: 3-line block ×3, first 2 shown]
	s_cmp_gt_i32 s56, 9
	s_cbranch_scc0 .LBB215_879
; %bb.875:
	global_load_dwordx2 v[1:2], v[4:5], off
	s_movk_i32 s0, 0xffe0
	s_waitcnt vmcnt(0)
	v_trunc_f64_e32 v[1:2], v[1:2]
	v_ldexp_f64 v[6:7], v[1:2], s0
	s_mov_b32 s0, 0
	s_mov_b32 s1, 0xc1f00000
	v_floor_f64_e32 v[6:7], v[6:7]
	v_fma_f64 v[8:9], v[6:7], s[0:1], v[1:2]
	v_cvt_i32_f64_e32 v2, v[6:7]
	s_mov_b64 s[0:1], 0
	v_cvt_u32_f64_e32 v1, v[8:9]
	s_branch .LBB215_880
.LBB215_876:
	s_mov_b64 s[0:1], -1
                                        ; implicit-def: $vgpr1_vgpr2
	s_branch .LBB215_898
.LBB215_877:
	s_mov_b64 s[0:1], -1
                                        ; implicit-def: $vgpr1_vgpr2
	s_branch .LBB215_886
.LBB215_878:
	s_mov_b64 s[0:1], -1
                                        ; implicit-def: $vgpr1_vgpr2
	s_branch .LBB215_883
.LBB215_879:
	s_mov_b64 s[0:1], -1
                                        ; implicit-def: $vgpr1_vgpr2
.LBB215_880:
	s_andn2_b64 vcc, exec, s[0:1]
	s_cbranch_vccnz .LBB215_882
; %bb.881:
	global_load_dword v1, v[4:5], off
	s_mov_b32 s0, 0x2f800000
	s_mov_b32 s1, 0xcf800000
	s_waitcnt vmcnt(0)
	v_trunc_f32_e32 v1, v1
	v_mul_f32_e64 v2, |v1|, s0
	v_floor_f32_e32 v2, v2
	v_cvt_u32_f32_e32 v6, v2
	v_fma_f32 v2, v2, s1, |v1|
	v_cvt_u32_f32_e32 v2, v2
	v_ashrrev_i32_e32 v7, 31, v1
	v_xor_b32_e32 v6, v6, v7
	v_xor_b32_e32 v1, v2, v7
	v_sub_co_u32_e32 v1, vcc, v1, v7
	v_subb_co_u32_e32 v2, vcc, v6, v7, vcc
.LBB215_882:
	s_mov_b64 s[0:1], 0
.LBB215_883:
	s_andn2_b64 vcc, exec, s[0:1]
	s_cbranch_vccnz .LBB215_885
; %bb.884:
	global_load_dword v1, v[4:5], off
	s_waitcnt vmcnt(0)
	v_cvt_f32_f16_e32 v1, v1
	v_cvt_i32_f32_e32 v1, v1
	v_ashrrev_i32_e32 v2, 31, v1
.LBB215_885:
	s_mov_b64 s[0:1], 0
.LBB215_886:
	s_andn2_b64 vcc, exec, s[0:1]
	s_cbranch_vccnz .LBB215_897
; %bb.887:
	s_cmp_lt_i32 s56, 6
	s_cbranch_scc1 .LBB215_890
; %bb.888:
	s_cmp_gt_i32 s56, 6
	s_cbranch_scc0 .LBB215_891
; %bb.889:
	global_load_dwordx2 v[1:2], v[4:5], off
	s_movk_i32 s0, 0xffe0
	s_waitcnt vmcnt(0)
	v_trunc_f64_e32 v[1:2], v[1:2]
	v_ldexp_f64 v[6:7], v[1:2], s0
	s_mov_b32 s0, 0
	s_mov_b32 s1, 0xc1f00000
	v_floor_f64_e32 v[6:7], v[6:7]
	v_fma_f64 v[8:9], v[6:7], s[0:1], v[1:2]
	v_cvt_i32_f64_e32 v2, v[6:7]
	s_mov_b64 s[0:1], 0
	v_cvt_u32_f64_e32 v1, v[8:9]
	s_branch .LBB215_892
.LBB215_890:
	s_mov_b64 s[0:1], -1
                                        ; implicit-def: $vgpr1_vgpr2
	s_branch .LBB215_895
.LBB215_891:
	s_mov_b64 s[0:1], -1
                                        ; implicit-def: $vgpr1_vgpr2
.LBB215_892:
	s_andn2_b64 vcc, exec, s[0:1]
	s_cbranch_vccnz .LBB215_894
; %bb.893:
	global_load_dword v1, v[4:5], off
	s_mov_b32 s0, 0x2f800000
	s_mov_b32 s1, 0xcf800000
	s_waitcnt vmcnt(0)
	v_trunc_f32_e32 v1, v1
	v_mul_f32_e64 v2, |v1|, s0
	v_floor_f32_e32 v2, v2
	v_cvt_u32_f32_e32 v6, v2
	v_fma_f32 v2, v2, s1, |v1|
	v_cvt_u32_f32_e32 v2, v2
	v_ashrrev_i32_e32 v7, 31, v1
	v_xor_b32_e32 v6, v6, v7
	v_xor_b32_e32 v1, v2, v7
	v_sub_co_u32_e32 v1, vcc, v1, v7
	v_subb_co_u32_e32 v2, vcc, v6, v7, vcc
.LBB215_894:
	s_mov_b64 s[0:1], 0
.LBB215_895:
	s_andn2_b64 vcc, exec, s[0:1]
	s_cbranch_vccnz .LBB215_897
; %bb.896:
	global_load_ushort v1, v[4:5], off
	s_waitcnt vmcnt(0)
	v_cvt_f32_f16_e32 v1, v1
	v_cvt_i32_f32_e32 v1, v1
	v_ashrrev_i32_e32 v2, 31, v1
.LBB215_897:
	s_mov_b64 s[0:1], 0
.LBB215_898:
	s_andn2_b64 vcc, exec, s[0:1]
	s_cbranch_vccnz .LBB215_918
; %bb.899:
	s_cmp_lt_i32 s56, 2
	s_cbranch_scc1 .LBB215_903
; %bb.900:
	s_cmp_lt_i32 s56, 3
	s_cbranch_scc1 .LBB215_904
; %bb.901:
	s_cmp_gt_i32 s56, 3
	s_cbranch_scc0 .LBB215_905
; %bb.902:
	global_load_dwordx2 v[1:2], v[4:5], off
	s_mov_b64 s[0:1], 0
	s_branch .LBB215_906
.LBB215_903:
	s_mov_b64 s[0:1], -1
                                        ; implicit-def: $vgpr1_vgpr2
	s_branch .LBB215_912
.LBB215_904:
	s_mov_b64 s[0:1], -1
                                        ; implicit-def: $vgpr1_vgpr2
	s_branch .LBB215_909
.LBB215_905:
	s_mov_b64 s[0:1], -1
                                        ; implicit-def: $vgpr1_vgpr2
.LBB215_906:
	s_andn2_b64 vcc, exec, s[0:1]
	s_cbranch_vccnz .LBB215_908
; %bb.907:
	global_load_dword v1, v[4:5], off
	s_waitcnt vmcnt(0)
	v_ashrrev_i32_e32 v2, 31, v1
.LBB215_908:
	s_mov_b64 s[0:1], 0
.LBB215_909:
	s_andn2_b64 vcc, exec, s[0:1]
	s_cbranch_vccnz .LBB215_911
; %bb.910:
	global_load_ushort v1, v[4:5], off
	s_waitcnt vmcnt(0)
	v_bfe_i32 v1, v1, 0, 16
	v_ashrrev_i32_e32 v2, 31, v1
.LBB215_911:
	s_mov_b64 s[0:1], 0
.LBB215_912:
	s_andn2_b64 vcc, exec, s[0:1]
	s_cbranch_vccnz .LBB215_918
; %bb.913:
	s_cmp_gt_i32 s56, 0
	s_cbranch_scc0 .LBB215_915
; %bb.914:
	global_load_sbyte v1, v[4:5], off
	s_mov_b64 s[0:1], 0
	s_waitcnt vmcnt(0)
	v_bfe_i32 v1, v1, 0, 16
	v_ashrrev_i32_e32 v2, 31, v1
	s_branch .LBB215_916
.LBB215_915:
	s_mov_b64 s[0:1], -1
                                        ; implicit-def: $vgpr1_vgpr2
.LBB215_916:
	s_andn2_b64 vcc, exec, s[0:1]
	s_cbranch_vccnz .LBB215_918
; %bb.917:
	global_load_ubyte v1, v[4:5], off
	s_mov_b32 s0, 0
	s_waitcnt vmcnt(1)
	v_mov_b32_e32 v2, s0
	s_waitcnt vmcnt(0)
	v_and_b32_e32 v1, 0xffff, v1
.LBB215_918:
	s_mov_b64 s[0:1], -1
.LBB215_919:
	s_andn2_b64 vcc, exec, s[0:1]
	s_cbranch_vccnz .LBB215_927
; %bb.920:
	v_mov_b32_e32 v4, s25
	s_and_b32 s60, s70, 0xff
	v_add_co_u32_e32 v3, vcc, s24, v3
	s_cmp_lt_i32 s60, 11
	v_addc_co_u32_e32 v4, vcc, 0, v4, vcc
	s_cbranch_scc1 .LBB215_929
; %bb.921:
	s_and_b32 s61, 0xffff, s60
	s_cmp_gt_i32 s61, 25
	s_cbranch_scc0 .LBB215_930
; %bb.922:
	s_cmp_gt_i32 s61, 28
	s_cbranch_scc0 .LBB215_931
; %bb.923:
	;; [unrolled: 3-line block ×4, first 2 shown]
	s_cmp_eq_u32 s61, 46
	s_mov_b64 s[58:59], 0
	s_cbranch_scc0 .LBB215_936
; %bb.926:
	global_load_dword v5, v[3:4], off
	s_mov_b32 s0, 0x2f800000
	s_mov_b32 s1, 0xcf800000
	s_mov_b64 s[56:57], 0
	s_waitcnt vmcnt(0)
	v_lshlrev_b32_e32 v5, 16, v5
	v_trunc_f32_e32 v5, v5
	v_mul_f32_e64 v6, |v5|, s0
	v_floor_f32_e32 v6, v6
	v_fma_f32 v7, v6, s1, |v5|
	v_cvt_u32_f32_e32 v7, v7
	v_cvt_u32_f32_e32 v6, v6
	v_ashrrev_i32_e32 v8, 31, v5
	s_mov_b64 s[0:1], -1
	v_xor_b32_e32 v5, v7, v8
	v_xor_b32_e32 v6, v6, v8
	v_sub_co_u32_e32 v5, vcc, v5, v8
	v_subb_co_u32_e32 v6, vcc, v6, v8, vcc
	s_branch .LBB215_937
.LBB215_927:
	s_mov_b64 s[60:61], 0
	s_mov_b64 s[0:1], s[48:49]
	;; [unrolled: 1-line block ×3, first 2 shown]
.LBB215_928:
                                        ; implicit-def: $vgpr10
	s_branch .LBB215_1171
.LBB215_929:
	s_mov_b64 s[58:59], -1
	s_mov_b64 s[0:1], 0
                                        ; implicit-def: $vgpr5_vgpr6
	s_mov_b64 s[56:57], s[46:47]
	s_branch .LBB215_998
.LBB215_930:
	s_mov_b64 s[58:59], -1
	s_mov_b64 s[0:1], 0
	s_mov_b64 s[56:57], s[46:47]
                                        ; implicit-def: $vgpr5_vgpr6
	s_branch .LBB215_966
.LBB215_931:
	s_mov_b64 s[58:59], -1
	s_mov_b64 s[0:1], 0
	s_mov_b64 s[56:57], s[46:47]
                                        ; implicit-def: $vgpr5_vgpr6
	s_branch .LBB215_947
.LBB215_932:
	s_mov_b64 s[58:59], -1
	s_mov_b64 s[0:1], 0
	s_mov_b64 s[56:57], s[46:47]
                                        ; implicit-def: $vgpr5_vgpr6
	s_branch .LBB215_942
.LBB215_933:
	s_mov_b64 s[58:59], -1
	s_mov_b64 s[0:1], 0
	s_mov_b64 s[56:57], s[46:47]
                                        ; implicit-def: $vgpr5_vgpr6
	s_branch .LBB215_937
.LBB215_934:
	s_andn2_saveexec_b64 s[54:55], s[54:55]
	s_cbranch_execz .LBB215_702
.LBB215_935:
	s_mov_b32 s58, 0x42800000
	v_add_f32_e64 v5, |v0|, s58
	v_and_b32_e32 v5, 0xff, v5
	v_cmp_ne_u32_e32 vcc, 0, v5
	s_andn2_b64 s[52:53], s[52:53], exec
	s_and_b64 s[58:59], vcc, exec
	s_or_b64 s[52:53], s[52:53], s[58:59]
	s_or_b64 exec, exec, s[54:55]
	v_mov_b32_e32 v6, 0
	s_and_saveexec_b64 s[54:55], s[52:53]
	s_cbranch_execnz .LBB215_703
	s_branch .LBB215_704
.LBB215_936:
	s_mov_b64 s[56:57], -1
                                        ; implicit-def: $vgpr5_vgpr6
	s_mov_b64 s[0:1], 0
.LBB215_937:
	s_and_b64 vcc, exec, s[58:59]
	s_cbranch_vccz .LBB215_941
; %bb.938:
	s_cmp_eq_u32 s61, 44
	s_cbranch_scc0 .LBB215_940
; %bb.939:
	global_load_ubyte v5, v[3:4], off
	s_mov_b32 s0, 0x2f800000
	s_mov_b32 s1, 0xcf800000
	s_mov_b64 s[56:57], 0
	s_waitcnt vmcnt(0)
	v_lshlrev_b32_e32 v6, 23, v5
	v_trunc_f32_e32 v6, v6
	v_mul_f32_e64 v7, |v6|, s0
	v_floor_f32_e32 v7, v7
	v_fma_f32 v8, v7, s1, |v6|
	v_cvt_u32_f32_e32 v8, v8
	v_cvt_u32_f32_e32 v7, v7
	v_ashrrev_i32_e32 v6, 31, v6
	s_mov_b64 s[0:1], -1
	v_xor_b32_e32 v8, v8, v6
	v_xor_b32_e32 v7, v7, v6
	v_sub_co_u32_e32 v8, vcc, v8, v6
	v_subb_co_u32_e32 v6, vcc, v7, v6, vcc
	v_cmp_ne_u32_e32 vcc, 0, v5
	v_cndmask_b32_e32 v6, 0, v6, vcc
	v_cndmask_b32_e32 v5, 0, v8, vcc
	s_branch .LBB215_941
.LBB215_940:
	s_mov_b64 s[56:57], -1
                                        ; implicit-def: $vgpr5_vgpr6
.LBB215_941:
	s_mov_b64 s[58:59], 0
.LBB215_942:
	s_and_b64 vcc, exec, s[58:59]
	s_cbranch_vccz .LBB215_946
; %bb.943:
	s_cmp_eq_u32 s61, 29
	s_cbranch_scc0 .LBB215_945
; %bb.944:
	global_load_dwordx2 v[5:6], v[3:4], off
	s_mov_b64 s[0:1], -1
	s_mov_b64 s[56:57], 0
	s_branch .LBB215_946
.LBB215_945:
	s_mov_b64 s[56:57], -1
                                        ; implicit-def: $vgpr5_vgpr6
.LBB215_946:
	s_mov_b64 s[58:59], 0
.LBB215_947:
	s_and_b64 vcc, exec, s[58:59]
	s_cbranch_vccz .LBB215_965
; %bb.948:
	s_cmp_lt_i32 s61, 27
	s_cbranch_scc1 .LBB215_951
; %bb.949:
	s_cmp_gt_i32 s61, 27
	s_cbranch_scc0 .LBB215_952
; %bb.950:
	global_load_dword v5, v[3:4], off
	s_waitcnt vmcnt(1)
	v_mov_b32_e32 v6, 0
	s_mov_b64 s[0:1], 0
	s_branch .LBB215_953
.LBB215_951:
	s_mov_b64 s[0:1], -1
                                        ; implicit-def: $vgpr5_vgpr6
	s_branch .LBB215_956
.LBB215_952:
	s_mov_b64 s[0:1], -1
                                        ; implicit-def: $vgpr5_vgpr6
.LBB215_953:
	s_andn2_b64 vcc, exec, s[0:1]
	s_cbranch_vccnz .LBB215_955
; %bb.954:
	global_load_ushort v5, v[3:4], off
	s_mov_b32 s0, 0
	s_waitcnt vmcnt(1)
	v_mov_b32_e32 v6, s0
	s_waitcnt vmcnt(0)
	v_and_b32_e32 v5, 0xffff, v5
.LBB215_955:
	s_mov_b64 s[0:1], 0
.LBB215_956:
	s_andn2_b64 vcc, exec, s[0:1]
	s_cbranch_vccnz .LBB215_964
; %bb.957:
	global_load_ubyte v7, v[3:4], off
	s_movk_i32 s0, 0x7f
	s_mov_b64 s[58:59], 0
	s_waitcnt vmcnt(0)
	v_cmp_lt_i16_e32 vcc, s0, v7
	s_and_saveexec_b64 s[0:1], vcc
	s_xor_b64 s[0:1], exec, s[0:1]
; %bb.958:
	s_movk_i32 s58, 0x80
	v_cmp_ne_u16_e32 vcc, s58, v7
	s_and_b64 s[58:59], vcc, exec
; %bb.959:
	s_andn2_saveexec_b64 s[0:1], s[0:1]
; %bb.960:
	v_cmp_ne_u16_e32 vcc, 0, v7
	s_andn2_b64 s[58:59], s[58:59], exec
	s_and_b64 s[62:63], vcc, exec
	s_or_b64 s[58:59], s[58:59], s[62:63]
; %bb.961:
	s_or_b64 exec, exec, s[0:1]
	v_mov_b32_e32 v5, 0
	v_mov_b32_e32 v6, 0
	s_and_saveexec_b64 s[0:1], s[58:59]
	s_cbranch_execz .LBB215_963
; %bb.962:
	v_and_b32_e32 v6, 0xffff, v7
	v_lshlrev_b32_e32 v5, 24, v7
	v_and_b32_e32 v7, 7, v6
	v_ffbh_u32_e32 v9, v7
	v_min_u32_e32 v9, 32, v9
	v_subrev_u32_e32 v11, 28, v9
	v_bfe_u32 v8, v6, 3, 4
	v_lshlrev_b32_e32 v6, v11, v6
	v_sub_u32_e32 v9, 29, v9
	v_and_b32_e32 v6, 7, v6
	v_cmp_eq_u32_e32 vcc, 0, v8
	v_cndmask_b32_e32 v8, v8, v9, vcc
	v_cndmask_b32_e32 v6, v7, v6, vcc
	v_mov_b32_e32 v7, 0x3b800000
	v_lshlrev_b32_e32 v6, 20, v6
	v_and_b32_e32 v5, 0x80000000, v5
	v_lshl_add_u32 v7, v8, 23, v7
	v_or3_b32 v5, v5, v7, v6
	v_trunc_f32_e32 v5, v5
	s_mov_b32 s58, 0x2f800000
	v_mul_f32_e64 v6, |v5|, s58
	v_floor_f32_e32 v6, v6
	s_mov_b32 s58, 0xcf800000
	v_fma_f32 v7, v6, s58, |v5|
	v_cvt_u32_f32_e32 v7, v7
	v_cvt_u32_f32_e32 v6, v6
	v_ashrrev_i32_e32 v8, 31, v5
	v_xor_b32_e32 v5, v7, v8
	v_xor_b32_e32 v6, v6, v8
	v_sub_co_u32_e32 v5, vcc, v5, v8
	v_subb_co_u32_e32 v6, vcc, v6, v8, vcc
.LBB215_963:
	s_or_b64 exec, exec, s[0:1]
.LBB215_964:
	s_mov_b64 s[0:1], -1
.LBB215_965:
	s_mov_b64 s[58:59], 0
.LBB215_966:
	s_and_b64 vcc, exec, s[58:59]
	s_cbranch_vccz .LBB215_997
; %bb.967:
	s_cmp_gt_i32 s61, 22
	s_cbranch_scc0 .LBB215_977
; %bb.968:
	s_cmp_lt_i32 s61, 24
	s_cbranch_scc1 .LBB215_978
; %bb.969:
	s_cmp_gt_i32 s61, 24
	s_cbranch_scc0 .LBB215_979
; %bb.970:
	global_load_ubyte v7, v[3:4], off
	s_movk_i32 s0, 0x7f
	s_mov_b64 s[58:59], 0
	s_waitcnt vmcnt(0)
	v_cmp_lt_i16_e32 vcc, s0, v7
	s_and_saveexec_b64 s[0:1], vcc
	s_xor_b64 s[0:1], exec, s[0:1]
; %bb.971:
	s_movk_i32 s58, 0x80
	v_cmp_ne_u16_e32 vcc, s58, v7
	s_and_b64 s[58:59], vcc, exec
; %bb.972:
	s_andn2_saveexec_b64 s[0:1], s[0:1]
; %bb.973:
	v_cmp_ne_u16_e32 vcc, 0, v7
	s_andn2_b64 s[58:59], s[58:59], exec
	s_and_b64 s[62:63], vcc, exec
	s_or_b64 s[58:59], s[58:59], s[62:63]
; %bb.974:
	s_or_b64 exec, exec, s[0:1]
	v_mov_b32_e32 v5, 0
	v_mov_b32_e32 v6, 0
	s_and_saveexec_b64 s[0:1], s[58:59]
	s_cbranch_execz .LBB215_976
; %bb.975:
	v_and_b32_e32 v6, 0xffff, v7
	v_lshlrev_b32_e32 v5, 24, v7
	v_and_b32_e32 v7, 3, v6
	v_ffbh_u32_e32 v9, v7
	v_min_u32_e32 v9, 32, v9
	v_subrev_u32_e32 v11, 29, v9
	v_bfe_u32 v8, v6, 2, 5
	v_lshlrev_b32_e32 v6, v11, v6
	v_sub_u32_e32 v9, 30, v9
	v_and_b32_e32 v6, 3, v6
	v_cmp_eq_u32_e32 vcc, 0, v8
	v_cndmask_b32_e32 v8, v8, v9, vcc
	v_cndmask_b32_e32 v6, v7, v6, vcc
	v_mov_b32_e32 v7, 0x37800000
	v_lshlrev_b32_e32 v6, 21, v6
	v_and_b32_e32 v5, 0x80000000, v5
	v_lshl_add_u32 v7, v8, 23, v7
	v_or3_b32 v5, v5, v7, v6
	v_trunc_f32_e32 v5, v5
	s_mov_b32 s58, 0x2f800000
	v_mul_f32_e64 v6, |v5|, s58
	v_floor_f32_e32 v6, v6
	s_mov_b32 s58, 0xcf800000
	v_fma_f32 v7, v6, s58, |v5|
	v_cvt_u32_f32_e32 v7, v7
	v_cvt_u32_f32_e32 v6, v6
	v_ashrrev_i32_e32 v8, 31, v5
	v_xor_b32_e32 v5, v7, v8
	v_xor_b32_e32 v6, v6, v8
	v_sub_co_u32_e32 v5, vcc, v5, v8
	v_subb_co_u32_e32 v6, vcc, v6, v8, vcc
.LBB215_976:
	s_or_b64 exec, exec, s[0:1]
	s_mov_b64 s[0:1], 0
	s_branch .LBB215_980
.LBB215_977:
	s_mov_b64 s[58:59], -1
                                        ; implicit-def: $vgpr5_vgpr6
	s_branch .LBB215_986
.LBB215_978:
	s_mov_b64 s[0:1], -1
                                        ; implicit-def: $vgpr5_vgpr6
	s_branch .LBB215_983
.LBB215_979:
	s_mov_b64 s[0:1], -1
                                        ; implicit-def: $vgpr5_vgpr6
.LBB215_980:
	s_and_b64 vcc, exec, s[0:1]
	s_cbranch_vccz .LBB215_982
; %bb.981:
	global_load_ubyte v5, v[3:4], off
	s_mov_b32 s0, 0x7f800000
	s_brev_b32 s1, 1
	s_mov_b32 s58, 0x2f800000
	s_mov_b32 s59, 0xcf800000
	s_waitcnt vmcnt(0)
	v_lshlrev_b32_e32 v5, 24, v5
	v_and_b32_e32 v6, 0x7f000000, v5
	v_ffbh_u32_e32 v7, v6
	v_min_u32_e32 v7, 32, v7
	v_sub_u32_e64 v7, v7, 4 clamp
	v_lshlrev_b32_e32 v9, v7, v6
	v_lshlrev_b32_e32 v7, 23, v7
	v_lshrrev_b32_e32 v9, 4, v9
	v_add_u32_e32 v8, 0x1000000, v6
	v_sub_u32_e32 v7, v9, v7
	v_ashrrev_i32_e32 v8, 8, v8
	v_add_u32_e32 v7, 0x3c000000, v7
	v_and_or_b32 v7, v8, s0, v7
	v_cmp_ne_u32_e32 vcc, 0, v6
	v_cndmask_b32_e32 v6, 0, v7, vcc
	v_and_or_b32 v5, v5, s1, v6
	v_trunc_f32_e32 v5, v5
	v_mul_f32_e64 v6, |v5|, s58
	v_floor_f32_e32 v6, v6
	v_fma_f32 v7, v6, s59, |v5|
	v_cvt_u32_f32_e32 v7, v7
	v_cvt_u32_f32_e32 v6, v6
	v_ashrrev_i32_e32 v8, 31, v5
	v_xor_b32_e32 v5, v7, v8
	v_xor_b32_e32 v6, v6, v8
	v_sub_co_u32_e32 v5, vcc, v5, v8
	v_subb_co_u32_e32 v6, vcc, v6, v8, vcc
.LBB215_982:
	s_mov_b64 s[0:1], 0
.LBB215_983:
	s_andn2_b64 vcc, exec, s[0:1]
	s_cbranch_vccnz .LBB215_985
; %bb.984:
	global_load_ubyte v5, v[3:4], off
	s_movk_i32 s0, 0x7f00
	s_brev_b32 s1, 16
	s_brev_b32 s58, 1
	s_mov_b32 s59, 0x2f800000
	s_mov_b32 s62, 0xcf800000
	s_waitcnt vmcnt(0)
	v_lshlrev_b16_e32 v6, 8, v5
	v_lshlrev_b32_e32 v5, 25, v5
	v_lshrrev_b32_e32 v7, 4, v5
	v_and_or_b32 v8, v6, s0, 0.5
	v_or_b32_e32 v7, 0x70000000, v7
	v_add_f32_e32 v8, -0.5, v8
	v_mul_f32_e32 v7, 0x7800000, v7
	v_cmp_gt_u32_e32 vcc, s1, v5
	v_bfe_i32 v6, v6, 0, 16
	v_cndmask_b32_e32 v5, v7, v8, vcc
	v_and_or_b32 v5, v6, s58, v5
	v_trunc_f32_e32 v5, v5
	v_mul_f32_e64 v6, |v5|, s59
	v_floor_f32_e32 v6, v6
	v_fma_f32 v7, v6, s62, |v5|
	v_cvt_u32_f32_e32 v7, v7
	v_cvt_u32_f32_e32 v6, v6
	v_ashrrev_i32_e32 v8, 31, v5
	v_xor_b32_e32 v5, v7, v8
	v_xor_b32_e32 v6, v6, v8
	v_sub_co_u32_e32 v5, vcc, v5, v8
	v_subb_co_u32_e32 v6, vcc, v6, v8, vcc
.LBB215_985:
	s_mov_b64 s[58:59], 0
	s_mov_b64 s[0:1], -1
.LBB215_986:
	s_andn2_b64 vcc, exec, s[58:59]
	s_cbranch_vccnz .LBB215_997
; %bb.987:
	s_cmp_gt_i32 s61, 14
	s_cbranch_scc0 .LBB215_990
; %bb.988:
	s_cmp_eq_u32 s61, 15
	s_cbranch_scc0 .LBB215_991
; %bb.989:
	global_load_ushort v5, v[3:4], off
	s_mov_b32 s0, 0x2f800000
	s_mov_b32 s1, 0xcf800000
	s_mov_b64 s[56:57], 0
	s_waitcnt vmcnt(0)
	v_lshlrev_b32_e32 v5, 16, v5
	v_trunc_f32_e32 v5, v5
	v_mul_f32_e64 v6, |v5|, s0
	v_floor_f32_e32 v6, v6
	v_fma_f32 v7, v6, s1, |v5|
	v_cvt_u32_f32_e32 v7, v7
	v_cvt_u32_f32_e32 v6, v6
	v_ashrrev_i32_e32 v8, 31, v5
	s_mov_b64 s[0:1], -1
	v_xor_b32_e32 v5, v7, v8
	v_xor_b32_e32 v6, v6, v8
	v_sub_co_u32_e32 v5, vcc, v5, v8
	v_subb_co_u32_e32 v6, vcc, v6, v8, vcc
	s_branch .LBB215_992
.LBB215_990:
	s_mov_b64 s[58:59], -1
                                        ; implicit-def: $vgpr5_vgpr6
	s_branch .LBB215_993
.LBB215_991:
	s_mov_b64 s[56:57], -1
                                        ; implicit-def: $vgpr5_vgpr6
.LBB215_992:
	s_mov_b64 s[58:59], 0
.LBB215_993:
	s_and_b64 vcc, exec, s[58:59]
	s_cbranch_vccz .LBB215_997
; %bb.994:
	s_cmp_eq_u32 s61, 11
	s_cbranch_scc0 .LBB215_996
; %bb.995:
	global_load_ubyte v5, v[3:4], off
	s_mov_b32 s56, 0
	s_mov_b64 s[0:1], -1
	s_waitcnt vmcnt(1)
	v_mov_b32_e32 v6, s56
	s_mov_b64 s[56:57], 0
	s_waitcnt vmcnt(0)
	v_cmp_ne_u16_e32 vcc, 0, v5
	v_cndmask_b32_e64 v5, 0, 1, vcc
	s_branch .LBB215_997
.LBB215_996:
	s_mov_b64 s[56:57], -1
                                        ; implicit-def: $vgpr5_vgpr6
.LBB215_997:
	s_mov_b64 s[58:59], 0
.LBB215_998:
	s_and_b64 vcc, exec, s[58:59]
	s_cbranch_vccz .LBB215_1047
; %bb.999:
	s_and_b32 s58, 0xffff, s60
	s_cmp_lt_i32 s58, 5
	s_cbranch_scc1 .LBB215_1004
; %bb.1000:
	s_cmp_lt_i32 s58, 8
	s_cbranch_scc1 .LBB215_1005
; %bb.1001:
	;; [unrolled: 3-line block ×3, first 2 shown]
	s_cmp_gt_i32 s58, 9
	s_cbranch_scc0 .LBB215_1007
; %bb.1003:
	global_load_dwordx2 v[5:6], v[3:4], off
	s_movk_i32 s0, 0xffe0
	s_waitcnt vmcnt(0)
	v_trunc_f64_e32 v[5:6], v[5:6]
	v_ldexp_f64 v[7:8], v[5:6], s0
	s_mov_b32 s0, 0
	s_mov_b32 s1, 0xc1f00000
	v_floor_f64_e32 v[7:8], v[7:8]
	v_fma_f64 v[11:12], v[7:8], s[0:1], v[5:6]
	v_cvt_i32_f64_e32 v6, v[7:8]
	s_mov_b64 s[0:1], 0
	v_cvt_u32_f64_e32 v5, v[11:12]
	s_branch .LBB215_1008
.LBB215_1004:
	s_mov_b64 s[0:1], -1
                                        ; implicit-def: $vgpr5_vgpr6
	s_branch .LBB215_1026
.LBB215_1005:
	s_mov_b64 s[0:1], -1
                                        ; implicit-def: $vgpr5_vgpr6
	s_branch .LBB215_1014
.LBB215_1006:
	s_mov_b64 s[0:1], -1
                                        ; implicit-def: $vgpr5_vgpr6
	s_branch .LBB215_1011
.LBB215_1007:
	s_mov_b64 s[0:1], -1
                                        ; implicit-def: $vgpr5_vgpr6
.LBB215_1008:
	s_andn2_b64 vcc, exec, s[0:1]
	s_cbranch_vccnz .LBB215_1010
; %bb.1009:
	global_load_dword v5, v[3:4], off
	s_mov_b32 s0, 0x2f800000
	s_mov_b32 s1, 0xcf800000
	s_waitcnt vmcnt(0)
	v_trunc_f32_e32 v5, v5
	v_mul_f32_e64 v6, |v5|, s0
	v_floor_f32_e32 v6, v6
	v_cvt_u32_f32_e32 v7, v6
	v_fma_f32 v6, v6, s1, |v5|
	v_cvt_u32_f32_e32 v6, v6
	v_ashrrev_i32_e32 v8, 31, v5
	v_xor_b32_e32 v7, v7, v8
	v_xor_b32_e32 v5, v6, v8
	v_sub_co_u32_e32 v5, vcc, v5, v8
	v_subb_co_u32_e32 v6, vcc, v7, v8, vcc
.LBB215_1010:
	s_mov_b64 s[0:1], 0
.LBB215_1011:
	s_andn2_b64 vcc, exec, s[0:1]
	s_cbranch_vccnz .LBB215_1013
; %bb.1012:
	global_load_dword v5, v[3:4], off
	s_waitcnt vmcnt(0)
	v_cvt_f32_f16_e32 v5, v5
	v_cvt_i32_f32_e32 v5, v5
	v_ashrrev_i32_e32 v6, 31, v5
.LBB215_1013:
	s_mov_b64 s[0:1], 0
.LBB215_1014:
	s_andn2_b64 vcc, exec, s[0:1]
	s_cbranch_vccnz .LBB215_1025
; %bb.1015:
	s_cmp_lt_i32 s58, 6
	s_cbranch_scc1 .LBB215_1018
; %bb.1016:
	s_cmp_gt_i32 s58, 6
	s_cbranch_scc0 .LBB215_1019
; %bb.1017:
	global_load_dwordx2 v[5:6], v[3:4], off
	s_movk_i32 s0, 0xffe0
	s_waitcnt vmcnt(0)
	v_trunc_f64_e32 v[5:6], v[5:6]
	v_ldexp_f64 v[7:8], v[5:6], s0
	s_mov_b32 s0, 0
	s_mov_b32 s1, 0xc1f00000
	v_floor_f64_e32 v[7:8], v[7:8]
	v_fma_f64 v[11:12], v[7:8], s[0:1], v[5:6]
	v_cvt_i32_f64_e32 v6, v[7:8]
	s_mov_b64 s[0:1], 0
	v_cvt_u32_f64_e32 v5, v[11:12]
	s_branch .LBB215_1020
.LBB215_1018:
	s_mov_b64 s[0:1], -1
                                        ; implicit-def: $vgpr5_vgpr6
	s_branch .LBB215_1023
.LBB215_1019:
	s_mov_b64 s[0:1], -1
                                        ; implicit-def: $vgpr5_vgpr6
.LBB215_1020:
	s_andn2_b64 vcc, exec, s[0:1]
	s_cbranch_vccnz .LBB215_1022
; %bb.1021:
	global_load_dword v5, v[3:4], off
	s_mov_b32 s0, 0x2f800000
	s_mov_b32 s1, 0xcf800000
	s_waitcnt vmcnt(0)
	v_trunc_f32_e32 v5, v5
	v_mul_f32_e64 v6, |v5|, s0
	v_floor_f32_e32 v6, v6
	v_cvt_u32_f32_e32 v7, v6
	v_fma_f32 v6, v6, s1, |v5|
	v_cvt_u32_f32_e32 v6, v6
	v_ashrrev_i32_e32 v8, 31, v5
	v_xor_b32_e32 v7, v7, v8
	v_xor_b32_e32 v5, v6, v8
	v_sub_co_u32_e32 v5, vcc, v5, v8
	v_subb_co_u32_e32 v6, vcc, v7, v8, vcc
.LBB215_1022:
	s_mov_b64 s[0:1], 0
.LBB215_1023:
	s_andn2_b64 vcc, exec, s[0:1]
	s_cbranch_vccnz .LBB215_1025
; %bb.1024:
	global_load_ushort v5, v[3:4], off
	s_waitcnt vmcnt(0)
	v_cvt_f32_f16_e32 v5, v5
	v_cvt_i32_f32_e32 v5, v5
	v_ashrrev_i32_e32 v6, 31, v5
.LBB215_1025:
	s_mov_b64 s[0:1], 0
.LBB215_1026:
	s_andn2_b64 vcc, exec, s[0:1]
	s_cbranch_vccnz .LBB215_1046
; %bb.1027:
	s_cmp_lt_i32 s58, 2
	s_cbranch_scc1 .LBB215_1031
; %bb.1028:
	s_cmp_lt_i32 s58, 3
	s_cbranch_scc1 .LBB215_1032
; %bb.1029:
	s_cmp_gt_i32 s58, 3
	s_cbranch_scc0 .LBB215_1033
; %bb.1030:
	global_load_dwordx2 v[5:6], v[3:4], off
	s_mov_b64 s[0:1], 0
	s_branch .LBB215_1034
.LBB215_1031:
	s_mov_b64 s[0:1], -1
                                        ; implicit-def: $vgpr5_vgpr6
	s_branch .LBB215_1040
.LBB215_1032:
	s_mov_b64 s[0:1], -1
                                        ; implicit-def: $vgpr5_vgpr6
	s_branch .LBB215_1037
.LBB215_1033:
	s_mov_b64 s[0:1], -1
                                        ; implicit-def: $vgpr5_vgpr6
.LBB215_1034:
	s_andn2_b64 vcc, exec, s[0:1]
	s_cbranch_vccnz .LBB215_1036
; %bb.1035:
	global_load_dword v5, v[3:4], off
	s_waitcnt vmcnt(0)
	v_ashrrev_i32_e32 v6, 31, v5
.LBB215_1036:
	s_mov_b64 s[0:1], 0
.LBB215_1037:
	s_andn2_b64 vcc, exec, s[0:1]
	s_cbranch_vccnz .LBB215_1039
; %bb.1038:
	global_load_ushort v5, v[3:4], off
	s_waitcnt vmcnt(0)
	v_bfe_i32 v5, v5, 0, 16
	v_ashrrev_i32_e32 v6, 31, v5
.LBB215_1039:
	s_mov_b64 s[0:1], 0
.LBB215_1040:
	s_andn2_b64 vcc, exec, s[0:1]
	s_cbranch_vccnz .LBB215_1046
; %bb.1041:
	s_cmp_gt_i32 s58, 0
	s_cbranch_scc0 .LBB215_1043
; %bb.1042:
	global_load_sbyte v5, v[3:4], off
	s_mov_b64 s[0:1], 0
	s_waitcnt vmcnt(0)
	v_bfe_i32 v5, v5, 0, 16
	v_ashrrev_i32_e32 v6, 31, v5
	s_branch .LBB215_1044
.LBB215_1043:
	s_mov_b64 s[0:1], -1
                                        ; implicit-def: $vgpr5_vgpr6
.LBB215_1044:
	s_andn2_b64 vcc, exec, s[0:1]
	s_cbranch_vccnz .LBB215_1046
; %bb.1045:
	global_load_ubyte v3, v[3:4], off
	s_mov_b32 s0, 0
	s_waitcnt vmcnt(1)
	v_mov_b32_e32 v6, s0
	s_waitcnt vmcnt(0)
	v_and_b32_e32 v5, 0xffff, v3
.LBB215_1046:
	s_mov_b64 s[0:1], -1
.LBB215_1047:
	s_andn2_b64 vcc, exec, s[0:1]
	s_cbranch_vccnz .LBB215_1055
; %bb.1048:
	s_waitcnt vmcnt(0)
	v_cmp_gt_u64_e32 vcc, 63, v[5:6]
	v_mov_b32_e32 v4, s9
	v_cndmask_b32_e32 v3, 63, v5, vcc
	v_ashrrev_i64 v[1:2], v3, v[1:2]
	s_and_b32 s64, s69, 0xff
	v_add_co_u32_e32 v3, vcc, s8, v0
	s_cmp_lt_i32 s64, 11
	v_addc_co_u32_e32 v4, vcc, 0, v4, vcc
	s_cbranch_scc1 .LBB215_1056
; %bb.1049:
	s_and_b32 s65, 0xffff, s64
	s_cmp_gt_i32 s65, 25
	s_cbranch_scc0 .LBB215_1057
; %bb.1050:
	s_cmp_gt_i32 s65, 28
	s_cbranch_scc0 .LBB215_1058
; %bb.1051:
	;; [unrolled: 3-line block ×4, first 2 shown]
	s_mov_b64 s[60:61], 0
	s_mov_b64 s[0:1], -1
	s_cmp_eq_u32 s65, 46
	s_mov_b64 s[58:59], 0
	s_cbranch_scc0 .LBB215_1061
; %bb.1054:
	v_xor_b32_e32 v5, v1, v2
	v_ffbh_i32_e32 v0, v2
	v_ashrrev_i32_e32 v5, 31, v5
	v_add_u32_e32 v0, -1, v0
	v_add_u32_e32 v5, 32, v5
	v_min_u32_e32 v0, v0, v5
	v_lshlrev_b64 v[5:6], v0, v[1:2]
	v_sub_u32_e32 v0, 32, v0
	v_min_u32_e32 v5, 1, v5
	v_or_b32_e32 v5, v6, v5
	v_cvt_f32_i32_e32 v5, v5
	s_movk_i32 s0, 0x7fff
	s_mov_b64 s[58:59], -1
	v_ldexp_f32 v0, v5, v0
	v_bfe_u32 v5, v0, 16, 1
	v_add3_u32 v0, v0, v5, s0
	v_lshrrev_b32_e32 v0, 16, v0
	global_store_dword v[3:4], v0, off
	s_mov_b64 s[0:1], 0
	s_branch .LBB215_1061
.LBB215_1055:
	s_mov_b64 s[60:61], 0
                                        ; implicit-def: $vgpr10
	s_mov_b64 s[0:1], s[48:49]
	s_branch .LBB215_1171
.LBB215_1056:
	s_mov_b64 s[60:61], -1
	s_mov_b64 s[58:59], 0
	s_mov_b64 s[0:1], s[48:49]
	s_branch .LBB215_1130
.LBB215_1057:
	s_mov_b64 s[60:61], -1
	s_mov_b64 s[58:59], 0
	s_mov_b64 s[0:1], s[48:49]
	s_branch .LBB215_1088
.LBB215_1058:
	s_mov_b64 s[60:61], -1
	s_mov_b64 s[58:59], 0
	s_mov_b64 s[0:1], s[48:49]
	s_branch .LBB215_1071
.LBB215_1059:
	s_mov_b64 s[60:61], -1
	s_mov_b64 s[58:59], 0
	s_mov_b64 s[0:1], s[48:49]
	s_branch .LBB215_1067
.LBB215_1060:
	s_mov_b64 s[60:61], -1
	s_mov_b64 s[58:59], 0
	s_mov_b64 s[0:1], s[48:49]
.LBB215_1061:
	s_and_b64 vcc, exec, s[60:61]
	s_cbranch_vccz .LBB215_1066
; %bb.1062:
	s_cmp_eq_u32 s65, 44
	s_mov_b64 s[0:1], -1
	s_cbranch_scc0 .LBB215_1066
; %bb.1063:
	v_xor_b32_e32 v5, v1, v2
	v_ffbh_i32_e32 v0, v2
	v_ashrrev_i32_e32 v5, 31, v5
	v_add_u32_e32 v0, -1, v0
	v_add_u32_e32 v5, 32, v5
	v_min_u32_e32 v0, v0, v5
	v_lshlrev_b64 v[5:6], v0, v[1:2]
	v_sub_u32_e32 v0, 32, v0
	v_min_u32_e32 v5, 1, v5
	v_or_b32_e32 v5, v6, v5
	v_cvt_f32_i32_e32 v5, v5
	s_movk_i32 s0, 0xff
	v_mov_b32_e32 v6, 0xff
	v_ldexp_f32 v0, v5, v0
	v_bfe_u32 v5, v0, 23, 8
	v_cmp_ne_u32_e32 vcc, s0, v5
	s_and_saveexec_b64 s[58:59], vcc
; %bb.1064:
	s_mov_b32 s0, 0x3fffff
	v_lshrrev_b32_e32 v6, 23, v0
	v_and_b32_e32 v7, 0x400000, v0
	v_and_or_b32 v0, v0, s0, v5
	v_cmp_ne_u32_e32 vcc, 0, v7
	v_cmp_ne_u32_e64 s[0:1], 0, v0
	s_and_b64 s[0:1], vcc, s[0:1]
	v_cndmask_b32_e64 v0, 0, 1, s[0:1]
	v_add_u32_e32 v6, v6, v0
; %bb.1065:
	s_or_b64 exec, exec, s[58:59]
	s_mov_b64 s[58:59], -1
	s_mov_b64 s[0:1], 0
	global_store_byte v[3:4], v6, off
.LBB215_1066:
	s_mov_b64 s[60:61], 0
.LBB215_1067:
	s_and_b64 vcc, exec, s[60:61]
	s_cbranch_vccz .LBB215_1070
; %bb.1068:
	s_cmp_eq_u32 s65, 29
	s_mov_b64 s[0:1], -1
	s_cbranch_scc0 .LBB215_1070
; %bb.1069:
	global_store_dwordx2 v[3:4], v[1:2], off
	s_mov_b64 s[58:59], -1
	s_mov_b64 s[0:1], 0
.LBB215_1070:
	s_mov_b64 s[60:61], 0
.LBB215_1071:
	s_and_b64 vcc, exec, s[60:61]
	s_cbranch_vccz .LBB215_1087
; %bb.1072:
	s_cmp_lt_i32 s65, 27
	s_mov_b64 s[58:59], -1
	s_cbranch_scc1 .LBB215_1078
; %bb.1073:
	s_cmp_gt_i32 s65, 27
	s_cbranch_scc0 .LBB215_1075
; %bb.1074:
	s_mov_b64 s[58:59], 0
	global_store_dword v[3:4], v1, off
.LBB215_1075:
	s_andn2_b64 vcc, exec, s[58:59]
	s_cbranch_vccnz .LBB215_1077
; %bb.1076:
	global_store_short v[3:4], v1, off
.LBB215_1077:
	s_mov_b64 s[58:59], 0
.LBB215_1078:
	s_andn2_b64 vcc, exec, s[58:59]
	s_cbranch_vccnz .LBB215_1086
; %bb.1079:
	v_xor_b32_e32 v5, v1, v2
	v_ffbh_i32_e32 v0, v2
	v_ashrrev_i32_e32 v5, 31, v5
	v_add_u32_e32 v0, -1, v0
	v_add_u32_e32 v5, 32, v5
	v_min_u32_e32 v0, v0, v5
	v_lshlrev_b64 v[5:6], v0, v[1:2]
	v_sub_u32_e32 v0, 32, v0
	v_min_u32_e32 v5, 1, v5
	v_or_b32_e32 v5, v6, v5
	v_cvt_f32_i32_e32 v5, v5
	s_mov_b32 s58, 0x43800000
	v_mov_b32_e32 v6, 0x80
	v_ldexp_f32 v0, v5, v0
	v_and_b32_e32 v5, 0x7fffffff, v0
	v_cmp_gt_u32_e32 vcc, s58, v5
	s_and_saveexec_b64 s[58:59], vcc
	s_cbranch_execz .LBB215_1085
; %bb.1080:
	s_mov_b32 s60, 0x3bffffff
	v_cmp_lt_u32_e32 vcc, s60, v5
	s_mov_b64 s[60:61], 0
                                        ; implicit-def: $vgpr5
	s_and_saveexec_b64 s[62:63], vcc
	s_xor_b64 s[62:63], exec, s[62:63]
	s_cbranch_execz .LBB215_1199
; %bb.1081:
	v_bfe_u32 v5, v0, 20, 1
	s_mov_b32 s67, 0x487ffff
	v_add3_u32 v5, v0, v5, s67
	s_mov_b64 s[60:61], exec
	v_lshrrev_b32_e32 v5, 20, v5
	s_andn2_saveexec_b64 s[62:63], s[62:63]
	s_cbranch_execnz .LBB215_1200
.LBB215_1082:
	s_or_b64 exec, exec, s[62:63]
	v_mov_b32_e32 v6, 0
	s_and_saveexec_b64 s[62:63], s[60:61]
.LBB215_1083:
	v_lshrrev_b32_e32 v0, 24, v0
	s_movk_i32 s60, 0x80
	v_and_or_b32 v6, v0, s60, v5
.LBB215_1084:
	s_or_b64 exec, exec, s[62:63]
.LBB215_1085:
	s_or_b64 exec, exec, s[58:59]
	global_store_byte v[3:4], v6, off
.LBB215_1086:
	s_mov_b64 s[58:59], -1
.LBB215_1087:
	s_mov_b64 s[60:61], 0
.LBB215_1088:
	s_and_b64 vcc, exec, s[60:61]
	s_cbranch_vccz .LBB215_1129
; %bb.1089:
	s_cmp_gt_i32 s65, 22
	s_mov_b64 s[60:61], -1
	s_cbranch_scc0 .LBB215_1121
; %bb.1090:
	s_cmp_lt_i32 s65, 24
	s_mov_b64 s[58:59], -1
	s_cbranch_scc1 .LBB215_1110
; %bb.1091:
	s_cmp_gt_i32 s65, 24
	s_cbranch_scc0 .LBB215_1099
; %bb.1092:
	v_xor_b32_e32 v5, v1, v2
	v_ffbh_i32_e32 v0, v2
	v_ashrrev_i32_e32 v5, 31, v5
	v_add_u32_e32 v0, -1, v0
	v_add_u32_e32 v5, 32, v5
	v_min_u32_e32 v0, v0, v5
	v_lshlrev_b64 v[5:6], v0, v[1:2]
	v_sub_u32_e32 v0, 32, v0
	v_min_u32_e32 v5, 1, v5
	v_or_b32_e32 v5, v6, v5
	v_cvt_f32_i32_e32 v5, v5
	s_mov_b32 s58, 0x47800000
	v_mov_b32_e32 v6, 0x80
	v_ldexp_f32 v0, v5, v0
	v_and_b32_e32 v5, 0x7fffffff, v0
	v_cmp_gt_u32_e32 vcc, s58, v5
	s_and_saveexec_b64 s[58:59], vcc
	s_cbranch_execz .LBB215_1098
; %bb.1093:
	s_mov_b32 s60, 0x37ffffff
	v_cmp_lt_u32_e32 vcc, s60, v5
	s_mov_b64 s[60:61], 0
                                        ; implicit-def: $vgpr5
	s_and_saveexec_b64 s[62:63], vcc
	s_xor_b64 s[62:63], exec, s[62:63]
	s_cbranch_execz .LBB215_2236
; %bb.1094:
	v_bfe_u32 v5, v0, 21, 1
	s_mov_b32 s67, 0x88fffff
	v_add3_u32 v5, v0, v5, s67
	s_mov_b64 s[60:61], exec
	v_lshrrev_b32_e32 v5, 21, v5
	s_andn2_saveexec_b64 s[62:63], s[62:63]
	s_cbranch_execnz .LBB215_2237
.LBB215_1095:
	s_or_b64 exec, exec, s[62:63]
	v_mov_b32_e32 v6, 0
	s_and_saveexec_b64 s[62:63], s[60:61]
.LBB215_1096:
	v_lshrrev_b32_e32 v0, 24, v0
	s_movk_i32 s60, 0x80
	v_and_or_b32 v6, v0, s60, v5
.LBB215_1097:
	s_or_b64 exec, exec, s[62:63]
.LBB215_1098:
	s_or_b64 exec, exec, s[58:59]
	s_mov_b64 s[58:59], 0
	global_store_byte v[3:4], v6, off
.LBB215_1099:
	s_and_b64 vcc, exec, s[58:59]
	s_cbranch_vccz .LBB215_1109
; %bb.1100:
	v_xor_b32_e32 v5, v1, v2
	v_ffbh_i32_e32 v0, v2
	v_ashrrev_i32_e32 v5, 31, v5
	v_add_u32_e32 v0, -1, v0
	v_add_u32_e32 v5, 32, v5
	v_min_u32_e32 v0, v0, v5
	v_lshlrev_b64 v[5:6], v0, v[1:2]
	v_sub_u32_e32 v0, 32, v0
	v_min_u32_e32 v5, 1, v5
	v_or_b32_e32 v5, v6, v5
	v_cvt_f32_i32_e32 v5, v5
	s_mov_b32 s58, 0x43f00000
	v_ldexp_f32 v0, v5, v0
	v_and_b32_e32 v6, 0x7fffffff, v0
	v_cmp_gt_u32_e32 vcc, s58, v6
                                        ; implicit-def: $vgpr5
	s_and_saveexec_b64 s[58:59], vcc
	s_xor_b64 s[58:59], exec, s[58:59]
	s_cbranch_execz .LBB215_1106
; %bb.1101:
	s_mov_b32 s60, 0x3c7fffff
	v_cmp_lt_u32_e32 vcc, s60, v6
                                        ; implicit-def: $vgpr5
	s_and_saveexec_b64 s[60:61], vcc
	s_xor_b64 s[60:61], exec, s[60:61]
; %bb.1102:
	v_bfe_u32 v5, v0, 20, 1
	s_mov_b32 s62, 0x407ffff
	v_add3_u32 v5, v0, v5, s62
	v_lshrrev_b32_e32 v6, 20, v5
	v_and_b32_e32 v5, 0xff00000, v5
	s_mov_b32 s62, 0x7f00000
	v_mov_b32_e32 v7, 0x7e
	v_cmp_ne_u32_e32 vcc, s62, v5
	v_cndmask_b32_e32 v5, v7, v6, vcc
; %bb.1103:
	s_andn2_saveexec_b64 s[60:61], s[60:61]
; %bb.1104:
	s_mov_b32 s62, 0x46800000
	v_add_f32_e64 v5, |v0|, s62
; %bb.1105:
	s_or_b64 exec, exec, s[60:61]
                                        ; implicit-def: $vgpr6
.LBB215_1106:
	s_andn2_saveexec_b64 s[58:59], s[58:59]
; %bb.1107:
	s_mov_b32 s60, 0x7f800000
	v_mov_b32_e32 v5, 0x7e
	v_mov_b32_e32 v7, 0x7f
	v_cmp_lt_u32_e32 vcc, s60, v6
	v_cndmask_b32_e32 v5, v5, v7, vcc
; %bb.1108:
	s_or_b64 exec, exec, s[58:59]
	v_lshrrev_b32_e32 v0, 24, v0
	s_movk_i32 s58, 0x80
	v_and_or_b32 v0, v0, s58, v5
	global_store_byte v[3:4], v0, off
.LBB215_1109:
	s_mov_b64 s[58:59], 0
.LBB215_1110:
	s_andn2_b64 vcc, exec, s[58:59]
	s_cbranch_vccnz .LBB215_1120
; %bb.1111:
	v_xor_b32_e32 v5, v1, v2
	v_ffbh_i32_e32 v0, v2
	v_ashrrev_i32_e32 v5, 31, v5
	v_add_u32_e32 v0, -1, v0
	v_add_u32_e32 v5, 32, v5
	v_min_u32_e32 v0, v0, v5
	v_lshlrev_b64 v[5:6], v0, v[1:2]
	v_sub_u32_e32 v0, 32, v0
	v_min_u32_e32 v5, 1, v5
	v_or_b32_e32 v5, v6, v5
	v_cvt_f32_i32_e32 v5, v5
	s_mov_b32 s58, 0x47800000
	v_ldexp_f32 v0, v5, v0
	v_and_b32_e32 v6, 0x7fffffff, v0
	v_cmp_gt_u32_e32 vcc, s58, v6
                                        ; implicit-def: $vgpr5
	s_and_saveexec_b64 s[58:59], vcc
	s_xor_b64 s[58:59], exec, s[58:59]
	s_cbranch_execz .LBB215_1117
; %bb.1112:
	s_mov_b32 s60, 0x387fffff
	v_cmp_lt_u32_e32 vcc, s60, v6
                                        ; implicit-def: $vgpr5
	s_and_saveexec_b64 s[60:61], vcc
	s_xor_b64 s[60:61], exec, s[60:61]
; %bb.1113:
	v_bfe_u32 v5, v0, 21, 1
	s_mov_b32 s62, 0x80fffff
	v_add3_u32 v5, v0, v5, s62
	v_lshrrev_b32_e32 v5, 21, v5
; %bb.1114:
	s_andn2_saveexec_b64 s[60:61], s[60:61]
; %bb.1115:
	s_mov_b32 s62, 0x43000000
	v_add_f32_e64 v5, |v0|, s62
; %bb.1116:
	s_or_b64 exec, exec, s[60:61]
                                        ; implicit-def: $vgpr6
.LBB215_1117:
	s_andn2_saveexec_b64 s[58:59], s[58:59]
; %bb.1118:
	s_mov_b32 s60, 0x7f800000
	v_mov_b32_e32 v5, 0x7c
	v_mov_b32_e32 v7, 0x7f
	v_cmp_lt_u32_e32 vcc, s60, v6
	v_cndmask_b32_e32 v5, v5, v7, vcc
; %bb.1119:
	s_or_b64 exec, exec, s[58:59]
	v_lshrrev_b32_e32 v0, 24, v0
	s_movk_i32 s58, 0x80
	v_and_or_b32 v0, v0, s58, v5
	global_store_byte v[3:4], v0, off
.LBB215_1120:
	s_mov_b64 s[60:61], 0
	s_mov_b64 s[58:59], -1
.LBB215_1121:
	s_andn2_b64 vcc, exec, s[60:61]
	s_cbranch_vccnz .LBB215_1129
; %bb.1122:
	s_cmp_gt_i32 s65, 14
	s_mov_b64 s[60:61], -1
	s_cbranch_scc0 .LBB215_1126
; %bb.1123:
	s_cmp_eq_u32 s65, 15
	s_mov_b64 s[0:1], -1
	s_cbranch_scc0 .LBB215_1125
; %bb.1124:
	v_xor_b32_e32 v5, v1, v2
	v_ffbh_i32_e32 v0, v2
	v_ashrrev_i32_e32 v5, 31, v5
	v_add_u32_e32 v0, -1, v0
	v_add_u32_e32 v5, 32, v5
	v_min_u32_e32 v0, v0, v5
	v_lshlrev_b64 v[5:6], v0, v[1:2]
	v_sub_u32_e32 v0, 32, v0
	v_min_u32_e32 v5, 1, v5
	v_or_b32_e32 v5, v6, v5
	v_cvt_f32_i32_e32 v5, v5
	s_movk_i32 s0, 0x7fff
	s_mov_b64 s[58:59], -1
	v_ldexp_f32 v0, v5, v0
	v_bfe_u32 v5, v0, 16, 1
	v_add3_u32 v0, v0, v5, s0
	global_store_short_d16_hi v[3:4], v0, off
	s_mov_b64 s[0:1], 0
.LBB215_1125:
	s_mov_b64 s[60:61], 0
.LBB215_1126:
	s_and_b64 vcc, exec, s[60:61]
	s_cbranch_vccz .LBB215_1129
; %bb.1127:
	s_cmp_eq_u32 s65, 11
	s_mov_b64 s[0:1], -1
	s_cbranch_scc0 .LBB215_1129
; %bb.1128:
	v_cmp_ne_u64_e32 vcc, 0, v[1:2]
	s_mov_b64 s[0:1], 0
	v_cndmask_b32_e64 v0, 0, 1, vcc
	s_mov_b64 s[58:59], -1
	global_store_byte v[3:4], v0, off
.LBB215_1129:
	s_mov_b64 s[60:61], 0
.LBB215_1130:
	s_and_b64 vcc, exec, s[60:61]
	s_cbranch_vccz .LBB215_1169
; %bb.1131:
	s_and_b32 s60, 0xffff, s64
	s_cmp_lt_i32 s60, 5
	s_mov_b64 s[58:59], -1
	s_cbranch_scc1 .LBB215_1152
; %bb.1132:
	s_cmp_lt_i32 s60, 8
	s_cbranch_scc1 .LBB215_1142
; %bb.1133:
	s_cmp_lt_i32 s60, 9
	s_cbranch_scc1 .LBB215_1139
; %bb.1134:
	s_cmp_gt_i32 s60, 9
	s_cbranch_scc0 .LBB215_1136
; %bb.1135:
	v_cvt_f64_i32_e32 v[5:6], v2
	v_cvt_f64_u32_e32 v[7:8], v1
	s_mov_b64 s[58:59], 0
	v_ldexp_f64 v[5:6], v[5:6], 32
	v_add_f64 v[5:6], v[5:6], v[7:8]
	v_mov_b32_e32 v7, 0
	v_mov_b32_e32 v8, v7
	global_store_dwordx4 v[3:4], v[5:8], off
.LBB215_1136:
	s_andn2_b64 vcc, exec, s[58:59]
	s_cbranch_vccnz .LBB215_1138
; %bb.1137:
	v_xor_b32_e32 v5, v1, v2
	v_ffbh_i32_e32 v0, v2
	v_ashrrev_i32_e32 v5, 31, v5
	v_add_u32_e32 v0, -1, v0
	v_add_u32_e32 v5, 32, v5
	v_min_u32_e32 v0, v0, v5
	v_lshlrev_b64 v[5:6], v0, v[1:2]
	v_sub_u32_e32 v0, 32, v0
	v_min_u32_e32 v5, 1, v5
	v_or_b32_e32 v5, v6, v5
	v_cvt_f32_i32_e32 v5, v5
	v_mov_b32_e32 v6, 0
	v_ldexp_f32 v5, v5, v0
	global_store_dwordx2 v[3:4], v[5:6], off
.LBB215_1138:
	s_mov_b64 s[58:59], 0
.LBB215_1139:
	s_andn2_b64 vcc, exec, s[58:59]
	s_cbranch_vccnz .LBB215_1141
; %bb.1140:
	v_xor_b32_e32 v5, v1, v2
	v_ffbh_i32_e32 v0, v2
	v_ashrrev_i32_e32 v5, 31, v5
	v_add_u32_e32 v0, -1, v0
	v_add_u32_e32 v5, 32, v5
	v_min_u32_e32 v0, v0, v5
	v_lshlrev_b64 v[5:6], v0, v[1:2]
	v_sub_u32_e32 v0, 32, v0
	v_min_u32_e32 v5, 1, v5
	v_or_b32_e32 v5, v6, v5
	v_cvt_f32_i32_e32 v5, v5
	v_ldexp_f32 v0, v5, v0
	v_cvt_f16_f32_e32 v0, v0
	global_store_dword v[3:4], v0, off
.LBB215_1141:
	s_mov_b64 s[58:59], 0
.LBB215_1142:
	s_andn2_b64 vcc, exec, s[58:59]
	s_cbranch_vccnz .LBB215_1151
; %bb.1143:
	s_cmp_lt_i32 s60, 6
	s_mov_b64 s[58:59], -1
	s_cbranch_scc1 .LBB215_1149
; %bb.1144:
	s_cmp_gt_i32 s60, 6
	s_cbranch_scc0 .LBB215_1146
; %bb.1145:
	v_cvt_f64_i32_e32 v[5:6], v2
	v_cvt_f64_u32_e32 v[7:8], v1
	s_mov_b64 s[58:59], 0
	v_ldexp_f64 v[5:6], v[5:6], 32
	v_add_f64 v[5:6], v[5:6], v[7:8]
	global_store_dwordx2 v[3:4], v[5:6], off
.LBB215_1146:
	s_andn2_b64 vcc, exec, s[58:59]
	s_cbranch_vccnz .LBB215_1148
; %bb.1147:
	v_xor_b32_e32 v5, v1, v2
	v_ffbh_i32_e32 v0, v2
	v_ashrrev_i32_e32 v5, 31, v5
	v_add_u32_e32 v0, -1, v0
	v_add_u32_e32 v5, 32, v5
	v_min_u32_e32 v0, v0, v5
	v_lshlrev_b64 v[5:6], v0, v[1:2]
	v_sub_u32_e32 v0, 32, v0
	v_min_u32_e32 v5, 1, v5
	v_or_b32_e32 v5, v6, v5
	v_cvt_f32_i32_e32 v5, v5
	v_ldexp_f32 v0, v5, v0
	global_store_dword v[3:4], v0, off
.LBB215_1148:
	s_mov_b64 s[58:59], 0
.LBB215_1149:
	s_andn2_b64 vcc, exec, s[58:59]
	s_cbranch_vccnz .LBB215_1151
; %bb.1150:
	v_xor_b32_e32 v5, v1, v2
	v_ffbh_i32_e32 v0, v2
	v_ashrrev_i32_e32 v5, 31, v5
	v_add_u32_e32 v0, -1, v0
	v_add_u32_e32 v5, 32, v5
	v_min_u32_e32 v0, v0, v5
	v_lshlrev_b64 v[5:6], v0, v[1:2]
	v_sub_u32_e32 v0, 32, v0
	v_min_u32_e32 v5, 1, v5
	v_or_b32_e32 v5, v6, v5
	v_cvt_f32_i32_e32 v5, v5
	v_ldexp_f32 v0, v5, v0
	v_cvt_f16_f32_e32 v0, v0
	global_store_short v[3:4], v0, off
.LBB215_1151:
	s_mov_b64 s[58:59], 0
.LBB215_1152:
	s_andn2_b64 vcc, exec, s[58:59]
	s_cbranch_vccnz .LBB215_1168
; %bb.1153:
	s_cmp_lt_i32 s60, 2
	s_mov_b64 s[58:59], -1
	s_cbranch_scc1 .LBB215_1163
; %bb.1154:
	s_cmp_lt_i32 s60, 3
	s_cbranch_scc1 .LBB215_1160
; %bb.1155:
	s_cmp_gt_i32 s60, 3
	s_cbranch_scc0 .LBB215_1157
; %bb.1156:
	s_mov_b64 s[58:59], 0
	global_store_dwordx2 v[3:4], v[1:2], off
.LBB215_1157:
	s_andn2_b64 vcc, exec, s[58:59]
	s_cbranch_vccnz .LBB215_1159
; %bb.1158:
	global_store_dword v[3:4], v1, off
.LBB215_1159:
	s_mov_b64 s[58:59], 0
.LBB215_1160:
	s_andn2_b64 vcc, exec, s[58:59]
	s_cbranch_vccnz .LBB215_1162
; %bb.1161:
	global_store_short v[3:4], v1, off
.LBB215_1162:
	s_mov_b64 s[58:59], 0
.LBB215_1163:
	s_andn2_b64 vcc, exec, s[58:59]
	s_cbranch_vccnz .LBB215_1168
; %bb.1164:
	s_cmp_gt_i32 s60, 0
	s_mov_b64 s[58:59], -1
	s_cbranch_scc0 .LBB215_1166
; %bb.1165:
	s_mov_b64 s[58:59], 0
	global_store_byte v[3:4], v1, off
.LBB215_1166:
	s_andn2_b64 vcc, exec, s[58:59]
	s_cbranch_vccnz .LBB215_1168
; %bb.1167:
	global_store_byte v[3:4], v1, off
.LBB215_1168:
	s_mov_b64 s[58:59], -1
.LBB215_1169:
	s_andn2_b64 vcc, exec, s[58:59]
	s_cbranch_vccnz .LBB215_1181
; %bb.1170:
	v_add_u32_e32 v10, 0x80, v10
	s_mov_b64 s[60:61], -1
.LBB215_1171:
	s_andn2_b64 s[58:59], s[48:49], exec
	s_and_b64 s[0:1], s[0:1], exec
	s_or_b64 s[58:59], s[58:59], s[0:1]
	s_andn2_b64 s[0:1], s[46:47], exec
	s_and_b64 s[56:57], s[56:57], exec
	s_or_b64 s[56:57], s[0:1], s[56:57]
	;; [unrolled: 3-line block ×3, first 2 shown]
	s_orn2_b64 s[64:65], s[60:61], exec
.LBB215_1172:
	s_or_b64 exec, exec, s[52:53]
	s_mov_b64 s[60:61], 0
	s_mov_b64 s[54:55], 0
	;; [unrolled: 1-line block ×3, first 2 shown]
                                        ; implicit-def: $sgpr73
                                        ; implicit-def: $vgpr4_vgpr5
                                        ; implicit-def: $vgpr0
                                        ; implicit-def: $vgpr3
                                        ; implicit-def: $vgpr1_vgpr2
	s_and_saveexec_b64 s[52:53], s[64:65]
	s_cbranch_execz .LBB215_1263
; %bb.1173:
	v_cmp_gt_i32_e32 vcc, s66, v10
	s_mov_b64 s[64:65], s[0:1]
	s_mov_b64 s[66:67], 0
                                        ; implicit-def: $sgpr73
                                        ; implicit-def: $vgpr4_vgpr5
                                        ; implicit-def: $vgpr0
                                        ; implicit-def: $vgpr3
                                        ; implicit-def: $vgpr1_vgpr2
	s_and_saveexec_b64 s[54:55], vcc
	s_cbranch_execz .LBB215_1262
; %bb.1174:
	s_andn2_b64 vcc, exec, s[20:21]
	s_cbranch_vccnz .LBB215_1180
; %bb.1175:
	s_andn2_b64 vcc, exec, s[34:35]
	s_cbranch_vccnz .LBB215_1182
; %bb.1176:
	s_add_i32 s34, s72, 1
	s_and_b32 s60, s34, 30
	s_add_u32 s34, s2, 0xffffffe8
	s_addc_u32 s35, s3, -1
	v_mov_b32_e32 v3, 0
	s_waitcnt vmcnt(0)
	v_mov_b32_e32 v5, 0
	v_mov_b32_e32 v0, 0
	;; [unrolled: 1-line block ×3, first 2 shown]
.LBB215_1177:                           ; =>This Inner Loop Header: Depth=1
	s_load_dwordx4 s[64:67], s[34:35], 0x1c
	s_load_dwordx2 s[62:63], s[34:35], 0x2c
	s_load_dwordx2 s[74:75], s[34:35], 0xec
	s_load_dwordx4 s[76:79], s[34:35], 0xdc
	s_add_u32 s34, s34, 24
	s_waitcnt lgkmcnt(0)
	v_mul_hi_u32 v2, s65, v1
	s_addc_u32 s35, s35, 0
	s_add_i32 s60, s60, -2
	s_cmp_eq_u32 s60, 0
	v_add_u32_e32 v2, v1, v2
	v_lshrrev_b32_e32 v2, s66, v2
	v_mul_lo_u32 v4, v2, s64
	v_mul_hi_u32 v6, s62, v2
	v_sub_u32_e32 v4, v1, v4
	v_add_u32_e32 v1, v2, v6
	v_lshrrev_b32_e32 v1, s63, v1
	v_mul_lo_u32 v8, v1, s67
	v_mul_lo_u32 v6, v4, s76
	;; [unrolled: 1-line block ×4, first 2 shown]
	v_sub_u32_e32 v2, v2, v8
	v_mul_lo_u32 v8, v2, s79
	v_mul_lo_u32 v9, v2, s74
	v_mul_lo_u32 v2, v2, s75
	v_add3_u32 v0, v6, v0, v8
	v_add3_u32 v5, v7, v5, v9
	;; [unrolled: 1-line block ×3, first 2 shown]
	s_cbranch_scc0 .LBB215_1177
; %bb.1178:
	s_bitcmp1_b32 s72, 0
	s_cselect_b64 s[60:61], -1, 0
	s_and_b64 vcc, exec, s[60:61]
	s_cbranch_vccnz .LBB215_1183
; %bb.1179:
	s_load_dwordx2 s[60:61], s[34:35], 0x1c
	s_load_dword s64, s[34:35], 0x24
	s_load_dwordx2 s[62:63], s[34:35], 0xdc
	s_waitcnt lgkmcnt(0)
	v_mul_hi_u32 v2, s61, v1
	v_add_u32_e32 v2, v1, v2
	v_lshrrev_b32_e32 v2, s64, v2
	v_mul_lo_u32 v2, v2, s60
	s_load_dword s60, s[34:35], 0xe4
	v_sub_u32_e32 v2, v1, v2
	v_mad_u64_u32 v[0:1], s[34:35], v2, s62, v[0:1]
	v_mad_u64_u32 v[5:6], s[34:35], v2, s63, v[5:6]
	s_waitcnt lgkmcnt(0)
	v_mad_u64_u32 v[3:4], s[34:35], v2, s60, v[3:4]
	s_branch .LBB215_1183
.LBB215_1180:
	s_mov_b64 s[34:35], -1
                                        ; implicit-def: $vgpr0
                                        ; implicit-def: $vgpr5
                                        ; implicit-def: $vgpr3
	s_branch .LBB215_1184
.LBB215_1181:
	s_mov_b64 s[60:61], 0
	s_branch .LBB215_928
.LBB215_1182:
	v_mov_b32_e32 v0, 0
	s_waitcnt vmcnt(0)
	v_mov_b32_e32 v5, 0
	v_mov_b32_e32 v3, 0
.LBB215_1183:
	s_mov_b64 s[34:35], 0
.LBB215_1184:
	s_andn2_b64 vcc, exec, s[34:35]
	s_cbranch_vccnz .LBB215_1187
; %bb.1185:
	s_waitcnt lgkmcnt(0)
	v_mul_hi_u32 v0, s17, v10
	s_andn2_b64 vcc, exec, s[30:31]
	v_add_u32_e32 v0, v10, v0
	s_waitcnt vmcnt(0)
	v_lshrrev_b32_e32 v1, s18, v0
	v_mul_lo_u32 v0, v1, s16
	v_sub_u32_e32 v2, v10, v0
	v_mul_lo_u32 v0, v2, s12
	v_mul_lo_u32 v5, v2, s13
	;; [unrolled: 1-line block ×3, first 2 shown]
	s_cbranch_vccnz .LBB215_1187
; %bb.1186:
	v_mul_hi_u32 v2, s28, v1
	v_add_u32_e32 v2, v1, v2
	v_lshrrev_b32_e32 v2, s29, v2
	v_mul_lo_u32 v2, v2, s19
	v_sub_u32_e32 v2, v1, v2
	v_mad_u64_u32 v[0:1], s[12:13], v2, s15, v[0:1]
	v_mad_u64_u32 v[5:6], s[12:13], v2, s26, v[5:6]
	;; [unrolled: 1-line block ×3, first 2 shown]
.LBB215_1187:
	s_waitcnt vmcnt(0) lgkmcnt(0)
	v_mov_b32_e32 v1, s11
	s_and_b32 s73, s71, 0xff
	v_add_co_u32_e32 v4, vcc, s10, v5
	s_cmp_lt_i32 s73, 11
	v_addc_co_u32_e32 v5, vcc, 0, v1, vcc
	s_cbranch_scc1 .LBB215_1194
; %bb.1188:
	s_and_b32 s18, 0xffff, s73
	s_cmp_gt_i32 s18, 25
	s_mov_b64 s[12:13], 0
	s_cbranch_scc0 .LBB215_1195
; %bb.1189:
	s_cmp_gt_i32 s18, 28
	s_cbranch_scc0 .LBB215_1196
; %bb.1190:
	s_cmp_gt_i32 s18, 43
	;; [unrolled: 3-line block ×3, first 2 shown]
	s_cbranch_scc0 .LBB215_1198
; %bb.1192:
	s_cmp_eq_u32 s18, 46
	s_mov_b64 s[16:17], 0
	s_cbranch_scc0 .LBB215_1201
; %bb.1193:
	global_load_dword v1, v[4:5], off
	s_mov_b32 s10, 0x2f800000
	s_mov_b32 s11, 0xcf800000
	s_mov_b64 s[14:15], -1
	s_waitcnt vmcnt(0)
	v_lshlrev_b32_e32 v1, 16, v1
	v_trunc_f32_e32 v1, v1
	v_mul_f32_e64 v2, |v1|, s10
	v_floor_f32_e32 v2, v2
	v_fma_f32 v6, v2, s11, |v1|
	v_cvt_u32_f32_e32 v6, v6
	v_cvt_u32_f32_e32 v2, v2
	v_ashrrev_i32_e32 v7, 31, v1
	s_mov_b64 s[10:11], 0
	v_xor_b32_e32 v1, v6, v7
	v_xor_b32_e32 v2, v2, v7
	v_sub_co_u32_e32 v1, vcc, v1, v7
	v_subb_co_u32_e32 v2, vcc, v2, v7, vcc
	s_branch .LBB215_1202
.LBB215_1194:
	s_mov_b64 s[16:17], -1
	s_mov_b64 s[14:15], 0
	s_mov_b64 s[12:13], 0
	;; [unrolled: 1-line block ×3, first 2 shown]
                                        ; implicit-def: $vgpr1_vgpr2
	s_branch .LBB215_1261
.LBB215_1195:
	s_mov_b64 s[16:17], -1
	s_mov_b64 s[14:15], 0
	s_mov_b64 s[10:11], s[0:1]
                                        ; implicit-def: $vgpr1_vgpr2
	s_branch .LBB215_1231
.LBB215_1196:
	s_mov_b64 s[16:17], -1
	s_mov_b64 s[14:15], 0
	s_mov_b64 s[10:11], s[0:1]
                                        ; implicit-def: $vgpr1_vgpr2
	s_branch .LBB215_1212
.LBB215_1197:
	s_mov_b64 s[16:17], -1
	s_mov_b64 s[14:15], 0
	s_mov_b64 s[10:11], s[0:1]
                                        ; implicit-def: $vgpr1_vgpr2
	s_branch .LBB215_1207
.LBB215_1198:
	s_mov_b64 s[16:17], -1
	s_mov_b64 s[14:15], 0
	s_mov_b64 s[10:11], s[0:1]
                                        ; implicit-def: $vgpr1_vgpr2
	s_branch .LBB215_1202
.LBB215_1199:
	s_andn2_saveexec_b64 s[62:63], s[62:63]
	s_cbranch_execz .LBB215_1082
.LBB215_1200:
	s_mov_b32 s67, 0x46000000
	v_add_f32_e64 v5, |v0|, s67
	v_and_b32_e32 v5, 0xff, v5
	v_cmp_ne_u32_e32 vcc, 0, v5
	s_andn2_b64 s[60:61], s[60:61], exec
	s_and_b64 s[74:75], vcc, exec
	s_or_b64 s[60:61], s[60:61], s[74:75]
	s_or_b64 exec, exec, s[62:63]
	v_mov_b32_e32 v6, 0
	s_and_saveexec_b64 s[62:63], s[60:61]
	s_cbranch_execnz .LBB215_1083
	s_branch .LBB215_1084
.LBB215_1201:
	s_mov_b64 s[10:11], -1
                                        ; implicit-def: $vgpr1_vgpr2
	s_mov_b64 s[14:15], 0
.LBB215_1202:
	s_and_b64 vcc, exec, s[16:17]
	s_cbranch_vccz .LBB215_1206
; %bb.1203:
	s_cmp_eq_u32 s18, 44
	s_cbranch_scc0 .LBB215_1205
; %bb.1204:
	global_load_ubyte v1, v[4:5], off
	s_mov_b32 s10, 0x2f800000
	s_mov_b32 s11, 0xcf800000
	s_mov_b64 s[14:15], -1
	s_waitcnt vmcnt(0)
	v_lshlrev_b32_e32 v2, 23, v1
	v_trunc_f32_e32 v2, v2
	v_mul_f32_e64 v6, |v2|, s10
	v_floor_f32_e32 v6, v6
	v_fma_f32 v7, v6, s11, |v2|
	v_cvt_u32_f32_e32 v7, v7
	v_cvt_u32_f32_e32 v6, v6
	v_ashrrev_i32_e32 v2, 31, v2
	s_mov_b64 s[10:11], 0
	v_xor_b32_e32 v7, v7, v2
	v_xor_b32_e32 v6, v6, v2
	v_sub_co_u32_e32 v7, vcc, v7, v2
	v_subb_co_u32_e32 v2, vcc, v6, v2, vcc
	v_cmp_ne_u32_e32 vcc, 0, v1
	v_cndmask_b32_e32 v2, 0, v2, vcc
	v_cndmask_b32_e32 v1, 0, v7, vcc
	s_branch .LBB215_1206
.LBB215_1205:
	s_mov_b64 s[10:11], -1
                                        ; implicit-def: $vgpr1_vgpr2
.LBB215_1206:
	s_mov_b64 s[16:17], 0
.LBB215_1207:
	s_and_b64 vcc, exec, s[16:17]
	s_cbranch_vccz .LBB215_1211
; %bb.1208:
	s_cmp_eq_u32 s18, 29
	s_cbranch_scc0 .LBB215_1210
; %bb.1209:
	global_load_dwordx2 v[1:2], v[4:5], off
	s_mov_b64 s[10:11], 0
	s_mov_b64 s[14:15], -1
	s_branch .LBB215_1211
.LBB215_1210:
	s_mov_b64 s[10:11], -1
                                        ; implicit-def: $vgpr1_vgpr2
.LBB215_1211:
	s_mov_b64 s[16:17], 0
.LBB215_1212:
	s_and_b64 vcc, exec, s[16:17]
	s_cbranch_vccz .LBB215_1230
; %bb.1213:
	s_cmp_lt_i32 s18, 27
	s_cbranch_scc1 .LBB215_1216
; %bb.1214:
	s_cmp_gt_i32 s18, 27
	s_cbranch_scc0 .LBB215_1217
; %bb.1215:
	global_load_dword v1, v[4:5], off
	s_waitcnt vmcnt(1)
	v_mov_b32_e32 v2, 0
	s_mov_b64 s[14:15], 0
	s_branch .LBB215_1218
.LBB215_1216:
	s_mov_b64 s[14:15], -1
                                        ; implicit-def: $vgpr1_vgpr2
	s_branch .LBB215_1221
.LBB215_1217:
	s_mov_b64 s[14:15], -1
                                        ; implicit-def: $vgpr1_vgpr2
.LBB215_1218:
	s_andn2_b64 vcc, exec, s[14:15]
	s_cbranch_vccnz .LBB215_1220
; %bb.1219:
	global_load_ushort v1, v[4:5], off
	s_mov_b32 s14, 0
	s_waitcnt vmcnt(1)
	v_mov_b32_e32 v2, s14
	s_waitcnt vmcnt(0)
	v_and_b32_e32 v1, 0xffff, v1
.LBB215_1220:
	s_mov_b64 s[14:15], 0
.LBB215_1221:
	s_andn2_b64 vcc, exec, s[14:15]
	s_cbranch_vccnz .LBB215_1229
; %bb.1222:
	global_load_ubyte v6, v[4:5], off
	s_movk_i32 s14, 0x7f
	s_mov_b64 s[16:17], 0
	s_waitcnt vmcnt(0)
	v_cmp_lt_i16_e32 vcc, s14, v6
	s_and_saveexec_b64 s[14:15], vcc
	s_xor_b64 s[14:15], exec, s[14:15]
; %bb.1223:
	s_movk_i32 s16, 0x80
	v_cmp_ne_u16_e32 vcc, s16, v6
	s_and_b64 s[16:17], vcc, exec
; %bb.1224:
	s_andn2_saveexec_b64 s[14:15], s[14:15]
; %bb.1225:
	v_cmp_ne_u16_e32 vcc, 0, v6
	s_andn2_b64 s[16:17], s[16:17], exec
	s_and_b64 s[26:27], vcc, exec
	s_or_b64 s[16:17], s[16:17], s[26:27]
; %bb.1226:
	s_or_b64 exec, exec, s[14:15]
	v_mov_b32_e32 v1, 0
	v_mov_b32_e32 v2, 0
	s_and_saveexec_b64 s[14:15], s[16:17]
	s_cbranch_execz .LBB215_1228
; %bb.1227:
	v_and_b32_e32 v2, 0xffff, v6
	v_lshlrev_b32_e32 v1, 24, v6
	v_and_b32_e32 v6, 7, v2
	v_ffbh_u32_e32 v8, v6
	v_min_u32_e32 v8, 32, v8
	v_subrev_u32_e32 v9, 28, v8
	v_bfe_u32 v7, v2, 3, 4
	v_lshlrev_b32_e32 v2, v9, v2
	v_sub_u32_e32 v8, 29, v8
	v_and_b32_e32 v2, 7, v2
	v_cmp_eq_u32_e32 vcc, 0, v7
	v_cndmask_b32_e32 v7, v7, v8, vcc
	v_cndmask_b32_e32 v2, v6, v2, vcc
	v_mov_b32_e32 v6, 0x3b800000
	v_lshlrev_b32_e32 v2, 20, v2
	v_and_b32_e32 v1, 0x80000000, v1
	v_lshl_add_u32 v6, v7, 23, v6
	v_or3_b32 v1, v1, v6, v2
	v_trunc_f32_e32 v1, v1
	s_mov_b32 s16, 0x2f800000
	v_mul_f32_e64 v2, |v1|, s16
	v_floor_f32_e32 v2, v2
	s_mov_b32 s16, 0xcf800000
	v_fma_f32 v6, v2, s16, |v1|
	v_cvt_u32_f32_e32 v6, v6
	v_cvt_u32_f32_e32 v2, v2
	v_ashrrev_i32_e32 v7, 31, v1
	v_xor_b32_e32 v1, v6, v7
	v_xor_b32_e32 v2, v2, v7
	v_sub_co_u32_e32 v1, vcc, v1, v7
	v_subb_co_u32_e32 v2, vcc, v2, v7, vcc
.LBB215_1228:
	s_or_b64 exec, exec, s[14:15]
.LBB215_1229:
	s_mov_b64 s[14:15], -1
.LBB215_1230:
	s_mov_b64 s[16:17], 0
.LBB215_1231:
	s_and_b64 vcc, exec, s[16:17]
	s_cbranch_vccz .LBB215_1260
; %bb.1232:
	s_cmp_gt_i32 s18, 22
	s_cbranch_scc0 .LBB215_1242
; %bb.1233:
	s_cmp_lt_i32 s18, 24
	s_cbranch_scc1 .LBB215_1243
; %bb.1234:
	s_cmp_gt_i32 s18, 24
	s_cbranch_scc0 .LBB215_1244
; %bb.1235:
	global_load_ubyte v6, v[4:5], off
	s_movk_i32 s12, 0x7f
	s_mov_b64 s[14:15], 0
	s_waitcnt vmcnt(0)
	v_cmp_lt_i16_e32 vcc, s12, v6
	s_and_saveexec_b64 s[12:13], vcc
	s_xor_b64 s[12:13], exec, s[12:13]
; %bb.1236:
	s_movk_i32 s14, 0x80
	v_cmp_ne_u16_e32 vcc, s14, v6
	s_and_b64 s[14:15], vcc, exec
; %bb.1237:
	s_andn2_saveexec_b64 s[12:13], s[12:13]
; %bb.1238:
	v_cmp_ne_u16_e32 vcc, 0, v6
	s_andn2_b64 s[14:15], s[14:15], exec
	s_and_b64 s[16:17], vcc, exec
	s_or_b64 s[14:15], s[14:15], s[16:17]
; %bb.1239:
	s_or_b64 exec, exec, s[12:13]
	v_mov_b32_e32 v1, 0
	v_mov_b32_e32 v2, 0
	s_and_saveexec_b64 s[12:13], s[14:15]
	s_cbranch_execz .LBB215_1241
; %bb.1240:
	v_and_b32_e32 v2, 0xffff, v6
	v_lshlrev_b32_e32 v1, 24, v6
	v_and_b32_e32 v6, 3, v2
	v_ffbh_u32_e32 v8, v6
	v_min_u32_e32 v8, 32, v8
	v_subrev_u32_e32 v9, 29, v8
	v_bfe_u32 v7, v2, 2, 5
	v_lshlrev_b32_e32 v2, v9, v2
	v_sub_u32_e32 v8, 30, v8
	v_and_b32_e32 v2, 3, v2
	v_cmp_eq_u32_e32 vcc, 0, v7
	v_cndmask_b32_e32 v7, v7, v8, vcc
	v_cndmask_b32_e32 v2, v6, v2, vcc
	v_mov_b32_e32 v6, 0x37800000
	v_lshlrev_b32_e32 v2, 21, v2
	v_and_b32_e32 v1, 0x80000000, v1
	v_lshl_add_u32 v6, v7, 23, v6
	v_or3_b32 v1, v1, v6, v2
	v_trunc_f32_e32 v1, v1
	s_mov_b32 s14, 0x2f800000
	v_mul_f32_e64 v2, |v1|, s14
	v_floor_f32_e32 v2, v2
	s_mov_b32 s14, 0xcf800000
	v_fma_f32 v6, v2, s14, |v1|
	v_cvt_u32_f32_e32 v6, v6
	v_cvt_u32_f32_e32 v2, v2
	v_ashrrev_i32_e32 v7, 31, v1
	v_xor_b32_e32 v1, v6, v7
	v_xor_b32_e32 v2, v2, v7
	v_sub_co_u32_e32 v1, vcc, v1, v7
	v_subb_co_u32_e32 v2, vcc, v2, v7, vcc
.LBB215_1241:
	s_or_b64 exec, exec, s[12:13]
	s_mov_b64 s[12:13], 0
	s_branch .LBB215_1245
.LBB215_1242:
	s_mov_b64 s[12:13], -1
                                        ; implicit-def: $vgpr1_vgpr2
	s_branch .LBB215_1251
.LBB215_1243:
	s_mov_b64 s[12:13], -1
                                        ; implicit-def: $vgpr1_vgpr2
	s_branch .LBB215_1248
.LBB215_1244:
	s_mov_b64 s[12:13], -1
                                        ; implicit-def: $vgpr1_vgpr2
.LBB215_1245:
	s_and_b64 vcc, exec, s[12:13]
	s_cbranch_vccz .LBB215_1247
; %bb.1246:
	global_load_ubyte v1, v[4:5], off
	s_mov_b32 s12, 0x7f800000
	s_brev_b32 s13, 1
	s_mov_b32 s14, 0x2f800000
	s_mov_b32 s15, 0xcf800000
	s_waitcnt vmcnt(0)
	v_lshlrev_b32_e32 v1, 24, v1
	v_and_b32_e32 v2, 0x7f000000, v1
	v_ffbh_u32_e32 v6, v2
	v_min_u32_e32 v6, 32, v6
	v_sub_u32_e64 v6, v6, 4 clamp
	v_lshlrev_b32_e32 v8, v6, v2
	v_lshlrev_b32_e32 v6, 23, v6
	v_lshrrev_b32_e32 v8, 4, v8
	v_add_u32_e32 v7, 0x1000000, v2
	v_sub_u32_e32 v6, v8, v6
	v_ashrrev_i32_e32 v7, 8, v7
	v_add_u32_e32 v6, 0x3c000000, v6
	v_and_or_b32 v6, v7, s12, v6
	v_cmp_ne_u32_e32 vcc, 0, v2
	v_cndmask_b32_e32 v2, 0, v6, vcc
	v_and_or_b32 v1, v1, s13, v2
	v_trunc_f32_e32 v1, v1
	v_mul_f32_e64 v2, |v1|, s14
	v_floor_f32_e32 v2, v2
	v_fma_f32 v6, v2, s15, |v1|
	v_cvt_u32_f32_e32 v6, v6
	v_cvt_u32_f32_e32 v2, v2
	v_ashrrev_i32_e32 v7, 31, v1
	v_xor_b32_e32 v1, v6, v7
	v_xor_b32_e32 v2, v2, v7
	v_sub_co_u32_e32 v1, vcc, v1, v7
	v_subb_co_u32_e32 v2, vcc, v2, v7, vcc
.LBB215_1247:
	s_mov_b64 s[12:13], 0
.LBB215_1248:
	s_andn2_b64 vcc, exec, s[12:13]
	s_cbranch_vccnz .LBB215_1250
; %bb.1249:
	global_load_ubyte v1, v[4:5], off
	s_movk_i32 s12, 0x7f00
	s_brev_b32 s13, 16
	s_brev_b32 s14, 1
	s_mov_b32 s15, 0x2f800000
	s_mov_b32 s16, 0xcf800000
	s_waitcnt vmcnt(0)
	v_lshlrev_b16_e32 v2, 8, v1
	v_lshlrev_b32_e32 v1, 25, v1
	v_lshrrev_b32_e32 v6, 4, v1
	v_and_or_b32 v7, v2, s12, 0.5
	v_or_b32_e32 v6, 0x70000000, v6
	v_add_f32_e32 v7, -0.5, v7
	v_mul_f32_e32 v6, 0x7800000, v6
	v_cmp_gt_u32_e32 vcc, s13, v1
	v_bfe_i32 v2, v2, 0, 16
	v_cndmask_b32_e32 v1, v6, v7, vcc
	v_and_or_b32 v1, v2, s14, v1
	v_trunc_f32_e32 v1, v1
	v_mul_f32_e64 v2, |v1|, s15
	v_floor_f32_e32 v2, v2
	v_fma_f32 v6, v2, s16, |v1|
	v_cvt_u32_f32_e32 v6, v6
	v_cvt_u32_f32_e32 v2, v2
	v_ashrrev_i32_e32 v7, 31, v1
	v_xor_b32_e32 v1, v6, v7
	v_xor_b32_e32 v2, v2, v7
	v_sub_co_u32_e32 v1, vcc, v1, v7
	v_subb_co_u32_e32 v2, vcc, v2, v7, vcc
.LBB215_1250:
	s_mov_b64 s[12:13], 0
	s_mov_b64 s[14:15], -1
.LBB215_1251:
	s_andn2_b64 vcc, exec, s[12:13]
	s_mov_b64 s[12:13], 0
	s_cbranch_vccnz .LBB215_1260
; %bb.1252:
	s_cmp_gt_i32 s18, 14
	s_cbranch_scc0 .LBB215_1255
; %bb.1253:
	s_cmp_eq_u32 s18, 15
	s_cbranch_scc0 .LBB215_1256
; %bb.1254:
	global_load_ushort v1, v[4:5], off
	s_mov_b32 s10, 0x2f800000
	s_mov_b32 s11, 0xcf800000
	s_mov_b64 s[14:15], -1
	s_waitcnt vmcnt(0)
	v_lshlrev_b32_e32 v1, 16, v1
	v_trunc_f32_e32 v1, v1
	v_mul_f32_e64 v2, |v1|, s10
	v_floor_f32_e32 v2, v2
	v_fma_f32 v6, v2, s11, |v1|
	v_cvt_u32_f32_e32 v6, v6
	v_cvt_u32_f32_e32 v2, v2
	v_ashrrev_i32_e32 v7, 31, v1
	s_mov_b64 s[10:11], 0
	v_xor_b32_e32 v1, v6, v7
	v_xor_b32_e32 v2, v2, v7
	v_sub_co_u32_e32 v1, vcc, v1, v7
	v_subb_co_u32_e32 v2, vcc, v2, v7, vcc
	s_branch .LBB215_1257
.LBB215_1255:
	s_mov_b64 s[16:17], -1
                                        ; implicit-def: $vgpr1_vgpr2
	s_branch .LBB215_1258
.LBB215_1256:
	s_mov_b64 s[10:11], -1
                                        ; implicit-def: $vgpr1_vgpr2
.LBB215_1257:
	s_mov_b64 s[16:17], 0
.LBB215_1258:
	s_and_b64 vcc, exec, s[16:17]
	s_cbranch_vccz .LBB215_1260
; %bb.1259:
	s_cmp_lg_u32 s18, 11
	s_cselect_b64 s[16:17], -1, 0
	s_andn2_b64 s[10:11], s[10:11], exec
	s_and_b64 s[16:17], s[16:17], exec
	s_mov_b64 s[12:13], -1
	s_or_b64 s[10:11], s[10:11], s[16:17]
.LBB215_1260:
	s_mov_b64 s[16:17], 0
.LBB215_1261:
	s_and_b64 s[60:61], s[12:13], exec
	s_andn2_b64 s[12:13], s[0:1], exec
	s_and_b64 s[10:11], s[10:11], exec
	s_and_b64 s[62:63], s[14:15], exec
	;; [unrolled: 1-line block ×3, first 2 shown]
	s_or_b64 s[64:65], s[12:13], s[10:11]
.LBB215_1262:
	s_or_b64 exec, exec, s[54:55]
	s_andn2_b64 s[0:1], s[0:1], exec
	s_waitcnt lgkmcnt(0)
	s_and_b64 s[10:11], s[64:65], exec
	s_and_b64 s[62:63], s[62:63], exec
	;; [unrolled: 1-line block ×4, first 2 shown]
	s_or_b64 s[0:1], s[0:1], s[10:11]
.LBB215_1263:
	s_or_b64 exec, exec, s[52:53]
	s_waitcnt lgkmcnt(0)
	s_andn2_b64 s[10:11], s[48:49], exec
	s_and_b64 s[12:13], s[58:59], exec
	s_or_b64 s[48:49], s[10:11], s[12:13]
	s_andn2_b64 s[10:11], s[46:47], exec
	s_and_b64 s[12:13], s[56:57], exec
	s_or_b64 s[46:47], s[10:11], s[12:13]
	s_andn2_b64 s[10:11], s[44:45], exec
	s_and_b64 s[0:1], s[0:1], exec
	s_and_b64 s[56:57], s[62:63], exec
	;; [unrolled: 1-line block ×4, first 2 shown]
	s_or_b64 s[44:45], s[10:11], s[0:1]
.LBB215_1264:
	s_or_b64 exec, exec, s[50:51]
	s_andn2_b64 s[0:1], s[36:37], exec
	s_waitcnt lgkmcnt(0)
	s_and_b64 s[10:11], s[48:49], exec
	s_or_b64 s[36:37], s[0:1], s[10:11]
	s_andn2_b64 s[0:1], s[38:39], exec
	s_and_b64 s[10:11], s[46:47], exec
	s_or_b64 s[38:39], s[0:1], s[10:11]
	s_andn2_b64 s[0:1], s[40:41], exec
	s_and_b64 s[10:11], s[44:45], exec
	s_and_b64 s[48:49], s[56:57], exec
	;; [unrolled: 1-line block ×4, first 2 shown]
	s_or_b64 s[40:41], s[0:1], s[10:11]
	s_or_b64 exec, exec, s[42:43]
	s_mov_b64 s[10:11], 0
	s_and_saveexec_b64 s[0:1], s[40:41]
	s_cbranch_execz .LBB215_395
.LBB215_1265:
	s_mov_b64 s[10:11], exec
	s_andn2_b64 s[46:47], s[46:47], exec
	s_trap 2
	s_or_b64 exec, exec, s[0:1]
	s_and_saveexec_b64 s[0:1], s[46:47]
	s_xor_b64 s[0:1], exec, s[0:1]
	s_cbranch_execnz .LBB215_396
.LBB215_1266:
	s_or_b64 exec, exec, s[0:1]
	s_and_saveexec_b64 s[0:1], s[50:51]
	s_cbranch_execz .LBB215_1312
.LBB215_1267:
	s_sext_i32_i16 s12, s73
	s_cmp_lt_i32 s12, 5
	s_cbranch_scc1 .LBB215_1272
; %bb.1268:
	s_cmp_lt_i32 s12, 8
	s_cbranch_scc1 .LBB215_1273
; %bb.1269:
	s_cmp_lt_i32 s12, 9
	s_cbranch_scc1 .LBB215_1274
; %bb.1270:
	s_cmp_gt_i32 s12, 9
	s_cbranch_scc0 .LBB215_1275
; %bb.1271:
	s_waitcnt vmcnt(0)
	global_load_dwordx2 v[1:2], v[4:5], off
	s_movk_i32 s12, 0xffe0
	s_waitcnt vmcnt(0)
	v_trunc_f64_e32 v[1:2], v[1:2]
	v_ldexp_f64 v[6:7], v[1:2], s12
	s_mov_b32 s12, 0
	s_mov_b32 s13, 0xc1f00000
	v_floor_f64_e32 v[6:7], v[6:7]
	v_fma_f64 v[8:9], v[6:7], s[12:13], v[1:2]
	v_cvt_i32_f64_e32 v2, v[6:7]
	s_mov_b64 s[12:13], 0
	v_cvt_u32_f64_e32 v1, v[8:9]
	s_branch .LBB215_1276
.LBB215_1272:
                                        ; implicit-def: $vgpr1_vgpr2
	s_branch .LBB215_1293
.LBB215_1273:
                                        ; implicit-def: $vgpr1_vgpr2
	s_branch .LBB215_1282
.LBB215_1274:
	s_mov_b64 s[12:13], -1
                                        ; implicit-def: $vgpr1_vgpr2
	s_branch .LBB215_1279
.LBB215_1275:
	s_mov_b64 s[12:13], -1
                                        ; implicit-def: $vgpr1_vgpr2
.LBB215_1276:
	s_andn2_b64 vcc, exec, s[12:13]
	s_cbranch_vccnz .LBB215_1278
; %bb.1277:
	s_waitcnt vmcnt(0)
	global_load_dword v1, v[4:5], off
	s_mov_b32 s12, 0x2f800000
	s_mov_b32 s13, 0xcf800000
	s_waitcnt vmcnt(0)
	v_trunc_f32_e32 v1, v1
	v_mul_f32_e64 v2, |v1|, s12
	v_floor_f32_e32 v2, v2
	v_cvt_u32_f32_e32 v6, v2
	v_fma_f32 v2, v2, s13, |v1|
	v_cvt_u32_f32_e32 v2, v2
	v_ashrrev_i32_e32 v7, 31, v1
	v_xor_b32_e32 v6, v6, v7
	v_xor_b32_e32 v1, v2, v7
	v_sub_co_u32_e32 v1, vcc, v1, v7
	v_subb_co_u32_e32 v2, vcc, v6, v7, vcc
.LBB215_1278:
	s_mov_b64 s[12:13], 0
.LBB215_1279:
	s_andn2_b64 vcc, exec, s[12:13]
	s_cbranch_vccnz .LBB215_1281
; %bb.1280:
	s_waitcnt vmcnt(0)
	global_load_dword v1, v[4:5], off
	s_waitcnt vmcnt(0)
	v_cvt_f32_f16_e32 v1, v1
	v_cvt_i32_f32_e32 v1, v1
	v_ashrrev_i32_e32 v2, 31, v1
.LBB215_1281:
	s_cbranch_execnz .LBB215_1292
.LBB215_1282:
	s_sext_i32_i16 s12, s73
	s_cmp_lt_i32 s12, 6
	s_cbranch_scc1 .LBB215_1285
; %bb.1283:
	s_cmp_gt_i32 s12, 6
	s_cbranch_scc0 .LBB215_1286
; %bb.1284:
	s_waitcnt vmcnt(0)
	global_load_dwordx2 v[1:2], v[4:5], off
	s_movk_i32 s12, 0xffe0
	s_waitcnt vmcnt(0)
	v_trunc_f64_e32 v[1:2], v[1:2]
	v_ldexp_f64 v[6:7], v[1:2], s12
	s_mov_b32 s12, 0
	s_mov_b32 s13, 0xc1f00000
	v_floor_f64_e32 v[6:7], v[6:7]
	v_fma_f64 v[8:9], v[6:7], s[12:13], v[1:2]
	v_cvt_i32_f64_e32 v2, v[6:7]
	s_mov_b64 s[12:13], 0
	v_cvt_u32_f64_e32 v1, v[8:9]
	s_branch .LBB215_1287
.LBB215_1285:
	s_mov_b64 s[12:13], -1
                                        ; implicit-def: $vgpr1_vgpr2
	s_branch .LBB215_1290
.LBB215_1286:
	s_mov_b64 s[12:13], -1
                                        ; implicit-def: $vgpr1_vgpr2
.LBB215_1287:
	s_andn2_b64 vcc, exec, s[12:13]
	s_cbranch_vccnz .LBB215_1289
; %bb.1288:
	s_waitcnt vmcnt(0)
	global_load_dword v1, v[4:5], off
	s_mov_b32 s12, 0x2f800000
	s_mov_b32 s13, 0xcf800000
	s_waitcnt vmcnt(0)
	v_trunc_f32_e32 v1, v1
	v_mul_f32_e64 v2, |v1|, s12
	v_floor_f32_e32 v2, v2
	v_cvt_u32_f32_e32 v6, v2
	v_fma_f32 v2, v2, s13, |v1|
	v_cvt_u32_f32_e32 v2, v2
	v_ashrrev_i32_e32 v7, 31, v1
	v_xor_b32_e32 v6, v6, v7
	v_xor_b32_e32 v1, v2, v7
	v_sub_co_u32_e32 v1, vcc, v1, v7
	v_subb_co_u32_e32 v2, vcc, v6, v7, vcc
.LBB215_1289:
	s_mov_b64 s[12:13], 0
.LBB215_1290:
	s_andn2_b64 vcc, exec, s[12:13]
	s_cbranch_vccnz .LBB215_1292
; %bb.1291:
	s_waitcnt vmcnt(0)
	global_load_ushort v1, v[4:5], off
	s_waitcnt vmcnt(0)
	v_cvt_f32_f16_e32 v1, v1
	v_cvt_i32_f32_e32 v1, v1
	v_ashrrev_i32_e32 v2, 31, v1
.LBB215_1292:
	s_cbranch_execnz .LBB215_1311
.LBB215_1293:
	s_sext_i32_i16 s12, s73
	s_cmp_lt_i32 s12, 2
	s_cbranch_scc1 .LBB215_1297
; %bb.1294:
	s_cmp_lt_i32 s12, 3
	s_cbranch_scc1 .LBB215_1298
; %bb.1295:
	s_cmp_gt_i32 s12, 3
	s_cbranch_scc0 .LBB215_1299
; %bb.1296:
	s_waitcnt vmcnt(0)
	global_load_dwordx2 v[1:2], v[4:5], off
	s_mov_b64 s[12:13], 0
	s_branch .LBB215_1300
.LBB215_1297:
                                        ; implicit-def: $vgpr1_vgpr2
	s_branch .LBB215_1306
.LBB215_1298:
	s_mov_b64 s[12:13], -1
                                        ; implicit-def: $vgpr1_vgpr2
	s_branch .LBB215_1303
.LBB215_1299:
	s_mov_b64 s[12:13], -1
                                        ; implicit-def: $vgpr1_vgpr2
.LBB215_1300:
	s_andn2_b64 vcc, exec, s[12:13]
	s_cbranch_vccnz .LBB215_1302
; %bb.1301:
	s_waitcnt vmcnt(0)
	global_load_dword v1, v[4:5], off
	s_waitcnt vmcnt(0)
	v_ashrrev_i32_e32 v2, 31, v1
.LBB215_1302:
	s_mov_b64 s[12:13], 0
.LBB215_1303:
	s_andn2_b64 vcc, exec, s[12:13]
	s_cbranch_vccnz .LBB215_1305
; %bb.1304:
	s_waitcnt vmcnt(0)
	global_load_ushort v1, v[4:5], off
	s_waitcnt vmcnt(0)
	v_bfe_i32 v1, v1, 0, 16
	v_ashrrev_i32_e32 v2, 31, v1
.LBB215_1305:
	s_cbranch_execnz .LBB215_1311
.LBB215_1306:
	s_sext_i32_i16 s12, s73
	s_cmp_gt_i32 s12, 0
	s_cbranch_scc0 .LBB215_1308
; %bb.1307:
	s_waitcnt vmcnt(0)
	global_load_sbyte v1, v[4:5], off
	s_mov_b64 s[12:13], 0
	s_waitcnt vmcnt(0)
	v_bfe_i32 v1, v1, 0, 16
	v_ashrrev_i32_e32 v2, 31, v1
	s_branch .LBB215_1309
.LBB215_1308:
	s_mov_b64 s[12:13], -1
                                        ; implicit-def: $vgpr1_vgpr2
.LBB215_1309:
	s_andn2_b64 vcc, exec, s[12:13]
	s_cbranch_vccnz .LBB215_1311
; %bb.1310:
	s_waitcnt vmcnt(0)
	global_load_ubyte v1, v[4:5], off
	s_mov_b32 s12, 0
	v_mov_b32_e32 v2, s12
	s_waitcnt vmcnt(0)
	v_and_b32_e32 v1, 0xffff, v1
.LBB215_1311:
	s_or_b64 s[48:49], s[48:49], exec
.LBB215_1312:
	s_or_b64 exec, exec, s[0:1]
	s_mov_b64 s[16:17], 0
	s_mov_b64 s[18:19], 0
	;; [unrolled: 1-line block ×3, first 2 shown]
                                        ; implicit-def: $sgpr26
                                        ; implicit-def: $vgpr4_vgpr5
                                        ; implicit-def: $vgpr7_vgpr8
	s_and_saveexec_b64 s[0:1], s[48:49]
	s_cbranch_execz .LBB215_1320
; %bb.1313:
	s_waitcnt vmcnt(0)
	v_mov_b32_e32 v5, s25
	s_and_b32 s26, s70, 0xff
	v_add_co_u32_e32 v4, vcc, s24, v3
	s_cmp_lt_i32 s26, 11
	v_addc_co_u32_e32 v5, vcc, 0, v5, vcc
	s_cbranch_scc1 .LBB215_1323
; %bb.1314:
	s_and_b32 s24, 0xffff, s26
	s_cmp_gt_i32 s24, 25
	s_cbranch_scc0 .LBB215_1324
; %bb.1315:
	s_cmp_gt_i32 s24, 28
	s_cbranch_scc0 .LBB215_1325
; %bb.1316:
	;; [unrolled: 3-line block ×4, first 2 shown]
	s_cmp_eq_u32 s24, 46
	s_cbranch_scc0 .LBB215_1328
; %bb.1319:
	global_load_dword v3, v[4:5], off
	s_mov_b32 s12, 0x2f800000
	s_mov_b32 s13, 0xcf800000
	s_mov_b64 s[14:15], -1
	s_waitcnt vmcnt(0)
	v_lshlrev_b32_e32 v3, 16, v3
	v_trunc_f32_e32 v3, v3
	v_mul_f32_e64 v6, |v3|, s12
	v_floor_f32_e32 v6, v6
	v_fma_f32 v7, v6, s13, |v3|
	v_cvt_u32_f32_e32 v7, v7
	v_cvt_u32_f32_e32 v6, v6
	v_ashrrev_i32_e32 v3, 31, v3
	s_mov_b64 s[12:13], 0
	v_xor_b32_e32 v7, v7, v3
	v_xor_b32_e32 v6, v6, v3
	v_sub_co_u32_e32 v7, vcc, v7, v3
	v_subb_co_u32_e32 v8, vcc, v6, v3, vcc
	s_branch .LBB215_1330
.LBB215_1320:
	s_or_b64 exec, exec, s[0:1]
	s_and_saveexec_b64 s[0:1], s[38:39]
	s_cbranch_execnz .LBB215_1389
.LBB215_1321:
	s_or_b64 exec, exec, s[0:1]
	s_and_saveexec_b64 s[0:1], s[16:17]
	s_xor_b64 s[0:1], exec, s[0:1]
	s_cbranch_execz .LBB215_1390
.LBB215_1322:
	s_waitcnt vmcnt(0)
	global_load_ubyte v3, v[4:5], off
	s_mov_b32 s12, 0
	v_mov_b32_e32 v8, s12
	s_or_b64 s[14:15], s[14:15], exec
	s_waitcnt vmcnt(0)
	v_cmp_ne_u16_e32 vcc, 0, v3
	v_cndmask_b32_e64 v7, 0, 1, vcc
	s_or_b64 exec, exec, s[0:1]
	s_and_saveexec_b64 s[0:1], s[18:19]
	s_cbranch_execz .LBB215_1436
	s_branch .LBB215_1391
.LBB215_1323:
	s_mov_b64 s[18:19], -1
                                        ; implicit-def: $vgpr7_vgpr8
	s_mov_b64 s[12:13], s[38:39]
	s_branch .LBB215_1388
.LBB215_1324:
	s_mov_b64 s[12:13], s[38:39]
                                        ; implicit-def: $vgpr7_vgpr8
	s_cbranch_execnz .LBB215_1359
	s_branch .LBB215_1387
.LBB215_1325:
	s_mov_b64 s[18:19], -1
	s_mov_b64 s[12:13], s[38:39]
                                        ; implicit-def: $vgpr7_vgpr8
	s_branch .LBB215_1340
.LBB215_1326:
	s_mov_b64 s[18:19], -1
	s_mov_b64 s[12:13], s[38:39]
                                        ; implicit-def: $vgpr7_vgpr8
	s_branch .LBB215_1335
.LBB215_1327:
	s_mov_b64 s[18:19], -1
	s_mov_b64 s[12:13], s[38:39]
	s_branch .LBB215_1329
.LBB215_1328:
	s_mov_b64 s[12:13], -1
.LBB215_1329:
                                        ; implicit-def: $vgpr7_vgpr8
.LBB215_1330:
	s_and_b64 vcc, exec, s[18:19]
	s_cbranch_vccz .LBB215_1334
; %bb.1331:
	s_cmp_eq_u32 s24, 44
	s_cbranch_scc0 .LBB215_1333
; %bb.1332:
	global_load_ubyte v3, v[4:5], off
	s_mov_b32 s12, 0x2f800000
	s_mov_b32 s13, 0xcf800000
	s_mov_b64 s[14:15], -1
	s_waitcnt vmcnt(0)
	v_lshlrev_b32_e32 v6, 23, v3
	v_trunc_f32_e32 v6, v6
	v_mul_f32_e64 v7, |v6|, s12
	v_floor_f32_e32 v7, v7
	v_fma_f32 v8, v7, s13, |v6|
	v_cvt_u32_f32_e32 v8, v8
	v_cvt_u32_f32_e32 v7, v7
	v_ashrrev_i32_e32 v6, 31, v6
	s_mov_b64 s[12:13], 0
	v_xor_b32_e32 v8, v8, v6
	v_xor_b32_e32 v7, v7, v6
	v_sub_co_u32_e32 v9, vcc, v8, v6
	v_subb_co_u32_e32 v6, vcc, v7, v6, vcc
	v_cmp_ne_u32_e32 vcc, 0, v3
	v_cndmask_b32_e32 v8, 0, v6, vcc
	v_cndmask_b32_e32 v7, 0, v9, vcc
	s_branch .LBB215_1334
.LBB215_1333:
	s_mov_b64 s[12:13], -1
                                        ; implicit-def: $vgpr7_vgpr8
.LBB215_1334:
	s_mov_b64 s[18:19], 0
.LBB215_1335:
	s_and_b64 vcc, exec, s[18:19]
	s_cbranch_vccz .LBB215_1339
; %bb.1336:
	s_cmp_eq_u32 s24, 29
	s_cbranch_scc0 .LBB215_1338
; %bb.1337:
	global_load_dwordx2 v[7:8], v[4:5], off
	s_mov_b64 s[12:13], 0
	s_mov_b64 s[14:15], -1
	s_branch .LBB215_1339
.LBB215_1338:
	s_mov_b64 s[12:13], -1
                                        ; implicit-def: $vgpr7_vgpr8
.LBB215_1339:
	s_mov_b64 s[18:19], 0
.LBB215_1340:
	s_and_b64 vcc, exec, s[18:19]
	s_cbranch_vccz .LBB215_1358
; %bb.1341:
	s_cmp_lt_i32 s24, 27
	s_cbranch_scc1 .LBB215_1344
; %bb.1342:
	s_cmp_gt_i32 s24, 27
	s_cbranch_scc0 .LBB215_1345
; %bb.1343:
	global_load_dword v7, v[4:5], off
	s_waitcnt vmcnt(1)
	v_mov_b32_e32 v8, 0
	s_mov_b64 s[14:15], 0
	s_branch .LBB215_1346
.LBB215_1344:
	s_mov_b64 s[14:15], -1
                                        ; implicit-def: $vgpr7_vgpr8
	s_branch .LBB215_1349
.LBB215_1345:
	s_mov_b64 s[14:15], -1
                                        ; implicit-def: $vgpr7_vgpr8
.LBB215_1346:
	s_andn2_b64 vcc, exec, s[14:15]
	s_cbranch_vccnz .LBB215_1348
; %bb.1347:
	global_load_ushort v3, v[4:5], off
	s_mov_b32 s14, 0
	s_waitcnt vmcnt(1)
	v_mov_b32_e32 v8, s14
	s_waitcnt vmcnt(0)
	v_and_b32_e32 v7, 0xffff, v3
.LBB215_1348:
	s_mov_b64 s[14:15], 0
.LBB215_1349:
	s_andn2_b64 vcc, exec, s[14:15]
	s_cbranch_vccnz .LBB215_1357
; %bb.1350:
	global_load_ubyte v3, v[4:5], off
	s_movk_i32 s14, 0x7f
	s_mov_b64 s[18:19], 0
	s_waitcnt vmcnt(0)
	v_cmp_lt_i16_e32 vcc, s14, v3
	s_and_saveexec_b64 s[14:15], vcc
	s_xor_b64 s[14:15], exec, s[14:15]
; %bb.1351:
	s_movk_i32 s18, 0x80
	v_cmp_ne_u16_e32 vcc, s18, v3
	s_and_b64 s[18:19], vcc, exec
; %bb.1352:
	s_andn2_saveexec_b64 s[14:15], s[14:15]
; %bb.1353:
	v_cmp_ne_u16_e32 vcc, 0, v3
	s_andn2_b64 s[18:19], s[18:19], exec
	s_and_b64 s[28:29], vcc, exec
	s_or_b64 s[18:19], s[18:19], s[28:29]
; %bb.1354:
	s_or_b64 exec, exec, s[14:15]
	v_mov_b32_e32 v7, 0
	v_mov_b32_e32 v8, 0
	s_and_saveexec_b64 s[14:15], s[18:19]
	s_cbranch_execz .LBB215_1356
; %bb.1355:
	v_lshlrev_b32_e32 v6, 24, v3
	v_and_b32_e32 v3, 0xffff, v3
	v_and_b32_e32 v7, 7, v3
	v_ffbh_u32_e32 v9, v7
	v_min_u32_e32 v9, 32, v9
	v_subrev_u32_e32 v10, 28, v9
	v_bfe_u32 v8, v3, 3, 4
	v_lshlrev_b32_e32 v3, v10, v3
	v_sub_u32_e32 v9, 29, v9
	v_and_b32_e32 v3, 7, v3
	v_cmp_eq_u32_e32 vcc, 0, v8
	v_cndmask_b32_e32 v8, v8, v9, vcc
	v_cndmask_b32_e32 v3, v7, v3, vcc
	v_mov_b32_e32 v7, 0x3b800000
	v_lshlrev_b32_e32 v3, 20, v3
	v_and_b32_e32 v6, 0x80000000, v6
	v_lshl_add_u32 v7, v8, 23, v7
	v_or3_b32 v3, v6, v7, v3
	v_trunc_f32_e32 v3, v3
	s_mov_b32 s18, 0x2f800000
	v_mul_f32_e64 v6, |v3|, s18
	v_floor_f32_e32 v6, v6
	s_mov_b32 s18, 0xcf800000
	v_fma_f32 v7, v6, s18, |v3|
	v_cvt_u32_f32_e32 v7, v7
	v_cvt_u32_f32_e32 v6, v6
	v_ashrrev_i32_e32 v3, 31, v3
	v_xor_b32_e32 v7, v7, v3
	v_xor_b32_e32 v6, v6, v3
	v_sub_co_u32_e32 v7, vcc, v7, v3
	v_subb_co_u32_e32 v8, vcc, v6, v3, vcc
.LBB215_1356:
	s_or_b64 exec, exec, s[14:15]
.LBB215_1357:
	s_mov_b64 s[14:15], -1
.LBB215_1358:
	s_branch .LBB215_1387
.LBB215_1359:
	s_cmp_gt_i32 s24, 22
	s_cbranch_scc0 .LBB215_1369
; %bb.1360:
	s_cmp_lt_i32 s24, 24
	s_cbranch_scc1 .LBB215_1370
; %bb.1361:
	s_cmp_gt_i32 s24, 24
	s_cbranch_scc0 .LBB215_1371
; %bb.1362:
	global_load_ubyte v3, v[4:5], off
	s_movk_i32 s14, 0x7f
	s_waitcnt vmcnt(0)
	v_cmp_lt_i16_e32 vcc, s14, v3
	s_and_saveexec_b64 s[14:15], vcc
	s_xor_b64 s[14:15], exec, s[14:15]
; %bb.1363:
	s_movk_i32 s16, 0x80
	v_cmp_ne_u16_e32 vcc, s16, v3
	s_and_b64 s[16:17], vcc, exec
; %bb.1364:
	s_andn2_saveexec_b64 s[14:15], s[14:15]
; %bb.1365:
	v_cmp_ne_u16_e32 vcc, 0, v3
	s_andn2_b64 s[16:17], s[16:17], exec
	s_and_b64 s[18:19], vcc, exec
	s_or_b64 s[16:17], s[16:17], s[18:19]
; %bb.1366:
	s_or_b64 exec, exec, s[14:15]
	v_mov_b32_e32 v7, 0
	v_mov_b32_e32 v8, 0
	s_and_saveexec_b64 s[14:15], s[16:17]
	s_cbranch_execz .LBB215_1368
; %bb.1367:
	v_lshlrev_b32_e32 v6, 24, v3
	v_and_b32_e32 v3, 0xffff, v3
	v_and_b32_e32 v7, 3, v3
	v_ffbh_u32_e32 v9, v7
	v_min_u32_e32 v9, 32, v9
	v_subrev_u32_e32 v10, 29, v9
	v_bfe_u32 v8, v3, 2, 5
	v_lshlrev_b32_e32 v3, v10, v3
	v_sub_u32_e32 v9, 30, v9
	v_and_b32_e32 v3, 3, v3
	v_cmp_eq_u32_e32 vcc, 0, v8
	v_cndmask_b32_e32 v8, v8, v9, vcc
	v_cndmask_b32_e32 v3, v7, v3, vcc
	v_mov_b32_e32 v7, 0x37800000
	v_lshlrev_b32_e32 v3, 21, v3
	v_and_b32_e32 v6, 0x80000000, v6
	v_lshl_add_u32 v7, v8, 23, v7
	v_or3_b32 v3, v6, v7, v3
	v_trunc_f32_e32 v3, v3
	s_mov_b32 s16, 0x2f800000
	v_mul_f32_e64 v6, |v3|, s16
	v_floor_f32_e32 v6, v6
	s_mov_b32 s16, 0xcf800000
	v_fma_f32 v7, v6, s16, |v3|
	v_cvt_u32_f32_e32 v7, v7
	v_cvt_u32_f32_e32 v6, v6
	v_ashrrev_i32_e32 v3, 31, v3
	v_xor_b32_e32 v7, v7, v3
	v_xor_b32_e32 v6, v6, v3
	v_sub_co_u32_e32 v7, vcc, v7, v3
	v_subb_co_u32_e32 v8, vcc, v6, v3, vcc
.LBB215_1368:
	s_or_b64 exec, exec, s[14:15]
	s_mov_b64 s[14:15], 0
	s_branch .LBB215_1372
.LBB215_1369:
	s_mov_b64 s[16:17], -1
                                        ; implicit-def: $vgpr7_vgpr8
	s_branch .LBB215_1378
.LBB215_1370:
	s_mov_b64 s[14:15], -1
                                        ; implicit-def: $vgpr7_vgpr8
	s_branch .LBB215_1375
.LBB215_1371:
	s_mov_b64 s[14:15], -1
                                        ; implicit-def: $vgpr7_vgpr8
.LBB215_1372:
	s_and_b64 vcc, exec, s[14:15]
	s_cbranch_vccz .LBB215_1374
; %bb.1373:
	global_load_ubyte v3, v[4:5], off
	s_mov_b32 s14, 0x7f800000
	s_brev_b32 s15, 1
	s_mov_b32 s16, 0x2f800000
	s_mov_b32 s17, 0xcf800000
	s_waitcnt vmcnt(0)
	v_lshlrev_b32_e32 v3, 24, v3
	v_and_b32_e32 v6, 0x7f000000, v3
	v_ffbh_u32_e32 v7, v6
	v_min_u32_e32 v7, 32, v7
	v_sub_u32_e64 v7, v7, 4 clamp
	v_lshlrev_b32_e32 v9, v7, v6
	v_lshlrev_b32_e32 v7, 23, v7
	v_lshrrev_b32_e32 v9, 4, v9
	v_add_u32_e32 v8, 0x1000000, v6
	v_sub_u32_e32 v7, v9, v7
	v_ashrrev_i32_e32 v8, 8, v8
	v_add_u32_e32 v7, 0x3c000000, v7
	v_and_or_b32 v7, v8, s14, v7
	v_cmp_ne_u32_e32 vcc, 0, v6
	v_cndmask_b32_e32 v6, 0, v7, vcc
	v_and_or_b32 v3, v3, s15, v6
	v_trunc_f32_e32 v3, v3
	v_mul_f32_e64 v6, |v3|, s16
	v_floor_f32_e32 v6, v6
	v_fma_f32 v7, v6, s17, |v3|
	v_cvt_u32_f32_e32 v7, v7
	v_cvt_u32_f32_e32 v6, v6
	v_ashrrev_i32_e32 v3, 31, v3
	v_xor_b32_e32 v7, v7, v3
	v_xor_b32_e32 v6, v6, v3
	v_sub_co_u32_e32 v7, vcc, v7, v3
	v_subb_co_u32_e32 v8, vcc, v6, v3, vcc
.LBB215_1374:
	s_mov_b64 s[14:15], 0
.LBB215_1375:
	s_andn2_b64 vcc, exec, s[14:15]
	s_cbranch_vccnz .LBB215_1377
; %bb.1376:
	global_load_ubyte v3, v[4:5], off
	s_movk_i32 s14, 0x7f00
	s_brev_b32 s15, 16
	s_brev_b32 s16, 1
	s_mov_b32 s17, 0x2f800000
	s_mov_b32 s18, 0xcf800000
	s_waitcnt vmcnt(0)
	v_lshlrev_b16_e32 v6, 8, v3
	v_lshlrev_b32_e32 v3, 25, v3
	v_lshrrev_b32_e32 v7, 4, v3
	v_and_or_b32 v8, v6, s14, 0.5
	v_or_b32_e32 v7, 0x70000000, v7
	v_add_f32_e32 v8, -0.5, v8
	v_mul_f32_e32 v7, 0x7800000, v7
	v_cmp_gt_u32_e32 vcc, s15, v3
	v_bfe_i32 v6, v6, 0, 16
	v_cndmask_b32_e32 v3, v7, v8, vcc
	v_and_or_b32 v3, v6, s16, v3
	v_trunc_f32_e32 v3, v3
	v_mul_f32_e64 v6, |v3|, s17
	v_floor_f32_e32 v6, v6
	v_fma_f32 v7, v6, s18, |v3|
	v_cvt_u32_f32_e32 v7, v7
	v_cvt_u32_f32_e32 v6, v6
	v_ashrrev_i32_e32 v3, 31, v3
	v_xor_b32_e32 v7, v7, v3
	v_xor_b32_e32 v6, v6, v3
	v_sub_co_u32_e32 v7, vcc, v7, v3
	v_subb_co_u32_e32 v8, vcc, v6, v3, vcc
.LBB215_1377:
	s_mov_b64 s[16:17], 0
	s_mov_b64 s[14:15], -1
.LBB215_1378:
	s_andn2_b64 vcc, exec, s[16:17]
	s_mov_b64 s[16:17], 0
	s_cbranch_vccnz .LBB215_1387
; %bb.1379:
	s_cmp_gt_i32 s24, 14
	s_cbranch_scc0 .LBB215_1382
; %bb.1380:
	s_cmp_eq_u32 s24, 15
	s_cbranch_scc0 .LBB215_1383
; %bb.1381:
	global_load_ushort v3, v[4:5], off
	s_mov_b32 s12, 0x2f800000
	s_mov_b32 s13, 0xcf800000
	s_mov_b64 s[14:15], -1
	s_waitcnt vmcnt(0)
	v_lshlrev_b32_e32 v3, 16, v3
	v_trunc_f32_e32 v3, v3
	v_mul_f32_e64 v6, |v3|, s12
	v_floor_f32_e32 v6, v6
	v_fma_f32 v7, v6, s13, |v3|
	v_cvt_u32_f32_e32 v7, v7
	v_cvt_u32_f32_e32 v6, v6
	v_ashrrev_i32_e32 v3, 31, v3
	s_mov_b64 s[12:13], 0
	v_xor_b32_e32 v7, v7, v3
	v_xor_b32_e32 v6, v6, v3
	v_sub_co_u32_e32 v7, vcc, v7, v3
	v_subb_co_u32_e32 v8, vcc, v6, v3, vcc
	s_branch .LBB215_1384
.LBB215_1382:
	s_mov_b64 s[18:19], -1
                                        ; implicit-def: $vgpr7_vgpr8
	s_branch .LBB215_1385
.LBB215_1383:
	s_mov_b64 s[12:13], -1
                                        ; implicit-def: $vgpr7_vgpr8
.LBB215_1384:
	s_mov_b64 s[18:19], 0
.LBB215_1385:
	s_and_b64 vcc, exec, s[18:19]
	s_cbranch_vccz .LBB215_1387
; %bb.1386:
	s_cmp_lg_u32 s24, 11
	s_cselect_b64 s[18:19], -1, 0
	s_andn2_b64 s[12:13], s[12:13], exec
	s_and_b64 s[18:19], s[18:19], exec
	s_mov_b64 s[16:17], -1
	s_or_b64 s[12:13], s[12:13], s[18:19]
.LBB215_1387:
	s_mov_b64 s[18:19], 0
.LBB215_1388:
	s_andn2_b64 s[24:25], s[38:39], exec
	s_and_b64 s[12:13], s[12:13], exec
	s_and_b64 s[14:15], s[14:15], exec
	;; [unrolled: 1-line block ×4, first 2 shown]
	s_or_b64 s[38:39], s[24:25], s[12:13]
	s_or_b64 exec, exec, s[0:1]
	s_and_saveexec_b64 s[0:1], s[38:39]
	s_cbranch_execz .LBB215_1321
.LBB215_1389:
	s_or_b64 s[10:11], s[10:11], exec
	s_andn2_b64 s[16:17], s[16:17], exec
	s_trap 2
	s_or_b64 exec, exec, s[0:1]
	s_and_saveexec_b64 s[0:1], s[16:17]
	s_xor_b64 s[0:1], exec, s[0:1]
	s_cbranch_execnz .LBB215_1322
.LBB215_1390:
	s_or_b64 exec, exec, s[0:1]
	s_and_saveexec_b64 s[0:1], s[18:19]
	s_cbranch_execz .LBB215_1436
.LBB215_1391:
	s_sext_i32_i16 s12, s26
	s_cmp_lt_i32 s12, 5
	s_cbranch_scc1 .LBB215_1396
; %bb.1392:
	s_cmp_lt_i32 s12, 8
	s_cbranch_scc1 .LBB215_1397
; %bb.1393:
	;; [unrolled: 3-line block ×3, first 2 shown]
	s_cmp_gt_i32 s12, 9
	s_cbranch_scc0 .LBB215_1399
; %bb.1395:
	s_waitcnt vmcnt(0)
	global_load_dwordx2 v[6:7], v[4:5], off
	s_movk_i32 s12, 0xffe0
	s_waitcnt vmcnt(0)
	v_trunc_f64_e32 v[6:7], v[6:7]
	v_ldexp_f64 v[8:9], v[6:7], s12
	s_mov_b32 s12, 0
	s_mov_b32 s13, 0xc1f00000
	v_floor_f64_e32 v[8:9], v[8:9]
	v_fma_f64 v[6:7], v[8:9], s[12:13], v[6:7]
	v_cvt_i32_f64_e32 v8, v[8:9]
	s_mov_b64 s[12:13], 0
	v_cvt_u32_f64_e32 v7, v[6:7]
	s_branch .LBB215_1400
.LBB215_1396:
                                        ; implicit-def: $vgpr7_vgpr8
	s_branch .LBB215_1417
.LBB215_1397:
                                        ; implicit-def: $vgpr7_vgpr8
	s_branch .LBB215_1406
.LBB215_1398:
	s_mov_b64 s[12:13], -1
                                        ; implicit-def: $vgpr7_vgpr8
	s_branch .LBB215_1403
.LBB215_1399:
	s_mov_b64 s[12:13], -1
                                        ; implicit-def: $vgpr7_vgpr8
.LBB215_1400:
	s_andn2_b64 vcc, exec, s[12:13]
	s_cbranch_vccnz .LBB215_1402
; %bb.1401:
	s_waitcnt vmcnt(0)
	global_load_dword v3, v[4:5], off
	s_mov_b32 s12, 0x2f800000
	s_mov_b32 s13, 0xcf800000
	s_waitcnt vmcnt(0)
	v_trunc_f32_e32 v3, v3
	v_mul_f32_e64 v6, |v3|, s12
	v_floor_f32_e32 v6, v6
	v_cvt_u32_f32_e32 v7, v6
	v_fma_f32 v6, v6, s13, |v3|
	v_cvt_u32_f32_e32 v6, v6
	v_ashrrev_i32_e32 v3, 31, v3
	v_xor_b32_e32 v8, v7, v3
	v_xor_b32_e32 v6, v6, v3
	v_sub_co_u32_e32 v7, vcc, v6, v3
	v_subb_co_u32_e32 v8, vcc, v8, v3, vcc
.LBB215_1402:
	s_mov_b64 s[12:13], 0
.LBB215_1403:
	s_andn2_b64 vcc, exec, s[12:13]
	s_cbranch_vccnz .LBB215_1405
; %bb.1404:
	s_waitcnt vmcnt(0)
	global_load_dword v3, v[4:5], off
	s_waitcnt vmcnt(0)
	v_cvt_f32_f16_e32 v3, v3
	v_cvt_i32_f32_e32 v7, v3
	v_ashrrev_i32_e32 v8, 31, v7
.LBB215_1405:
	s_cbranch_execnz .LBB215_1416
.LBB215_1406:
	s_sext_i32_i16 s12, s26
	s_cmp_lt_i32 s12, 6
	s_cbranch_scc1 .LBB215_1409
; %bb.1407:
	s_cmp_gt_i32 s12, 6
	s_cbranch_scc0 .LBB215_1410
; %bb.1408:
	s_waitcnt vmcnt(0)
	global_load_dwordx2 v[6:7], v[4:5], off
	s_movk_i32 s12, 0xffe0
	s_waitcnt vmcnt(0)
	v_trunc_f64_e32 v[6:7], v[6:7]
	v_ldexp_f64 v[8:9], v[6:7], s12
	s_mov_b32 s12, 0
	s_mov_b32 s13, 0xc1f00000
	v_floor_f64_e32 v[8:9], v[8:9]
	v_fma_f64 v[6:7], v[8:9], s[12:13], v[6:7]
	v_cvt_i32_f64_e32 v8, v[8:9]
	s_mov_b64 s[12:13], 0
	v_cvt_u32_f64_e32 v7, v[6:7]
	s_branch .LBB215_1411
.LBB215_1409:
	s_mov_b64 s[12:13], -1
                                        ; implicit-def: $vgpr7_vgpr8
	s_branch .LBB215_1414
.LBB215_1410:
	s_mov_b64 s[12:13], -1
                                        ; implicit-def: $vgpr7_vgpr8
.LBB215_1411:
	s_andn2_b64 vcc, exec, s[12:13]
	s_cbranch_vccnz .LBB215_1413
; %bb.1412:
	s_waitcnt vmcnt(0)
	global_load_dword v3, v[4:5], off
	s_mov_b32 s12, 0x2f800000
	s_mov_b32 s13, 0xcf800000
	s_waitcnt vmcnt(0)
	v_trunc_f32_e32 v3, v3
	v_mul_f32_e64 v6, |v3|, s12
	v_floor_f32_e32 v6, v6
	v_cvt_u32_f32_e32 v7, v6
	v_fma_f32 v6, v6, s13, |v3|
	v_cvt_u32_f32_e32 v6, v6
	v_ashrrev_i32_e32 v3, 31, v3
	v_xor_b32_e32 v8, v7, v3
	v_xor_b32_e32 v6, v6, v3
	v_sub_co_u32_e32 v7, vcc, v6, v3
	v_subb_co_u32_e32 v8, vcc, v8, v3, vcc
.LBB215_1413:
	s_mov_b64 s[12:13], 0
.LBB215_1414:
	s_andn2_b64 vcc, exec, s[12:13]
	s_cbranch_vccnz .LBB215_1416
; %bb.1415:
	s_waitcnt vmcnt(0)
	global_load_ushort v3, v[4:5], off
	s_waitcnt vmcnt(0)
	v_cvt_f32_f16_e32 v3, v3
	v_cvt_i32_f32_e32 v7, v3
	v_ashrrev_i32_e32 v8, 31, v7
.LBB215_1416:
	s_cbranch_execnz .LBB215_1435
.LBB215_1417:
	s_sext_i32_i16 s12, s26
	s_cmp_lt_i32 s12, 2
	s_cbranch_scc1 .LBB215_1421
; %bb.1418:
	s_cmp_lt_i32 s12, 3
	s_cbranch_scc1 .LBB215_1422
; %bb.1419:
	s_cmp_gt_i32 s12, 3
	s_cbranch_scc0 .LBB215_1423
; %bb.1420:
	s_waitcnt vmcnt(0)
	global_load_dwordx2 v[7:8], v[4:5], off
	s_mov_b64 s[12:13], 0
	s_branch .LBB215_1424
.LBB215_1421:
                                        ; implicit-def: $vgpr7_vgpr8
	s_branch .LBB215_1430
.LBB215_1422:
	s_mov_b64 s[12:13], -1
                                        ; implicit-def: $vgpr7_vgpr8
	s_branch .LBB215_1427
.LBB215_1423:
	s_mov_b64 s[12:13], -1
                                        ; implicit-def: $vgpr7_vgpr8
.LBB215_1424:
	s_andn2_b64 vcc, exec, s[12:13]
	s_cbranch_vccnz .LBB215_1426
; %bb.1425:
	s_waitcnt vmcnt(0)
	global_load_dword v7, v[4:5], off
	s_waitcnt vmcnt(0)
	v_ashrrev_i32_e32 v8, 31, v7
.LBB215_1426:
	s_mov_b64 s[12:13], 0
.LBB215_1427:
	s_andn2_b64 vcc, exec, s[12:13]
	s_cbranch_vccnz .LBB215_1429
; %bb.1428:
	s_waitcnt vmcnt(0)
	global_load_ushort v3, v[4:5], off
	s_waitcnt vmcnt(0)
	v_bfe_i32 v7, v3, 0, 16
	v_ashrrev_i32_e32 v8, 31, v7
.LBB215_1429:
	s_cbranch_execnz .LBB215_1435
.LBB215_1430:
	s_sext_i32_i16 s12, s26
	s_cmp_gt_i32 s12, 0
	s_cbranch_scc0 .LBB215_1432
; %bb.1431:
	s_waitcnt vmcnt(0)
	global_load_sbyte v3, v[4:5], off
	s_mov_b64 s[12:13], 0
	s_waitcnt vmcnt(0)
	v_bfe_i32 v7, v3, 0, 16
	v_ashrrev_i32_e32 v8, 31, v7
	s_branch .LBB215_1433
.LBB215_1432:
	s_mov_b64 s[12:13], -1
                                        ; implicit-def: $vgpr7_vgpr8
.LBB215_1433:
	s_andn2_b64 vcc, exec, s[12:13]
	s_cbranch_vccnz .LBB215_1435
; %bb.1434:
	s_waitcnt vmcnt(0)
	global_load_ubyte v3, v[4:5], off
	s_mov_b32 s12, 0
	v_mov_b32_e32 v8, s12
	s_waitcnt vmcnt(0)
	v_and_b32_e32 v7, 0xffff, v3
.LBB215_1435:
	s_or_b64 s[14:15], s[14:15], exec
.LBB215_1436:
	s_or_b64 exec, exec, s[0:1]
	s_mov_b64 s[18:19], 0
	s_mov_b64 s[16:17], 0
                                        ; implicit-def: $sgpr24
                                        ; implicit-def: $vgpr5_vgpr6
                                        ; implicit-def: $vgpr3_vgpr4
	s_and_saveexec_b64 s[12:13], s[14:15]
	s_cbranch_execz .LBB215_1444
; %bb.1437:
	s_waitcnt vmcnt(0)
	v_cmp_gt_u64_e32 vcc, 63, v[7:8]
	s_and_b32 s24, s69, 0xff
	v_cndmask_b32_e32 v3, 63, v7, vcc
	v_ashrrev_i64 v[3:4], v3, v[1:2]
	v_mov_b32_e32 v1, s9
	v_add_co_u32_e32 v5, vcc, s8, v0
	s_cmp_lt_i32 s24, 11
	v_addc_co_u32_e32 v6, vcc, 0, v1, vcc
	s_cbranch_scc1 .LBB215_1447
; %bb.1438:
	s_and_b32 s25, 0xffff, s24
	s_mov_b64 s[14:15], -1
	s_cmp_gt_i32 s25, 25
	s_mov_b64 s[0:1], s[36:37]
	s_cbranch_scc0 .LBB215_1475
; %bb.1439:
	s_mov_b64 s[8:9], -1
	s_cmp_gt_i32 s25, 28
	s_mov_b64 s[0:1], s[36:37]
	s_cbranch_scc0 .LBB215_1459
; %bb.1440:
	s_cmp_gt_i32 s25, 43
	s_mov_b64 s[0:1], s[36:37]
	s_cbranch_scc0 .LBB215_1455
; %bb.1441:
	;; [unrolled: 4-line block ×3, first 2 shown]
	s_cmp_eq_u32 s25, 46
	s_mov_b64 s[0:1], -1
	s_cbranch_scc0 .LBB215_1448
; %bb.1443:
	v_xor_b32_e32 v1, v3, v4
	v_ffbh_i32_e32 v0, v4
	v_ashrrev_i32_e32 v1, 31, v1
	v_add_u32_e32 v0, -1, v0
	v_add_u32_e32 v1, 32, v1
	v_min_u32_e32 v2, v0, v1
	v_lshlrev_b64 v[0:1], v2, v[3:4]
	s_movk_i32 s0, 0x7fff
	v_min_u32_e32 v0, 1, v0
	v_or_b32_e32 v0, v1, v0
	v_cvt_f32_i32_e32 v0, v0
	v_sub_u32_e32 v1, 32, v2
	s_mov_b64 s[8:9], 0
	v_ldexp_f32 v0, v0, v1
	v_bfe_u32 v1, v0, 16, 1
	v_add3_u32 v0, v0, v1, s0
	v_lshrrev_b32_e32 v0, 16, v0
	global_store_dword v[5:6], v0, off
	s_mov_b64 s[0:1], 0
	s_branch .LBB215_1449
.LBB215_1444:
	s_or_b64 exec, exec, s[12:13]
	s_and_saveexec_b64 s[0:1], s[36:37]
	s_cbranch_execnz .LBB215_1517
.LBB215_1445:
	s_or_b64 exec, exec, s[0:1]
	s_and_saveexec_b64 s[0:1], s[18:19]
	s_xor_b64 s[0:1], exec, s[0:1]
	s_cbranch_execz .LBB215_1518
.LBB215_1446:
	v_cmp_ne_u64_e32 vcc, 0, v[3:4]
	v_cndmask_b32_e64 v0, 0, 1, vcc
	s_waitcnt vmcnt(0)
	global_store_byte v[5:6], v0, off
	s_or_b64 exec, exec, s[0:1]
	s_and_saveexec_b64 s[0:1], s[16:17]
	s_xor_b64 s[0:1], exec, s[0:1]
	s_cbranch_execz .LBB215_1556
	s_branch .LBB215_1519
.LBB215_1447:
	s_mov_b64 s[14:15], 0
	s_mov_b64 s[8:9], -1
	s_mov_b64 s[0:1], s[36:37]
	s_branch .LBB215_1516
.LBB215_1448:
	s_mov_b64 s[8:9], 0
.LBB215_1449:
	s_and_b64 vcc, exec, s[8:9]
	s_cbranch_vccz .LBB215_1454
; %bb.1450:
	s_cmp_eq_u32 s25, 44
	s_mov_b64 s[0:1], -1
	s_cbranch_scc0 .LBB215_1454
; %bb.1451:
	v_xor_b32_e32 v1, v3, v4
	v_ffbh_i32_e32 v0, v4
	v_ashrrev_i32_e32 v1, 31, v1
	v_add_u32_e32 v0, -1, v0
	v_add_u32_e32 v1, 32, v1
	v_min_u32_e32 v2, v0, v1
	v_lshlrev_b64 v[0:1], v2, v[3:4]
	s_movk_i32 s0, 0xff
	v_min_u32_e32 v0, 1, v0
	v_or_b32_e32 v0, v1, v0
	v_cvt_f32_i32_e32 v0, v0
	v_sub_u32_e32 v1, 32, v2
	v_mov_b32_e32 v2, 0xff
	v_ldexp_f32 v0, v0, v1
	v_bfe_u32 v1, v0, 23, 8
	v_cmp_ne_u32_e32 vcc, s0, v1
	s_and_saveexec_b64 s[8:9], vcc
; %bb.1452:
	s_mov_b32 s0, 0x3fffff
	v_lshrrev_b32_e32 v2, 23, v0
	v_and_b32_e32 v7, 0x400000, v0
	v_and_or_b32 v0, v0, s0, v1
	v_cmp_ne_u32_e32 vcc, 0, v7
	v_cmp_ne_u32_e64 s[0:1], 0, v0
	s_and_b64 s[0:1], vcc, s[0:1]
	v_cndmask_b32_e64 v0, 0, 1, s[0:1]
	v_add_u32_e32 v2, v2, v0
; %bb.1453:
	s_or_b64 exec, exec, s[8:9]
	s_mov_b64 s[0:1], 0
	global_store_byte v[5:6], v2, off
.LBB215_1454:
	s_mov_b64 s[8:9], 0
.LBB215_1455:
	s_and_b64 vcc, exec, s[8:9]
	s_cbranch_vccz .LBB215_1458
; %bb.1456:
	s_cmp_eq_u32 s25, 29
	s_mov_b64 s[0:1], -1
	s_cbranch_scc0 .LBB215_1458
; %bb.1457:
	global_store_dwordx2 v[5:6], v[3:4], off
	s_mov_b64 s[0:1], 0
.LBB215_1458:
	s_mov_b64 s[8:9], 0
.LBB215_1459:
	s_and_b64 vcc, exec, s[8:9]
	s_cbranch_vccz .LBB215_1474
; %bb.1460:
	s_cmp_lt_i32 s25, 27
	s_mov_b64 s[8:9], -1
	s_cbranch_scc1 .LBB215_1466
; %bb.1461:
	s_cmp_gt_i32 s25, 27
	s_cbranch_scc0 .LBB215_1463
; %bb.1462:
	s_mov_b64 s[8:9], 0
	global_store_dword v[5:6], v3, off
.LBB215_1463:
	s_andn2_b64 vcc, exec, s[8:9]
	s_cbranch_vccnz .LBB215_1465
; %bb.1464:
	global_store_short v[5:6], v3, off
.LBB215_1465:
	s_mov_b64 s[8:9], 0
.LBB215_1466:
	s_andn2_b64 vcc, exec, s[8:9]
	s_cbranch_vccnz .LBB215_1474
; %bb.1467:
	v_xor_b32_e32 v1, v3, v4
	v_ffbh_i32_e32 v0, v4
	v_ashrrev_i32_e32 v1, 31, v1
	v_add_u32_e32 v0, -1, v0
	v_add_u32_e32 v1, 32, v1
	v_min_u32_e32 v2, v0, v1
	v_lshlrev_b64 v[0:1], v2, v[3:4]
	s_mov_b32 s8, 0x43800000
	v_min_u32_e32 v0, 1, v0
	v_or_b32_e32 v0, v1, v0
	v_cvt_f32_i32_e32 v0, v0
	v_sub_u32_e32 v1, 32, v2
	v_mov_b32_e32 v2, 0x80
	v_ldexp_f32 v0, v0, v1
	v_and_b32_e32 v1, 0x7fffffff, v0
	v_cmp_gt_u32_e32 vcc, s8, v1
	s_and_saveexec_b64 s[8:9], vcc
	s_cbranch_execz .LBB215_1473
; %bb.1468:
	s_mov_b32 s14, 0x3bffffff
	v_cmp_lt_u32_e32 vcc, s14, v1
	s_mov_b64 s[14:15], 0
                                        ; implicit-def: $vgpr1
	s_and_saveexec_b64 s[16:17], vcc
	s_xor_b64 s[16:17], exec, s[16:17]
	s_cbranch_execz .LBB215_1615
; %bb.1469:
	v_bfe_u32 v1, v0, 20, 1
	s_mov_b32 s18, 0x487ffff
	v_add3_u32 v1, v0, v1, s18
	s_mov_b64 s[14:15], exec
	v_lshrrev_b32_e32 v1, 20, v1
	s_andn2_saveexec_b64 s[16:17], s[16:17]
	s_cbranch_execnz .LBB215_1616
.LBB215_1470:
	s_or_b64 exec, exec, s[16:17]
	v_mov_b32_e32 v2, 0
	s_and_saveexec_b64 s[16:17], s[14:15]
.LBB215_1471:
	v_lshrrev_b32_e32 v0, 24, v0
	s_movk_i32 s14, 0x80
	v_and_or_b32 v2, v0, s14, v1
.LBB215_1472:
	s_or_b64 exec, exec, s[16:17]
.LBB215_1473:
	s_or_b64 exec, exec, s[8:9]
	global_store_byte v[5:6], v2, off
.LBB215_1474:
	s_mov_b64 s[14:15], 0
.LBB215_1475:
	s_mov_b64 s[8:9], 0
	s_and_b64 vcc, exec, s[14:15]
	s_cbranch_vccz .LBB215_1515
; %bb.1476:
	s_cmp_gt_i32 s25, 22
	s_mov_b64 s[14:15], -1
	s_cbranch_scc0 .LBB215_1508
; %bb.1477:
	s_cmp_lt_i32 s25, 24
	s_cbranch_scc1 .LBB215_1497
; %bb.1478:
	s_cmp_gt_i32 s25, 24
	s_cbranch_scc0 .LBB215_1486
; %bb.1479:
	v_xor_b32_e32 v1, v3, v4
	v_ffbh_i32_e32 v0, v4
	v_ashrrev_i32_e32 v1, 31, v1
	v_add_u32_e32 v0, -1, v0
	v_add_u32_e32 v1, 32, v1
	v_min_u32_e32 v2, v0, v1
	v_lshlrev_b64 v[0:1], v2, v[3:4]
	s_mov_b32 s14, 0x47800000
	v_min_u32_e32 v0, 1, v0
	v_or_b32_e32 v0, v1, v0
	v_cvt_f32_i32_e32 v0, v0
	v_sub_u32_e32 v1, 32, v2
	v_mov_b32_e32 v2, 0x80
	v_ldexp_f32 v0, v0, v1
	v_and_b32_e32 v1, 0x7fffffff, v0
	v_cmp_gt_u32_e32 vcc, s14, v1
	s_and_saveexec_b64 s[14:15], vcc
	s_cbranch_execz .LBB215_1485
; %bb.1480:
	s_mov_b32 s16, 0x37ffffff
	v_cmp_lt_u32_e32 vcc, s16, v1
	s_mov_b64 s[16:17], 0
                                        ; implicit-def: $vgpr1
	s_and_saveexec_b64 s[18:19], vcc
	s_xor_b64 s[18:19], exec, s[18:19]
	s_cbranch_execz .LBB215_1735
; %bb.1481:
	v_bfe_u32 v1, v0, 21, 1
	s_mov_b32 s26, 0x88fffff
	v_add3_u32 v1, v0, v1, s26
	s_mov_b64 s[16:17], exec
	v_lshrrev_b32_e32 v1, 21, v1
	s_andn2_saveexec_b64 s[18:19], s[18:19]
	s_cbranch_execnz .LBB215_1736
.LBB215_1482:
	s_or_b64 exec, exec, s[18:19]
	v_mov_b32_e32 v2, 0
	s_and_saveexec_b64 s[18:19], s[16:17]
.LBB215_1483:
	v_lshrrev_b32_e32 v0, 24, v0
	s_movk_i32 s16, 0x80
	v_and_or_b32 v2, v0, s16, v1
.LBB215_1484:
	s_or_b64 exec, exec, s[18:19]
.LBB215_1485:
	s_or_b64 exec, exec, s[14:15]
	s_mov_b64 s[14:15], 0
	global_store_byte v[5:6], v2, off
.LBB215_1486:
	s_and_b64 vcc, exec, s[14:15]
	s_cbranch_vccz .LBB215_1496
; %bb.1487:
	v_xor_b32_e32 v1, v3, v4
	v_ffbh_i32_e32 v0, v4
	v_ashrrev_i32_e32 v1, 31, v1
	v_add_u32_e32 v0, -1, v0
	v_add_u32_e32 v1, 32, v1
	v_min_u32_e32 v2, v0, v1
	v_lshlrev_b64 v[0:1], v2, v[3:4]
	s_mov_b32 s14, 0x43f00000
	v_min_u32_e32 v0, 1, v0
	v_or_b32_e32 v0, v1, v0
	v_cvt_f32_i32_e32 v0, v0
	v_sub_u32_e32 v1, 32, v2
	v_ldexp_f32 v0, v0, v1
	v_and_b32_e32 v2, 0x7fffffff, v0
	v_cmp_gt_u32_e32 vcc, s14, v2
                                        ; implicit-def: $vgpr1
	s_and_saveexec_b64 s[14:15], vcc
	s_xor_b64 s[14:15], exec, s[14:15]
	s_cbranch_execz .LBB215_1493
; %bb.1488:
	s_mov_b32 s16, 0x3c7fffff
	v_cmp_lt_u32_e32 vcc, s16, v2
                                        ; implicit-def: $vgpr1
	s_and_saveexec_b64 s[16:17], vcc
	s_xor_b64 s[16:17], exec, s[16:17]
; %bb.1489:
	v_bfe_u32 v1, v0, 20, 1
	s_mov_b32 s18, 0x407ffff
	v_add3_u32 v1, v0, v1, s18
	v_lshrrev_b32_e32 v2, 20, v1
	v_and_b32_e32 v1, 0xff00000, v1
	s_mov_b32 s18, 0x7f00000
	v_mov_b32_e32 v7, 0x7e
	v_cmp_ne_u32_e32 vcc, s18, v1
	v_cndmask_b32_e32 v1, v7, v2, vcc
; %bb.1490:
	s_andn2_saveexec_b64 s[16:17], s[16:17]
; %bb.1491:
	s_mov_b32 s18, 0x46800000
	v_add_f32_e64 v1, |v0|, s18
; %bb.1492:
	s_or_b64 exec, exec, s[16:17]
                                        ; implicit-def: $vgpr2
.LBB215_1493:
	s_andn2_saveexec_b64 s[14:15], s[14:15]
; %bb.1494:
	s_mov_b32 s16, 0x7f800000
	v_mov_b32_e32 v1, 0x7e
	v_mov_b32_e32 v7, 0x7f
	v_cmp_lt_u32_e32 vcc, s16, v2
	v_cndmask_b32_e32 v1, v1, v7, vcc
; %bb.1495:
	s_or_b64 exec, exec, s[14:15]
	v_lshrrev_b32_e32 v0, 24, v0
	s_movk_i32 s14, 0x80
	v_and_or_b32 v0, v0, s14, v1
	global_store_byte v[5:6], v0, off
.LBB215_1496:
	s_mov_b64 s[14:15], 0
.LBB215_1497:
	s_andn2_b64 vcc, exec, s[14:15]
	s_cbranch_vccnz .LBB215_1507
; %bb.1498:
	v_xor_b32_e32 v1, v3, v4
	v_ffbh_i32_e32 v0, v4
	v_ashrrev_i32_e32 v1, 31, v1
	v_add_u32_e32 v0, -1, v0
	v_add_u32_e32 v1, 32, v1
	v_min_u32_e32 v2, v0, v1
	v_lshlrev_b64 v[0:1], v2, v[3:4]
	s_mov_b32 s14, 0x47800000
	v_min_u32_e32 v0, 1, v0
	v_or_b32_e32 v0, v1, v0
	v_cvt_f32_i32_e32 v0, v0
	v_sub_u32_e32 v1, 32, v2
	v_ldexp_f32 v0, v0, v1
	v_and_b32_e32 v2, 0x7fffffff, v0
	v_cmp_gt_u32_e32 vcc, s14, v2
                                        ; implicit-def: $vgpr1
	s_and_saveexec_b64 s[14:15], vcc
	s_xor_b64 s[14:15], exec, s[14:15]
	s_cbranch_execz .LBB215_1504
; %bb.1499:
	s_mov_b32 s16, 0x387fffff
	v_cmp_lt_u32_e32 vcc, s16, v2
                                        ; implicit-def: $vgpr1
	s_and_saveexec_b64 s[16:17], vcc
	s_xor_b64 s[16:17], exec, s[16:17]
; %bb.1500:
	v_bfe_u32 v1, v0, 21, 1
	s_mov_b32 s18, 0x80fffff
	v_add3_u32 v1, v0, v1, s18
	v_lshrrev_b32_e32 v1, 21, v1
; %bb.1501:
	s_andn2_saveexec_b64 s[16:17], s[16:17]
; %bb.1502:
	s_mov_b32 s18, 0x43000000
	v_add_f32_e64 v1, |v0|, s18
; %bb.1503:
	s_or_b64 exec, exec, s[16:17]
                                        ; implicit-def: $vgpr2
.LBB215_1504:
	s_andn2_saveexec_b64 s[14:15], s[14:15]
; %bb.1505:
	s_mov_b32 s16, 0x7f800000
	v_mov_b32_e32 v1, 0x7c
	v_mov_b32_e32 v7, 0x7f
	v_cmp_lt_u32_e32 vcc, s16, v2
	v_cndmask_b32_e32 v1, v1, v7, vcc
; %bb.1506:
	s_or_b64 exec, exec, s[14:15]
	v_lshrrev_b32_e32 v0, 24, v0
	s_movk_i32 s14, 0x80
	v_and_or_b32 v0, v0, s14, v1
	global_store_byte v[5:6], v0, off
.LBB215_1507:
	s_mov_b64 s[14:15], 0
.LBB215_1508:
	s_andn2_b64 vcc, exec, s[14:15]
	s_mov_b64 s[14:15], 0
	s_cbranch_vccnz .LBB215_1516
; %bb.1509:
	s_cmp_gt_i32 s25, 14
	s_mov_b64 s[16:17], -1
	s_cbranch_scc0 .LBB215_1513
; %bb.1510:
	s_cmp_eq_u32 s25, 15
	s_mov_b64 s[0:1], -1
	s_cbranch_scc0 .LBB215_1512
; %bb.1511:
	v_xor_b32_e32 v1, v3, v4
	v_ffbh_i32_e32 v0, v4
	v_ashrrev_i32_e32 v1, 31, v1
	v_add_u32_e32 v0, -1, v0
	v_add_u32_e32 v1, 32, v1
	v_min_u32_e32 v2, v0, v1
	v_lshlrev_b64 v[0:1], v2, v[3:4]
	s_movk_i32 s0, 0x7fff
	v_min_u32_e32 v0, 1, v0
	v_or_b32_e32 v0, v1, v0
	v_cvt_f32_i32_e32 v0, v0
	v_sub_u32_e32 v1, 32, v2
	v_ldexp_f32 v0, v0, v1
	v_bfe_u32 v1, v0, 16, 1
	v_add3_u32 v0, v0, v1, s0
	global_store_short_d16_hi v[5:6], v0, off
	s_mov_b64 s[0:1], 0
.LBB215_1512:
	s_mov_b64 s[16:17], 0
.LBB215_1513:
	s_and_b64 vcc, exec, s[16:17]
	s_cbranch_vccz .LBB215_1516
; %bb.1514:
	s_cmp_lg_u32 s25, 11
	s_cselect_b64 s[16:17], -1, 0
	s_andn2_b64 s[0:1], s[0:1], exec
	s_and_b64 s[16:17], s[16:17], exec
	s_mov_b64 s[14:15], -1
	s_or_b64 s[0:1], s[0:1], s[16:17]
	s_branch .LBB215_1516
.LBB215_1515:
	s_mov_b64 s[14:15], 0
.LBB215_1516:
	s_and_b64 s[16:17], s[8:9], exec
	s_andn2_b64 s[8:9], s[36:37], exec
	s_and_b64 s[0:1], s[0:1], exec
	s_and_b64 s[18:19], s[14:15], exec
	s_or_b64 s[36:37], s[8:9], s[0:1]
	s_or_b64 exec, exec, s[12:13]
	s_and_saveexec_b64 s[0:1], s[36:37]
	s_cbranch_execz .LBB215_1445
.LBB215_1517:
	s_or_b64 s[10:11], s[10:11], exec
	s_andn2_b64 s[18:19], s[18:19], exec
	s_trap 2
	s_or_b64 exec, exec, s[0:1]
	s_and_saveexec_b64 s[0:1], s[18:19]
	s_xor_b64 s[0:1], exec, s[0:1]
	s_cbranch_execnz .LBB215_1446
.LBB215_1518:
	s_or_b64 exec, exec, s[0:1]
	s_and_saveexec_b64 s[0:1], s[16:17]
	s_xor_b64 s[0:1], exec, s[0:1]
	s_cbranch_execz .LBB215_1556
.LBB215_1519:
	s_sext_i32_i16 s12, s24
	s_cmp_lt_i32 s12, 5
	s_mov_b64 s[8:9], -1
	s_cbranch_scc1 .LBB215_1540
; %bb.1520:
	s_cmp_lt_i32 s12, 8
	s_cbranch_scc1 .LBB215_1530
; %bb.1521:
	s_cmp_lt_i32 s12, 9
	s_cbranch_scc1 .LBB215_1527
; %bb.1522:
	s_cmp_gt_i32 s12, 9
	s_cbranch_scc0 .LBB215_1524
; %bb.1523:
	s_waitcnt vmcnt(0)
	v_cvt_f64_i32_e32 v[0:1], v4
	v_cvt_f64_u32_e32 v[7:8], v3
	v_mov_b32_e32 v9, 0
	v_mov_b32_e32 v10, v9
	v_ldexp_f64 v[0:1], v[0:1], 32
	s_mov_b64 s[8:9], 0
	v_add_f64 v[7:8], v[0:1], v[7:8]
	global_store_dwordx4 v[5:6], v[7:10], off
.LBB215_1524:
	s_andn2_b64 vcc, exec, s[8:9]
	s_cbranch_vccnz .LBB215_1526
; %bb.1525:
	s_waitcnt vmcnt(0)
	v_xor_b32_e32 v1, v3, v4
	v_ffbh_i32_e32 v0, v4
	v_ashrrev_i32_e32 v1, 31, v1
	v_add_u32_e32 v0, -1, v0
	v_add_u32_e32 v1, 32, v1
	v_min_u32_e32 v2, v0, v1
	v_lshlrev_b64 v[0:1], v2, v[3:4]
	v_min_u32_e32 v0, 1, v0
	v_or_b32_e32 v0, v1, v0
	v_cvt_f32_i32_e32 v0, v0
	v_sub_u32_e32 v1, 32, v2
	v_ldexp_f32 v0, v0, v1
	v_mov_b32_e32 v1, 0
	global_store_dwordx2 v[5:6], v[0:1], off
.LBB215_1526:
	s_mov_b64 s[8:9], 0
.LBB215_1527:
	s_andn2_b64 vcc, exec, s[8:9]
	s_cbranch_vccnz .LBB215_1529
; %bb.1528:
	s_waitcnt vmcnt(0)
	v_xor_b32_e32 v1, v3, v4
	v_ffbh_i32_e32 v0, v4
	v_ashrrev_i32_e32 v1, 31, v1
	v_add_u32_e32 v0, -1, v0
	v_add_u32_e32 v1, 32, v1
	v_min_u32_e32 v2, v0, v1
	v_lshlrev_b64 v[0:1], v2, v[3:4]
	v_min_u32_e32 v0, 1, v0
	v_or_b32_e32 v0, v1, v0
	v_cvt_f32_i32_e32 v0, v0
	v_sub_u32_e32 v1, 32, v2
	v_ldexp_f32 v0, v0, v1
	v_cvt_f16_f32_e32 v0, v0
	global_store_dword v[5:6], v0, off
.LBB215_1529:
	s_mov_b64 s[8:9], 0
.LBB215_1530:
	s_andn2_b64 vcc, exec, s[8:9]
	s_cbranch_vccnz .LBB215_1539
; %bb.1531:
	s_sext_i32_i16 s12, s24
	s_cmp_lt_i32 s12, 6
	s_mov_b64 s[8:9], -1
	s_cbranch_scc1 .LBB215_1537
; %bb.1532:
	s_cmp_gt_i32 s12, 6
	s_cbranch_scc0 .LBB215_1534
; %bb.1533:
	s_waitcnt vmcnt(0)
	v_cvt_f64_i32_e32 v[0:1], v4
	v_cvt_f64_u32_e32 v[7:8], v3
	s_mov_b64 s[8:9], 0
	v_ldexp_f64 v[0:1], v[0:1], 32
	v_add_f64 v[0:1], v[0:1], v[7:8]
	global_store_dwordx2 v[5:6], v[0:1], off
.LBB215_1534:
	s_andn2_b64 vcc, exec, s[8:9]
	s_cbranch_vccnz .LBB215_1536
; %bb.1535:
	s_waitcnt vmcnt(0)
	v_xor_b32_e32 v1, v3, v4
	v_ffbh_i32_e32 v0, v4
	v_ashrrev_i32_e32 v1, 31, v1
	v_add_u32_e32 v0, -1, v0
	v_add_u32_e32 v1, 32, v1
	v_min_u32_e32 v2, v0, v1
	v_lshlrev_b64 v[0:1], v2, v[3:4]
	v_min_u32_e32 v0, 1, v0
	v_or_b32_e32 v0, v1, v0
	v_cvt_f32_i32_e32 v0, v0
	v_sub_u32_e32 v1, 32, v2
	v_ldexp_f32 v0, v0, v1
	global_store_dword v[5:6], v0, off
.LBB215_1536:
	s_mov_b64 s[8:9], 0
.LBB215_1537:
	s_andn2_b64 vcc, exec, s[8:9]
	s_cbranch_vccnz .LBB215_1539
; %bb.1538:
	s_waitcnt vmcnt(0)
	v_xor_b32_e32 v1, v3, v4
	v_ffbh_i32_e32 v0, v4
	v_ashrrev_i32_e32 v1, 31, v1
	v_add_u32_e32 v0, -1, v0
	v_add_u32_e32 v1, 32, v1
	v_min_u32_e32 v2, v0, v1
	v_lshlrev_b64 v[0:1], v2, v[3:4]
	v_min_u32_e32 v0, 1, v0
	v_or_b32_e32 v0, v1, v0
	v_cvt_f32_i32_e32 v0, v0
	v_sub_u32_e32 v1, 32, v2
	v_ldexp_f32 v0, v0, v1
	v_cvt_f16_f32_e32 v0, v0
	global_store_short v[5:6], v0, off
.LBB215_1539:
	s_mov_b64 s[8:9], 0
.LBB215_1540:
	s_andn2_b64 vcc, exec, s[8:9]
	s_cbranch_vccnz .LBB215_1556
; %bb.1541:
	s_sext_i32_i16 s12, s24
	s_cmp_lt_i32 s12, 2
	s_mov_b64 s[8:9], -1
	s_cbranch_scc1 .LBB215_1551
; %bb.1542:
	s_cmp_lt_i32 s12, 3
	s_cbranch_scc1 .LBB215_1548
; %bb.1543:
	s_cmp_gt_i32 s12, 3
	s_cbranch_scc0 .LBB215_1545
; %bb.1544:
	s_mov_b64 s[8:9], 0
	s_waitcnt vmcnt(0)
	global_store_dwordx2 v[5:6], v[3:4], off
.LBB215_1545:
	s_andn2_b64 vcc, exec, s[8:9]
	s_cbranch_vccnz .LBB215_1547
; %bb.1546:
	s_waitcnt vmcnt(0)
	global_store_dword v[5:6], v3, off
.LBB215_1547:
	s_mov_b64 s[8:9], 0
.LBB215_1548:
	s_andn2_b64 vcc, exec, s[8:9]
	s_cbranch_vccnz .LBB215_1550
; %bb.1549:
	s_waitcnt vmcnt(0)
	global_store_short v[5:6], v3, off
.LBB215_1550:
	s_mov_b64 s[8:9], 0
.LBB215_1551:
	s_andn2_b64 vcc, exec, s[8:9]
	s_cbranch_vccnz .LBB215_1556
; %bb.1552:
	s_sext_i32_i16 s8, s24
	s_cmp_gt_i32 s8, 0
	s_mov_b64 s[8:9], -1
	s_cbranch_scc0 .LBB215_1554
; %bb.1553:
	s_mov_b64 s[8:9], 0
	s_waitcnt vmcnt(0)
	global_store_byte v[5:6], v3, off
.LBB215_1554:
	s_andn2_b64 vcc, exec, s[8:9]
	s_cbranch_vccnz .LBB215_1556
; %bb.1555:
	s_waitcnt vmcnt(0)
	global_store_byte v[5:6], v3, off
.LBB215_1556:
	s_or_b64 exec, exec, s[0:1]
	s_and_b64 s[12:13], s[10:11], exec
                                        ; implicit-def: $vgpr21
                                        ; implicit-def: $vgpr10
.LBB215_1557:
	s_or_saveexec_b64 s[14:15], s[22:23]
	s_mov_b64 s[0:1], 0
                                        ; implicit-def: $vgpr0_vgpr1
                                        ; implicit-def: $sgpr18
                                        ; implicit-def: $vgpr2_vgpr3
	s_xor_b64 exec, exec, s[14:15]
	s_cbranch_execz .LBB215_3038
; %bb.1558:
	v_cndmask_b32_e64 v0, 0, 1, s[20:21]
	v_cmp_ne_u32_e64 s[0:1], 1, v0
	s_andn2_b64 vcc, exec, s[20:21]
	s_cbranch_vccnz .LBB215_1564
; %bb.1559:
	s_cmp_lg_u32 s33, 0
	s_cbranch_scc0 .LBB215_1565
; %bb.1560:
	s_min_u32 s8, s68, 15
	s_add_i32 s6, s8, 1
	s_and_b32 s9, s6, 30
	s_add_u32 s6, s2, 0xffffffe8
	s_addc_u32 s7, s3, -1
	v_mov_b32_e32 v11, 0
	s_waitcnt vmcnt(0)
	v_mov_b32_e32 v8, 0
	v_mov_b32_e32 v6, 0
	;; [unrolled: 1-line block ×3, first 2 shown]
.LBB215_1561:                           ; =>This Inner Loop Header: Depth=1
	s_load_dwordx4 s[16:19], s[6:7], 0x1c
	s_load_dwordx2 s[10:11], s[6:7], 0x2c
	s_load_dwordx2 s[24:25], s[6:7], 0xec
	s_load_dwordx4 s[20:23], s[6:7], 0xdc
	s_add_u32 s6, s6, 24
	s_waitcnt lgkmcnt(0)
	v_mul_hi_u32 v1, s17, v0
	s_addc_u32 s7, s7, 0
	s_add_i32 s9, s9, -2
	s_cmp_lg_u32 s9, 0
	v_add_u32_e32 v1, v0, v1
	v_lshrrev_b32_e32 v1, s18, v1
	v_mul_lo_u32 v2, v1, s16
	v_mul_hi_u32 v3, s10, v1
	v_sub_u32_e32 v2, v0, v2
	v_add_u32_e32 v0, v1, v3
	v_lshrrev_b32_e32 v0, s11, v0
	v_mul_lo_u32 v5, v0, s19
	v_mul_lo_u32 v3, v2, s20
	;; [unrolled: 1-line block ×4, first 2 shown]
	v_sub_u32_e32 v1, v1, v5
	v_mul_lo_u32 v5, v1, s23
	v_mul_lo_u32 v7, v1, s24
	;; [unrolled: 1-line block ×3, first 2 shown]
	v_add3_u32 v6, v3, v6, v5
	v_add3_u32 v8, v4, v8, v7
	;; [unrolled: 1-line block ×3, first 2 shown]
	s_cbranch_scc1 .LBB215_1561
; %bb.1562:
	s_bitcmp1_b32 s8, 0
	s_cselect_b64 s[8:9], -1, 0
	s_and_b64 vcc, exec, s[8:9]
	s_cbranch_vccnz .LBB215_1566
; %bb.1563:
	s_load_dwordx2 s[8:9], s[6:7], 0x1c
	s_load_dword s16, s[6:7], 0x24
	s_load_dwordx2 s[10:11], s[6:7], 0xdc
	s_waitcnt lgkmcnt(0)
	v_mul_hi_u32 v1, s9, v0
	v_add_u32_e32 v1, v0, v1
	v_lshrrev_b32_e32 v1, s16, v1
	v_mul_lo_u32 v1, v1, s8
	s_load_dword s8, s[6:7], 0xe4
	v_sub_u32_e32 v0, v0, v1
	v_mad_u64_u32 v[6:7], s[6:7], v0, s10, v[6:7]
	v_mad_u64_u32 v[8:9], s[6:7], v0, s11, v[8:9]
	s_waitcnt lgkmcnt(0)
	v_mad_u64_u32 v[11:12], s[6:7], v0, s8, v[11:12]
	s_cbranch_execz .LBB215_1567
	s_branch .LBB215_1569
.LBB215_1564:
                                        ; implicit-def: $vgpr6
                                        ; implicit-def: $vgpr8
                                        ; implicit-def: $vgpr11
	s_branch .LBB215_1567
.LBB215_1565:
	s_waitcnt vmcnt(0)
	v_mov_b32_e32 v6, 0
	v_mov_b32_e32 v8, 0
	;; [unrolled: 1-line block ×3, first 2 shown]
.LBB215_1566:
	s_cbranch_execnz .LBB215_1569
.LBB215_1567:
	s_load_dwordx4 s[8:11], s[2:3], 0x4
	s_load_dwordx4 s[16:19], s[2:3], 0xc4
	s_cmp_lt_u32 s33, 2
	s_waitcnt lgkmcnt(0)
	v_mul_hi_u32 v0, s9, v10
	v_add_u32_e32 v0, v10, v0
	v_lshrrev_b32_e32 v0, s10, v0
	s_waitcnt vmcnt(0)
	v_mul_lo_u32 v1, v0, s8
	v_sub_u32_e32 v1, v10, v1
	v_mul_lo_u32 v6, v1, s16
	v_mul_lo_u32 v8, v1, s17
	;; [unrolled: 1-line block ×3, first 2 shown]
	s_cbranch_scc1 .LBB215_1569
; %bb.1568:
	s_load_dwordx4 s[8:11], s[2:3], 0x10
	s_load_dwordx4 s[16:19], s[2:3], 0xd0
	s_waitcnt lgkmcnt(0)
	v_mul_hi_u32 v1, s9, v0
	v_add_u32_e32 v1, v0, v1
	v_lshrrev_b32_e32 v1, s10, v1
	v_mul_lo_u32 v1, v1, s8
	v_sub_u32_e32 v0, v0, v1
	v_mad_u64_u32 v[6:7], s[6:7], v0, s16, v[6:7]
	v_mad_u64_u32 v[8:9], s[6:7], v0, s17, v[8:9]
	;; [unrolled: 1-line block ×3, first 2 shown]
.LBB215_1569:
	s_and_b64 vcc, exec, s[0:1]
	v_add_u32_e32 v0, 0x80, v10
	s_cbranch_vccnz .LBB215_1575
; %bb.1570:
	s_cmp_lg_u32 s33, 0
	s_cbranch_scc0 .LBB215_1576
; %bb.1571:
	s_min_u32 s8, s68, 15
	s_add_i32 s6, s8, 1
	s_and_b32 s9, s6, 30
	s_add_u32 s6, s2, 0xffffffe8
	s_addc_u32 s7, s3, -1
	v_mov_b32_e32 v16, 0
	v_mov_b32_e32 v12, 0
	;; [unrolled: 1-line block ×3, first 2 shown]
	s_waitcnt vmcnt(0)
	v_mov_b32_e32 v1, v0
.LBB215_1572:                           ; =>This Inner Loop Header: Depth=1
	s_load_dwordx4 s[16:19], s[6:7], 0x1c
	s_load_dwordx2 s[10:11], s[6:7], 0x2c
	s_load_dwordx2 s[24:25], s[6:7], 0xec
	s_load_dwordx4 s[20:23], s[6:7], 0xdc
	s_add_u32 s6, s6, 24
	s_waitcnt lgkmcnt(0)
	v_mul_hi_u32 v2, s17, v1
	s_addc_u32 s7, s7, 0
	s_add_i32 s9, s9, -2
	s_cmp_lg_u32 s9, 0
	v_add_u32_e32 v2, v1, v2
	v_lshrrev_b32_e32 v2, s18, v2
	v_mul_lo_u32 v3, v2, s16
	v_mul_hi_u32 v5, s10, v2
	v_sub_u32_e32 v3, v1, v3
	v_add_u32_e32 v1, v2, v5
	v_lshrrev_b32_e32 v1, s11, v1
	v_mul_lo_u32 v9, v1, s19
	v_mul_lo_u32 v5, v3, s20
	;; [unrolled: 1-line block ×4, first 2 shown]
	v_sub_u32_e32 v2, v2, v9
	v_mul_lo_u32 v9, v2, s23
	v_mul_lo_u32 v13, v2, s24
	v_mul_lo_u32 v2, v2, s25
	v_add3_u32 v4, v5, v4, v9
	v_add3_u32 v12, v7, v12, v13
	;; [unrolled: 1-line block ×3, first 2 shown]
	s_cbranch_scc1 .LBB215_1572
; %bb.1573:
	s_bitcmp1_b32 s8, 0
	s_cselect_b64 s[8:9], -1, 0
	s_and_b64 vcc, exec, s[8:9]
	s_cbranch_vccnz .LBB215_1577
; %bb.1574:
	s_load_dwordx2 s[8:9], s[6:7], 0x1c
	s_load_dword s16, s[6:7], 0x24
	s_load_dwordx2 s[10:11], s[6:7], 0xdc
	s_waitcnt lgkmcnt(0)
	v_mul_hi_u32 v2, s9, v1
	v_add_u32_e32 v2, v1, v2
	v_lshrrev_b32_e32 v2, s16, v2
	v_mul_lo_u32 v2, v2, s8
	s_load_dword s8, s[6:7], 0xe4
	v_sub_u32_e32 v1, v1, v2
	v_mad_u64_u32 v[4:5], s[6:7], v1, s10, v[4:5]
	v_mad_u64_u32 v[12:13], s[6:7], v1, s11, v[12:13]
	s_waitcnt lgkmcnt(0)
	v_mad_u64_u32 v[16:17], s[6:7], v1, s8, v[16:17]
	s_cbranch_execz .LBB215_1578
	s_branch .LBB215_1580
.LBB215_1575:
                                        ; implicit-def: $vgpr4
                                        ; implicit-def: $vgpr12
                                        ; implicit-def: $vgpr16
	s_branch .LBB215_1578
.LBB215_1576:
	v_mov_b32_e32 v4, 0
	v_mov_b32_e32 v12, 0
	;; [unrolled: 1-line block ×3, first 2 shown]
.LBB215_1577:
	s_cbranch_execnz .LBB215_1580
.LBB215_1578:
	s_load_dwordx4 s[8:11], s[2:3], 0x4
	s_load_dwordx4 s[16:19], s[2:3], 0xc4
	s_cmp_lt_u32 s33, 2
	s_waitcnt vmcnt(0) lgkmcnt(0)
	v_mul_hi_u32 v1, s9, v0
	v_add_u32_e32 v1, v0, v1
	v_lshrrev_b32_e32 v1, s10, v1
	v_mul_lo_u32 v2, v1, s8
	v_sub_u32_e32 v0, v0, v2
	v_mul_lo_u32 v4, v0, s16
	v_mul_lo_u32 v12, v0, s17
	;; [unrolled: 1-line block ×3, first 2 shown]
	s_cbranch_scc1 .LBB215_1580
; %bb.1579:
	s_load_dwordx4 s[8:11], s[2:3], 0x10
	s_load_dwordx4 s[16:19], s[2:3], 0xd0
	s_waitcnt lgkmcnt(0)
	v_mul_hi_u32 v0, s9, v1
	v_add_u32_e32 v0, v1, v0
	v_lshrrev_b32_e32 v0, s10, v0
	v_mul_lo_u32 v0, v0, s8
	v_sub_u32_e32 v0, v1, v0
	v_mad_u64_u32 v[4:5], s[6:7], v0, s16, v[4:5]
	v_mad_u64_u32 v[12:13], s[6:7], v0, s17, v[12:13]
	;; [unrolled: 1-line block ×3, first 2 shown]
.LBB215_1580:
	s_and_b64 vcc, exec, s[0:1]
	v_add_u32_e32 v0, 0x100, v10
	s_cbranch_vccnz .LBB215_1586
; %bb.1581:
	s_cmp_lg_u32 s33, 0
	s_cbranch_scc0 .LBB215_1587
; %bb.1582:
	s_min_u32 s8, s68, 15
	s_add_i32 s6, s8, 1
	s_and_b32 s9, s6, 30
	s_add_u32 s6, s2, 0xffffffe8
	s_addc_u32 s7, s3, -1
	v_mov_b32_e32 v19, 0
	v_mov_b32_e32 v17, 0
	s_waitcnt vmcnt(0)
	v_mov_b32_e32 v2, 0
	v_mov_b32_e32 v1, v0
.LBB215_1583:                           ; =>This Inner Loop Header: Depth=1
	s_load_dwordx4 s[16:19], s[6:7], 0x1c
	s_load_dwordx2 s[10:11], s[6:7], 0x2c
	s_load_dwordx2 s[24:25], s[6:7], 0xec
	s_load_dwordx4 s[20:23], s[6:7], 0xdc
	s_add_u32 s6, s6, 24
	s_waitcnt lgkmcnt(0)
	v_mul_hi_u32 v3, s17, v1
	s_addc_u32 s7, s7, 0
	s_add_i32 s9, s9, -2
	s_cmp_lg_u32 s9, 0
	v_add_u32_e32 v3, v1, v3
	v_lshrrev_b32_e32 v3, s18, v3
	v_mul_lo_u32 v5, v3, s16
	v_mul_hi_u32 v7, s10, v3
	v_sub_u32_e32 v5, v1, v5
	v_add_u32_e32 v1, v3, v7
	v_lshrrev_b32_e32 v1, s11, v1
	v_mul_lo_u32 v10, v1, s19
	v_mul_lo_u32 v7, v5, s20
	;; [unrolled: 1-line block ×4, first 2 shown]
	v_sub_u32_e32 v3, v3, v10
	v_mul_lo_u32 v10, v3, s23
	v_mul_lo_u32 v13, v3, s24
	;; [unrolled: 1-line block ×3, first 2 shown]
	v_add3_u32 v2, v7, v2, v10
	v_add3_u32 v17, v9, v17, v13
	v_add3_u32 v19, v5, v19, v3
	s_cbranch_scc1 .LBB215_1583
; %bb.1584:
	s_bitcmp1_b32 s8, 0
	s_cselect_b64 s[8:9], -1, 0
	s_and_b64 vcc, exec, s[8:9]
	s_cbranch_vccnz .LBB215_1588
; %bb.1585:
	s_load_dwordx2 s[8:9], s[6:7], 0x1c
	s_load_dword s16, s[6:7], 0x24
	s_load_dwordx2 s[10:11], s[6:7], 0xdc
	s_waitcnt lgkmcnt(0)
	v_mul_hi_u32 v3, s9, v1
	v_add_u32_e32 v3, v1, v3
	v_lshrrev_b32_e32 v3, s16, v3
	v_mul_lo_u32 v3, v3, s8
	s_load_dword s8, s[6:7], 0xe4
	v_sub_u32_e32 v1, v1, v3
	v_mad_u64_u32 v[2:3], s[6:7], v1, s10, v[2:3]
	v_mad_u64_u32 v[17:18], s[6:7], v1, s11, v[17:18]
	s_waitcnt lgkmcnt(0)
	v_mad_u64_u32 v[19:20], s[6:7], v1, s8, v[19:20]
	s_cbranch_execz .LBB215_1589
	s_branch .LBB215_1591
.LBB215_1586:
                                        ; implicit-def: $vgpr2
                                        ; implicit-def: $vgpr17
                                        ; implicit-def: $vgpr19
	s_branch .LBB215_1589
.LBB215_1587:
	s_waitcnt vmcnt(0)
	v_mov_b32_e32 v2, 0
	v_mov_b32_e32 v17, 0
	v_mov_b32_e32 v19, 0
.LBB215_1588:
	s_cbranch_execnz .LBB215_1591
.LBB215_1589:
	s_load_dwordx4 s[8:11], s[2:3], 0x4
	s_load_dwordx4 s[16:19], s[2:3], 0xc4
	s_cmp_lt_u32 s33, 2
	s_waitcnt vmcnt(0) lgkmcnt(0)
	v_mul_hi_u32 v1, s9, v0
	v_add_u32_e32 v1, v0, v1
	v_lshrrev_b32_e32 v1, s10, v1
	v_mul_lo_u32 v2, v1, s8
	v_sub_u32_e32 v0, v0, v2
	v_mul_lo_u32 v2, v0, s16
	v_mul_lo_u32 v17, v0, s17
	;; [unrolled: 1-line block ×3, first 2 shown]
	s_cbranch_scc1 .LBB215_1591
; %bb.1590:
	s_load_dwordx4 s[8:11], s[2:3], 0x10
	s_load_dwordx4 s[16:19], s[2:3], 0xd0
	s_waitcnt lgkmcnt(0)
	v_mul_hi_u32 v0, s9, v1
	v_add_u32_e32 v0, v1, v0
	v_lshrrev_b32_e32 v0, s10, v0
	v_mul_lo_u32 v0, v0, s8
	v_sub_u32_e32 v0, v1, v0
	v_mad_u64_u32 v[2:3], s[6:7], v0, s16, v[2:3]
	v_mad_u64_u32 v[17:18], s[6:7], v0, s17, v[17:18]
	;; [unrolled: 1-line block ×3, first 2 shown]
.LBB215_1591:
	s_and_b64 vcc, exec, s[0:1]
	s_cbranch_vccnz .LBB215_1597
; %bb.1592:
	s_cmp_lg_u32 s33, 0
	s_cbranch_scc0 .LBB215_1598
; %bb.1593:
	s_min_u32 s6, s68, 15
	s_add_i32 s0, s6, 1
	s_and_b32 s7, s0, 30
	s_add_u32 s0, s2, 0xffffffe8
	s_addc_u32 s1, s3, -1
	v_mov_b32_e32 v9, 0
	v_mov_b32_e32 v14, 0
	;; [unrolled: 1-line block ×3, first 2 shown]
	s_waitcnt vmcnt(0)
	v_mov_b32_e32 v1, v21
.LBB215_1594:                           ; =>This Inner Loop Header: Depth=1
	s_load_dwordx4 s[8:11], s[0:1], 0x1c
	s_load_dwordx2 s[20:21], s[0:1], 0x2c
	s_load_dwordx2 s[22:23], s[0:1], 0xec
	s_load_dwordx4 s[16:19], s[0:1], 0xdc
	s_add_u32 s0, s0, 24
	s_waitcnt lgkmcnt(0)
	v_mul_hi_u32 v3, s9, v1
	s_addc_u32 s1, s1, 0
	s_add_i32 s7, s7, -2
	s_cmp_lg_u32 s7, 0
	v_add_u32_e32 v3, v1, v3
	v_lshrrev_b32_e32 v3, s10, v3
	v_mul_lo_u32 v5, v3, s8
	v_mul_hi_u32 v7, s20, v3
	v_sub_u32_e32 v5, v1, v5
	v_add_u32_e32 v1, v3, v7
	v_lshrrev_b32_e32 v1, s21, v1
	v_mul_lo_u32 v13, v1, s11
	v_mul_lo_u32 v7, v5, s16
	;; [unrolled: 1-line block ×4, first 2 shown]
	v_sub_u32_e32 v3, v3, v13
	v_mul_lo_u32 v13, v3, s19
	v_mul_lo_u32 v15, v3, s22
	;; [unrolled: 1-line block ×3, first 2 shown]
	v_add3_u32 v0, v7, v0, v13
	v_add3_u32 v14, v10, v14, v15
	;; [unrolled: 1-line block ×3, first 2 shown]
	s_cbranch_scc1 .LBB215_1594
; %bb.1595:
	s_bitcmp1_b32 s6, 0
	s_cselect_b64 s[6:7], -1, 0
	s_and_b64 vcc, exec, s[6:7]
	s_cbranch_vccnz .LBB215_1599
; %bb.1596:
	s_load_dwordx2 s[6:7], s[0:1], 0x1c
	s_load_dword s10, s[0:1], 0x24
	s_load_dwordx2 s[8:9], s[0:1], 0xdc
	s_waitcnt lgkmcnt(0)
	v_mul_hi_u32 v3, s7, v1
	v_add_u32_e32 v3, v1, v3
	v_lshrrev_b32_e32 v3, s10, v3
	v_mul_lo_u32 v3, v3, s6
	s_load_dword s6, s[0:1], 0xe4
	v_sub_u32_e32 v3, v1, v3
	v_mad_u64_u32 v[0:1], s[0:1], v3, s8, v[0:1]
	v_mad_u64_u32 v[14:15], s[0:1], v3, s9, v[14:15]
	s_waitcnt lgkmcnt(0)
	v_mad_u64_u32 v[9:10], s[0:1], v3, s6, v[9:10]
	s_cbranch_execz .LBB215_1600
	s_branch .LBB215_1602
.LBB215_1597:
                                        ; implicit-def: $vgpr0
                                        ; implicit-def: $vgpr14
                                        ; implicit-def: $vgpr9
	s_branch .LBB215_1600
.LBB215_1598:
	v_mov_b32_e32 v0, 0
	v_mov_b32_e32 v14, 0
	;; [unrolled: 1-line block ×3, first 2 shown]
.LBB215_1599:
	s_cbranch_execnz .LBB215_1602
.LBB215_1600:
	s_load_dwordx4 s[8:11], s[2:3], 0x4
	s_load_dwordx4 s[16:19], s[2:3], 0xc4
	s_cmp_lt_u32 s33, 2
	s_waitcnt lgkmcnt(0)
	v_mul_hi_u32 v0, s9, v21
	v_add_u32_e32 v0, v21, v0
	s_waitcnt vmcnt(0)
	v_lshrrev_b32_e32 v1, s10, v0
	v_mul_lo_u32 v0, v1, s8
	v_sub_u32_e32 v3, v21, v0
	v_mul_lo_u32 v0, v3, s16
	v_mul_lo_u32 v14, v3, s17
	v_mul_lo_u32 v9, v3, s18
	s_cbranch_scc1 .LBB215_1602
; %bb.1601:
	s_load_dwordx4 s[8:11], s[2:3], 0x10
	s_load_dwordx4 s[16:19], s[2:3], 0xd0
	s_waitcnt lgkmcnt(0)
	v_mul_hi_u32 v3, s9, v1
	v_add_u32_e32 v3, v1, v3
	v_lshrrev_b32_e32 v3, s10, v3
	v_mul_lo_u32 v3, v3, s8
	v_sub_u32_e32 v3, v1, v3
	v_mad_u64_u32 v[0:1], s[0:1], v3, s16, v[0:1]
	v_mad_u64_u32 v[14:15], s[0:1], v3, s17, v[14:15]
	;; [unrolled: 1-line block ×3, first 2 shown]
.LBB215_1602:
	s_load_dwordx4 s[8:11], s[2:3], 0x188
	s_load_dword s20, s[4:5], 0x1a8
	s_waitcnt vmcnt(0) lgkmcnt(0)
	v_mov_b32_e32 v1, s11
	s_bfe_u32 s18, s20, 0x80010
	v_add_co_u32_e32 v20, vcc, s10, v8
	s_cmp_lt_i32 s18, 11
	v_addc_co_u32_e32 v21, vcc, 0, v1, vcc
	s_cbranch_scc1 .LBB215_1609
; %bb.1603:
	s_and_b32 s19, 0xffff, s18
	s_cmp_gt_i32 s19, 25
	s_mov_b64 s[6:7], 0
	s_cbranch_scc0 .LBB215_1611
; %bb.1604:
	s_cmp_gt_i32 s19, 28
	s_cbranch_scc0 .LBB215_1612
; %bb.1605:
	s_cmp_gt_i32 s19, 43
	;; [unrolled: 3-line block ×3, first 2 shown]
	s_cbranch_scc0 .LBB215_1614
; %bb.1607:
	s_cmp_eq_u32 s19, 46
	s_mov_b64 s[4:5], 0
	s_cbranch_scc0 .LBB215_1617
; %bb.1608:
	global_load_dword v1, v[20:21], off
	s_mov_b32 s0, 0x2f800000
	s_mov_b32 s1, 0xcf800000
	s_mov_b64 s[16:17], -1
	s_waitcnt vmcnt(0)
	v_lshlrev_b32_e32 v1, 16, v1
	v_trunc_f32_e32 v1, v1
	v_mul_f32_e64 v3, |v1|, s0
	v_floor_f32_e32 v3, v3
	v_fma_f32 v5, v3, s1, |v1|
	v_cvt_u32_f32_e32 v5, v5
	v_cvt_u32_f32_e32 v3, v3
	v_ashrrev_i32_e32 v1, 31, v1
	s_mov_b64 s[0:1], 0
	v_xor_b32_e32 v5, v5, v1
	v_xor_b32_e32 v3, v3, v1
	v_sub_co_u32_e32 v7, vcc, v5, v1
	v_subb_co_u32_e32 v8, vcc, v3, v1, vcc
	s_branch .LBB215_1618
.LBB215_1609:
	s_mov_b64 s[16:17], 0
                                        ; implicit-def: $vgpr7_vgpr8
	s_mov_b64 s[4:5], s[12:13]
	s_cbranch_execnz .LBB215_1676
.LBB215_1610:
	s_andn2_b64 vcc, exec, s[16:17]
	s_cbranch_vccz .LBB215_1721
	s_branch .LBB215_3036
.LBB215_1611:
	s_mov_b64 s[16:17], 0
	s_mov_b64 s[0:1], 0
                                        ; implicit-def: $vgpr7_vgpr8
	s_cbranch_execnz .LBB215_1645
	s_branch .LBB215_1672
.LBB215_1612:
	s_mov_b64 s[16:17], 0
	s_mov_b64 s[0:1], 0
                                        ; implicit-def: $vgpr7_vgpr8
	s_cbranch_execz .LBB215_1644
	s_branch .LBB215_1627
.LBB215_1613:
	s_mov_b64 s[16:17], 0
	s_mov_b64 s[0:1], 0
                                        ; implicit-def: $vgpr7_vgpr8
	s_cbranch_execnz .LBB215_1623
	s_branch .LBB215_1626
.LBB215_1614:
	s_mov_b64 s[4:5], -1
	s_mov_b64 s[16:17], 0
	s_mov_b64 s[0:1], 0
                                        ; implicit-def: $vgpr7_vgpr8
	s_branch .LBB215_1618
.LBB215_1615:
	s_andn2_saveexec_b64 s[16:17], s[16:17]
	s_cbranch_execz .LBB215_1470
.LBB215_1616:
	s_mov_b32 s18, 0x46000000
	v_add_f32_e64 v1, |v0|, s18
	v_and_b32_e32 v1, 0xff, v1
	v_cmp_ne_u32_e32 vcc, 0, v1
	s_andn2_b64 s[14:15], s[14:15], exec
	s_and_b64 s[18:19], vcc, exec
	s_or_b64 s[14:15], s[14:15], s[18:19]
	s_or_b64 exec, exec, s[16:17]
	v_mov_b32_e32 v2, 0
	s_and_saveexec_b64 s[16:17], s[14:15]
	s_cbranch_execnz .LBB215_1471
	s_branch .LBB215_1472
.LBB215_1617:
	s_mov_b64 s[0:1], -1
                                        ; implicit-def: $vgpr7_vgpr8
	s_mov_b64 s[16:17], 0
.LBB215_1618:
	s_and_b64 vcc, exec, s[4:5]
	s_cbranch_vccz .LBB215_1621
; %bb.1619:
	s_cmp_eq_u32 s19, 44
	s_cbranch_scc0 .LBB215_1622
; %bb.1620:
	global_load_ubyte v1, v[20:21], off
	s_mov_b32 s0, 0x2f800000
	s_mov_b32 s1, 0xcf800000
	s_mov_b64 s[16:17], -1
	s_waitcnt vmcnt(0)
	v_lshlrev_b32_e32 v3, 23, v1
	v_trunc_f32_e32 v3, v3
	v_mul_f32_e64 v5, |v3|, s0
	v_floor_f32_e32 v5, v5
	v_fma_f32 v7, v5, s1, |v3|
	v_cvt_u32_f32_e32 v7, v7
	v_cvt_u32_f32_e32 v5, v5
	v_ashrrev_i32_e32 v3, 31, v3
	s_mov_b64 s[0:1], 0
	v_xor_b32_e32 v7, v7, v3
	v_xor_b32_e32 v5, v5, v3
	v_sub_co_u32_e32 v7, vcc, v7, v3
	v_subb_co_u32_e32 v3, vcc, v5, v3, vcc
	v_cmp_ne_u32_e32 vcc, 0, v1
	v_cndmask_b32_e32 v8, 0, v3, vcc
	v_cndmask_b32_e32 v7, 0, v7, vcc
.LBB215_1621:
	s_branch .LBB215_1626
.LBB215_1622:
	s_mov_b64 s[0:1], -1
                                        ; implicit-def: $vgpr7_vgpr8
	s_branch .LBB215_1626
.LBB215_1623:
	s_cmp_eq_u32 s19, 29
	s_cbranch_scc0 .LBB215_1625
; %bb.1624:
	global_load_dwordx2 v[7:8], v[20:21], off
	s_mov_b64 s[0:1], 0
	s_mov_b64 s[16:17], -1
	s_branch .LBB215_1626
.LBB215_1625:
	s_mov_b64 s[0:1], -1
                                        ; implicit-def: $vgpr7_vgpr8
.LBB215_1626:
	s_branch .LBB215_1644
.LBB215_1627:
	s_cmp_lt_i32 s19, 27
	s_cbranch_scc1 .LBB215_1630
; %bb.1628:
	s_cmp_gt_i32 s19, 27
	s_cbranch_scc0 .LBB215_1631
; %bb.1629:
	global_load_dword v7, v[20:21], off
	s_waitcnt vmcnt(1)
	v_mov_b32_e32 v8, 0
	s_mov_b64 s[4:5], 0
	s_branch .LBB215_1632
.LBB215_1630:
	s_mov_b64 s[4:5], -1
                                        ; implicit-def: $vgpr7_vgpr8
	s_branch .LBB215_1635
.LBB215_1631:
	s_mov_b64 s[4:5], -1
                                        ; implicit-def: $vgpr7_vgpr8
.LBB215_1632:
	s_andn2_b64 vcc, exec, s[4:5]
	s_cbranch_vccnz .LBB215_1634
; %bb.1633:
	global_load_ushort v1, v[20:21], off
	s_mov_b32 s4, 0
	s_waitcnt vmcnt(1)
	v_mov_b32_e32 v8, s4
	s_waitcnt vmcnt(0)
	v_and_b32_e32 v7, 0xffff, v1
.LBB215_1634:
	s_mov_b64 s[4:5], 0
.LBB215_1635:
	s_andn2_b64 vcc, exec, s[4:5]
	s_cbranch_vccnz .LBB215_1643
; %bb.1636:
	global_load_ubyte v1, v[20:21], off
	s_movk_i32 s4, 0x7f
	s_mov_b64 s[16:17], 0
	s_waitcnt vmcnt(0)
	v_cmp_lt_i16_e32 vcc, s4, v1
	s_and_saveexec_b64 s[4:5], vcc
	s_xor_b64 s[4:5], exec, s[4:5]
; %bb.1637:
	s_movk_i32 s16, 0x80
	v_cmp_ne_u16_e32 vcc, s16, v1
	s_and_b64 s[16:17], vcc, exec
; %bb.1638:
	s_andn2_saveexec_b64 s[4:5], s[4:5]
; %bb.1639:
	v_cmp_ne_u16_e32 vcc, 0, v1
	s_andn2_b64 s[16:17], s[16:17], exec
	s_and_b64 s[22:23], vcc, exec
	s_or_b64 s[16:17], s[16:17], s[22:23]
; %bb.1640:
	s_or_b64 exec, exec, s[4:5]
	v_mov_b32_e32 v7, 0
	v_mov_b32_e32 v8, 0
	s_and_saveexec_b64 s[4:5], s[16:17]
	s_cbranch_execz .LBB215_1642
; %bb.1641:
	v_lshlrev_b32_e32 v3, 24, v1
	v_and_b32_e32 v1, 0xffff, v1
	v_and_b32_e32 v5, 7, v1
	v_ffbh_u32_e32 v8, v5
	v_min_u32_e32 v8, 32, v8
	v_subrev_u32_e32 v10, 28, v8
	v_bfe_u32 v7, v1, 3, 4
	v_lshlrev_b32_e32 v1, v10, v1
	v_sub_u32_e32 v8, 29, v8
	v_and_b32_e32 v1, 7, v1
	v_cmp_eq_u32_e32 vcc, 0, v7
	v_cndmask_b32_e32 v7, v7, v8, vcc
	v_cndmask_b32_e32 v1, v5, v1, vcc
	v_mov_b32_e32 v5, 0x3b800000
	v_lshlrev_b32_e32 v1, 20, v1
	v_and_b32_e32 v3, 0x80000000, v3
	v_lshl_add_u32 v5, v7, 23, v5
	v_or3_b32 v1, v3, v5, v1
	v_trunc_f32_e32 v1, v1
	s_mov_b32 s16, 0x2f800000
	v_mul_f32_e64 v3, |v1|, s16
	v_floor_f32_e32 v3, v3
	s_mov_b32 s16, 0xcf800000
	v_fma_f32 v5, v3, s16, |v1|
	v_cvt_u32_f32_e32 v5, v5
	v_cvt_u32_f32_e32 v3, v3
	v_ashrrev_i32_e32 v1, 31, v1
	v_xor_b32_e32 v5, v5, v1
	v_xor_b32_e32 v3, v3, v1
	v_sub_co_u32_e32 v7, vcc, v5, v1
	v_subb_co_u32_e32 v8, vcc, v3, v1, vcc
.LBB215_1642:
	s_or_b64 exec, exec, s[4:5]
.LBB215_1643:
	s_mov_b64 s[16:17], -1
.LBB215_1644:
	s_branch .LBB215_1672
.LBB215_1645:
	s_cmp_gt_i32 s19, 22
	s_cbranch_scc0 .LBB215_1655
; %bb.1646:
	s_cmp_lt_i32 s19, 24
	s_cbranch_scc1 .LBB215_1656
; %bb.1647:
	s_cmp_gt_i32 s19, 24
	s_cbranch_scc0 .LBB215_1657
; %bb.1648:
	global_load_ubyte v1, v[20:21], off
	s_movk_i32 s4, 0x7f
	s_waitcnt vmcnt(0)
	v_cmp_lt_i16_e32 vcc, s4, v1
	s_and_saveexec_b64 s[4:5], vcc
	s_xor_b64 s[4:5], exec, s[4:5]
; %bb.1649:
	s_movk_i32 s6, 0x80
	v_cmp_ne_u16_e32 vcc, s6, v1
	s_and_b64 s[6:7], vcc, exec
; %bb.1650:
	s_andn2_saveexec_b64 s[4:5], s[4:5]
; %bb.1651:
	v_cmp_ne_u16_e32 vcc, 0, v1
	s_andn2_b64 s[6:7], s[6:7], exec
	s_and_b64 s[16:17], vcc, exec
	s_or_b64 s[6:7], s[6:7], s[16:17]
; %bb.1652:
	s_or_b64 exec, exec, s[4:5]
	v_mov_b32_e32 v7, 0
	v_mov_b32_e32 v8, 0
	s_and_saveexec_b64 s[4:5], s[6:7]
	s_cbranch_execz .LBB215_1654
; %bb.1653:
	v_lshlrev_b32_e32 v3, 24, v1
	v_and_b32_e32 v1, 0xffff, v1
	v_and_b32_e32 v5, 3, v1
	v_ffbh_u32_e32 v8, v5
	v_min_u32_e32 v8, 32, v8
	v_subrev_u32_e32 v10, 29, v8
	v_bfe_u32 v7, v1, 2, 5
	v_lshlrev_b32_e32 v1, v10, v1
	v_sub_u32_e32 v8, 30, v8
	v_and_b32_e32 v1, 3, v1
	v_cmp_eq_u32_e32 vcc, 0, v7
	v_cndmask_b32_e32 v7, v7, v8, vcc
	v_cndmask_b32_e32 v1, v5, v1, vcc
	v_mov_b32_e32 v5, 0x37800000
	v_lshlrev_b32_e32 v1, 21, v1
	v_and_b32_e32 v3, 0x80000000, v3
	v_lshl_add_u32 v5, v7, 23, v5
	v_or3_b32 v1, v3, v5, v1
	v_trunc_f32_e32 v1, v1
	s_mov_b32 s6, 0x2f800000
	v_mul_f32_e64 v3, |v1|, s6
	v_floor_f32_e32 v3, v3
	s_mov_b32 s6, 0xcf800000
	v_fma_f32 v5, v3, s6, |v1|
	v_cvt_u32_f32_e32 v5, v5
	v_cvt_u32_f32_e32 v3, v3
	v_ashrrev_i32_e32 v1, 31, v1
	v_xor_b32_e32 v5, v5, v1
	v_xor_b32_e32 v3, v3, v1
	v_sub_co_u32_e32 v7, vcc, v5, v1
	v_subb_co_u32_e32 v8, vcc, v3, v1, vcc
.LBB215_1654:
	s_or_b64 exec, exec, s[4:5]
	s_mov_b64 s[4:5], 0
	s_branch .LBB215_1658
.LBB215_1655:
                                        ; implicit-def: $vgpr7_vgpr8
	s_mov_b64 s[6:7], 0
	s_branch .LBB215_1664
.LBB215_1656:
	s_mov_b64 s[4:5], -1
                                        ; implicit-def: $vgpr7_vgpr8
	s_branch .LBB215_1661
.LBB215_1657:
	s_mov_b64 s[4:5], -1
                                        ; implicit-def: $vgpr7_vgpr8
.LBB215_1658:
	s_and_b64 vcc, exec, s[4:5]
	s_cbranch_vccz .LBB215_1660
; %bb.1659:
	global_load_ubyte v1, v[20:21], off
	s_mov_b32 s4, 0x7f800000
	s_brev_b32 s5, 1
	s_mov_b32 s6, 0x2f800000
	s_mov_b32 s7, 0xcf800000
	s_waitcnt vmcnt(0)
	v_lshlrev_b32_e32 v1, 24, v1
	v_and_b32_e32 v3, 0x7f000000, v1
	v_ffbh_u32_e32 v5, v3
	v_min_u32_e32 v5, 32, v5
	v_sub_u32_e64 v5, v5, 4 clamp
	v_lshlrev_b32_e32 v8, v5, v3
	v_lshlrev_b32_e32 v5, 23, v5
	v_lshrrev_b32_e32 v8, 4, v8
	v_add_u32_e32 v7, 0x1000000, v3
	v_sub_u32_e32 v5, v8, v5
	v_ashrrev_i32_e32 v7, 8, v7
	v_add_u32_e32 v5, 0x3c000000, v5
	v_and_or_b32 v5, v7, s4, v5
	v_cmp_ne_u32_e32 vcc, 0, v3
	v_cndmask_b32_e32 v3, 0, v5, vcc
	v_and_or_b32 v1, v1, s5, v3
	v_trunc_f32_e32 v1, v1
	v_mul_f32_e64 v3, |v1|, s6
	v_floor_f32_e32 v3, v3
	v_fma_f32 v5, v3, s7, |v1|
	v_cvt_u32_f32_e32 v5, v5
	v_cvt_u32_f32_e32 v3, v3
	v_ashrrev_i32_e32 v1, 31, v1
	v_xor_b32_e32 v5, v5, v1
	v_xor_b32_e32 v3, v3, v1
	v_sub_co_u32_e32 v7, vcc, v5, v1
	v_subb_co_u32_e32 v8, vcc, v3, v1, vcc
.LBB215_1660:
	s_mov_b64 s[4:5], 0
.LBB215_1661:
	s_andn2_b64 vcc, exec, s[4:5]
	s_cbranch_vccnz .LBB215_1663
; %bb.1662:
	global_load_ubyte v1, v[20:21], off
	s_movk_i32 s4, 0x7f00
	s_brev_b32 s5, 16
	s_brev_b32 s6, 1
	s_mov_b32 s7, 0x2f800000
	s_mov_b32 s16, 0xcf800000
	s_waitcnt vmcnt(0)
	v_lshlrev_b16_e32 v3, 8, v1
	v_lshlrev_b32_e32 v1, 25, v1
	v_lshrrev_b32_e32 v5, 4, v1
	v_and_or_b32 v7, v3, s4, 0.5
	v_or_b32_e32 v5, 0x70000000, v5
	v_add_f32_e32 v7, -0.5, v7
	v_mul_f32_e32 v5, 0x7800000, v5
	v_cmp_gt_u32_e32 vcc, s5, v1
	v_bfe_i32 v3, v3, 0, 16
	v_cndmask_b32_e32 v1, v5, v7, vcc
	v_and_or_b32 v1, v3, s6, v1
	v_trunc_f32_e32 v1, v1
	v_mul_f32_e64 v3, |v1|, s7
	v_floor_f32_e32 v3, v3
	v_fma_f32 v5, v3, s16, |v1|
	v_cvt_u32_f32_e32 v5, v5
	v_cvt_u32_f32_e32 v3, v3
	v_ashrrev_i32_e32 v1, 31, v1
	v_xor_b32_e32 v5, v5, v1
	v_xor_b32_e32 v3, v3, v1
	v_sub_co_u32_e32 v7, vcc, v5, v1
	v_subb_co_u32_e32 v8, vcc, v3, v1, vcc
.LBB215_1663:
	s_mov_b64 s[16:17], -1
	s_mov_b64 s[6:7], 0
	s_cbranch_execnz .LBB215_1672
.LBB215_1664:
	s_cmp_gt_i32 s19, 14
	s_cbranch_scc0 .LBB215_1667
; %bb.1665:
	s_cmp_eq_u32 s19, 15
	s_cbranch_scc0 .LBB215_1668
; %bb.1666:
	global_load_ushort v1, v[20:21], off
	s_mov_b32 s0, 0x2f800000
	s_mov_b32 s1, 0xcf800000
	s_mov_b64 s[16:17], -1
	s_waitcnt vmcnt(0)
	v_lshlrev_b32_e32 v1, 16, v1
	v_trunc_f32_e32 v1, v1
	v_mul_f32_e64 v3, |v1|, s0
	v_floor_f32_e32 v3, v3
	v_fma_f32 v5, v3, s1, |v1|
	v_cvt_u32_f32_e32 v5, v5
	v_cvt_u32_f32_e32 v3, v3
	v_ashrrev_i32_e32 v1, 31, v1
	s_mov_b64 s[0:1], 0
	v_xor_b32_e32 v5, v5, v1
	v_xor_b32_e32 v3, v3, v1
	v_sub_co_u32_e32 v7, vcc, v5, v1
	v_subb_co_u32_e32 v8, vcc, v3, v1, vcc
	s_branch .LBB215_1669
.LBB215_1667:
	s_mov_b64 s[4:5], -1
                                        ; implicit-def: $vgpr7_vgpr8
	s_branch .LBB215_1670
.LBB215_1668:
	s_mov_b64 s[0:1], -1
                                        ; implicit-def: $vgpr7_vgpr8
.LBB215_1669:
	s_mov_b64 s[4:5], 0
.LBB215_1670:
	s_and_b64 vcc, exec, s[4:5]
	s_cbranch_vccz .LBB215_1672
; %bb.1671:
	s_cmp_lg_u32 s19, 11
	s_mov_b64 s[6:7], -1
	s_cselect_b64 s[0:1], -1, 0
.LBB215_1672:
	s_and_b64 vcc, exec, s[0:1]
	s_mov_b64 s[4:5], s[12:13]
	s_cbranch_vccnz .LBB215_1733
; %bb.1673:
	s_andn2_b64 vcc, exec, s[6:7]
	s_cbranch_vccnz .LBB215_1675
.LBB215_1674:
	global_load_ubyte v1, v[20:21], off
	s_mov_b32 s0, 0
	s_waitcnt vmcnt(1)
	v_mov_b32_e32 v8, s0
	s_mov_b64 s[16:17], -1
	s_waitcnt vmcnt(0)
	v_cmp_ne_u16_e32 vcc, 0, v1
	v_cndmask_b32_e64 v7, 0, 1, vcc
.LBB215_1675:
	s_branch .LBB215_1610
.LBB215_1676:
	s_and_b32 s6, 0xffff, s18
	s_cmp_lt_i32 s6, 5
	s_cbranch_scc1 .LBB215_1681
; %bb.1677:
	s_cmp_lt_i32 s6, 8
	s_cbranch_scc1 .LBB215_1682
; %bb.1678:
	;; [unrolled: 3-line block ×3, first 2 shown]
	s_cmp_gt_i32 s6, 9
	s_cbranch_scc0 .LBB215_1684
; %bb.1680:
	global_load_dwordx2 v[7:8], v[20:21], off
	s_movk_i32 s0, 0xffe0
	s_waitcnt vmcnt(0)
	v_trunc_f64_e32 v[7:8], v[7:8]
	v_ldexp_f64 v[22:23], v[7:8], s0
	s_mov_b32 s0, 0
	s_mov_b32 s1, 0xc1f00000
	v_floor_f64_e32 v[22:23], v[22:23]
	v_fma_f64 v[24:25], v[22:23], s[0:1], v[7:8]
	v_cvt_i32_f64_e32 v8, v[22:23]
	s_mov_b64 s[0:1], 0
	v_cvt_u32_f64_e32 v7, v[24:25]
	s_branch .LBB215_1685
.LBB215_1681:
                                        ; implicit-def: $vgpr7_vgpr8
	s_branch .LBB215_1702
.LBB215_1682:
                                        ; implicit-def: $vgpr7_vgpr8
	s_branch .LBB215_1691
.LBB215_1683:
	s_mov_b64 s[0:1], -1
                                        ; implicit-def: $vgpr7_vgpr8
	s_branch .LBB215_1688
.LBB215_1684:
	s_mov_b64 s[0:1], -1
                                        ; implicit-def: $vgpr7_vgpr8
.LBB215_1685:
	s_andn2_b64 vcc, exec, s[0:1]
	s_cbranch_vccnz .LBB215_1687
; %bb.1686:
	global_load_dword v1, v[20:21], off
	s_mov_b32 s0, 0x2f800000
	s_mov_b32 s1, 0xcf800000
	s_waitcnt vmcnt(0)
	v_trunc_f32_e32 v1, v1
	v_mul_f32_e64 v3, |v1|, s0
	v_floor_f32_e32 v3, v3
	v_cvt_u32_f32_e32 v5, v3
	v_fma_f32 v3, v3, s1, |v1|
	v_cvt_u32_f32_e32 v3, v3
	v_ashrrev_i32_e32 v1, 31, v1
	v_xor_b32_e32 v5, v5, v1
	v_xor_b32_e32 v3, v3, v1
	v_sub_co_u32_e32 v7, vcc, v3, v1
	v_subb_co_u32_e32 v8, vcc, v5, v1, vcc
.LBB215_1687:
	s_mov_b64 s[0:1], 0
.LBB215_1688:
	s_andn2_b64 vcc, exec, s[0:1]
	s_cbranch_vccnz .LBB215_1690
; %bb.1689:
	global_load_dword v1, v[20:21], off
	s_waitcnt vmcnt(0)
	v_cvt_f32_f16_e32 v1, v1
	v_cvt_i32_f32_e32 v7, v1
	v_ashrrev_i32_e32 v8, 31, v7
.LBB215_1690:
	s_cbranch_execnz .LBB215_1701
.LBB215_1691:
	s_cmp_lt_i32 s6, 6
	s_cbranch_scc1 .LBB215_1694
; %bb.1692:
	s_cmp_gt_i32 s6, 6
	s_cbranch_scc0 .LBB215_1695
; %bb.1693:
	global_load_dwordx2 v[7:8], v[20:21], off
	s_movk_i32 s0, 0xffe0
	s_waitcnt vmcnt(0)
	v_trunc_f64_e32 v[7:8], v[7:8]
	v_ldexp_f64 v[22:23], v[7:8], s0
	s_mov_b32 s0, 0
	s_mov_b32 s1, 0xc1f00000
	v_floor_f64_e32 v[22:23], v[22:23]
	v_fma_f64 v[24:25], v[22:23], s[0:1], v[7:8]
	v_cvt_i32_f64_e32 v8, v[22:23]
	s_mov_b64 s[0:1], 0
	v_cvt_u32_f64_e32 v7, v[24:25]
	s_branch .LBB215_1696
.LBB215_1694:
	s_mov_b64 s[0:1], -1
                                        ; implicit-def: $vgpr7_vgpr8
	s_branch .LBB215_1699
.LBB215_1695:
	s_mov_b64 s[0:1], -1
                                        ; implicit-def: $vgpr7_vgpr8
.LBB215_1696:
	s_andn2_b64 vcc, exec, s[0:1]
	s_cbranch_vccnz .LBB215_1698
; %bb.1697:
	global_load_dword v1, v[20:21], off
	s_mov_b32 s0, 0x2f800000
	s_mov_b32 s1, 0xcf800000
	s_waitcnt vmcnt(0)
	v_trunc_f32_e32 v1, v1
	v_mul_f32_e64 v3, |v1|, s0
	v_floor_f32_e32 v3, v3
	v_cvt_u32_f32_e32 v5, v3
	v_fma_f32 v3, v3, s1, |v1|
	v_cvt_u32_f32_e32 v3, v3
	v_ashrrev_i32_e32 v1, 31, v1
	v_xor_b32_e32 v5, v5, v1
	v_xor_b32_e32 v3, v3, v1
	v_sub_co_u32_e32 v7, vcc, v3, v1
	v_subb_co_u32_e32 v8, vcc, v5, v1, vcc
.LBB215_1698:
	s_mov_b64 s[0:1], 0
.LBB215_1699:
	s_andn2_b64 vcc, exec, s[0:1]
	s_cbranch_vccnz .LBB215_1701
; %bb.1700:
	global_load_ushort v1, v[20:21], off
	s_waitcnt vmcnt(0)
	v_cvt_f32_f16_e32 v1, v1
	v_cvt_i32_f32_e32 v7, v1
	v_ashrrev_i32_e32 v8, 31, v7
.LBB215_1701:
	s_cbranch_execnz .LBB215_1720
.LBB215_1702:
	s_cmp_lt_i32 s6, 2
	s_cbranch_scc1 .LBB215_1706
; %bb.1703:
	s_cmp_lt_i32 s6, 3
	s_cbranch_scc1 .LBB215_1707
; %bb.1704:
	s_cmp_gt_i32 s6, 3
	s_cbranch_scc0 .LBB215_1708
; %bb.1705:
	global_load_dwordx2 v[7:8], v[20:21], off
	s_mov_b64 s[0:1], 0
	s_branch .LBB215_1709
.LBB215_1706:
                                        ; implicit-def: $vgpr7_vgpr8
	s_branch .LBB215_1715
.LBB215_1707:
	s_mov_b64 s[0:1], -1
                                        ; implicit-def: $vgpr7_vgpr8
	s_branch .LBB215_1712
.LBB215_1708:
	s_mov_b64 s[0:1], -1
                                        ; implicit-def: $vgpr7_vgpr8
.LBB215_1709:
	s_andn2_b64 vcc, exec, s[0:1]
	s_cbranch_vccnz .LBB215_1711
; %bb.1710:
	global_load_dword v7, v[20:21], off
	s_waitcnt vmcnt(0)
	v_ashrrev_i32_e32 v8, 31, v7
.LBB215_1711:
	s_mov_b64 s[0:1], 0
.LBB215_1712:
	s_andn2_b64 vcc, exec, s[0:1]
	s_cbranch_vccnz .LBB215_1714
; %bb.1713:
	global_load_ushort v1, v[20:21], off
	s_waitcnt vmcnt(0)
	v_bfe_i32 v7, v1, 0, 16
	v_ashrrev_i32_e32 v8, 31, v7
.LBB215_1714:
	s_cbranch_execnz .LBB215_1720
.LBB215_1715:
	s_cmp_gt_i32 s6, 0
	s_cbranch_scc0 .LBB215_1717
; %bb.1716:
	global_load_sbyte v1, v[20:21], off
	s_mov_b64 s[0:1], 0
	s_waitcnt vmcnt(0)
	v_bfe_i32 v7, v1, 0, 16
	v_ashrrev_i32_e32 v8, 31, v7
	s_branch .LBB215_1718
.LBB215_1717:
	s_mov_b64 s[0:1], -1
                                        ; implicit-def: $vgpr7_vgpr8
.LBB215_1718:
	s_andn2_b64 vcc, exec, s[0:1]
	s_cbranch_vccnz .LBB215_1720
; %bb.1719:
	global_load_ubyte v1, v[20:21], off
	s_mov_b32 s0, 0
	s_waitcnt vmcnt(1)
	v_mov_b32_e32 v8, s0
	s_waitcnt vmcnt(0)
	v_and_b32_e32 v7, 0xffff, v1
.LBB215_1720:
.LBB215_1721:
	s_load_dwordx2 s[0:1], s[2:3], 0x198
	s_lshr_b32 s21, s20, 24
	s_cmp_lt_i32 s21, 11
	s_waitcnt lgkmcnt(0)
	v_mov_b32_e32 v1, s1
	v_add_co_u32_e32 v20, vcc, s0, v11
	v_addc_co_u32_e32 v21, vcc, 0, v1, vcc
	s_cbranch_scc1 .LBB215_1728
; %bb.1722:
	s_and_b32 s22, 0xffff, s21
	s_cmp_gt_i32 s22, 25
	s_mov_b64 s[6:7], 0
	s_cbranch_scc0 .LBB215_1730
; %bb.1723:
	s_cmp_gt_i32 s22, 28
	s_cbranch_scc0 .LBB215_1731
; %bb.1724:
	s_cmp_gt_i32 s22, 43
	;; [unrolled: 3-line block ×3, first 2 shown]
	s_cbranch_scc0 .LBB215_1734
; %bb.1726:
	s_cmp_eq_u32 s22, 46
	s_mov_b64 s[18:19], 0
	s_cbranch_scc0 .LBB215_1737
; %bb.1727:
	global_load_dword v1, v[20:21], off
	s_mov_b32 s2, 0x2f800000
	s_mov_b32 s3, 0xcf800000
	s_mov_b64 s[16:17], -1
	s_waitcnt vmcnt(0)
	v_lshlrev_b32_e32 v1, 16, v1
	v_trunc_f32_e32 v1, v1
	v_mul_f32_e64 v3, |v1|, s2
	v_floor_f32_e32 v3, v3
	v_fma_f32 v5, v3, s3, |v1|
	v_cvt_u32_f32_e32 v5, v5
	v_cvt_u32_f32_e32 v3, v3
	v_ashrrev_i32_e32 v1, 31, v1
	s_mov_b64 s[2:3], 0
	v_xor_b32_e32 v5, v5, v1
	v_xor_b32_e32 v3, v3, v1
	v_sub_co_u32_e32 v10, vcc, v5, v1
	v_subb_co_u32_e32 v11, vcc, v3, v1, vcc
	s_branch .LBB215_1738
.LBB215_1728:
	s_mov_b64 s[16:17], 0
                                        ; implicit-def: $vgpr10_vgpr11
	s_cbranch_execnz .LBB215_1799
.LBB215_1729:
	s_andn2_b64 vcc, exec, s[16:17]
	s_cbranch_vccnz .LBB215_3036
	s_branch .LBB215_1846
.LBB215_1730:
	s_mov_b64 s[16:17], 0
	s_mov_b64 s[2:3], 0
                                        ; implicit-def: $vgpr10_vgpr11
	s_cbranch_execnz .LBB215_1767
	s_branch .LBB215_1795
.LBB215_1731:
	s_mov_b64 s[18:19], -1
	s_mov_b64 s[16:17], 0
	s_mov_b64 s[2:3], 0
                                        ; implicit-def: $vgpr10_vgpr11
	s_branch .LBB215_1748
.LBB215_1732:
	s_mov_b64 s[18:19], -1
	s_mov_b64 s[16:17], 0
	s_mov_b64 s[2:3], 0
                                        ; implicit-def: $vgpr10_vgpr11
	s_branch .LBB215_1743
.LBB215_1733:
	s_or_b64 s[4:5], s[12:13], exec
	s_trap 2
	s_cbranch_execz .LBB215_1674
	s_branch .LBB215_1675
.LBB215_1734:
	s_mov_b64 s[18:19], -1
	s_mov_b64 s[16:17], 0
	s_mov_b64 s[2:3], 0
                                        ; implicit-def: $vgpr10_vgpr11
	s_branch .LBB215_1738
.LBB215_1735:
	s_andn2_saveexec_b64 s[18:19], s[18:19]
	s_cbranch_execz .LBB215_1482
.LBB215_1736:
	s_mov_b32 s26, 0x42800000
	v_add_f32_e64 v1, |v0|, s26
	v_and_b32_e32 v1, 0xff, v1
	v_cmp_ne_u32_e32 vcc, 0, v1
	s_andn2_b64 s[16:17], s[16:17], exec
	s_and_b64 s[26:27], vcc, exec
	s_or_b64 s[16:17], s[16:17], s[26:27]
	s_or_b64 exec, exec, s[18:19]
	v_mov_b32_e32 v2, 0
	s_and_saveexec_b64 s[18:19], s[16:17]
	s_cbranch_execnz .LBB215_1483
	s_branch .LBB215_1484
.LBB215_1737:
	s_mov_b64 s[2:3], -1
                                        ; implicit-def: $vgpr10_vgpr11
	s_mov_b64 s[16:17], 0
.LBB215_1738:
	s_and_b64 vcc, exec, s[18:19]
	s_cbranch_vccz .LBB215_1742
; %bb.1739:
	s_cmp_eq_u32 s22, 44
	s_cbranch_scc0 .LBB215_1741
; %bb.1740:
	global_load_ubyte v1, v[20:21], off
	s_mov_b32 s2, 0x2f800000
	s_mov_b32 s3, 0xcf800000
	s_mov_b64 s[16:17], -1
	s_waitcnt vmcnt(0)
	v_lshlrev_b32_e32 v3, 23, v1
	v_trunc_f32_e32 v3, v3
	v_mul_f32_e64 v5, |v3|, s2
	v_floor_f32_e32 v5, v5
	v_fma_f32 v10, v5, s3, |v3|
	v_cvt_u32_f32_e32 v10, v10
	v_cvt_u32_f32_e32 v5, v5
	v_ashrrev_i32_e32 v3, 31, v3
	s_mov_b64 s[2:3], 0
	v_xor_b32_e32 v10, v10, v3
	v_xor_b32_e32 v5, v5, v3
	v_sub_co_u32_e32 v10, vcc, v10, v3
	v_subb_co_u32_e32 v3, vcc, v5, v3, vcc
	v_cmp_ne_u32_e32 vcc, 0, v1
	v_cndmask_b32_e32 v11, 0, v3, vcc
	v_cndmask_b32_e32 v10, 0, v10, vcc
	s_branch .LBB215_1742
.LBB215_1741:
	s_mov_b64 s[2:3], -1
                                        ; implicit-def: $vgpr10_vgpr11
.LBB215_1742:
	s_mov_b64 s[18:19], 0
.LBB215_1743:
	s_and_b64 vcc, exec, s[18:19]
	s_cbranch_vccz .LBB215_1747
; %bb.1744:
	s_cmp_eq_u32 s22, 29
	s_cbranch_scc0 .LBB215_1746
; %bb.1745:
	global_load_dwordx2 v[10:11], v[20:21], off
	s_mov_b64 s[2:3], 0
	s_mov_b64 s[16:17], -1
	s_branch .LBB215_1747
.LBB215_1746:
	s_mov_b64 s[2:3], -1
                                        ; implicit-def: $vgpr10_vgpr11
.LBB215_1747:
	s_mov_b64 s[18:19], 0
.LBB215_1748:
	s_and_b64 vcc, exec, s[18:19]
	s_cbranch_vccz .LBB215_1766
; %bb.1749:
	s_cmp_lt_i32 s22, 27
	s_cbranch_scc1 .LBB215_1752
; %bb.1750:
	s_cmp_gt_i32 s22, 27
	s_cbranch_scc0 .LBB215_1753
; %bb.1751:
	global_load_dword v10, v[20:21], off
	s_waitcnt vmcnt(1)
	v_mov_b32_e32 v11, 0
	s_mov_b64 s[16:17], 0
	s_branch .LBB215_1754
.LBB215_1752:
	s_mov_b64 s[16:17], -1
                                        ; implicit-def: $vgpr10_vgpr11
	s_branch .LBB215_1757
.LBB215_1753:
	s_mov_b64 s[16:17], -1
                                        ; implicit-def: $vgpr10_vgpr11
.LBB215_1754:
	s_andn2_b64 vcc, exec, s[16:17]
	s_cbranch_vccnz .LBB215_1756
; %bb.1755:
	global_load_ushort v1, v[20:21], off
	s_mov_b32 s16, 0
	s_waitcnt vmcnt(1)
	v_mov_b32_e32 v11, s16
	s_waitcnt vmcnt(0)
	v_and_b32_e32 v10, 0xffff, v1
.LBB215_1756:
	s_mov_b64 s[16:17], 0
.LBB215_1757:
	s_andn2_b64 vcc, exec, s[16:17]
	s_cbranch_vccnz .LBB215_1765
; %bb.1758:
	global_load_ubyte v1, v[20:21], off
	s_movk_i32 s16, 0x7f
	s_mov_b64 s[18:19], 0
	s_waitcnt vmcnt(0)
	v_cmp_lt_i16_e32 vcc, s16, v1
	s_and_saveexec_b64 s[16:17], vcc
	s_xor_b64 s[16:17], exec, s[16:17]
; %bb.1759:
	s_movk_i32 s18, 0x80
	v_cmp_ne_u16_e32 vcc, s18, v1
	s_and_b64 s[18:19], vcc, exec
; %bb.1760:
	s_andn2_saveexec_b64 s[16:17], s[16:17]
; %bb.1761:
	v_cmp_ne_u16_e32 vcc, 0, v1
	s_andn2_b64 s[18:19], s[18:19], exec
	s_and_b64 s[24:25], vcc, exec
	s_or_b64 s[18:19], s[18:19], s[24:25]
; %bb.1762:
	s_or_b64 exec, exec, s[16:17]
	v_mov_b32_e32 v10, 0
	v_mov_b32_e32 v11, 0
	s_and_saveexec_b64 s[16:17], s[18:19]
	s_cbranch_execz .LBB215_1764
; %bb.1763:
	v_lshlrev_b32_e32 v3, 24, v1
	v_and_b32_e32 v1, 0xffff, v1
	v_and_b32_e32 v5, 7, v1
	v_ffbh_u32_e32 v11, v5
	v_min_u32_e32 v11, 32, v11
	v_subrev_u32_e32 v13, 28, v11
	v_bfe_u32 v10, v1, 3, 4
	v_lshlrev_b32_e32 v1, v13, v1
	v_sub_u32_e32 v11, 29, v11
	v_and_b32_e32 v1, 7, v1
	v_cmp_eq_u32_e32 vcc, 0, v10
	v_cndmask_b32_e32 v10, v10, v11, vcc
	v_cndmask_b32_e32 v1, v5, v1, vcc
	v_mov_b32_e32 v5, 0x3b800000
	v_lshlrev_b32_e32 v1, 20, v1
	v_and_b32_e32 v3, 0x80000000, v3
	v_lshl_add_u32 v5, v10, 23, v5
	v_or3_b32 v1, v3, v5, v1
	v_trunc_f32_e32 v1, v1
	s_mov_b32 s18, 0x2f800000
	v_mul_f32_e64 v3, |v1|, s18
	v_floor_f32_e32 v3, v3
	s_mov_b32 s18, 0xcf800000
	v_fma_f32 v5, v3, s18, |v1|
	v_cvt_u32_f32_e32 v5, v5
	v_cvt_u32_f32_e32 v3, v3
	v_ashrrev_i32_e32 v1, 31, v1
	v_xor_b32_e32 v5, v5, v1
	v_xor_b32_e32 v3, v3, v1
	v_sub_co_u32_e32 v10, vcc, v5, v1
	v_subb_co_u32_e32 v11, vcc, v3, v1, vcc
.LBB215_1764:
	s_or_b64 exec, exec, s[16:17]
.LBB215_1765:
	s_mov_b64 s[16:17], -1
.LBB215_1766:
	s_branch .LBB215_1795
.LBB215_1767:
	s_cmp_gt_i32 s22, 22
	s_cbranch_scc0 .LBB215_1777
; %bb.1768:
	s_cmp_lt_i32 s22, 24
	s_cbranch_scc1 .LBB215_1778
; %bb.1769:
	s_cmp_gt_i32 s22, 24
	s_cbranch_scc0 .LBB215_1779
; %bb.1770:
	global_load_ubyte v1, v[20:21], off
	s_movk_i32 s6, 0x7f
	s_mov_b64 s[16:17], 0
	s_waitcnt vmcnt(0)
	v_cmp_lt_i16_e32 vcc, s6, v1
	s_and_saveexec_b64 s[6:7], vcc
	s_xor_b64 s[6:7], exec, s[6:7]
; %bb.1771:
	s_movk_i32 s16, 0x80
	v_cmp_ne_u16_e32 vcc, s16, v1
	s_and_b64 s[16:17], vcc, exec
; %bb.1772:
	s_andn2_saveexec_b64 s[6:7], s[6:7]
; %bb.1773:
	v_cmp_ne_u16_e32 vcc, 0, v1
	s_andn2_b64 s[16:17], s[16:17], exec
	s_and_b64 s[18:19], vcc, exec
	s_or_b64 s[16:17], s[16:17], s[18:19]
; %bb.1774:
	s_or_b64 exec, exec, s[6:7]
	v_mov_b32_e32 v10, 0
	v_mov_b32_e32 v11, 0
	s_and_saveexec_b64 s[6:7], s[16:17]
	s_cbranch_execz .LBB215_1776
; %bb.1775:
	v_lshlrev_b32_e32 v3, 24, v1
	v_and_b32_e32 v1, 0xffff, v1
	v_and_b32_e32 v5, 3, v1
	v_ffbh_u32_e32 v11, v5
	v_min_u32_e32 v11, 32, v11
	v_subrev_u32_e32 v13, 29, v11
	v_bfe_u32 v10, v1, 2, 5
	v_lshlrev_b32_e32 v1, v13, v1
	v_sub_u32_e32 v11, 30, v11
	v_and_b32_e32 v1, 3, v1
	v_cmp_eq_u32_e32 vcc, 0, v10
	v_cndmask_b32_e32 v10, v10, v11, vcc
	v_cndmask_b32_e32 v1, v5, v1, vcc
	v_mov_b32_e32 v5, 0x37800000
	v_lshlrev_b32_e32 v1, 21, v1
	v_and_b32_e32 v3, 0x80000000, v3
	v_lshl_add_u32 v5, v10, 23, v5
	v_or3_b32 v1, v3, v5, v1
	v_trunc_f32_e32 v1, v1
	s_mov_b32 s16, 0x2f800000
	v_mul_f32_e64 v3, |v1|, s16
	v_floor_f32_e32 v3, v3
	s_mov_b32 s16, 0xcf800000
	v_fma_f32 v5, v3, s16, |v1|
	v_cvt_u32_f32_e32 v5, v5
	v_cvt_u32_f32_e32 v3, v3
	v_ashrrev_i32_e32 v1, 31, v1
	v_xor_b32_e32 v5, v5, v1
	v_xor_b32_e32 v3, v3, v1
	v_sub_co_u32_e32 v10, vcc, v5, v1
	v_subb_co_u32_e32 v11, vcc, v3, v1, vcc
.LBB215_1776:
	s_or_b64 exec, exec, s[6:7]
	s_mov_b64 s[6:7], 0
	s_branch .LBB215_1780
.LBB215_1777:
	s_mov_b64 s[6:7], -1
                                        ; implicit-def: $vgpr10_vgpr11
	s_branch .LBB215_1786
.LBB215_1778:
	s_mov_b64 s[6:7], -1
                                        ; implicit-def: $vgpr10_vgpr11
	s_branch .LBB215_1783
.LBB215_1779:
	s_mov_b64 s[6:7], -1
                                        ; implicit-def: $vgpr10_vgpr11
.LBB215_1780:
	s_and_b64 vcc, exec, s[6:7]
	s_cbranch_vccz .LBB215_1782
; %bb.1781:
	global_load_ubyte v1, v[20:21], off
	s_mov_b32 s6, 0x7f800000
	s_brev_b32 s7, 1
	s_mov_b32 s16, 0x2f800000
	s_mov_b32 s17, 0xcf800000
	s_waitcnt vmcnt(0)
	v_lshlrev_b32_e32 v1, 24, v1
	v_and_b32_e32 v3, 0x7f000000, v1
	v_ffbh_u32_e32 v5, v3
	v_min_u32_e32 v5, 32, v5
	v_sub_u32_e64 v5, v5, 4 clamp
	v_lshlrev_b32_e32 v11, v5, v3
	v_lshlrev_b32_e32 v5, 23, v5
	v_lshrrev_b32_e32 v11, 4, v11
	v_add_u32_e32 v10, 0x1000000, v3
	v_sub_u32_e32 v5, v11, v5
	v_ashrrev_i32_e32 v10, 8, v10
	v_add_u32_e32 v5, 0x3c000000, v5
	v_and_or_b32 v5, v10, s6, v5
	v_cmp_ne_u32_e32 vcc, 0, v3
	v_cndmask_b32_e32 v3, 0, v5, vcc
	v_and_or_b32 v1, v1, s7, v3
	v_trunc_f32_e32 v1, v1
	v_mul_f32_e64 v3, |v1|, s16
	v_floor_f32_e32 v3, v3
	v_fma_f32 v5, v3, s17, |v1|
	v_cvt_u32_f32_e32 v5, v5
	v_cvt_u32_f32_e32 v3, v3
	v_ashrrev_i32_e32 v1, 31, v1
	v_xor_b32_e32 v5, v5, v1
	v_xor_b32_e32 v3, v3, v1
	v_sub_co_u32_e32 v10, vcc, v5, v1
	v_subb_co_u32_e32 v11, vcc, v3, v1, vcc
.LBB215_1782:
	s_mov_b64 s[6:7], 0
.LBB215_1783:
	s_andn2_b64 vcc, exec, s[6:7]
	s_cbranch_vccnz .LBB215_1785
; %bb.1784:
	global_load_ubyte v1, v[20:21], off
	s_movk_i32 s6, 0x7f00
	s_brev_b32 s7, 16
	s_brev_b32 s16, 1
	s_mov_b32 s17, 0x2f800000
	s_mov_b32 s18, 0xcf800000
	s_waitcnt vmcnt(0)
	v_lshlrev_b16_e32 v3, 8, v1
	v_lshlrev_b32_e32 v1, 25, v1
	v_lshrrev_b32_e32 v5, 4, v1
	v_and_or_b32 v10, v3, s6, 0.5
	v_or_b32_e32 v5, 0x70000000, v5
	v_add_f32_e32 v10, -0.5, v10
	v_mul_f32_e32 v5, 0x7800000, v5
	v_cmp_gt_u32_e32 vcc, s7, v1
	v_bfe_i32 v3, v3, 0, 16
	v_cndmask_b32_e32 v1, v5, v10, vcc
	v_and_or_b32 v1, v3, s16, v1
	v_trunc_f32_e32 v1, v1
	v_mul_f32_e64 v3, |v1|, s17
	v_floor_f32_e32 v3, v3
	v_fma_f32 v5, v3, s18, |v1|
	v_cvt_u32_f32_e32 v5, v5
	v_cvt_u32_f32_e32 v3, v3
	v_ashrrev_i32_e32 v1, 31, v1
	v_xor_b32_e32 v5, v5, v1
	v_xor_b32_e32 v3, v3, v1
	v_sub_co_u32_e32 v10, vcc, v5, v1
	v_subb_co_u32_e32 v11, vcc, v3, v1, vcc
.LBB215_1785:
	s_mov_b64 s[6:7], 0
	s_mov_b64 s[16:17], -1
.LBB215_1786:
	s_andn2_b64 vcc, exec, s[6:7]
	s_mov_b64 s[6:7], 0
	s_cbranch_vccnz .LBB215_1795
; %bb.1787:
	s_cmp_gt_i32 s22, 14
	s_cbranch_scc0 .LBB215_1790
; %bb.1788:
	s_cmp_eq_u32 s22, 15
	s_cbranch_scc0 .LBB215_1791
; %bb.1789:
	global_load_ushort v1, v[20:21], off
	s_mov_b32 s2, 0x2f800000
	s_mov_b32 s3, 0xcf800000
	s_mov_b64 s[16:17], -1
	s_waitcnt vmcnt(0)
	v_lshlrev_b32_e32 v1, 16, v1
	v_trunc_f32_e32 v1, v1
	v_mul_f32_e64 v3, |v1|, s2
	v_floor_f32_e32 v3, v3
	v_fma_f32 v5, v3, s3, |v1|
	v_cvt_u32_f32_e32 v5, v5
	v_cvt_u32_f32_e32 v3, v3
	v_ashrrev_i32_e32 v1, 31, v1
	s_mov_b64 s[2:3], 0
	v_xor_b32_e32 v5, v5, v1
	v_xor_b32_e32 v3, v3, v1
	v_sub_co_u32_e32 v10, vcc, v5, v1
	v_subb_co_u32_e32 v11, vcc, v3, v1, vcc
	s_branch .LBB215_1792
.LBB215_1790:
	s_mov_b64 s[18:19], -1
                                        ; implicit-def: $vgpr10_vgpr11
	s_branch .LBB215_1793
.LBB215_1791:
	s_mov_b64 s[2:3], -1
                                        ; implicit-def: $vgpr10_vgpr11
.LBB215_1792:
	s_mov_b64 s[18:19], 0
.LBB215_1793:
	s_and_b64 vcc, exec, s[18:19]
	s_cbranch_vccz .LBB215_1795
; %bb.1794:
	s_cmp_lg_u32 s22, 11
	s_mov_b64 s[6:7], -1
	s_cselect_b64 s[2:3], -1, 0
.LBB215_1795:
	s_and_b64 vcc, exec, s[2:3]
	s_cbranch_vccnz .LBB215_1858
; %bb.1796:
	s_andn2_b64 vcc, exec, s[6:7]
	s_cbranch_vccnz .LBB215_1798
.LBB215_1797:
	global_load_ubyte v1, v[20:21], off
	s_mov_b32 s2, 0
	s_waitcnt vmcnt(1)
	v_mov_b32_e32 v11, s2
	s_mov_b64 s[16:17], -1
	s_waitcnt vmcnt(0)
	v_cmp_ne_u16_e32 vcc, 0, v1
	v_cndmask_b32_e64 v10, 0, 1, vcc
.LBB215_1798:
	s_branch .LBB215_1729
.LBB215_1799:
	s_and_b32 s6, 0xffff, s21
	s_cmp_lt_i32 s6, 5
	s_cbranch_scc1 .LBB215_1804
; %bb.1800:
	s_cmp_lt_i32 s6, 8
	s_cbranch_scc1 .LBB215_1805
; %bb.1801:
	;; [unrolled: 3-line block ×3, first 2 shown]
	s_cmp_gt_i32 s6, 9
	s_cbranch_scc0 .LBB215_1807
; %bb.1803:
	global_load_dwordx2 v[10:11], v[20:21], off
	s_movk_i32 s2, 0xffe0
	s_waitcnt vmcnt(0)
	v_trunc_f64_e32 v[10:11], v[10:11]
	v_ldexp_f64 v[22:23], v[10:11], s2
	s_mov_b32 s2, 0
	s_mov_b32 s3, 0xc1f00000
	v_floor_f64_e32 v[22:23], v[22:23]
	v_fma_f64 v[24:25], v[22:23], s[2:3], v[10:11]
	v_cvt_i32_f64_e32 v11, v[22:23]
	s_mov_b64 s[2:3], 0
	v_cvt_u32_f64_e32 v10, v[24:25]
	s_branch .LBB215_1808
.LBB215_1804:
                                        ; implicit-def: $vgpr10_vgpr11
	s_branch .LBB215_1826
.LBB215_1805:
	s_mov_b64 s[2:3], -1
                                        ; implicit-def: $vgpr10_vgpr11
	s_branch .LBB215_1814
.LBB215_1806:
	s_mov_b64 s[2:3], -1
                                        ; implicit-def: $vgpr10_vgpr11
	s_branch .LBB215_1811
.LBB215_1807:
	s_mov_b64 s[2:3], -1
                                        ; implicit-def: $vgpr10_vgpr11
.LBB215_1808:
	s_andn2_b64 vcc, exec, s[2:3]
	s_cbranch_vccnz .LBB215_1810
; %bb.1809:
	global_load_dword v1, v[20:21], off
	s_mov_b32 s2, 0x2f800000
	s_mov_b32 s3, 0xcf800000
	s_waitcnt vmcnt(0)
	v_trunc_f32_e32 v1, v1
	v_mul_f32_e64 v3, |v1|, s2
	v_floor_f32_e32 v3, v3
	v_cvt_u32_f32_e32 v5, v3
	v_fma_f32 v3, v3, s3, |v1|
	v_cvt_u32_f32_e32 v3, v3
	v_ashrrev_i32_e32 v1, 31, v1
	v_xor_b32_e32 v5, v5, v1
	v_xor_b32_e32 v3, v3, v1
	v_sub_co_u32_e32 v10, vcc, v3, v1
	v_subb_co_u32_e32 v11, vcc, v5, v1, vcc
.LBB215_1810:
	s_mov_b64 s[2:3], 0
.LBB215_1811:
	s_andn2_b64 vcc, exec, s[2:3]
	s_cbranch_vccnz .LBB215_1813
; %bb.1812:
	global_load_dword v1, v[20:21], off
	s_waitcnt vmcnt(0)
	v_cvt_f32_f16_e32 v1, v1
	v_cvt_i32_f32_e32 v10, v1
	v_ashrrev_i32_e32 v11, 31, v10
.LBB215_1813:
	s_mov_b64 s[2:3], 0
.LBB215_1814:
	s_andn2_b64 vcc, exec, s[2:3]
	s_cbranch_vccnz .LBB215_1825
; %bb.1815:
	s_cmp_lt_i32 s6, 6
	s_cbranch_scc1 .LBB215_1818
; %bb.1816:
	s_cmp_gt_i32 s6, 6
	s_cbranch_scc0 .LBB215_1819
; %bb.1817:
	global_load_dwordx2 v[10:11], v[20:21], off
	s_movk_i32 s2, 0xffe0
	s_waitcnt vmcnt(0)
	v_trunc_f64_e32 v[10:11], v[10:11]
	v_ldexp_f64 v[22:23], v[10:11], s2
	s_mov_b32 s2, 0
	s_mov_b32 s3, 0xc1f00000
	v_floor_f64_e32 v[22:23], v[22:23]
	v_fma_f64 v[24:25], v[22:23], s[2:3], v[10:11]
	v_cvt_i32_f64_e32 v11, v[22:23]
	s_mov_b64 s[2:3], 0
	v_cvt_u32_f64_e32 v10, v[24:25]
	s_branch .LBB215_1820
.LBB215_1818:
	s_mov_b64 s[2:3], -1
                                        ; implicit-def: $vgpr10_vgpr11
	s_branch .LBB215_1823
.LBB215_1819:
	s_mov_b64 s[2:3], -1
                                        ; implicit-def: $vgpr10_vgpr11
.LBB215_1820:
	s_andn2_b64 vcc, exec, s[2:3]
	s_cbranch_vccnz .LBB215_1822
; %bb.1821:
	global_load_dword v1, v[20:21], off
	s_mov_b32 s2, 0x2f800000
	s_mov_b32 s3, 0xcf800000
	s_waitcnt vmcnt(0)
	v_trunc_f32_e32 v1, v1
	v_mul_f32_e64 v3, |v1|, s2
	v_floor_f32_e32 v3, v3
	v_cvt_u32_f32_e32 v5, v3
	v_fma_f32 v3, v3, s3, |v1|
	v_cvt_u32_f32_e32 v3, v3
	v_ashrrev_i32_e32 v1, 31, v1
	v_xor_b32_e32 v5, v5, v1
	v_xor_b32_e32 v3, v3, v1
	v_sub_co_u32_e32 v10, vcc, v3, v1
	v_subb_co_u32_e32 v11, vcc, v5, v1, vcc
.LBB215_1822:
	s_mov_b64 s[2:3], 0
.LBB215_1823:
	s_andn2_b64 vcc, exec, s[2:3]
	s_cbranch_vccnz .LBB215_1825
; %bb.1824:
	global_load_ushort v1, v[20:21], off
	s_waitcnt vmcnt(0)
	v_cvt_f32_f16_e32 v1, v1
	v_cvt_i32_f32_e32 v10, v1
	v_ashrrev_i32_e32 v11, 31, v10
.LBB215_1825:
	s_cbranch_execnz .LBB215_1845
.LBB215_1826:
	s_cmp_lt_i32 s6, 2
	s_cbranch_scc1 .LBB215_1830
; %bb.1827:
	s_cmp_lt_i32 s6, 3
	s_cbranch_scc1 .LBB215_1831
; %bb.1828:
	s_cmp_gt_i32 s6, 3
	s_cbranch_scc0 .LBB215_1832
; %bb.1829:
	global_load_dwordx2 v[10:11], v[20:21], off
	s_mov_b64 s[2:3], 0
	s_branch .LBB215_1833
.LBB215_1830:
	s_mov_b64 s[2:3], -1
                                        ; implicit-def: $vgpr10_vgpr11
	s_branch .LBB215_1839
.LBB215_1831:
	s_mov_b64 s[2:3], -1
                                        ; implicit-def: $vgpr10_vgpr11
	s_branch .LBB215_1836
.LBB215_1832:
	s_mov_b64 s[2:3], -1
                                        ; implicit-def: $vgpr10_vgpr11
.LBB215_1833:
	s_andn2_b64 vcc, exec, s[2:3]
	s_cbranch_vccnz .LBB215_1835
; %bb.1834:
	global_load_dword v10, v[20:21], off
	s_waitcnt vmcnt(0)
	v_ashrrev_i32_e32 v11, 31, v10
.LBB215_1835:
	s_mov_b64 s[2:3], 0
.LBB215_1836:
	s_andn2_b64 vcc, exec, s[2:3]
	s_cbranch_vccnz .LBB215_1838
; %bb.1837:
	global_load_ushort v1, v[20:21], off
	s_waitcnt vmcnt(0)
	v_bfe_i32 v10, v1, 0, 16
	v_ashrrev_i32_e32 v11, 31, v10
.LBB215_1838:
	s_mov_b64 s[2:3], 0
.LBB215_1839:
	s_andn2_b64 vcc, exec, s[2:3]
	s_cbranch_vccnz .LBB215_1845
; %bb.1840:
	s_cmp_gt_i32 s6, 0
	s_cbranch_scc0 .LBB215_1842
; %bb.1841:
	global_load_sbyte v1, v[20:21], off
	s_mov_b64 s[2:3], 0
	s_waitcnt vmcnt(0)
	v_bfe_i32 v10, v1, 0, 16
	v_ashrrev_i32_e32 v11, 31, v10
	s_branch .LBB215_1843
.LBB215_1842:
	s_mov_b64 s[2:3], -1
                                        ; implicit-def: $vgpr10_vgpr11
.LBB215_1843:
	s_andn2_b64 vcc, exec, s[2:3]
	s_cbranch_vccnz .LBB215_1845
; %bb.1844:
	global_load_ubyte v1, v[20:21], off
	s_mov_b32 s2, 0
	s_waitcnt vmcnt(1)
	v_mov_b32_e32 v11, s2
	s_waitcnt vmcnt(0)
	v_and_b32_e32 v10, 0xffff, v1
.LBB215_1845:
.LBB215_1846:
	s_lshr_b32 s2, s20, 16
	v_mov_b32_e32 v1, s11
	s_and_b32 s22, s2, 0xff
	v_add_co_u32_e32 v20, vcc, s10, v12
	s_cmp_lt_i32 s22, 11
	v_addc_co_u32_e32 v21, vcc, 0, v1, vcc
	s_cbranch_scc1 .LBB215_1853
; %bb.1847:
	s_and_b32 s23, 0xffff, s22
	s_cmp_gt_i32 s23, 25
	s_mov_b64 s[6:7], 0
	s_cbranch_scc0 .LBB215_1855
; %bb.1848:
	s_cmp_gt_i32 s23, 28
	s_cbranch_scc0 .LBB215_1856
; %bb.1849:
	s_cmp_gt_i32 s23, 43
	;; [unrolled: 3-line block ×3, first 2 shown]
	s_cbranch_scc0 .LBB215_1859
; %bb.1851:
	s_cmp_eq_u32 s23, 46
	s_mov_b64 s[18:19], 0
	s_cbranch_scc0 .LBB215_1860
; %bb.1852:
	global_load_dword v1, v[20:21], off
	s_mov_b32 s2, 0x2f800000
	s_mov_b32 s3, 0xcf800000
	s_mov_b64 s[16:17], -1
	s_waitcnt vmcnt(0)
	v_lshlrev_b32_e32 v1, 16, v1
	v_trunc_f32_e32 v1, v1
	v_mul_f32_e64 v3, |v1|, s2
	v_floor_f32_e32 v3, v3
	v_fma_f32 v5, v3, s3, |v1|
	v_cvt_u32_f32_e32 v5, v5
	v_cvt_u32_f32_e32 v3, v3
	v_ashrrev_i32_e32 v1, 31, v1
	s_mov_b64 s[2:3], 0
	v_xor_b32_e32 v5, v5, v1
	v_xor_b32_e32 v3, v3, v1
	v_sub_co_u32_e32 v12, vcc, v5, v1
	v_subb_co_u32_e32 v13, vcc, v3, v1, vcc
	s_branch .LBB215_1861
.LBB215_1853:
	s_mov_b64 s[16:17], 0
                                        ; implicit-def: $vgpr12_vgpr13
	s_cbranch_execnz .LBB215_1923
.LBB215_1854:
	s_andn2_b64 vcc, exec, s[16:17]
	s_cbranch_vccnz .LBB215_3036
	s_branch .LBB215_1971
.LBB215_1855:
	s_mov_b64 s[18:19], -1
	s_mov_b64 s[16:17], 0
	s_mov_b64 s[2:3], 0
                                        ; implicit-def: $vgpr12_vgpr13
	s_branch .LBB215_1890
.LBB215_1856:
	s_mov_b64 s[18:19], -1
	s_mov_b64 s[16:17], 0
	s_mov_b64 s[2:3], 0
                                        ; implicit-def: $vgpr12_vgpr13
	s_branch .LBB215_1871
.LBB215_1857:
	s_mov_b64 s[18:19], -1
	s_mov_b64 s[16:17], 0
	s_mov_b64 s[2:3], 0
                                        ; implicit-def: $vgpr12_vgpr13
	s_branch .LBB215_1866
.LBB215_1858:
	s_trap 2
	s_or_b64 s[4:5], s[4:5], exec
	s_cbranch_execz .LBB215_1797
	s_branch .LBB215_1798
.LBB215_1859:
	s_mov_b64 s[18:19], -1
	s_mov_b64 s[16:17], 0
	s_mov_b64 s[2:3], 0
                                        ; implicit-def: $vgpr12_vgpr13
	s_branch .LBB215_1861
.LBB215_1860:
	s_mov_b64 s[2:3], -1
                                        ; implicit-def: $vgpr12_vgpr13
	s_mov_b64 s[16:17], 0
.LBB215_1861:
	s_and_b64 vcc, exec, s[18:19]
	s_cbranch_vccz .LBB215_1865
; %bb.1862:
	s_cmp_eq_u32 s23, 44
	s_cbranch_scc0 .LBB215_1864
; %bb.1863:
	global_load_ubyte v1, v[20:21], off
	s_mov_b32 s2, 0x2f800000
	s_mov_b32 s3, 0xcf800000
	s_mov_b64 s[16:17], -1
	s_waitcnt vmcnt(0)
	v_lshlrev_b32_e32 v3, 23, v1
	v_trunc_f32_e32 v3, v3
	v_mul_f32_e64 v5, |v3|, s2
	v_floor_f32_e32 v5, v5
	v_fma_f32 v12, v5, s3, |v3|
	v_cvt_u32_f32_e32 v12, v12
	v_cvt_u32_f32_e32 v5, v5
	v_ashrrev_i32_e32 v3, 31, v3
	s_mov_b64 s[2:3], 0
	v_xor_b32_e32 v12, v12, v3
	v_xor_b32_e32 v5, v5, v3
	v_sub_co_u32_e32 v12, vcc, v12, v3
	v_subb_co_u32_e32 v3, vcc, v5, v3, vcc
	v_cmp_ne_u32_e32 vcc, 0, v1
	v_cndmask_b32_e32 v13, 0, v3, vcc
	v_cndmask_b32_e32 v12, 0, v12, vcc
	s_branch .LBB215_1865
.LBB215_1864:
	s_mov_b64 s[2:3], -1
                                        ; implicit-def: $vgpr12_vgpr13
.LBB215_1865:
	s_mov_b64 s[18:19], 0
.LBB215_1866:
	s_and_b64 vcc, exec, s[18:19]
	s_cbranch_vccz .LBB215_1870
; %bb.1867:
	s_cmp_eq_u32 s23, 29
	s_cbranch_scc0 .LBB215_1869
; %bb.1868:
	global_load_dwordx2 v[12:13], v[20:21], off
	s_mov_b64 s[2:3], 0
	s_mov_b64 s[16:17], -1
	s_branch .LBB215_1870
.LBB215_1869:
	s_mov_b64 s[2:3], -1
                                        ; implicit-def: $vgpr12_vgpr13
.LBB215_1870:
	s_mov_b64 s[18:19], 0
.LBB215_1871:
	s_and_b64 vcc, exec, s[18:19]
	s_cbranch_vccz .LBB215_1889
; %bb.1872:
	s_cmp_lt_i32 s23, 27
	s_cbranch_scc1 .LBB215_1875
; %bb.1873:
	s_cmp_gt_i32 s23, 27
	s_cbranch_scc0 .LBB215_1876
; %bb.1874:
	global_load_dword v12, v[20:21], off
	s_waitcnt vmcnt(1)
	v_mov_b32_e32 v13, 0
	s_mov_b64 s[16:17], 0
	s_branch .LBB215_1877
.LBB215_1875:
	s_mov_b64 s[16:17], -1
                                        ; implicit-def: $vgpr12_vgpr13
	s_branch .LBB215_1880
.LBB215_1876:
	s_mov_b64 s[16:17], -1
                                        ; implicit-def: $vgpr12_vgpr13
.LBB215_1877:
	s_andn2_b64 vcc, exec, s[16:17]
	s_cbranch_vccnz .LBB215_1879
; %bb.1878:
	global_load_ushort v1, v[20:21], off
	s_mov_b32 s16, 0
	s_waitcnt vmcnt(1)
	v_mov_b32_e32 v13, s16
	s_waitcnt vmcnt(0)
	v_and_b32_e32 v12, 0xffff, v1
.LBB215_1879:
	s_mov_b64 s[16:17], 0
.LBB215_1880:
	s_andn2_b64 vcc, exec, s[16:17]
	s_cbranch_vccnz .LBB215_1888
; %bb.1881:
	global_load_ubyte v1, v[20:21], off
	s_movk_i32 s16, 0x7f
	s_mov_b64 s[18:19], 0
	s_waitcnt vmcnt(0)
	v_cmp_lt_i16_e32 vcc, s16, v1
	s_and_saveexec_b64 s[16:17], vcc
	s_xor_b64 s[16:17], exec, s[16:17]
; %bb.1882:
	s_movk_i32 s18, 0x80
	v_cmp_ne_u16_e32 vcc, s18, v1
	s_and_b64 s[18:19], vcc, exec
; %bb.1883:
	s_andn2_saveexec_b64 s[16:17], s[16:17]
; %bb.1884:
	v_cmp_ne_u16_e32 vcc, 0, v1
	s_andn2_b64 s[18:19], s[18:19], exec
	s_and_b64 s[24:25], vcc, exec
	s_or_b64 s[18:19], s[18:19], s[24:25]
; %bb.1885:
	s_or_b64 exec, exec, s[16:17]
	v_mov_b32_e32 v12, 0
	v_mov_b32_e32 v13, 0
	s_and_saveexec_b64 s[16:17], s[18:19]
	s_cbranch_execz .LBB215_1887
; %bb.1886:
	v_lshlrev_b32_e32 v3, 24, v1
	v_and_b32_e32 v1, 0xffff, v1
	v_and_b32_e32 v5, 7, v1
	v_ffbh_u32_e32 v13, v5
	v_min_u32_e32 v13, 32, v13
	v_subrev_u32_e32 v15, 28, v13
	v_bfe_u32 v12, v1, 3, 4
	v_lshlrev_b32_e32 v1, v15, v1
	v_sub_u32_e32 v13, 29, v13
	v_and_b32_e32 v1, 7, v1
	v_cmp_eq_u32_e32 vcc, 0, v12
	v_cndmask_b32_e32 v12, v12, v13, vcc
	v_cndmask_b32_e32 v1, v5, v1, vcc
	v_mov_b32_e32 v5, 0x3b800000
	v_lshlrev_b32_e32 v1, 20, v1
	v_and_b32_e32 v3, 0x80000000, v3
	v_lshl_add_u32 v5, v12, 23, v5
	v_or3_b32 v1, v3, v5, v1
	v_trunc_f32_e32 v1, v1
	s_mov_b32 s18, 0x2f800000
	v_mul_f32_e64 v3, |v1|, s18
	v_floor_f32_e32 v3, v3
	s_mov_b32 s18, 0xcf800000
	v_fma_f32 v5, v3, s18, |v1|
	v_cvt_u32_f32_e32 v5, v5
	v_cvt_u32_f32_e32 v3, v3
	v_ashrrev_i32_e32 v1, 31, v1
	v_xor_b32_e32 v5, v5, v1
	v_xor_b32_e32 v3, v3, v1
	v_sub_co_u32_e32 v12, vcc, v5, v1
	v_subb_co_u32_e32 v13, vcc, v3, v1, vcc
.LBB215_1887:
	s_or_b64 exec, exec, s[16:17]
.LBB215_1888:
	s_mov_b64 s[16:17], -1
.LBB215_1889:
	s_mov_b64 s[18:19], 0
.LBB215_1890:
	s_and_b64 vcc, exec, s[18:19]
	s_cbranch_vccz .LBB215_1919
; %bb.1891:
	s_cmp_gt_i32 s23, 22
	s_cbranch_scc0 .LBB215_1901
; %bb.1892:
	s_cmp_lt_i32 s23, 24
	s_cbranch_scc1 .LBB215_1902
; %bb.1893:
	s_cmp_gt_i32 s23, 24
	s_cbranch_scc0 .LBB215_1903
; %bb.1894:
	global_load_ubyte v1, v[20:21], off
	s_movk_i32 s6, 0x7f
	s_mov_b64 s[16:17], 0
	s_waitcnt vmcnt(0)
	v_cmp_lt_i16_e32 vcc, s6, v1
	s_and_saveexec_b64 s[6:7], vcc
	s_xor_b64 s[6:7], exec, s[6:7]
; %bb.1895:
	s_movk_i32 s16, 0x80
	v_cmp_ne_u16_e32 vcc, s16, v1
	s_and_b64 s[16:17], vcc, exec
; %bb.1896:
	s_andn2_saveexec_b64 s[6:7], s[6:7]
; %bb.1897:
	v_cmp_ne_u16_e32 vcc, 0, v1
	s_andn2_b64 s[16:17], s[16:17], exec
	s_and_b64 s[18:19], vcc, exec
	s_or_b64 s[16:17], s[16:17], s[18:19]
; %bb.1898:
	s_or_b64 exec, exec, s[6:7]
	v_mov_b32_e32 v12, 0
	v_mov_b32_e32 v13, 0
	s_and_saveexec_b64 s[6:7], s[16:17]
	s_cbranch_execz .LBB215_1900
; %bb.1899:
	v_lshlrev_b32_e32 v3, 24, v1
	v_and_b32_e32 v1, 0xffff, v1
	v_and_b32_e32 v5, 3, v1
	v_ffbh_u32_e32 v13, v5
	v_min_u32_e32 v13, 32, v13
	v_subrev_u32_e32 v15, 29, v13
	v_bfe_u32 v12, v1, 2, 5
	v_lshlrev_b32_e32 v1, v15, v1
	v_sub_u32_e32 v13, 30, v13
	v_and_b32_e32 v1, 3, v1
	v_cmp_eq_u32_e32 vcc, 0, v12
	v_cndmask_b32_e32 v12, v12, v13, vcc
	v_cndmask_b32_e32 v1, v5, v1, vcc
	v_mov_b32_e32 v5, 0x37800000
	v_lshlrev_b32_e32 v1, 21, v1
	v_and_b32_e32 v3, 0x80000000, v3
	v_lshl_add_u32 v5, v12, 23, v5
	v_or3_b32 v1, v3, v5, v1
	v_trunc_f32_e32 v1, v1
	s_mov_b32 s16, 0x2f800000
	v_mul_f32_e64 v3, |v1|, s16
	v_floor_f32_e32 v3, v3
	s_mov_b32 s16, 0xcf800000
	v_fma_f32 v5, v3, s16, |v1|
	v_cvt_u32_f32_e32 v5, v5
	v_cvt_u32_f32_e32 v3, v3
	v_ashrrev_i32_e32 v1, 31, v1
	v_xor_b32_e32 v5, v5, v1
	v_xor_b32_e32 v3, v3, v1
	v_sub_co_u32_e32 v12, vcc, v5, v1
	v_subb_co_u32_e32 v13, vcc, v3, v1, vcc
.LBB215_1900:
	s_or_b64 exec, exec, s[6:7]
	s_mov_b64 s[6:7], 0
	s_branch .LBB215_1904
.LBB215_1901:
	s_mov_b64 s[6:7], -1
                                        ; implicit-def: $vgpr12_vgpr13
	s_branch .LBB215_1910
.LBB215_1902:
	s_mov_b64 s[6:7], -1
                                        ; implicit-def: $vgpr12_vgpr13
	s_branch .LBB215_1907
.LBB215_1903:
	s_mov_b64 s[6:7], -1
                                        ; implicit-def: $vgpr12_vgpr13
.LBB215_1904:
	s_and_b64 vcc, exec, s[6:7]
	s_cbranch_vccz .LBB215_1906
; %bb.1905:
	global_load_ubyte v1, v[20:21], off
	s_mov_b32 s6, 0x7f800000
	s_brev_b32 s7, 1
	s_mov_b32 s16, 0x2f800000
	s_mov_b32 s17, 0xcf800000
	s_waitcnt vmcnt(0)
	v_lshlrev_b32_e32 v1, 24, v1
	v_and_b32_e32 v3, 0x7f000000, v1
	v_ffbh_u32_e32 v5, v3
	v_min_u32_e32 v5, 32, v5
	v_sub_u32_e64 v5, v5, 4 clamp
	v_lshlrev_b32_e32 v13, v5, v3
	v_lshlrev_b32_e32 v5, 23, v5
	v_lshrrev_b32_e32 v13, 4, v13
	v_add_u32_e32 v12, 0x1000000, v3
	v_sub_u32_e32 v5, v13, v5
	v_ashrrev_i32_e32 v12, 8, v12
	v_add_u32_e32 v5, 0x3c000000, v5
	v_and_or_b32 v5, v12, s6, v5
	v_cmp_ne_u32_e32 vcc, 0, v3
	v_cndmask_b32_e32 v3, 0, v5, vcc
	v_and_or_b32 v1, v1, s7, v3
	v_trunc_f32_e32 v1, v1
	v_mul_f32_e64 v3, |v1|, s16
	v_floor_f32_e32 v3, v3
	v_fma_f32 v5, v3, s17, |v1|
	v_cvt_u32_f32_e32 v5, v5
	v_cvt_u32_f32_e32 v3, v3
	v_ashrrev_i32_e32 v1, 31, v1
	v_xor_b32_e32 v5, v5, v1
	v_xor_b32_e32 v3, v3, v1
	v_sub_co_u32_e32 v12, vcc, v5, v1
	v_subb_co_u32_e32 v13, vcc, v3, v1, vcc
.LBB215_1906:
	s_mov_b64 s[6:7], 0
.LBB215_1907:
	s_andn2_b64 vcc, exec, s[6:7]
	s_cbranch_vccnz .LBB215_1909
; %bb.1908:
	global_load_ubyte v1, v[20:21], off
	s_movk_i32 s6, 0x7f00
	s_brev_b32 s7, 16
	s_brev_b32 s16, 1
	s_mov_b32 s17, 0x2f800000
	s_mov_b32 s18, 0xcf800000
	s_waitcnt vmcnt(0)
	v_lshlrev_b16_e32 v3, 8, v1
	v_lshlrev_b32_e32 v1, 25, v1
	v_lshrrev_b32_e32 v5, 4, v1
	v_and_or_b32 v12, v3, s6, 0.5
	v_or_b32_e32 v5, 0x70000000, v5
	v_add_f32_e32 v12, -0.5, v12
	v_mul_f32_e32 v5, 0x7800000, v5
	v_cmp_gt_u32_e32 vcc, s7, v1
	v_bfe_i32 v3, v3, 0, 16
	v_cndmask_b32_e32 v1, v5, v12, vcc
	v_and_or_b32 v1, v3, s16, v1
	v_trunc_f32_e32 v1, v1
	v_mul_f32_e64 v3, |v1|, s17
	v_floor_f32_e32 v3, v3
	v_fma_f32 v5, v3, s18, |v1|
	v_cvt_u32_f32_e32 v5, v5
	v_cvt_u32_f32_e32 v3, v3
	v_ashrrev_i32_e32 v1, 31, v1
	v_xor_b32_e32 v5, v5, v1
	v_xor_b32_e32 v3, v3, v1
	v_sub_co_u32_e32 v12, vcc, v5, v1
	v_subb_co_u32_e32 v13, vcc, v3, v1, vcc
.LBB215_1909:
	s_mov_b64 s[6:7], 0
	s_mov_b64 s[16:17], -1
.LBB215_1910:
	s_andn2_b64 vcc, exec, s[6:7]
	s_mov_b64 s[6:7], 0
	s_cbranch_vccnz .LBB215_1919
; %bb.1911:
	s_cmp_gt_i32 s23, 14
	s_cbranch_scc0 .LBB215_1914
; %bb.1912:
	s_cmp_eq_u32 s23, 15
	s_cbranch_scc0 .LBB215_1915
; %bb.1913:
	global_load_ushort v1, v[20:21], off
	s_mov_b32 s2, 0x2f800000
	s_mov_b32 s3, 0xcf800000
	s_mov_b64 s[16:17], -1
	s_waitcnt vmcnt(0)
	v_lshlrev_b32_e32 v1, 16, v1
	v_trunc_f32_e32 v1, v1
	v_mul_f32_e64 v3, |v1|, s2
	v_floor_f32_e32 v3, v3
	v_fma_f32 v5, v3, s3, |v1|
	v_cvt_u32_f32_e32 v5, v5
	v_cvt_u32_f32_e32 v3, v3
	v_ashrrev_i32_e32 v1, 31, v1
	s_mov_b64 s[2:3], 0
	v_xor_b32_e32 v5, v5, v1
	v_xor_b32_e32 v3, v3, v1
	v_sub_co_u32_e32 v12, vcc, v5, v1
	v_subb_co_u32_e32 v13, vcc, v3, v1, vcc
	s_branch .LBB215_1916
.LBB215_1914:
	s_mov_b64 s[18:19], -1
                                        ; implicit-def: $vgpr12_vgpr13
	s_branch .LBB215_1917
.LBB215_1915:
	s_mov_b64 s[2:3], -1
                                        ; implicit-def: $vgpr12_vgpr13
.LBB215_1916:
	s_mov_b64 s[18:19], 0
.LBB215_1917:
	s_and_b64 vcc, exec, s[18:19]
	s_cbranch_vccz .LBB215_1919
; %bb.1918:
	s_cmp_lg_u32 s23, 11
	s_mov_b64 s[6:7], -1
	s_cselect_b64 s[2:3], -1, 0
.LBB215_1919:
	s_and_b64 vcc, exec, s[2:3]
	s_cbranch_vccnz .LBB215_1982
; %bb.1920:
	s_andn2_b64 vcc, exec, s[6:7]
	s_cbranch_vccnz .LBB215_1922
.LBB215_1921:
	global_load_ubyte v1, v[20:21], off
	s_mov_b32 s2, 0
	s_waitcnt vmcnt(1)
	v_mov_b32_e32 v13, s2
	s_mov_b64 s[16:17], -1
	s_waitcnt vmcnt(0)
	v_cmp_ne_u16_e32 vcc, 0, v1
	v_cndmask_b32_e64 v12, 0, 1, vcc
.LBB215_1922:
	s_branch .LBB215_1854
.LBB215_1923:
	s_and_b32 s6, 0xffff, s22
	s_cmp_lt_i32 s6, 5
	s_cbranch_scc1 .LBB215_1928
; %bb.1924:
	s_cmp_lt_i32 s6, 8
	s_cbranch_scc1 .LBB215_1929
; %bb.1925:
	;; [unrolled: 3-line block ×3, first 2 shown]
	s_cmp_gt_i32 s6, 9
	s_cbranch_scc0 .LBB215_1931
; %bb.1927:
	global_load_dwordx2 v[12:13], v[20:21], off
	s_movk_i32 s2, 0xffe0
	s_waitcnt vmcnt(0)
	v_trunc_f64_e32 v[12:13], v[12:13]
	v_ldexp_f64 v[22:23], v[12:13], s2
	s_mov_b32 s2, 0
	s_mov_b32 s3, 0xc1f00000
	v_floor_f64_e32 v[22:23], v[22:23]
	v_fma_f64 v[24:25], v[22:23], s[2:3], v[12:13]
	v_cvt_i32_f64_e32 v13, v[22:23]
	s_mov_b64 s[2:3], 0
	v_cvt_u32_f64_e32 v12, v[24:25]
	s_branch .LBB215_1932
.LBB215_1928:
	s_mov_b64 s[2:3], -1
                                        ; implicit-def: $vgpr12_vgpr13
	s_branch .LBB215_1950
.LBB215_1929:
	s_mov_b64 s[2:3], -1
                                        ; implicit-def: $vgpr12_vgpr13
	s_branch .LBB215_1938
.LBB215_1930:
	s_mov_b64 s[2:3], -1
                                        ; implicit-def: $vgpr12_vgpr13
	s_branch .LBB215_1935
.LBB215_1931:
	s_mov_b64 s[2:3], -1
                                        ; implicit-def: $vgpr12_vgpr13
.LBB215_1932:
	s_andn2_b64 vcc, exec, s[2:3]
	s_cbranch_vccnz .LBB215_1934
; %bb.1933:
	global_load_dword v1, v[20:21], off
	s_mov_b32 s2, 0x2f800000
	s_mov_b32 s3, 0xcf800000
	s_waitcnt vmcnt(0)
	v_trunc_f32_e32 v1, v1
	v_mul_f32_e64 v3, |v1|, s2
	v_floor_f32_e32 v3, v3
	v_cvt_u32_f32_e32 v5, v3
	v_fma_f32 v3, v3, s3, |v1|
	v_cvt_u32_f32_e32 v3, v3
	v_ashrrev_i32_e32 v1, 31, v1
	v_xor_b32_e32 v5, v5, v1
	v_xor_b32_e32 v3, v3, v1
	v_sub_co_u32_e32 v12, vcc, v3, v1
	v_subb_co_u32_e32 v13, vcc, v5, v1, vcc
.LBB215_1934:
	s_mov_b64 s[2:3], 0
.LBB215_1935:
	s_andn2_b64 vcc, exec, s[2:3]
	s_cbranch_vccnz .LBB215_1937
; %bb.1936:
	global_load_dword v1, v[20:21], off
	s_waitcnt vmcnt(0)
	v_cvt_f32_f16_e32 v1, v1
	v_cvt_i32_f32_e32 v12, v1
	v_ashrrev_i32_e32 v13, 31, v12
.LBB215_1937:
	s_mov_b64 s[2:3], 0
.LBB215_1938:
	s_andn2_b64 vcc, exec, s[2:3]
	s_cbranch_vccnz .LBB215_1949
; %bb.1939:
	s_cmp_lt_i32 s6, 6
	s_cbranch_scc1 .LBB215_1942
; %bb.1940:
	s_cmp_gt_i32 s6, 6
	s_cbranch_scc0 .LBB215_1943
; %bb.1941:
	global_load_dwordx2 v[12:13], v[20:21], off
	s_movk_i32 s2, 0xffe0
	s_waitcnt vmcnt(0)
	v_trunc_f64_e32 v[12:13], v[12:13]
	v_ldexp_f64 v[22:23], v[12:13], s2
	s_mov_b32 s2, 0
	s_mov_b32 s3, 0xc1f00000
	v_floor_f64_e32 v[22:23], v[22:23]
	v_fma_f64 v[24:25], v[22:23], s[2:3], v[12:13]
	v_cvt_i32_f64_e32 v13, v[22:23]
	s_mov_b64 s[2:3], 0
	v_cvt_u32_f64_e32 v12, v[24:25]
	s_branch .LBB215_1944
.LBB215_1942:
	s_mov_b64 s[2:3], -1
                                        ; implicit-def: $vgpr12_vgpr13
	s_branch .LBB215_1947
.LBB215_1943:
	s_mov_b64 s[2:3], -1
                                        ; implicit-def: $vgpr12_vgpr13
.LBB215_1944:
	s_andn2_b64 vcc, exec, s[2:3]
	s_cbranch_vccnz .LBB215_1946
; %bb.1945:
	global_load_dword v1, v[20:21], off
	s_mov_b32 s2, 0x2f800000
	s_mov_b32 s3, 0xcf800000
	s_waitcnt vmcnt(0)
	v_trunc_f32_e32 v1, v1
	v_mul_f32_e64 v3, |v1|, s2
	v_floor_f32_e32 v3, v3
	v_cvt_u32_f32_e32 v5, v3
	v_fma_f32 v3, v3, s3, |v1|
	v_cvt_u32_f32_e32 v3, v3
	v_ashrrev_i32_e32 v1, 31, v1
	v_xor_b32_e32 v5, v5, v1
	v_xor_b32_e32 v3, v3, v1
	v_sub_co_u32_e32 v12, vcc, v3, v1
	v_subb_co_u32_e32 v13, vcc, v5, v1, vcc
.LBB215_1946:
	s_mov_b64 s[2:3], 0
.LBB215_1947:
	s_andn2_b64 vcc, exec, s[2:3]
	s_cbranch_vccnz .LBB215_1949
; %bb.1948:
	global_load_ushort v1, v[20:21], off
	s_waitcnt vmcnt(0)
	v_cvt_f32_f16_e32 v1, v1
	v_cvt_i32_f32_e32 v12, v1
	v_ashrrev_i32_e32 v13, 31, v12
.LBB215_1949:
	s_mov_b64 s[2:3], 0
.LBB215_1950:
	s_andn2_b64 vcc, exec, s[2:3]
	s_cbranch_vccnz .LBB215_1970
; %bb.1951:
	s_cmp_lt_i32 s6, 2
	s_cbranch_scc1 .LBB215_1955
; %bb.1952:
	s_cmp_lt_i32 s6, 3
	s_cbranch_scc1 .LBB215_1956
; %bb.1953:
	s_cmp_gt_i32 s6, 3
	s_cbranch_scc0 .LBB215_1957
; %bb.1954:
	global_load_dwordx2 v[12:13], v[20:21], off
	s_mov_b64 s[2:3], 0
	s_branch .LBB215_1958
.LBB215_1955:
	s_mov_b64 s[2:3], -1
                                        ; implicit-def: $vgpr12_vgpr13
	s_branch .LBB215_1964
.LBB215_1956:
	s_mov_b64 s[2:3], -1
                                        ; implicit-def: $vgpr12_vgpr13
	s_branch .LBB215_1961
.LBB215_1957:
	s_mov_b64 s[2:3], -1
                                        ; implicit-def: $vgpr12_vgpr13
.LBB215_1958:
	s_andn2_b64 vcc, exec, s[2:3]
	s_cbranch_vccnz .LBB215_1960
; %bb.1959:
	global_load_dword v12, v[20:21], off
	s_waitcnt vmcnt(0)
	v_ashrrev_i32_e32 v13, 31, v12
.LBB215_1960:
	s_mov_b64 s[2:3], 0
.LBB215_1961:
	s_andn2_b64 vcc, exec, s[2:3]
	s_cbranch_vccnz .LBB215_1963
; %bb.1962:
	global_load_ushort v1, v[20:21], off
	s_waitcnt vmcnt(0)
	v_bfe_i32 v12, v1, 0, 16
	v_ashrrev_i32_e32 v13, 31, v12
.LBB215_1963:
	s_mov_b64 s[2:3], 0
.LBB215_1964:
	s_andn2_b64 vcc, exec, s[2:3]
	s_cbranch_vccnz .LBB215_1970
; %bb.1965:
	s_cmp_gt_i32 s6, 0
	s_cbranch_scc0 .LBB215_1967
; %bb.1966:
	global_load_sbyte v1, v[20:21], off
	s_mov_b64 s[2:3], 0
	s_waitcnt vmcnt(0)
	v_bfe_i32 v12, v1, 0, 16
	v_ashrrev_i32_e32 v13, 31, v12
	s_branch .LBB215_1968
.LBB215_1967:
	s_mov_b64 s[2:3], -1
                                        ; implicit-def: $vgpr12_vgpr13
.LBB215_1968:
	s_andn2_b64 vcc, exec, s[2:3]
	s_cbranch_vccnz .LBB215_1970
; %bb.1969:
	global_load_ubyte v1, v[20:21], off
	s_mov_b32 s2, 0
	s_waitcnt vmcnt(1)
	v_mov_b32_e32 v13, s2
	s_waitcnt vmcnt(0)
	v_and_b32_e32 v12, 0xffff, v1
.LBB215_1970:
.LBB215_1971:
	v_mov_b32_e32 v1, s1
	s_and_b32 s21, 0xffff, s21
	v_add_co_u32_e32 v20, vcc, s0, v16
	s_cmp_lt_i32 s21, 11
	v_addc_co_u32_e32 v21, vcc, 0, v1, vcc
	s_cbranch_scc1 .LBB215_1978
; %bb.1972:
	s_cmp_gt_i32 s21, 25
	s_mov_b64 s[6:7], 0
	s_cbranch_scc0 .LBB215_1979
; %bb.1973:
	s_cmp_gt_i32 s21, 28
	s_cbranch_scc0 .LBB215_1980
; %bb.1974:
	s_cmp_gt_i32 s21, 43
	;; [unrolled: 3-line block ×3, first 2 shown]
	s_cbranch_scc0 .LBB215_1983
; %bb.1976:
	s_cmp_eq_u32 s21, 46
	s_mov_b64 s[18:19], 0
	s_cbranch_scc0 .LBB215_1984
; %bb.1977:
	global_load_dword v1, v[20:21], off
	s_mov_b32 s2, 0x2f800000
	s_mov_b32 s3, 0xcf800000
	s_mov_b64 s[16:17], -1
	s_waitcnt vmcnt(0)
	v_lshlrev_b32_e32 v1, 16, v1
	v_trunc_f32_e32 v1, v1
	v_mul_f32_e64 v3, |v1|, s2
	v_floor_f32_e32 v3, v3
	v_fma_f32 v5, v3, s3, |v1|
	v_cvt_u32_f32_e32 v5, v5
	v_cvt_u32_f32_e32 v3, v3
	v_ashrrev_i32_e32 v1, 31, v1
	s_mov_b64 s[2:3], 0
	v_xor_b32_e32 v5, v5, v1
	v_xor_b32_e32 v3, v3, v1
	v_sub_co_u32_e32 v15, vcc, v5, v1
	v_subb_co_u32_e32 v16, vcc, v3, v1, vcc
	s_branch .LBB215_1985
.LBB215_1978:
	s_mov_b64 s[2:3], -1
	s_mov_b64 s[16:17], 0
                                        ; implicit-def: $vgpr15_vgpr16
	s_branch .LBB215_2047
.LBB215_1979:
	s_mov_b64 s[18:19], -1
	s_mov_b64 s[16:17], 0
	s_mov_b64 s[2:3], 0
                                        ; implicit-def: $vgpr15_vgpr16
	s_branch .LBB215_2014
.LBB215_1980:
	s_mov_b64 s[18:19], -1
	s_mov_b64 s[16:17], 0
	s_mov_b64 s[2:3], 0
                                        ; implicit-def: $vgpr15_vgpr16
	s_branch .LBB215_1995
.LBB215_1981:
	s_mov_b64 s[18:19], -1
	s_mov_b64 s[16:17], 0
	s_mov_b64 s[2:3], 0
                                        ; implicit-def: $vgpr15_vgpr16
	s_branch .LBB215_1990
.LBB215_1982:
	s_trap 2
	s_or_b64 s[4:5], s[4:5], exec
	s_cbranch_execz .LBB215_1921
	s_branch .LBB215_1922
.LBB215_1983:
	s_mov_b64 s[18:19], -1
	s_mov_b64 s[16:17], 0
	s_mov_b64 s[2:3], 0
                                        ; implicit-def: $vgpr15_vgpr16
	s_branch .LBB215_1985
.LBB215_1984:
	s_mov_b64 s[2:3], -1
                                        ; implicit-def: $vgpr15_vgpr16
	s_mov_b64 s[16:17], 0
.LBB215_1985:
	s_and_b64 vcc, exec, s[18:19]
	s_cbranch_vccz .LBB215_1989
; %bb.1986:
	s_cmp_eq_u32 s21, 44
	s_cbranch_scc0 .LBB215_1988
; %bb.1987:
	global_load_ubyte v1, v[20:21], off
	s_mov_b32 s2, 0x2f800000
	s_mov_b32 s3, 0xcf800000
	s_mov_b64 s[16:17], -1
	s_waitcnt vmcnt(0)
	v_lshlrev_b32_e32 v3, 23, v1
	v_trunc_f32_e32 v3, v3
	v_mul_f32_e64 v5, |v3|, s2
	v_floor_f32_e32 v5, v5
	v_fma_f32 v15, v5, s3, |v3|
	v_cvt_u32_f32_e32 v15, v15
	v_cvt_u32_f32_e32 v5, v5
	v_ashrrev_i32_e32 v3, 31, v3
	s_mov_b64 s[2:3], 0
	v_xor_b32_e32 v15, v15, v3
	v_xor_b32_e32 v5, v5, v3
	v_sub_co_u32_e32 v15, vcc, v15, v3
	v_subb_co_u32_e32 v3, vcc, v5, v3, vcc
	v_cmp_ne_u32_e32 vcc, 0, v1
	v_cndmask_b32_e32 v16, 0, v3, vcc
	v_cndmask_b32_e32 v15, 0, v15, vcc
	s_branch .LBB215_1989
.LBB215_1988:
	s_mov_b64 s[2:3], -1
                                        ; implicit-def: $vgpr15_vgpr16
.LBB215_1989:
	s_mov_b64 s[18:19], 0
.LBB215_1990:
	s_and_b64 vcc, exec, s[18:19]
	s_cbranch_vccz .LBB215_1994
; %bb.1991:
	s_cmp_eq_u32 s21, 29
	s_cbranch_scc0 .LBB215_1993
; %bb.1992:
	global_load_dwordx2 v[15:16], v[20:21], off
	s_mov_b64 s[2:3], 0
	s_mov_b64 s[16:17], -1
	s_branch .LBB215_1994
.LBB215_1993:
	s_mov_b64 s[2:3], -1
                                        ; implicit-def: $vgpr15_vgpr16
.LBB215_1994:
	s_mov_b64 s[18:19], 0
.LBB215_1995:
	s_and_b64 vcc, exec, s[18:19]
	s_cbranch_vccz .LBB215_2013
; %bb.1996:
	s_cmp_lt_i32 s21, 27
	s_cbranch_scc1 .LBB215_1999
; %bb.1997:
	s_cmp_gt_i32 s21, 27
	s_cbranch_scc0 .LBB215_2000
; %bb.1998:
	global_load_dword v15, v[20:21], off
	s_waitcnt vmcnt(1)
	v_mov_b32_e32 v16, 0
	s_mov_b64 s[16:17], 0
	s_branch .LBB215_2001
.LBB215_1999:
	s_mov_b64 s[16:17], -1
                                        ; implicit-def: $vgpr15_vgpr16
	s_branch .LBB215_2004
.LBB215_2000:
	s_mov_b64 s[16:17], -1
                                        ; implicit-def: $vgpr15_vgpr16
.LBB215_2001:
	s_andn2_b64 vcc, exec, s[16:17]
	s_cbranch_vccnz .LBB215_2003
; %bb.2002:
	global_load_ushort v1, v[20:21], off
	s_mov_b32 s16, 0
	s_waitcnt vmcnt(1)
	v_mov_b32_e32 v16, s16
	s_waitcnt vmcnt(0)
	v_and_b32_e32 v15, 0xffff, v1
.LBB215_2003:
	s_mov_b64 s[16:17], 0
.LBB215_2004:
	s_andn2_b64 vcc, exec, s[16:17]
	s_cbranch_vccnz .LBB215_2012
; %bb.2005:
	global_load_ubyte v1, v[20:21], off
	s_movk_i32 s16, 0x7f
	s_mov_b64 s[18:19], 0
	s_waitcnt vmcnt(0)
	v_cmp_lt_i16_e32 vcc, s16, v1
	s_and_saveexec_b64 s[16:17], vcc
	s_xor_b64 s[16:17], exec, s[16:17]
; %bb.2006:
	s_movk_i32 s18, 0x80
	v_cmp_ne_u16_e32 vcc, s18, v1
	s_and_b64 s[18:19], vcc, exec
; %bb.2007:
	s_andn2_saveexec_b64 s[16:17], s[16:17]
; %bb.2008:
	v_cmp_ne_u16_e32 vcc, 0, v1
	s_andn2_b64 s[18:19], s[18:19], exec
	s_and_b64 s[24:25], vcc, exec
	s_or_b64 s[18:19], s[18:19], s[24:25]
; %bb.2009:
	s_or_b64 exec, exec, s[16:17]
	v_mov_b32_e32 v15, 0
	v_mov_b32_e32 v16, 0
	s_and_saveexec_b64 s[16:17], s[18:19]
	s_cbranch_execz .LBB215_2011
; %bb.2010:
	v_lshlrev_b32_e32 v3, 24, v1
	v_and_b32_e32 v1, 0xffff, v1
	v_and_b32_e32 v5, 7, v1
	v_ffbh_u32_e32 v16, v5
	v_min_u32_e32 v16, 32, v16
	v_subrev_u32_e32 v18, 28, v16
	v_bfe_u32 v15, v1, 3, 4
	v_lshlrev_b32_e32 v1, v18, v1
	v_sub_u32_e32 v16, 29, v16
	v_and_b32_e32 v1, 7, v1
	v_cmp_eq_u32_e32 vcc, 0, v15
	v_cndmask_b32_e32 v15, v15, v16, vcc
	v_cndmask_b32_e32 v1, v5, v1, vcc
	v_mov_b32_e32 v5, 0x3b800000
	v_lshlrev_b32_e32 v1, 20, v1
	v_and_b32_e32 v3, 0x80000000, v3
	v_lshl_add_u32 v5, v15, 23, v5
	v_or3_b32 v1, v3, v5, v1
	v_trunc_f32_e32 v1, v1
	s_mov_b32 s18, 0x2f800000
	v_mul_f32_e64 v3, |v1|, s18
	v_floor_f32_e32 v3, v3
	s_mov_b32 s18, 0xcf800000
	v_fma_f32 v5, v3, s18, |v1|
	v_cvt_u32_f32_e32 v5, v5
	v_cvt_u32_f32_e32 v3, v3
	v_ashrrev_i32_e32 v1, 31, v1
	v_xor_b32_e32 v5, v5, v1
	v_xor_b32_e32 v3, v3, v1
	v_sub_co_u32_e32 v15, vcc, v5, v1
	v_subb_co_u32_e32 v16, vcc, v3, v1, vcc
.LBB215_2011:
	s_or_b64 exec, exec, s[16:17]
.LBB215_2012:
	s_mov_b64 s[16:17], -1
.LBB215_2013:
	s_mov_b64 s[18:19], 0
.LBB215_2014:
	s_and_b64 vcc, exec, s[18:19]
	s_cbranch_vccz .LBB215_2043
; %bb.2015:
	s_cmp_gt_i32 s21, 22
	s_cbranch_scc0 .LBB215_2025
; %bb.2016:
	s_cmp_lt_i32 s21, 24
	s_cbranch_scc1 .LBB215_2026
; %bb.2017:
	s_cmp_gt_i32 s21, 24
	s_cbranch_scc0 .LBB215_2027
; %bb.2018:
	global_load_ubyte v1, v[20:21], off
	s_movk_i32 s6, 0x7f
	s_mov_b64 s[16:17], 0
	s_waitcnt vmcnt(0)
	v_cmp_lt_i16_e32 vcc, s6, v1
	s_and_saveexec_b64 s[6:7], vcc
	s_xor_b64 s[6:7], exec, s[6:7]
; %bb.2019:
	s_movk_i32 s16, 0x80
	v_cmp_ne_u16_e32 vcc, s16, v1
	s_and_b64 s[16:17], vcc, exec
; %bb.2020:
	s_andn2_saveexec_b64 s[6:7], s[6:7]
; %bb.2021:
	v_cmp_ne_u16_e32 vcc, 0, v1
	s_andn2_b64 s[16:17], s[16:17], exec
	s_and_b64 s[18:19], vcc, exec
	s_or_b64 s[16:17], s[16:17], s[18:19]
; %bb.2022:
	s_or_b64 exec, exec, s[6:7]
	v_mov_b32_e32 v15, 0
	v_mov_b32_e32 v16, 0
	s_and_saveexec_b64 s[6:7], s[16:17]
	s_cbranch_execz .LBB215_2024
; %bb.2023:
	v_lshlrev_b32_e32 v3, 24, v1
	v_and_b32_e32 v1, 0xffff, v1
	v_and_b32_e32 v5, 3, v1
	v_ffbh_u32_e32 v16, v5
	v_min_u32_e32 v16, 32, v16
	v_subrev_u32_e32 v18, 29, v16
	v_bfe_u32 v15, v1, 2, 5
	v_lshlrev_b32_e32 v1, v18, v1
	v_sub_u32_e32 v16, 30, v16
	v_and_b32_e32 v1, 3, v1
	v_cmp_eq_u32_e32 vcc, 0, v15
	v_cndmask_b32_e32 v15, v15, v16, vcc
	v_cndmask_b32_e32 v1, v5, v1, vcc
	v_mov_b32_e32 v5, 0x37800000
	v_lshlrev_b32_e32 v1, 21, v1
	v_and_b32_e32 v3, 0x80000000, v3
	v_lshl_add_u32 v5, v15, 23, v5
	v_or3_b32 v1, v3, v5, v1
	v_trunc_f32_e32 v1, v1
	s_mov_b32 s16, 0x2f800000
	v_mul_f32_e64 v3, |v1|, s16
	v_floor_f32_e32 v3, v3
	s_mov_b32 s16, 0xcf800000
	v_fma_f32 v5, v3, s16, |v1|
	v_cvt_u32_f32_e32 v5, v5
	v_cvt_u32_f32_e32 v3, v3
	v_ashrrev_i32_e32 v1, 31, v1
	v_xor_b32_e32 v5, v5, v1
	v_xor_b32_e32 v3, v3, v1
	v_sub_co_u32_e32 v15, vcc, v5, v1
	v_subb_co_u32_e32 v16, vcc, v3, v1, vcc
.LBB215_2024:
	s_or_b64 exec, exec, s[6:7]
	s_mov_b64 s[6:7], 0
	s_branch .LBB215_2028
.LBB215_2025:
	s_mov_b64 s[6:7], -1
                                        ; implicit-def: $vgpr15_vgpr16
	s_branch .LBB215_2034
.LBB215_2026:
	s_mov_b64 s[6:7], -1
                                        ; implicit-def: $vgpr15_vgpr16
	s_branch .LBB215_2031
.LBB215_2027:
	s_mov_b64 s[6:7], -1
                                        ; implicit-def: $vgpr15_vgpr16
.LBB215_2028:
	s_and_b64 vcc, exec, s[6:7]
	s_cbranch_vccz .LBB215_2030
; %bb.2029:
	global_load_ubyte v1, v[20:21], off
	s_mov_b32 s6, 0x7f800000
	s_brev_b32 s7, 1
	s_mov_b32 s16, 0x2f800000
	s_mov_b32 s17, 0xcf800000
	s_waitcnt vmcnt(0)
	v_lshlrev_b32_e32 v1, 24, v1
	v_and_b32_e32 v3, 0x7f000000, v1
	v_ffbh_u32_e32 v5, v3
	v_min_u32_e32 v5, 32, v5
	v_sub_u32_e64 v5, v5, 4 clamp
	v_lshlrev_b32_e32 v16, v5, v3
	v_lshlrev_b32_e32 v5, 23, v5
	v_lshrrev_b32_e32 v16, 4, v16
	v_add_u32_e32 v15, 0x1000000, v3
	v_sub_u32_e32 v5, v16, v5
	v_ashrrev_i32_e32 v15, 8, v15
	v_add_u32_e32 v5, 0x3c000000, v5
	v_and_or_b32 v5, v15, s6, v5
	v_cmp_ne_u32_e32 vcc, 0, v3
	v_cndmask_b32_e32 v3, 0, v5, vcc
	v_and_or_b32 v1, v1, s7, v3
	v_trunc_f32_e32 v1, v1
	v_mul_f32_e64 v3, |v1|, s16
	v_floor_f32_e32 v3, v3
	v_fma_f32 v5, v3, s17, |v1|
	v_cvt_u32_f32_e32 v5, v5
	v_cvt_u32_f32_e32 v3, v3
	v_ashrrev_i32_e32 v1, 31, v1
	v_xor_b32_e32 v5, v5, v1
	v_xor_b32_e32 v3, v3, v1
	v_sub_co_u32_e32 v15, vcc, v5, v1
	v_subb_co_u32_e32 v16, vcc, v3, v1, vcc
.LBB215_2030:
	s_mov_b64 s[6:7], 0
.LBB215_2031:
	s_andn2_b64 vcc, exec, s[6:7]
	s_cbranch_vccnz .LBB215_2033
; %bb.2032:
	global_load_ubyte v1, v[20:21], off
	s_movk_i32 s6, 0x7f00
	s_brev_b32 s7, 16
	s_brev_b32 s16, 1
	s_mov_b32 s17, 0x2f800000
	s_mov_b32 s18, 0xcf800000
	s_waitcnt vmcnt(0)
	v_lshlrev_b16_e32 v3, 8, v1
	v_lshlrev_b32_e32 v1, 25, v1
	v_lshrrev_b32_e32 v5, 4, v1
	v_and_or_b32 v15, v3, s6, 0.5
	v_or_b32_e32 v5, 0x70000000, v5
	v_add_f32_e32 v15, -0.5, v15
	v_mul_f32_e32 v5, 0x7800000, v5
	v_cmp_gt_u32_e32 vcc, s7, v1
	v_bfe_i32 v3, v3, 0, 16
	v_cndmask_b32_e32 v1, v5, v15, vcc
	v_and_or_b32 v1, v3, s16, v1
	v_trunc_f32_e32 v1, v1
	v_mul_f32_e64 v3, |v1|, s17
	v_floor_f32_e32 v3, v3
	v_fma_f32 v5, v3, s18, |v1|
	v_cvt_u32_f32_e32 v5, v5
	v_cvt_u32_f32_e32 v3, v3
	v_ashrrev_i32_e32 v1, 31, v1
	v_xor_b32_e32 v5, v5, v1
	v_xor_b32_e32 v3, v3, v1
	v_sub_co_u32_e32 v15, vcc, v5, v1
	v_subb_co_u32_e32 v16, vcc, v3, v1, vcc
.LBB215_2033:
	s_mov_b64 s[6:7], 0
	s_mov_b64 s[16:17], -1
.LBB215_2034:
	s_andn2_b64 vcc, exec, s[6:7]
	s_mov_b64 s[6:7], 0
	s_cbranch_vccnz .LBB215_2043
; %bb.2035:
	s_cmp_gt_i32 s21, 14
	s_cbranch_scc0 .LBB215_2038
; %bb.2036:
	s_cmp_eq_u32 s21, 15
	s_cbranch_scc0 .LBB215_2039
; %bb.2037:
	global_load_ushort v1, v[20:21], off
	s_mov_b32 s2, 0x2f800000
	s_mov_b32 s3, 0xcf800000
	s_mov_b64 s[16:17], -1
	s_waitcnt vmcnt(0)
	v_lshlrev_b32_e32 v1, 16, v1
	v_trunc_f32_e32 v1, v1
	v_mul_f32_e64 v3, |v1|, s2
	v_floor_f32_e32 v3, v3
	v_fma_f32 v5, v3, s3, |v1|
	v_cvt_u32_f32_e32 v5, v5
	v_cvt_u32_f32_e32 v3, v3
	v_ashrrev_i32_e32 v1, 31, v1
	s_mov_b64 s[2:3], 0
	v_xor_b32_e32 v5, v5, v1
	v_xor_b32_e32 v3, v3, v1
	v_sub_co_u32_e32 v15, vcc, v5, v1
	v_subb_co_u32_e32 v16, vcc, v3, v1, vcc
	s_branch .LBB215_2040
.LBB215_2038:
	s_mov_b64 s[18:19], -1
                                        ; implicit-def: $vgpr15_vgpr16
	s_branch .LBB215_2041
.LBB215_2039:
	s_mov_b64 s[2:3], -1
                                        ; implicit-def: $vgpr15_vgpr16
.LBB215_2040:
	s_mov_b64 s[18:19], 0
.LBB215_2041:
	s_and_b64 vcc, exec, s[18:19]
	s_cbranch_vccz .LBB215_2043
; %bb.2042:
	s_cmp_lg_u32 s21, 11
	s_mov_b64 s[6:7], -1
	s_cselect_b64 s[2:3], -1, 0
.LBB215_2043:
	s_and_b64 vcc, exec, s[2:3]
	s_cbranch_vccnz .LBB215_2108
; %bb.2044:
	s_andn2_b64 vcc, exec, s[6:7]
	s_cbranch_vccnz .LBB215_2046
.LBB215_2045:
	global_load_ubyte v1, v[20:21], off
	s_mov_b32 s2, 0
	s_waitcnt vmcnt(1)
	v_mov_b32_e32 v16, s2
	s_mov_b64 s[16:17], -1
	s_waitcnt vmcnt(0)
	v_cmp_ne_u16_e32 vcc, 0, v1
	v_cndmask_b32_e64 v15, 0, 1, vcc
.LBB215_2046:
	s_mov_b64 s[2:3], 0
.LBB215_2047:
	s_and_b64 vcc, exec, s[2:3]
	s_cbranch_vccz .LBB215_2096
; %bb.2048:
	s_cmp_lt_i32 s21, 5
	s_cbranch_scc1 .LBB215_2053
; %bb.2049:
	s_cmp_lt_i32 s21, 8
	s_cbranch_scc1 .LBB215_2054
	;; [unrolled: 3-line block ×3, first 2 shown]
; %bb.2051:
	s_cmp_gt_i32 s21, 9
	s_cbranch_scc0 .LBB215_2056
; %bb.2052:
	global_load_dwordx2 v[15:16], v[20:21], off
	s_movk_i32 s2, 0xffe0
	s_waitcnt vmcnt(0)
	v_trunc_f64_e32 v[15:16], v[15:16]
	v_ldexp_f64 v[22:23], v[15:16], s2
	s_mov_b32 s2, 0
	s_mov_b32 s3, 0xc1f00000
	v_floor_f64_e32 v[22:23], v[22:23]
	v_fma_f64 v[24:25], v[22:23], s[2:3], v[15:16]
	v_cvt_i32_f64_e32 v16, v[22:23]
	s_mov_b64 s[2:3], 0
	v_cvt_u32_f64_e32 v15, v[24:25]
	s_branch .LBB215_2057
.LBB215_2053:
	s_mov_b64 s[2:3], -1
                                        ; implicit-def: $vgpr15_vgpr16
	s_branch .LBB215_2075
.LBB215_2054:
	s_mov_b64 s[2:3], -1
                                        ; implicit-def: $vgpr15_vgpr16
	s_branch .LBB215_2063
.LBB215_2055:
	s_mov_b64 s[2:3], -1
                                        ; implicit-def: $vgpr15_vgpr16
	s_branch .LBB215_2060
.LBB215_2056:
	s_mov_b64 s[2:3], -1
                                        ; implicit-def: $vgpr15_vgpr16
.LBB215_2057:
	s_andn2_b64 vcc, exec, s[2:3]
	s_cbranch_vccnz .LBB215_2059
; %bb.2058:
	global_load_dword v1, v[20:21], off
	s_mov_b32 s2, 0x2f800000
	s_mov_b32 s3, 0xcf800000
	s_waitcnt vmcnt(0)
	v_trunc_f32_e32 v1, v1
	v_mul_f32_e64 v3, |v1|, s2
	v_floor_f32_e32 v3, v3
	v_cvt_u32_f32_e32 v5, v3
	v_fma_f32 v3, v3, s3, |v1|
	v_cvt_u32_f32_e32 v3, v3
	v_ashrrev_i32_e32 v1, 31, v1
	v_xor_b32_e32 v5, v5, v1
	v_xor_b32_e32 v3, v3, v1
	v_sub_co_u32_e32 v15, vcc, v3, v1
	v_subb_co_u32_e32 v16, vcc, v5, v1, vcc
.LBB215_2059:
	s_mov_b64 s[2:3], 0
.LBB215_2060:
	s_andn2_b64 vcc, exec, s[2:3]
	s_cbranch_vccnz .LBB215_2062
; %bb.2061:
	global_load_dword v1, v[20:21], off
	s_waitcnt vmcnt(0)
	v_cvt_f32_f16_e32 v1, v1
	v_cvt_i32_f32_e32 v15, v1
	v_ashrrev_i32_e32 v16, 31, v15
.LBB215_2062:
	s_mov_b64 s[2:3], 0
.LBB215_2063:
	s_andn2_b64 vcc, exec, s[2:3]
	s_cbranch_vccnz .LBB215_2074
; %bb.2064:
	s_cmp_lt_i32 s21, 6
	s_cbranch_scc1 .LBB215_2067
; %bb.2065:
	s_cmp_gt_i32 s21, 6
	s_cbranch_scc0 .LBB215_2068
; %bb.2066:
	global_load_dwordx2 v[15:16], v[20:21], off
	s_movk_i32 s2, 0xffe0
	s_waitcnt vmcnt(0)
	v_trunc_f64_e32 v[15:16], v[15:16]
	v_ldexp_f64 v[22:23], v[15:16], s2
	s_mov_b32 s2, 0
	s_mov_b32 s3, 0xc1f00000
	v_floor_f64_e32 v[22:23], v[22:23]
	v_fma_f64 v[24:25], v[22:23], s[2:3], v[15:16]
	v_cvt_i32_f64_e32 v16, v[22:23]
	s_mov_b64 s[2:3], 0
	v_cvt_u32_f64_e32 v15, v[24:25]
	s_branch .LBB215_2069
.LBB215_2067:
	s_mov_b64 s[2:3], -1
                                        ; implicit-def: $vgpr15_vgpr16
	s_branch .LBB215_2072
.LBB215_2068:
	s_mov_b64 s[2:3], -1
                                        ; implicit-def: $vgpr15_vgpr16
.LBB215_2069:
	s_andn2_b64 vcc, exec, s[2:3]
	s_cbranch_vccnz .LBB215_2071
; %bb.2070:
	global_load_dword v1, v[20:21], off
	s_mov_b32 s2, 0x2f800000
	s_mov_b32 s3, 0xcf800000
	s_waitcnt vmcnt(0)
	v_trunc_f32_e32 v1, v1
	v_mul_f32_e64 v3, |v1|, s2
	v_floor_f32_e32 v3, v3
	v_cvt_u32_f32_e32 v5, v3
	v_fma_f32 v3, v3, s3, |v1|
	v_cvt_u32_f32_e32 v3, v3
	v_ashrrev_i32_e32 v1, 31, v1
	v_xor_b32_e32 v5, v5, v1
	v_xor_b32_e32 v3, v3, v1
	v_sub_co_u32_e32 v15, vcc, v3, v1
	v_subb_co_u32_e32 v16, vcc, v5, v1, vcc
.LBB215_2071:
	s_mov_b64 s[2:3], 0
.LBB215_2072:
	s_andn2_b64 vcc, exec, s[2:3]
	s_cbranch_vccnz .LBB215_2074
; %bb.2073:
	global_load_ushort v1, v[20:21], off
	s_waitcnt vmcnt(0)
	v_cvt_f32_f16_e32 v1, v1
	v_cvt_i32_f32_e32 v15, v1
	v_ashrrev_i32_e32 v16, 31, v15
.LBB215_2074:
	s_mov_b64 s[2:3], 0
.LBB215_2075:
	s_andn2_b64 vcc, exec, s[2:3]
	s_cbranch_vccnz .LBB215_2095
; %bb.2076:
	s_cmp_lt_i32 s21, 2
	s_cbranch_scc1 .LBB215_2080
; %bb.2077:
	s_cmp_lt_i32 s21, 3
	s_cbranch_scc1 .LBB215_2081
; %bb.2078:
	s_cmp_gt_i32 s21, 3
	s_cbranch_scc0 .LBB215_2082
; %bb.2079:
	global_load_dwordx2 v[15:16], v[20:21], off
	s_mov_b64 s[2:3], 0
	s_branch .LBB215_2083
.LBB215_2080:
	s_mov_b64 s[2:3], -1
                                        ; implicit-def: $vgpr15_vgpr16
	s_branch .LBB215_2089
.LBB215_2081:
	s_mov_b64 s[2:3], -1
                                        ; implicit-def: $vgpr15_vgpr16
	s_branch .LBB215_2086
.LBB215_2082:
	s_mov_b64 s[2:3], -1
                                        ; implicit-def: $vgpr15_vgpr16
.LBB215_2083:
	s_andn2_b64 vcc, exec, s[2:3]
	s_cbranch_vccnz .LBB215_2085
; %bb.2084:
	global_load_dword v15, v[20:21], off
	s_waitcnt vmcnt(0)
	v_ashrrev_i32_e32 v16, 31, v15
.LBB215_2085:
	s_mov_b64 s[2:3], 0
.LBB215_2086:
	s_andn2_b64 vcc, exec, s[2:3]
	s_cbranch_vccnz .LBB215_2088
; %bb.2087:
	global_load_ushort v1, v[20:21], off
	s_waitcnt vmcnt(0)
	v_bfe_i32 v15, v1, 0, 16
	v_ashrrev_i32_e32 v16, 31, v15
.LBB215_2088:
	s_mov_b64 s[2:3], 0
.LBB215_2089:
	s_andn2_b64 vcc, exec, s[2:3]
	s_cbranch_vccnz .LBB215_2095
; %bb.2090:
	s_cmp_gt_i32 s21, 0
	s_cbranch_scc0 .LBB215_2092
; %bb.2091:
	global_load_sbyte v1, v[20:21], off
	s_mov_b64 s[2:3], 0
	s_waitcnt vmcnt(0)
	v_bfe_i32 v15, v1, 0, 16
	v_ashrrev_i32_e32 v16, 31, v15
	s_branch .LBB215_2093
.LBB215_2092:
	s_mov_b64 s[2:3], -1
                                        ; implicit-def: $vgpr15_vgpr16
.LBB215_2093:
	s_andn2_b64 vcc, exec, s[2:3]
	s_cbranch_vccnz .LBB215_2095
; %bb.2094:
	global_load_ubyte v1, v[20:21], off
	s_mov_b32 s2, 0
	s_waitcnt vmcnt(1)
	v_mov_b32_e32 v16, s2
	s_waitcnt vmcnt(0)
	v_and_b32_e32 v15, 0xffff, v1
.LBB215_2095:
	s_mov_b64 s[16:17], -1
.LBB215_2096:
	s_andn2_b64 vcc, exec, s[16:17]
	s_cbranch_vccnz .LBB215_3036
; %bb.2097:
	v_mov_b32_e32 v1, s11
	v_add_co_u32_e32 v20, vcc, s10, v17
	s_cmp_lt_i32 s22, 11
	v_addc_co_u32_e32 v21, vcc, 0, v1, vcc
	s_cbranch_scc1 .LBB215_2104
; %bb.2098:
	s_and_b32 s23, 0xffff, s22
	s_cmp_gt_i32 s23, 25
	s_mov_b64 s[6:7], 0
	s_cbranch_scc0 .LBB215_2105
; %bb.2099:
	s_cmp_gt_i32 s23, 28
	s_cbranch_scc0 .LBB215_2106
; %bb.2100:
	s_cmp_gt_i32 s23, 43
	;; [unrolled: 3-line block ×3, first 2 shown]
	s_cbranch_scc0 .LBB215_2109
; %bb.2102:
	s_cmp_eq_u32 s23, 46
	s_mov_b64 s[18:19], 0
	s_cbranch_scc0 .LBB215_2110
; %bb.2103:
	global_load_dword v1, v[20:21], off
	s_mov_b32 s2, 0x2f800000
	s_mov_b32 s3, 0xcf800000
	s_mov_b64 s[16:17], -1
	s_waitcnt vmcnt(0)
	v_lshlrev_b32_e32 v1, 16, v1
	v_trunc_f32_e32 v1, v1
	v_mul_f32_e64 v3, |v1|, s2
	v_floor_f32_e32 v3, v3
	v_fma_f32 v5, v3, s3, |v1|
	v_cvt_u32_f32_e32 v5, v5
	v_cvt_u32_f32_e32 v3, v3
	v_ashrrev_i32_e32 v1, 31, v1
	s_mov_b64 s[2:3], 0
	v_xor_b32_e32 v5, v5, v1
	v_xor_b32_e32 v3, v3, v1
	v_sub_co_u32_e32 v17, vcc, v5, v1
	v_subb_co_u32_e32 v18, vcc, v3, v1, vcc
	s_branch .LBB215_2111
.LBB215_2104:
	s_mov_b64 s[2:3], -1
	s_mov_b64 s[16:17], 0
                                        ; implicit-def: $vgpr17_vgpr18
	s_branch .LBB215_2173
.LBB215_2105:
	s_mov_b64 s[18:19], -1
	s_mov_b64 s[16:17], 0
	s_mov_b64 s[2:3], 0
                                        ; implicit-def: $vgpr17_vgpr18
	s_branch .LBB215_2140
.LBB215_2106:
	s_mov_b64 s[18:19], -1
	s_mov_b64 s[16:17], 0
	s_mov_b64 s[2:3], 0
                                        ; implicit-def: $vgpr17_vgpr18
	s_branch .LBB215_2121
.LBB215_2107:
	s_mov_b64 s[18:19], -1
	s_mov_b64 s[16:17], 0
	s_mov_b64 s[2:3], 0
                                        ; implicit-def: $vgpr17_vgpr18
	s_branch .LBB215_2116
.LBB215_2108:
	s_trap 2
	s_or_b64 s[4:5], s[4:5], exec
	s_cbranch_execz .LBB215_2045
	s_branch .LBB215_2046
.LBB215_2109:
	s_mov_b64 s[18:19], -1
	s_mov_b64 s[16:17], 0
	s_mov_b64 s[2:3], 0
                                        ; implicit-def: $vgpr17_vgpr18
	s_branch .LBB215_2111
.LBB215_2110:
	s_mov_b64 s[2:3], -1
                                        ; implicit-def: $vgpr17_vgpr18
	s_mov_b64 s[16:17], 0
.LBB215_2111:
	s_and_b64 vcc, exec, s[18:19]
	s_cbranch_vccz .LBB215_2115
; %bb.2112:
	s_cmp_eq_u32 s23, 44
	s_cbranch_scc0 .LBB215_2114
; %bb.2113:
	global_load_ubyte v1, v[20:21], off
	s_mov_b32 s2, 0x2f800000
	s_mov_b32 s3, 0xcf800000
	s_mov_b64 s[16:17], -1
	s_waitcnt vmcnt(0)
	v_lshlrev_b32_e32 v3, 23, v1
	v_trunc_f32_e32 v3, v3
	v_mul_f32_e64 v5, |v3|, s2
	v_floor_f32_e32 v5, v5
	v_fma_f32 v17, v5, s3, |v3|
	v_cvt_u32_f32_e32 v17, v17
	v_cvt_u32_f32_e32 v5, v5
	v_ashrrev_i32_e32 v3, 31, v3
	s_mov_b64 s[2:3], 0
	v_xor_b32_e32 v17, v17, v3
	v_xor_b32_e32 v5, v5, v3
	v_sub_co_u32_e32 v17, vcc, v17, v3
	v_subb_co_u32_e32 v3, vcc, v5, v3, vcc
	v_cmp_ne_u32_e32 vcc, 0, v1
	v_cndmask_b32_e32 v18, 0, v3, vcc
	v_cndmask_b32_e32 v17, 0, v17, vcc
	s_branch .LBB215_2115
.LBB215_2114:
	s_mov_b64 s[2:3], -1
                                        ; implicit-def: $vgpr17_vgpr18
.LBB215_2115:
	s_mov_b64 s[18:19], 0
.LBB215_2116:
	s_and_b64 vcc, exec, s[18:19]
	s_cbranch_vccz .LBB215_2120
; %bb.2117:
	s_cmp_eq_u32 s23, 29
	s_cbranch_scc0 .LBB215_2119
; %bb.2118:
	global_load_dwordx2 v[17:18], v[20:21], off
	s_mov_b64 s[2:3], 0
	s_mov_b64 s[16:17], -1
	s_branch .LBB215_2120
.LBB215_2119:
	s_mov_b64 s[2:3], -1
                                        ; implicit-def: $vgpr17_vgpr18
.LBB215_2120:
	s_mov_b64 s[18:19], 0
.LBB215_2121:
	s_and_b64 vcc, exec, s[18:19]
	s_cbranch_vccz .LBB215_2139
; %bb.2122:
	s_cmp_lt_i32 s23, 27
	s_cbranch_scc1 .LBB215_2125
; %bb.2123:
	s_cmp_gt_i32 s23, 27
	s_cbranch_scc0 .LBB215_2126
; %bb.2124:
	global_load_dword v17, v[20:21], off
	s_waitcnt vmcnt(1)
	v_mov_b32_e32 v18, 0
	s_mov_b64 s[16:17], 0
	s_branch .LBB215_2127
.LBB215_2125:
	s_mov_b64 s[16:17], -1
                                        ; implicit-def: $vgpr17_vgpr18
	s_branch .LBB215_2130
.LBB215_2126:
	s_mov_b64 s[16:17], -1
                                        ; implicit-def: $vgpr17_vgpr18
.LBB215_2127:
	s_andn2_b64 vcc, exec, s[16:17]
	s_cbranch_vccnz .LBB215_2129
; %bb.2128:
	global_load_ushort v1, v[20:21], off
	s_mov_b32 s16, 0
	s_waitcnt vmcnt(1)
	v_mov_b32_e32 v18, s16
	s_waitcnt vmcnt(0)
	v_and_b32_e32 v17, 0xffff, v1
.LBB215_2129:
	s_mov_b64 s[16:17], 0
.LBB215_2130:
	s_andn2_b64 vcc, exec, s[16:17]
	s_cbranch_vccnz .LBB215_2138
; %bb.2131:
	global_load_ubyte v1, v[20:21], off
	s_movk_i32 s16, 0x7f
	s_mov_b64 s[18:19], 0
	s_waitcnt vmcnt(0)
	v_cmp_lt_i16_e32 vcc, s16, v1
	s_and_saveexec_b64 s[16:17], vcc
	s_xor_b64 s[16:17], exec, s[16:17]
; %bb.2132:
	s_movk_i32 s18, 0x80
	v_cmp_ne_u16_e32 vcc, s18, v1
	s_and_b64 s[18:19], vcc, exec
; %bb.2133:
	s_andn2_saveexec_b64 s[16:17], s[16:17]
; %bb.2134:
	v_cmp_ne_u16_e32 vcc, 0, v1
	s_andn2_b64 s[18:19], s[18:19], exec
	s_and_b64 s[24:25], vcc, exec
	s_or_b64 s[18:19], s[18:19], s[24:25]
; %bb.2135:
	s_or_b64 exec, exec, s[16:17]
	v_mov_b32_e32 v17, 0
	v_mov_b32_e32 v18, 0
	s_and_saveexec_b64 s[16:17], s[18:19]
	s_cbranch_execz .LBB215_2137
; %bb.2136:
	v_lshlrev_b32_e32 v3, 24, v1
	v_and_b32_e32 v1, 0xffff, v1
	v_and_b32_e32 v5, 7, v1
	v_ffbh_u32_e32 v18, v5
	v_min_u32_e32 v18, 32, v18
	v_subrev_u32_e32 v22, 28, v18
	v_bfe_u32 v17, v1, 3, 4
	v_lshlrev_b32_e32 v1, v22, v1
	v_sub_u32_e32 v18, 29, v18
	v_and_b32_e32 v1, 7, v1
	v_cmp_eq_u32_e32 vcc, 0, v17
	v_cndmask_b32_e32 v17, v17, v18, vcc
	v_cndmask_b32_e32 v1, v5, v1, vcc
	v_mov_b32_e32 v5, 0x3b800000
	v_lshlrev_b32_e32 v1, 20, v1
	v_and_b32_e32 v3, 0x80000000, v3
	v_lshl_add_u32 v5, v17, 23, v5
	v_or3_b32 v1, v3, v5, v1
	v_trunc_f32_e32 v1, v1
	s_mov_b32 s18, 0x2f800000
	v_mul_f32_e64 v3, |v1|, s18
	v_floor_f32_e32 v3, v3
	s_mov_b32 s18, 0xcf800000
	v_fma_f32 v5, v3, s18, |v1|
	v_cvt_u32_f32_e32 v5, v5
	v_cvt_u32_f32_e32 v3, v3
	v_ashrrev_i32_e32 v1, 31, v1
	v_xor_b32_e32 v5, v5, v1
	v_xor_b32_e32 v3, v3, v1
	v_sub_co_u32_e32 v17, vcc, v5, v1
	v_subb_co_u32_e32 v18, vcc, v3, v1, vcc
.LBB215_2137:
	s_or_b64 exec, exec, s[16:17]
.LBB215_2138:
	s_mov_b64 s[16:17], -1
.LBB215_2139:
	s_mov_b64 s[18:19], 0
.LBB215_2140:
	s_and_b64 vcc, exec, s[18:19]
	s_cbranch_vccz .LBB215_2169
; %bb.2141:
	s_cmp_gt_i32 s23, 22
	s_cbranch_scc0 .LBB215_2151
; %bb.2142:
	s_cmp_lt_i32 s23, 24
	s_cbranch_scc1 .LBB215_2152
; %bb.2143:
	s_cmp_gt_i32 s23, 24
	s_cbranch_scc0 .LBB215_2153
; %bb.2144:
	global_load_ubyte v1, v[20:21], off
	s_movk_i32 s6, 0x7f
	s_mov_b64 s[16:17], 0
	s_waitcnt vmcnt(0)
	v_cmp_lt_i16_e32 vcc, s6, v1
	s_and_saveexec_b64 s[6:7], vcc
	s_xor_b64 s[6:7], exec, s[6:7]
; %bb.2145:
	s_movk_i32 s16, 0x80
	v_cmp_ne_u16_e32 vcc, s16, v1
	s_and_b64 s[16:17], vcc, exec
; %bb.2146:
	s_andn2_saveexec_b64 s[6:7], s[6:7]
; %bb.2147:
	v_cmp_ne_u16_e32 vcc, 0, v1
	s_andn2_b64 s[16:17], s[16:17], exec
	s_and_b64 s[18:19], vcc, exec
	s_or_b64 s[16:17], s[16:17], s[18:19]
; %bb.2148:
	s_or_b64 exec, exec, s[6:7]
	v_mov_b32_e32 v17, 0
	v_mov_b32_e32 v18, 0
	s_and_saveexec_b64 s[6:7], s[16:17]
	s_cbranch_execz .LBB215_2150
; %bb.2149:
	v_lshlrev_b32_e32 v3, 24, v1
	v_and_b32_e32 v1, 0xffff, v1
	v_and_b32_e32 v5, 3, v1
	v_ffbh_u32_e32 v18, v5
	v_min_u32_e32 v18, 32, v18
	v_subrev_u32_e32 v22, 29, v18
	v_bfe_u32 v17, v1, 2, 5
	v_lshlrev_b32_e32 v1, v22, v1
	v_sub_u32_e32 v18, 30, v18
	v_and_b32_e32 v1, 3, v1
	v_cmp_eq_u32_e32 vcc, 0, v17
	v_cndmask_b32_e32 v17, v17, v18, vcc
	v_cndmask_b32_e32 v1, v5, v1, vcc
	v_mov_b32_e32 v5, 0x37800000
	v_lshlrev_b32_e32 v1, 21, v1
	v_and_b32_e32 v3, 0x80000000, v3
	v_lshl_add_u32 v5, v17, 23, v5
	v_or3_b32 v1, v3, v5, v1
	v_trunc_f32_e32 v1, v1
	s_mov_b32 s16, 0x2f800000
	v_mul_f32_e64 v3, |v1|, s16
	v_floor_f32_e32 v3, v3
	s_mov_b32 s16, 0xcf800000
	v_fma_f32 v5, v3, s16, |v1|
	v_cvt_u32_f32_e32 v5, v5
	v_cvt_u32_f32_e32 v3, v3
	v_ashrrev_i32_e32 v1, 31, v1
	v_xor_b32_e32 v5, v5, v1
	v_xor_b32_e32 v3, v3, v1
	v_sub_co_u32_e32 v17, vcc, v5, v1
	v_subb_co_u32_e32 v18, vcc, v3, v1, vcc
.LBB215_2150:
	s_or_b64 exec, exec, s[6:7]
	s_mov_b64 s[6:7], 0
	s_branch .LBB215_2154
.LBB215_2151:
	s_mov_b64 s[6:7], -1
                                        ; implicit-def: $vgpr17_vgpr18
	s_branch .LBB215_2160
.LBB215_2152:
	s_mov_b64 s[6:7], -1
                                        ; implicit-def: $vgpr17_vgpr18
	s_branch .LBB215_2157
.LBB215_2153:
	s_mov_b64 s[6:7], -1
                                        ; implicit-def: $vgpr17_vgpr18
.LBB215_2154:
	s_and_b64 vcc, exec, s[6:7]
	s_cbranch_vccz .LBB215_2156
; %bb.2155:
	global_load_ubyte v1, v[20:21], off
	s_mov_b32 s6, 0x7f800000
	s_brev_b32 s7, 1
	s_mov_b32 s16, 0x2f800000
	s_mov_b32 s17, 0xcf800000
	s_waitcnt vmcnt(0)
	v_lshlrev_b32_e32 v1, 24, v1
	v_and_b32_e32 v3, 0x7f000000, v1
	v_ffbh_u32_e32 v5, v3
	v_min_u32_e32 v5, 32, v5
	v_sub_u32_e64 v5, v5, 4 clamp
	v_lshlrev_b32_e32 v18, v5, v3
	v_lshlrev_b32_e32 v5, 23, v5
	v_lshrrev_b32_e32 v18, 4, v18
	v_add_u32_e32 v17, 0x1000000, v3
	v_sub_u32_e32 v5, v18, v5
	v_ashrrev_i32_e32 v17, 8, v17
	v_add_u32_e32 v5, 0x3c000000, v5
	v_and_or_b32 v5, v17, s6, v5
	v_cmp_ne_u32_e32 vcc, 0, v3
	v_cndmask_b32_e32 v3, 0, v5, vcc
	v_and_or_b32 v1, v1, s7, v3
	v_trunc_f32_e32 v1, v1
	v_mul_f32_e64 v3, |v1|, s16
	v_floor_f32_e32 v3, v3
	v_fma_f32 v5, v3, s17, |v1|
	v_cvt_u32_f32_e32 v5, v5
	v_cvt_u32_f32_e32 v3, v3
	v_ashrrev_i32_e32 v1, 31, v1
	v_xor_b32_e32 v5, v5, v1
	v_xor_b32_e32 v3, v3, v1
	v_sub_co_u32_e32 v17, vcc, v5, v1
	v_subb_co_u32_e32 v18, vcc, v3, v1, vcc
.LBB215_2156:
	s_mov_b64 s[6:7], 0
.LBB215_2157:
	s_andn2_b64 vcc, exec, s[6:7]
	s_cbranch_vccnz .LBB215_2159
; %bb.2158:
	global_load_ubyte v1, v[20:21], off
	s_movk_i32 s6, 0x7f00
	s_brev_b32 s7, 16
	s_brev_b32 s16, 1
	s_mov_b32 s17, 0x2f800000
	s_mov_b32 s18, 0xcf800000
	s_waitcnt vmcnt(0)
	v_lshlrev_b16_e32 v3, 8, v1
	v_lshlrev_b32_e32 v1, 25, v1
	v_lshrrev_b32_e32 v5, 4, v1
	v_and_or_b32 v17, v3, s6, 0.5
	v_or_b32_e32 v5, 0x70000000, v5
	v_add_f32_e32 v17, -0.5, v17
	v_mul_f32_e32 v5, 0x7800000, v5
	v_cmp_gt_u32_e32 vcc, s7, v1
	v_bfe_i32 v3, v3, 0, 16
	v_cndmask_b32_e32 v1, v5, v17, vcc
	v_and_or_b32 v1, v3, s16, v1
	v_trunc_f32_e32 v1, v1
	v_mul_f32_e64 v3, |v1|, s17
	v_floor_f32_e32 v3, v3
	v_fma_f32 v5, v3, s18, |v1|
	v_cvt_u32_f32_e32 v5, v5
	v_cvt_u32_f32_e32 v3, v3
	v_ashrrev_i32_e32 v1, 31, v1
	v_xor_b32_e32 v5, v5, v1
	v_xor_b32_e32 v3, v3, v1
	v_sub_co_u32_e32 v17, vcc, v5, v1
	v_subb_co_u32_e32 v18, vcc, v3, v1, vcc
.LBB215_2159:
	s_mov_b64 s[6:7], 0
	s_mov_b64 s[16:17], -1
.LBB215_2160:
	s_andn2_b64 vcc, exec, s[6:7]
	s_mov_b64 s[6:7], 0
	s_cbranch_vccnz .LBB215_2169
; %bb.2161:
	s_cmp_gt_i32 s23, 14
	s_cbranch_scc0 .LBB215_2164
; %bb.2162:
	s_cmp_eq_u32 s23, 15
	s_cbranch_scc0 .LBB215_2165
; %bb.2163:
	global_load_ushort v1, v[20:21], off
	s_mov_b32 s2, 0x2f800000
	s_mov_b32 s3, 0xcf800000
	s_mov_b64 s[16:17], -1
	s_waitcnt vmcnt(0)
	v_lshlrev_b32_e32 v1, 16, v1
	v_trunc_f32_e32 v1, v1
	v_mul_f32_e64 v3, |v1|, s2
	v_floor_f32_e32 v3, v3
	v_fma_f32 v5, v3, s3, |v1|
	v_cvt_u32_f32_e32 v5, v5
	v_cvt_u32_f32_e32 v3, v3
	v_ashrrev_i32_e32 v1, 31, v1
	s_mov_b64 s[2:3], 0
	v_xor_b32_e32 v5, v5, v1
	v_xor_b32_e32 v3, v3, v1
	v_sub_co_u32_e32 v17, vcc, v5, v1
	v_subb_co_u32_e32 v18, vcc, v3, v1, vcc
	s_branch .LBB215_2166
.LBB215_2164:
	s_mov_b64 s[18:19], -1
                                        ; implicit-def: $vgpr17_vgpr18
	s_branch .LBB215_2167
.LBB215_2165:
	s_mov_b64 s[2:3], -1
                                        ; implicit-def: $vgpr17_vgpr18
.LBB215_2166:
	s_mov_b64 s[18:19], 0
.LBB215_2167:
	s_and_b64 vcc, exec, s[18:19]
	s_cbranch_vccz .LBB215_2169
; %bb.2168:
	s_cmp_lg_u32 s23, 11
	s_mov_b64 s[6:7], -1
	s_cselect_b64 s[2:3], -1, 0
.LBB215_2169:
	s_and_b64 vcc, exec, s[2:3]
	s_cbranch_vccnz .LBB215_2234
; %bb.2170:
	s_andn2_b64 vcc, exec, s[6:7]
	s_cbranch_vccnz .LBB215_2172
.LBB215_2171:
	global_load_ubyte v1, v[20:21], off
	s_mov_b32 s2, 0
	s_waitcnt vmcnt(1)
	v_mov_b32_e32 v18, s2
	s_mov_b64 s[16:17], -1
	s_waitcnt vmcnt(0)
	v_cmp_ne_u16_e32 vcc, 0, v1
	v_cndmask_b32_e64 v17, 0, 1, vcc
.LBB215_2172:
	s_mov_b64 s[2:3], 0
.LBB215_2173:
	s_and_b64 vcc, exec, s[2:3]
	s_cbranch_vccz .LBB215_2222
; %bb.2174:
	s_and_b32 s6, 0xffff, s22
	s_cmp_lt_i32 s6, 5
	s_cbranch_scc1 .LBB215_2179
; %bb.2175:
	s_cmp_lt_i32 s6, 8
	s_cbranch_scc1 .LBB215_2180
; %bb.2176:
	;; [unrolled: 3-line block ×3, first 2 shown]
	s_cmp_gt_i32 s6, 9
	s_cbranch_scc0 .LBB215_2182
; %bb.2178:
	global_load_dwordx2 v[17:18], v[20:21], off
	s_movk_i32 s2, 0xffe0
	s_waitcnt vmcnt(0)
	v_trunc_f64_e32 v[17:18], v[17:18]
	v_ldexp_f64 v[22:23], v[17:18], s2
	s_mov_b32 s2, 0
	s_mov_b32 s3, 0xc1f00000
	v_floor_f64_e32 v[22:23], v[22:23]
	v_fma_f64 v[24:25], v[22:23], s[2:3], v[17:18]
	v_cvt_i32_f64_e32 v18, v[22:23]
	s_mov_b64 s[2:3], 0
	v_cvt_u32_f64_e32 v17, v[24:25]
	s_branch .LBB215_2183
.LBB215_2179:
	s_mov_b64 s[2:3], -1
                                        ; implicit-def: $vgpr17_vgpr18
	s_branch .LBB215_2201
.LBB215_2180:
	s_mov_b64 s[2:3], -1
                                        ; implicit-def: $vgpr17_vgpr18
	s_branch .LBB215_2189
.LBB215_2181:
	s_mov_b64 s[2:3], -1
                                        ; implicit-def: $vgpr17_vgpr18
	s_branch .LBB215_2186
.LBB215_2182:
	s_mov_b64 s[2:3], -1
                                        ; implicit-def: $vgpr17_vgpr18
.LBB215_2183:
	s_andn2_b64 vcc, exec, s[2:3]
	s_cbranch_vccnz .LBB215_2185
; %bb.2184:
	global_load_dword v1, v[20:21], off
	s_mov_b32 s2, 0x2f800000
	s_mov_b32 s3, 0xcf800000
	s_waitcnt vmcnt(0)
	v_trunc_f32_e32 v1, v1
	v_mul_f32_e64 v3, |v1|, s2
	v_floor_f32_e32 v3, v3
	v_cvt_u32_f32_e32 v5, v3
	v_fma_f32 v3, v3, s3, |v1|
	v_cvt_u32_f32_e32 v3, v3
	v_ashrrev_i32_e32 v1, 31, v1
	v_xor_b32_e32 v5, v5, v1
	v_xor_b32_e32 v3, v3, v1
	v_sub_co_u32_e32 v17, vcc, v3, v1
	v_subb_co_u32_e32 v18, vcc, v5, v1, vcc
.LBB215_2185:
	s_mov_b64 s[2:3], 0
.LBB215_2186:
	s_andn2_b64 vcc, exec, s[2:3]
	s_cbranch_vccnz .LBB215_2188
; %bb.2187:
	global_load_dword v1, v[20:21], off
	s_waitcnt vmcnt(0)
	v_cvt_f32_f16_e32 v1, v1
	v_cvt_i32_f32_e32 v17, v1
	v_ashrrev_i32_e32 v18, 31, v17
.LBB215_2188:
	s_mov_b64 s[2:3], 0
.LBB215_2189:
	s_andn2_b64 vcc, exec, s[2:3]
	s_cbranch_vccnz .LBB215_2200
; %bb.2190:
	s_cmp_lt_i32 s6, 6
	s_cbranch_scc1 .LBB215_2193
; %bb.2191:
	s_cmp_gt_i32 s6, 6
	s_cbranch_scc0 .LBB215_2194
; %bb.2192:
	global_load_dwordx2 v[17:18], v[20:21], off
	s_movk_i32 s2, 0xffe0
	s_waitcnt vmcnt(0)
	v_trunc_f64_e32 v[17:18], v[17:18]
	v_ldexp_f64 v[22:23], v[17:18], s2
	s_mov_b32 s2, 0
	s_mov_b32 s3, 0xc1f00000
	v_floor_f64_e32 v[22:23], v[22:23]
	v_fma_f64 v[24:25], v[22:23], s[2:3], v[17:18]
	v_cvt_i32_f64_e32 v18, v[22:23]
	s_mov_b64 s[2:3], 0
	v_cvt_u32_f64_e32 v17, v[24:25]
	s_branch .LBB215_2195
.LBB215_2193:
	s_mov_b64 s[2:3], -1
                                        ; implicit-def: $vgpr17_vgpr18
	s_branch .LBB215_2198
.LBB215_2194:
	s_mov_b64 s[2:3], -1
                                        ; implicit-def: $vgpr17_vgpr18
.LBB215_2195:
	s_andn2_b64 vcc, exec, s[2:3]
	s_cbranch_vccnz .LBB215_2197
; %bb.2196:
	global_load_dword v1, v[20:21], off
	s_mov_b32 s2, 0x2f800000
	s_mov_b32 s3, 0xcf800000
	s_waitcnt vmcnt(0)
	v_trunc_f32_e32 v1, v1
	v_mul_f32_e64 v3, |v1|, s2
	v_floor_f32_e32 v3, v3
	v_cvt_u32_f32_e32 v5, v3
	v_fma_f32 v3, v3, s3, |v1|
	v_cvt_u32_f32_e32 v3, v3
	v_ashrrev_i32_e32 v1, 31, v1
	v_xor_b32_e32 v5, v5, v1
	v_xor_b32_e32 v3, v3, v1
	v_sub_co_u32_e32 v17, vcc, v3, v1
	v_subb_co_u32_e32 v18, vcc, v5, v1, vcc
.LBB215_2197:
	s_mov_b64 s[2:3], 0
.LBB215_2198:
	s_andn2_b64 vcc, exec, s[2:3]
	s_cbranch_vccnz .LBB215_2200
; %bb.2199:
	global_load_ushort v1, v[20:21], off
	s_waitcnt vmcnt(0)
	v_cvt_f32_f16_e32 v1, v1
	v_cvt_i32_f32_e32 v17, v1
	v_ashrrev_i32_e32 v18, 31, v17
.LBB215_2200:
	s_mov_b64 s[2:3], 0
.LBB215_2201:
	s_andn2_b64 vcc, exec, s[2:3]
	s_cbranch_vccnz .LBB215_2221
; %bb.2202:
	s_cmp_lt_i32 s6, 2
	s_cbranch_scc1 .LBB215_2206
; %bb.2203:
	s_cmp_lt_i32 s6, 3
	s_cbranch_scc1 .LBB215_2207
; %bb.2204:
	s_cmp_gt_i32 s6, 3
	s_cbranch_scc0 .LBB215_2208
; %bb.2205:
	global_load_dwordx2 v[17:18], v[20:21], off
	s_mov_b64 s[2:3], 0
	s_branch .LBB215_2209
.LBB215_2206:
	s_mov_b64 s[2:3], -1
                                        ; implicit-def: $vgpr17_vgpr18
	s_branch .LBB215_2215
.LBB215_2207:
	s_mov_b64 s[2:3], -1
                                        ; implicit-def: $vgpr17_vgpr18
	s_branch .LBB215_2212
.LBB215_2208:
	s_mov_b64 s[2:3], -1
                                        ; implicit-def: $vgpr17_vgpr18
.LBB215_2209:
	s_andn2_b64 vcc, exec, s[2:3]
	s_cbranch_vccnz .LBB215_2211
; %bb.2210:
	global_load_dword v17, v[20:21], off
	s_waitcnt vmcnt(0)
	v_ashrrev_i32_e32 v18, 31, v17
.LBB215_2211:
	s_mov_b64 s[2:3], 0
.LBB215_2212:
	s_andn2_b64 vcc, exec, s[2:3]
	s_cbranch_vccnz .LBB215_2214
; %bb.2213:
	global_load_ushort v1, v[20:21], off
	s_waitcnt vmcnt(0)
	v_bfe_i32 v17, v1, 0, 16
	v_ashrrev_i32_e32 v18, 31, v17
.LBB215_2214:
	s_mov_b64 s[2:3], 0
.LBB215_2215:
	s_andn2_b64 vcc, exec, s[2:3]
	s_cbranch_vccnz .LBB215_2221
; %bb.2216:
	s_cmp_gt_i32 s6, 0
	s_cbranch_scc0 .LBB215_2218
; %bb.2217:
	global_load_sbyte v1, v[20:21], off
	s_mov_b64 s[2:3], 0
	s_waitcnt vmcnt(0)
	v_bfe_i32 v17, v1, 0, 16
	v_ashrrev_i32_e32 v18, 31, v17
	s_branch .LBB215_2219
.LBB215_2218:
	s_mov_b64 s[2:3], -1
                                        ; implicit-def: $vgpr17_vgpr18
.LBB215_2219:
	s_andn2_b64 vcc, exec, s[2:3]
	s_cbranch_vccnz .LBB215_2221
; %bb.2220:
	global_load_ubyte v1, v[20:21], off
	s_mov_b32 s2, 0
	s_waitcnt vmcnt(1)
	v_mov_b32_e32 v18, s2
	s_waitcnt vmcnt(0)
	v_and_b32_e32 v17, 0xffff, v1
.LBB215_2221:
	s_mov_b64 s[16:17], -1
.LBB215_2222:
	s_andn2_b64 vcc, exec, s[16:17]
	s_cbranch_vccnz .LBB215_3036
; %bb.2223:
	v_mov_b32_e32 v1, s1
	v_add_co_u32_e32 v21, vcc, s0, v19
	s_cmp_lt_i32 s21, 11
	v_addc_co_u32_e32 v22, vcc, 0, v1, vcc
	s_cbranch_scc1 .LBB215_2230
; %bb.2224:
	s_cmp_gt_i32 s21, 25
	s_mov_b64 s[6:7], 0
	s_cbranch_scc0 .LBB215_2231
; %bb.2225:
	s_cmp_gt_i32 s21, 28
	s_cbranch_scc0 .LBB215_2232
; %bb.2226:
	s_cmp_gt_i32 s21, 43
	;; [unrolled: 3-line block ×3, first 2 shown]
	s_cbranch_scc0 .LBB215_2235
; %bb.2228:
	s_cmp_eq_u32 s21, 46
	s_mov_b64 s[18:19], 0
	s_cbranch_scc0 .LBB215_2238
; %bb.2229:
	global_load_dword v1, v[21:22], off
	s_mov_b32 s2, 0x2f800000
	s_mov_b32 s3, 0xcf800000
	s_mov_b64 s[16:17], -1
	s_waitcnt vmcnt(0)
	v_lshlrev_b32_e32 v1, 16, v1
	v_trunc_f32_e32 v1, v1
	v_mul_f32_e64 v3, |v1|, s2
	v_floor_f32_e32 v3, v3
	v_fma_f32 v5, v3, s3, |v1|
	v_cvt_u32_f32_e32 v5, v5
	v_cvt_u32_f32_e32 v3, v3
	v_ashrrev_i32_e32 v1, 31, v1
	s_mov_b64 s[2:3], 0
	v_xor_b32_e32 v5, v5, v1
	v_xor_b32_e32 v3, v3, v1
	v_sub_co_u32_e32 v19, vcc, v5, v1
	v_subb_co_u32_e32 v20, vcc, v3, v1, vcc
	s_branch .LBB215_2239
.LBB215_2230:
	s_mov_b64 s[2:3], -1
	s_mov_b64 s[16:17], 0
                                        ; implicit-def: $vgpr19_vgpr20
	s_branch .LBB215_2301
.LBB215_2231:
	s_mov_b64 s[18:19], -1
	s_mov_b64 s[16:17], 0
	s_mov_b64 s[2:3], 0
                                        ; implicit-def: $vgpr19_vgpr20
	s_branch .LBB215_2268
.LBB215_2232:
	s_mov_b64 s[18:19], -1
	s_mov_b64 s[16:17], 0
	s_mov_b64 s[2:3], 0
                                        ; implicit-def: $vgpr19_vgpr20
	s_branch .LBB215_2249
.LBB215_2233:
	s_mov_b64 s[18:19], -1
	s_mov_b64 s[16:17], 0
	s_mov_b64 s[2:3], 0
                                        ; implicit-def: $vgpr19_vgpr20
	s_branch .LBB215_2244
.LBB215_2234:
	s_trap 2
	s_or_b64 s[4:5], s[4:5], exec
	s_cbranch_execz .LBB215_2171
	s_branch .LBB215_2172
.LBB215_2235:
	s_mov_b64 s[18:19], -1
	s_mov_b64 s[16:17], 0
	s_mov_b64 s[2:3], 0
                                        ; implicit-def: $vgpr19_vgpr20
	s_branch .LBB215_2239
.LBB215_2236:
	s_andn2_saveexec_b64 s[62:63], s[62:63]
	s_cbranch_execz .LBB215_1095
.LBB215_2237:
	s_mov_b32 s67, 0x42800000
	v_add_f32_e64 v5, |v0|, s67
	v_and_b32_e32 v5, 0xff, v5
	v_cmp_ne_u32_e32 vcc, 0, v5
	s_andn2_b64 s[60:61], s[60:61], exec
	s_and_b64 s[74:75], vcc, exec
	s_or_b64 s[60:61], s[60:61], s[74:75]
	s_or_b64 exec, exec, s[62:63]
	v_mov_b32_e32 v6, 0
	s_and_saveexec_b64 s[62:63], s[60:61]
	s_cbranch_execnz .LBB215_1096
	s_branch .LBB215_1097
.LBB215_2238:
	s_mov_b64 s[2:3], -1
                                        ; implicit-def: $vgpr19_vgpr20
	s_mov_b64 s[16:17], 0
.LBB215_2239:
	s_and_b64 vcc, exec, s[18:19]
	s_cbranch_vccz .LBB215_2243
; %bb.2240:
	s_cmp_eq_u32 s21, 44
	s_cbranch_scc0 .LBB215_2242
; %bb.2241:
	global_load_ubyte v1, v[21:22], off
	s_mov_b32 s2, 0x2f800000
	s_mov_b32 s3, 0xcf800000
	s_mov_b64 s[16:17], -1
	s_waitcnt vmcnt(0)
	v_lshlrev_b32_e32 v3, 23, v1
	v_trunc_f32_e32 v3, v3
	v_mul_f32_e64 v5, |v3|, s2
	v_floor_f32_e32 v5, v5
	v_fma_f32 v19, v5, s3, |v3|
	v_cvt_u32_f32_e32 v19, v19
	v_cvt_u32_f32_e32 v5, v5
	v_ashrrev_i32_e32 v3, 31, v3
	s_mov_b64 s[2:3], 0
	v_xor_b32_e32 v19, v19, v3
	v_xor_b32_e32 v5, v5, v3
	v_sub_co_u32_e32 v19, vcc, v19, v3
	v_subb_co_u32_e32 v3, vcc, v5, v3, vcc
	v_cmp_ne_u32_e32 vcc, 0, v1
	v_cndmask_b32_e32 v20, 0, v3, vcc
	v_cndmask_b32_e32 v19, 0, v19, vcc
	s_branch .LBB215_2243
.LBB215_2242:
	s_mov_b64 s[2:3], -1
                                        ; implicit-def: $vgpr19_vgpr20
.LBB215_2243:
	s_mov_b64 s[18:19], 0
.LBB215_2244:
	s_and_b64 vcc, exec, s[18:19]
	s_cbranch_vccz .LBB215_2248
; %bb.2245:
	s_cmp_eq_u32 s21, 29
	s_cbranch_scc0 .LBB215_2247
; %bb.2246:
	global_load_dwordx2 v[19:20], v[21:22], off
	s_mov_b64 s[2:3], 0
	s_mov_b64 s[16:17], -1
	s_branch .LBB215_2248
.LBB215_2247:
	s_mov_b64 s[2:3], -1
                                        ; implicit-def: $vgpr19_vgpr20
.LBB215_2248:
	s_mov_b64 s[18:19], 0
.LBB215_2249:
	s_and_b64 vcc, exec, s[18:19]
	s_cbranch_vccz .LBB215_2267
; %bb.2250:
	s_cmp_lt_i32 s21, 27
	s_cbranch_scc1 .LBB215_2253
; %bb.2251:
	s_cmp_gt_i32 s21, 27
	s_cbranch_scc0 .LBB215_2254
; %bb.2252:
	global_load_dword v19, v[21:22], off
	s_waitcnt vmcnt(1)
	v_mov_b32_e32 v20, 0
	s_mov_b64 s[16:17], 0
	s_branch .LBB215_2255
.LBB215_2253:
	s_mov_b64 s[16:17], -1
                                        ; implicit-def: $vgpr19_vgpr20
	s_branch .LBB215_2258
.LBB215_2254:
	s_mov_b64 s[16:17], -1
                                        ; implicit-def: $vgpr19_vgpr20
.LBB215_2255:
	s_andn2_b64 vcc, exec, s[16:17]
	s_cbranch_vccnz .LBB215_2257
; %bb.2256:
	global_load_ushort v1, v[21:22], off
	s_mov_b32 s16, 0
	s_waitcnt vmcnt(1)
	v_mov_b32_e32 v20, s16
	s_waitcnt vmcnt(0)
	v_and_b32_e32 v19, 0xffff, v1
.LBB215_2257:
	s_mov_b64 s[16:17], 0
.LBB215_2258:
	s_andn2_b64 vcc, exec, s[16:17]
	s_cbranch_vccnz .LBB215_2266
; %bb.2259:
	global_load_ubyte v1, v[21:22], off
	s_movk_i32 s16, 0x7f
	s_mov_b64 s[18:19], 0
	s_waitcnt vmcnt(0)
	v_cmp_lt_i16_e32 vcc, s16, v1
	s_and_saveexec_b64 s[16:17], vcc
	s_xor_b64 s[16:17], exec, s[16:17]
; %bb.2260:
	s_movk_i32 s18, 0x80
	v_cmp_ne_u16_e32 vcc, s18, v1
	s_and_b64 s[18:19], vcc, exec
; %bb.2261:
	s_andn2_saveexec_b64 s[16:17], s[16:17]
; %bb.2262:
	v_cmp_ne_u16_e32 vcc, 0, v1
	s_andn2_b64 s[18:19], s[18:19], exec
	s_and_b64 s[24:25], vcc, exec
	s_or_b64 s[18:19], s[18:19], s[24:25]
; %bb.2263:
	s_or_b64 exec, exec, s[16:17]
	v_mov_b32_e32 v19, 0
	v_mov_b32_e32 v20, 0
	s_and_saveexec_b64 s[16:17], s[18:19]
	s_cbranch_execz .LBB215_2265
; %bb.2264:
	v_lshlrev_b32_e32 v3, 24, v1
	v_and_b32_e32 v1, 0xffff, v1
	v_and_b32_e32 v5, 7, v1
	v_ffbh_u32_e32 v20, v5
	v_min_u32_e32 v20, 32, v20
	v_subrev_u32_e32 v23, 28, v20
	v_bfe_u32 v19, v1, 3, 4
	v_lshlrev_b32_e32 v1, v23, v1
	v_sub_u32_e32 v20, 29, v20
	v_and_b32_e32 v1, 7, v1
	v_cmp_eq_u32_e32 vcc, 0, v19
	v_cndmask_b32_e32 v19, v19, v20, vcc
	v_cndmask_b32_e32 v1, v5, v1, vcc
	v_mov_b32_e32 v5, 0x3b800000
	v_lshlrev_b32_e32 v1, 20, v1
	v_and_b32_e32 v3, 0x80000000, v3
	v_lshl_add_u32 v5, v19, 23, v5
	v_or3_b32 v1, v3, v5, v1
	v_trunc_f32_e32 v1, v1
	s_mov_b32 s18, 0x2f800000
	v_mul_f32_e64 v3, |v1|, s18
	v_floor_f32_e32 v3, v3
	s_mov_b32 s18, 0xcf800000
	v_fma_f32 v5, v3, s18, |v1|
	v_cvt_u32_f32_e32 v5, v5
	v_cvt_u32_f32_e32 v3, v3
	v_ashrrev_i32_e32 v1, 31, v1
	v_xor_b32_e32 v5, v5, v1
	v_xor_b32_e32 v3, v3, v1
	v_sub_co_u32_e32 v19, vcc, v5, v1
	v_subb_co_u32_e32 v20, vcc, v3, v1, vcc
.LBB215_2265:
	s_or_b64 exec, exec, s[16:17]
.LBB215_2266:
	s_mov_b64 s[16:17], -1
.LBB215_2267:
	s_mov_b64 s[18:19], 0
.LBB215_2268:
	s_and_b64 vcc, exec, s[18:19]
	s_cbranch_vccz .LBB215_2297
; %bb.2269:
	s_cmp_gt_i32 s21, 22
	s_cbranch_scc0 .LBB215_2279
; %bb.2270:
	s_cmp_lt_i32 s21, 24
	s_cbranch_scc1 .LBB215_2280
; %bb.2271:
	s_cmp_gt_i32 s21, 24
	s_cbranch_scc0 .LBB215_2281
; %bb.2272:
	global_load_ubyte v1, v[21:22], off
	s_movk_i32 s6, 0x7f
	s_mov_b64 s[16:17], 0
	s_waitcnt vmcnt(0)
	v_cmp_lt_i16_e32 vcc, s6, v1
	s_and_saveexec_b64 s[6:7], vcc
	s_xor_b64 s[6:7], exec, s[6:7]
; %bb.2273:
	s_movk_i32 s16, 0x80
	v_cmp_ne_u16_e32 vcc, s16, v1
	s_and_b64 s[16:17], vcc, exec
; %bb.2274:
	s_andn2_saveexec_b64 s[6:7], s[6:7]
; %bb.2275:
	v_cmp_ne_u16_e32 vcc, 0, v1
	s_andn2_b64 s[16:17], s[16:17], exec
	s_and_b64 s[18:19], vcc, exec
	s_or_b64 s[16:17], s[16:17], s[18:19]
; %bb.2276:
	s_or_b64 exec, exec, s[6:7]
	v_mov_b32_e32 v19, 0
	v_mov_b32_e32 v20, 0
	s_and_saveexec_b64 s[6:7], s[16:17]
	s_cbranch_execz .LBB215_2278
; %bb.2277:
	v_lshlrev_b32_e32 v3, 24, v1
	v_and_b32_e32 v1, 0xffff, v1
	v_and_b32_e32 v5, 3, v1
	v_ffbh_u32_e32 v20, v5
	v_min_u32_e32 v20, 32, v20
	v_subrev_u32_e32 v23, 29, v20
	v_bfe_u32 v19, v1, 2, 5
	v_lshlrev_b32_e32 v1, v23, v1
	v_sub_u32_e32 v20, 30, v20
	v_and_b32_e32 v1, 3, v1
	v_cmp_eq_u32_e32 vcc, 0, v19
	v_cndmask_b32_e32 v19, v19, v20, vcc
	v_cndmask_b32_e32 v1, v5, v1, vcc
	v_mov_b32_e32 v5, 0x37800000
	v_lshlrev_b32_e32 v1, 21, v1
	v_and_b32_e32 v3, 0x80000000, v3
	v_lshl_add_u32 v5, v19, 23, v5
	v_or3_b32 v1, v3, v5, v1
	v_trunc_f32_e32 v1, v1
	s_mov_b32 s16, 0x2f800000
	v_mul_f32_e64 v3, |v1|, s16
	v_floor_f32_e32 v3, v3
	s_mov_b32 s16, 0xcf800000
	v_fma_f32 v5, v3, s16, |v1|
	v_cvt_u32_f32_e32 v5, v5
	v_cvt_u32_f32_e32 v3, v3
	v_ashrrev_i32_e32 v1, 31, v1
	v_xor_b32_e32 v5, v5, v1
	v_xor_b32_e32 v3, v3, v1
	v_sub_co_u32_e32 v19, vcc, v5, v1
	v_subb_co_u32_e32 v20, vcc, v3, v1, vcc
.LBB215_2278:
	s_or_b64 exec, exec, s[6:7]
	s_mov_b64 s[6:7], 0
	s_branch .LBB215_2282
.LBB215_2279:
	s_mov_b64 s[6:7], -1
                                        ; implicit-def: $vgpr19_vgpr20
	s_branch .LBB215_2288
.LBB215_2280:
	s_mov_b64 s[6:7], -1
                                        ; implicit-def: $vgpr19_vgpr20
	s_branch .LBB215_2285
.LBB215_2281:
	s_mov_b64 s[6:7], -1
                                        ; implicit-def: $vgpr19_vgpr20
.LBB215_2282:
	s_and_b64 vcc, exec, s[6:7]
	s_cbranch_vccz .LBB215_2284
; %bb.2283:
	global_load_ubyte v1, v[21:22], off
	s_mov_b32 s6, 0x7f800000
	s_brev_b32 s7, 1
	s_mov_b32 s16, 0x2f800000
	s_mov_b32 s17, 0xcf800000
	s_waitcnt vmcnt(0)
	v_lshlrev_b32_e32 v1, 24, v1
	v_and_b32_e32 v3, 0x7f000000, v1
	v_ffbh_u32_e32 v5, v3
	v_min_u32_e32 v5, 32, v5
	v_sub_u32_e64 v5, v5, 4 clamp
	v_lshlrev_b32_e32 v20, v5, v3
	v_lshlrev_b32_e32 v5, 23, v5
	v_lshrrev_b32_e32 v20, 4, v20
	v_add_u32_e32 v19, 0x1000000, v3
	v_sub_u32_e32 v5, v20, v5
	v_ashrrev_i32_e32 v19, 8, v19
	v_add_u32_e32 v5, 0x3c000000, v5
	v_and_or_b32 v5, v19, s6, v5
	v_cmp_ne_u32_e32 vcc, 0, v3
	v_cndmask_b32_e32 v3, 0, v5, vcc
	v_and_or_b32 v1, v1, s7, v3
	v_trunc_f32_e32 v1, v1
	v_mul_f32_e64 v3, |v1|, s16
	v_floor_f32_e32 v3, v3
	v_fma_f32 v5, v3, s17, |v1|
	v_cvt_u32_f32_e32 v5, v5
	v_cvt_u32_f32_e32 v3, v3
	v_ashrrev_i32_e32 v1, 31, v1
	v_xor_b32_e32 v5, v5, v1
	v_xor_b32_e32 v3, v3, v1
	v_sub_co_u32_e32 v19, vcc, v5, v1
	v_subb_co_u32_e32 v20, vcc, v3, v1, vcc
.LBB215_2284:
	s_mov_b64 s[6:7], 0
.LBB215_2285:
	s_andn2_b64 vcc, exec, s[6:7]
	s_cbranch_vccnz .LBB215_2287
; %bb.2286:
	global_load_ubyte v1, v[21:22], off
	s_movk_i32 s6, 0x7f00
	s_brev_b32 s7, 16
	s_brev_b32 s16, 1
	s_mov_b32 s17, 0x2f800000
	s_mov_b32 s18, 0xcf800000
	s_waitcnt vmcnt(0)
	v_lshlrev_b16_e32 v3, 8, v1
	v_lshlrev_b32_e32 v1, 25, v1
	v_lshrrev_b32_e32 v5, 4, v1
	v_and_or_b32 v19, v3, s6, 0.5
	v_or_b32_e32 v5, 0x70000000, v5
	v_add_f32_e32 v19, -0.5, v19
	v_mul_f32_e32 v5, 0x7800000, v5
	v_cmp_gt_u32_e32 vcc, s7, v1
	v_bfe_i32 v3, v3, 0, 16
	v_cndmask_b32_e32 v1, v5, v19, vcc
	v_and_or_b32 v1, v3, s16, v1
	v_trunc_f32_e32 v1, v1
	v_mul_f32_e64 v3, |v1|, s17
	v_floor_f32_e32 v3, v3
	v_fma_f32 v5, v3, s18, |v1|
	v_cvt_u32_f32_e32 v5, v5
	v_cvt_u32_f32_e32 v3, v3
	v_ashrrev_i32_e32 v1, 31, v1
	v_xor_b32_e32 v5, v5, v1
	v_xor_b32_e32 v3, v3, v1
	v_sub_co_u32_e32 v19, vcc, v5, v1
	v_subb_co_u32_e32 v20, vcc, v3, v1, vcc
.LBB215_2287:
	s_mov_b64 s[6:7], 0
	s_mov_b64 s[16:17], -1
.LBB215_2288:
	s_andn2_b64 vcc, exec, s[6:7]
	s_mov_b64 s[6:7], 0
	s_cbranch_vccnz .LBB215_2297
; %bb.2289:
	s_cmp_gt_i32 s21, 14
	s_cbranch_scc0 .LBB215_2292
; %bb.2290:
	s_cmp_eq_u32 s21, 15
	s_cbranch_scc0 .LBB215_2293
; %bb.2291:
	global_load_ushort v1, v[21:22], off
	s_mov_b32 s2, 0x2f800000
	s_mov_b32 s3, 0xcf800000
	s_mov_b64 s[16:17], -1
	s_waitcnt vmcnt(0)
	v_lshlrev_b32_e32 v1, 16, v1
	v_trunc_f32_e32 v1, v1
	v_mul_f32_e64 v3, |v1|, s2
	v_floor_f32_e32 v3, v3
	v_fma_f32 v5, v3, s3, |v1|
	v_cvt_u32_f32_e32 v5, v5
	v_cvt_u32_f32_e32 v3, v3
	v_ashrrev_i32_e32 v1, 31, v1
	s_mov_b64 s[2:3], 0
	v_xor_b32_e32 v5, v5, v1
	v_xor_b32_e32 v3, v3, v1
	v_sub_co_u32_e32 v19, vcc, v5, v1
	v_subb_co_u32_e32 v20, vcc, v3, v1, vcc
	s_branch .LBB215_2294
.LBB215_2292:
	s_mov_b64 s[18:19], -1
                                        ; implicit-def: $vgpr19_vgpr20
	s_branch .LBB215_2295
.LBB215_2293:
	s_mov_b64 s[2:3], -1
                                        ; implicit-def: $vgpr19_vgpr20
.LBB215_2294:
	s_mov_b64 s[18:19], 0
.LBB215_2295:
	s_and_b64 vcc, exec, s[18:19]
	s_cbranch_vccz .LBB215_2297
; %bb.2296:
	s_cmp_lg_u32 s21, 11
	s_mov_b64 s[6:7], -1
	s_cselect_b64 s[2:3], -1, 0
.LBB215_2297:
	s_and_b64 vcc, exec, s[2:3]
	s_cbranch_vccnz .LBB215_2362
; %bb.2298:
	s_andn2_b64 vcc, exec, s[6:7]
	s_cbranch_vccnz .LBB215_2300
.LBB215_2299:
	global_load_ubyte v1, v[21:22], off
	s_mov_b32 s2, 0
	s_waitcnt vmcnt(1)
	v_mov_b32_e32 v20, s2
	s_mov_b64 s[16:17], -1
	s_waitcnt vmcnt(0)
	v_cmp_ne_u16_e32 vcc, 0, v1
	v_cndmask_b32_e64 v19, 0, 1, vcc
.LBB215_2300:
	s_mov_b64 s[2:3], 0
.LBB215_2301:
	s_and_b64 vcc, exec, s[2:3]
	s_cbranch_vccz .LBB215_2350
; %bb.2302:
	s_cmp_lt_i32 s21, 5
	s_cbranch_scc1 .LBB215_2307
; %bb.2303:
	s_cmp_lt_i32 s21, 8
	s_cbranch_scc1 .LBB215_2308
	;; [unrolled: 3-line block ×3, first 2 shown]
; %bb.2305:
	s_cmp_gt_i32 s21, 9
	s_cbranch_scc0 .LBB215_2310
; %bb.2306:
	global_load_dwordx2 v[19:20], v[21:22], off
	s_movk_i32 s2, 0xffe0
	s_waitcnt vmcnt(0)
	v_trunc_f64_e32 v[19:20], v[19:20]
	v_ldexp_f64 v[23:24], v[19:20], s2
	s_mov_b32 s2, 0
	s_mov_b32 s3, 0xc1f00000
	v_floor_f64_e32 v[23:24], v[23:24]
	v_fma_f64 v[25:26], v[23:24], s[2:3], v[19:20]
	v_cvt_i32_f64_e32 v20, v[23:24]
	s_mov_b64 s[2:3], 0
	v_cvt_u32_f64_e32 v19, v[25:26]
	s_branch .LBB215_2311
.LBB215_2307:
	s_mov_b64 s[2:3], -1
                                        ; implicit-def: $vgpr19_vgpr20
	s_branch .LBB215_2329
.LBB215_2308:
	s_mov_b64 s[2:3], -1
                                        ; implicit-def: $vgpr19_vgpr20
	s_branch .LBB215_2317
.LBB215_2309:
	s_mov_b64 s[2:3], -1
                                        ; implicit-def: $vgpr19_vgpr20
	s_branch .LBB215_2314
.LBB215_2310:
	s_mov_b64 s[2:3], -1
                                        ; implicit-def: $vgpr19_vgpr20
.LBB215_2311:
	s_andn2_b64 vcc, exec, s[2:3]
	s_cbranch_vccnz .LBB215_2313
; %bb.2312:
	global_load_dword v1, v[21:22], off
	s_mov_b32 s2, 0x2f800000
	s_mov_b32 s3, 0xcf800000
	s_waitcnt vmcnt(0)
	v_trunc_f32_e32 v1, v1
	v_mul_f32_e64 v3, |v1|, s2
	v_floor_f32_e32 v3, v3
	v_cvt_u32_f32_e32 v5, v3
	v_fma_f32 v3, v3, s3, |v1|
	v_cvt_u32_f32_e32 v3, v3
	v_ashrrev_i32_e32 v1, 31, v1
	v_xor_b32_e32 v5, v5, v1
	v_xor_b32_e32 v3, v3, v1
	v_sub_co_u32_e32 v19, vcc, v3, v1
	v_subb_co_u32_e32 v20, vcc, v5, v1, vcc
.LBB215_2313:
	s_mov_b64 s[2:3], 0
.LBB215_2314:
	s_andn2_b64 vcc, exec, s[2:3]
	s_cbranch_vccnz .LBB215_2316
; %bb.2315:
	global_load_dword v1, v[21:22], off
	s_waitcnt vmcnt(0)
	v_cvt_f32_f16_e32 v1, v1
	v_cvt_i32_f32_e32 v19, v1
	v_ashrrev_i32_e32 v20, 31, v19
.LBB215_2316:
	s_mov_b64 s[2:3], 0
.LBB215_2317:
	s_andn2_b64 vcc, exec, s[2:3]
	s_cbranch_vccnz .LBB215_2328
; %bb.2318:
	s_cmp_lt_i32 s21, 6
	s_cbranch_scc1 .LBB215_2321
; %bb.2319:
	s_cmp_gt_i32 s21, 6
	s_cbranch_scc0 .LBB215_2322
; %bb.2320:
	global_load_dwordx2 v[19:20], v[21:22], off
	s_movk_i32 s2, 0xffe0
	s_waitcnt vmcnt(0)
	v_trunc_f64_e32 v[19:20], v[19:20]
	v_ldexp_f64 v[23:24], v[19:20], s2
	s_mov_b32 s2, 0
	s_mov_b32 s3, 0xc1f00000
	v_floor_f64_e32 v[23:24], v[23:24]
	v_fma_f64 v[25:26], v[23:24], s[2:3], v[19:20]
	v_cvt_i32_f64_e32 v20, v[23:24]
	s_mov_b64 s[2:3], 0
	v_cvt_u32_f64_e32 v19, v[25:26]
	s_branch .LBB215_2323
.LBB215_2321:
	s_mov_b64 s[2:3], -1
                                        ; implicit-def: $vgpr19_vgpr20
	s_branch .LBB215_2326
.LBB215_2322:
	s_mov_b64 s[2:3], -1
                                        ; implicit-def: $vgpr19_vgpr20
.LBB215_2323:
	s_andn2_b64 vcc, exec, s[2:3]
	s_cbranch_vccnz .LBB215_2325
; %bb.2324:
	global_load_dword v1, v[21:22], off
	s_mov_b32 s2, 0x2f800000
	s_mov_b32 s3, 0xcf800000
	s_waitcnt vmcnt(0)
	v_trunc_f32_e32 v1, v1
	v_mul_f32_e64 v3, |v1|, s2
	v_floor_f32_e32 v3, v3
	v_cvt_u32_f32_e32 v5, v3
	v_fma_f32 v3, v3, s3, |v1|
	v_cvt_u32_f32_e32 v3, v3
	v_ashrrev_i32_e32 v1, 31, v1
	v_xor_b32_e32 v5, v5, v1
	v_xor_b32_e32 v3, v3, v1
	v_sub_co_u32_e32 v19, vcc, v3, v1
	v_subb_co_u32_e32 v20, vcc, v5, v1, vcc
.LBB215_2325:
	s_mov_b64 s[2:3], 0
.LBB215_2326:
	s_andn2_b64 vcc, exec, s[2:3]
	s_cbranch_vccnz .LBB215_2328
; %bb.2327:
	global_load_ushort v1, v[21:22], off
	s_waitcnt vmcnt(0)
	v_cvt_f32_f16_e32 v1, v1
	v_cvt_i32_f32_e32 v19, v1
	v_ashrrev_i32_e32 v20, 31, v19
.LBB215_2328:
	s_mov_b64 s[2:3], 0
.LBB215_2329:
	s_andn2_b64 vcc, exec, s[2:3]
	s_cbranch_vccnz .LBB215_2349
; %bb.2330:
	s_cmp_lt_i32 s21, 2
	s_cbranch_scc1 .LBB215_2334
; %bb.2331:
	s_cmp_lt_i32 s21, 3
	s_cbranch_scc1 .LBB215_2335
; %bb.2332:
	s_cmp_gt_i32 s21, 3
	s_cbranch_scc0 .LBB215_2336
; %bb.2333:
	global_load_dwordx2 v[19:20], v[21:22], off
	s_mov_b64 s[2:3], 0
	s_branch .LBB215_2337
.LBB215_2334:
	s_mov_b64 s[2:3], -1
                                        ; implicit-def: $vgpr19_vgpr20
	s_branch .LBB215_2343
.LBB215_2335:
	s_mov_b64 s[2:3], -1
                                        ; implicit-def: $vgpr19_vgpr20
	s_branch .LBB215_2340
.LBB215_2336:
	s_mov_b64 s[2:3], -1
                                        ; implicit-def: $vgpr19_vgpr20
.LBB215_2337:
	s_andn2_b64 vcc, exec, s[2:3]
	s_cbranch_vccnz .LBB215_2339
; %bb.2338:
	global_load_dword v19, v[21:22], off
	s_waitcnt vmcnt(0)
	v_ashrrev_i32_e32 v20, 31, v19
.LBB215_2339:
	s_mov_b64 s[2:3], 0
.LBB215_2340:
	s_andn2_b64 vcc, exec, s[2:3]
	s_cbranch_vccnz .LBB215_2342
; %bb.2341:
	global_load_ushort v1, v[21:22], off
	s_waitcnt vmcnt(0)
	v_bfe_i32 v19, v1, 0, 16
	v_ashrrev_i32_e32 v20, 31, v19
.LBB215_2342:
	s_mov_b64 s[2:3], 0
.LBB215_2343:
	s_andn2_b64 vcc, exec, s[2:3]
	s_cbranch_vccnz .LBB215_2349
; %bb.2344:
	s_cmp_gt_i32 s21, 0
	s_cbranch_scc0 .LBB215_2346
; %bb.2345:
	global_load_sbyte v1, v[21:22], off
	s_mov_b64 s[2:3], 0
	s_waitcnt vmcnt(0)
	v_bfe_i32 v19, v1, 0, 16
	v_ashrrev_i32_e32 v20, 31, v19
	s_branch .LBB215_2347
.LBB215_2346:
	s_mov_b64 s[2:3], -1
                                        ; implicit-def: $vgpr19_vgpr20
.LBB215_2347:
	s_andn2_b64 vcc, exec, s[2:3]
	s_cbranch_vccnz .LBB215_2349
; %bb.2348:
	global_load_ubyte v1, v[21:22], off
	s_mov_b32 s2, 0
	s_waitcnt vmcnt(1)
	v_mov_b32_e32 v20, s2
	s_waitcnt vmcnt(0)
	v_and_b32_e32 v19, 0xffff, v1
.LBB215_2349:
	s_mov_b64 s[16:17], -1
.LBB215_2350:
	s_andn2_b64 vcc, exec, s[16:17]
	s_cbranch_vccnz .LBB215_3036
; %bb.2351:
	v_mov_b32_e32 v1, s11
	v_add_co_u32_e32 v23, vcc, s10, v14
	s_cmp_lt_i32 s22, 11
	v_addc_co_u32_e32 v24, vcc, 0, v1, vcc
	s_cbranch_scc1 .LBB215_2358
; %bb.2352:
	s_and_b32 s18, 0xffff, s22
	s_cmp_gt_i32 s18, 25
	s_mov_b64 s[6:7], 0
	s_cbranch_scc0 .LBB215_2359
; %bb.2353:
	s_cmp_gt_i32 s18, 28
	s_cbranch_scc0 .LBB215_2360
; %bb.2354:
	s_cmp_gt_i32 s18, 43
	;; [unrolled: 3-line block ×3, first 2 shown]
	s_cbranch_scc0 .LBB215_2363
; %bb.2356:
	s_cmp_eq_u32 s18, 46
	s_mov_b64 s[16:17], 0
	s_cbranch_scc0 .LBB215_2364
; %bb.2357:
	global_load_dword v1, v[23:24], off
	s_mov_b32 s2, 0x2f800000
	s_mov_b32 s3, 0xcf800000
	s_mov_b64 s[10:11], -1
	s_waitcnt vmcnt(0)
	v_lshlrev_b32_e32 v1, 16, v1
	v_trunc_f32_e32 v1, v1
	v_mul_f32_e64 v3, |v1|, s2
	v_floor_f32_e32 v3, v3
	v_fma_f32 v5, v3, s3, |v1|
	v_cvt_u32_f32_e32 v5, v5
	v_cvt_u32_f32_e32 v3, v3
	v_ashrrev_i32_e32 v1, 31, v1
	s_mov_b64 s[2:3], 0
	v_xor_b32_e32 v5, v5, v1
	v_xor_b32_e32 v3, v3, v1
	v_sub_co_u32_e32 v21, vcc, v5, v1
	v_subb_co_u32_e32 v22, vcc, v3, v1, vcc
	s_branch .LBB215_2365
.LBB215_2358:
	s_mov_b64 s[2:3], -1
	s_mov_b64 s[10:11], 0
                                        ; implicit-def: $vgpr21_vgpr22
	s_branch .LBB215_2427
.LBB215_2359:
	s_mov_b64 s[16:17], -1
	s_mov_b64 s[10:11], 0
	s_mov_b64 s[2:3], 0
                                        ; implicit-def: $vgpr21_vgpr22
	s_branch .LBB215_2394
.LBB215_2360:
	s_mov_b64 s[16:17], -1
	s_mov_b64 s[10:11], 0
	s_mov_b64 s[2:3], 0
                                        ; implicit-def: $vgpr21_vgpr22
	s_branch .LBB215_2375
.LBB215_2361:
	s_mov_b64 s[16:17], -1
	s_mov_b64 s[10:11], 0
	s_mov_b64 s[2:3], 0
                                        ; implicit-def: $vgpr21_vgpr22
	s_branch .LBB215_2370
.LBB215_2362:
	s_trap 2
	s_or_b64 s[4:5], s[4:5], exec
	s_cbranch_execz .LBB215_2299
	s_branch .LBB215_2300
.LBB215_2363:
	s_mov_b64 s[16:17], -1
	s_mov_b64 s[10:11], 0
	s_mov_b64 s[2:3], 0
                                        ; implicit-def: $vgpr21_vgpr22
	s_branch .LBB215_2365
.LBB215_2364:
	s_mov_b64 s[2:3], -1
                                        ; implicit-def: $vgpr21_vgpr22
	s_mov_b64 s[10:11], 0
.LBB215_2365:
	s_and_b64 vcc, exec, s[16:17]
	s_cbranch_vccz .LBB215_2369
; %bb.2366:
	s_cmp_eq_u32 s18, 44
	s_cbranch_scc0 .LBB215_2368
; %bb.2367:
	global_load_ubyte v1, v[23:24], off
	s_mov_b32 s2, 0x2f800000
	s_mov_b32 s3, 0xcf800000
	s_mov_b64 s[10:11], -1
	s_waitcnt vmcnt(0)
	v_lshlrev_b32_e32 v3, 23, v1
	v_trunc_f32_e32 v3, v3
	v_mul_f32_e64 v5, |v3|, s2
	v_floor_f32_e32 v5, v5
	v_fma_f32 v14, v5, s3, |v3|
	v_cvt_u32_f32_e32 v14, v14
	v_cvt_u32_f32_e32 v5, v5
	v_ashrrev_i32_e32 v3, 31, v3
	s_mov_b64 s[2:3], 0
	v_xor_b32_e32 v14, v14, v3
	v_xor_b32_e32 v5, v5, v3
	v_sub_co_u32_e32 v14, vcc, v14, v3
	v_subb_co_u32_e32 v3, vcc, v5, v3, vcc
	v_cmp_ne_u32_e32 vcc, 0, v1
	v_cndmask_b32_e32 v22, 0, v3, vcc
	v_cndmask_b32_e32 v21, 0, v14, vcc
	s_branch .LBB215_2369
.LBB215_2368:
	s_mov_b64 s[2:3], -1
                                        ; implicit-def: $vgpr21_vgpr22
.LBB215_2369:
	s_mov_b64 s[16:17], 0
.LBB215_2370:
	s_and_b64 vcc, exec, s[16:17]
	s_cbranch_vccz .LBB215_2374
; %bb.2371:
	s_cmp_eq_u32 s18, 29
	s_cbranch_scc0 .LBB215_2373
; %bb.2372:
	global_load_dwordx2 v[21:22], v[23:24], off
	s_mov_b64 s[2:3], 0
	s_mov_b64 s[10:11], -1
	s_branch .LBB215_2374
.LBB215_2373:
	s_mov_b64 s[2:3], -1
                                        ; implicit-def: $vgpr21_vgpr22
.LBB215_2374:
	s_mov_b64 s[16:17], 0
.LBB215_2375:
	s_and_b64 vcc, exec, s[16:17]
	s_cbranch_vccz .LBB215_2393
; %bb.2376:
	s_cmp_lt_i32 s18, 27
	s_cbranch_scc1 .LBB215_2379
; %bb.2377:
	s_cmp_gt_i32 s18, 27
	s_cbranch_scc0 .LBB215_2380
; %bb.2378:
	global_load_dword v21, v[23:24], off
	s_waitcnt vmcnt(1)
	v_mov_b32_e32 v22, 0
	s_mov_b64 s[10:11], 0
	s_branch .LBB215_2381
.LBB215_2379:
	s_mov_b64 s[10:11], -1
                                        ; implicit-def: $vgpr21_vgpr22
	s_branch .LBB215_2384
.LBB215_2380:
	s_mov_b64 s[10:11], -1
                                        ; implicit-def: $vgpr21_vgpr22
.LBB215_2381:
	s_andn2_b64 vcc, exec, s[10:11]
	s_cbranch_vccnz .LBB215_2383
; %bb.2382:
	global_load_ushort v1, v[23:24], off
	s_mov_b32 s10, 0
	s_waitcnt vmcnt(1)
	v_mov_b32_e32 v22, s10
	s_waitcnt vmcnt(0)
	v_and_b32_e32 v21, 0xffff, v1
.LBB215_2383:
	s_mov_b64 s[10:11], 0
.LBB215_2384:
	s_andn2_b64 vcc, exec, s[10:11]
	s_cbranch_vccnz .LBB215_2392
; %bb.2385:
	global_load_ubyte v1, v[23:24], off
	s_movk_i32 s10, 0x7f
	s_mov_b64 s[16:17], 0
	s_waitcnt vmcnt(0)
	v_cmp_lt_i16_e32 vcc, s10, v1
	s_and_saveexec_b64 s[10:11], vcc
	s_xor_b64 s[10:11], exec, s[10:11]
; %bb.2386:
	s_movk_i32 s16, 0x80
	v_cmp_ne_u16_e32 vcc, s16, v1
	s_and_b64 s[16:17], vcc, exec
; %bb.2387:
	s_andn2_saveexec_b64 s[10:11], s[10:11]
; %bb.2388:
	v_cmp_ne_u16_e32 vcc, 0, v1
	s_andn2_b64 s[16:17], s[16:17], exec
	s_and_b64 s[24:25], vcc, exec
	s_or_b64 s[16:17], s[16:17], s[24:25]
; %bb.2389:
	s_or_b64 exec, exec, s[10:11]
	v_mov_b32_e32 v21, 0
	v_mov_b32_e32 v22, 0
	s_and_saveexec_b64 s[10:11], s[16:17]
	s_cbranch_execz .LBB215_2391
; %bb.2390:
	v_lshlrev_b32_e32 v3, 24, v1
	v_and_b32_e32 v1, 0xffff, v1
	v_and_b32_e32 v5, 7, v1
	v_ffbh_u32_e32 v21, v5
	v_min_u32_e32 v21, 32, v21
	v_subrev_u32_e32 v22, 28, v21
	v_bfe_u32 v14, v1, 3, 4
	v_lshlrev_b32_e32 v1, v22, v1
	v_sub_u32_e32 v21, 29, v21
	v_and_b32_e32 v1, 7, v1
	v_cmp_eq_u32_e32 vcc, 0, v14
	v_cndmask_b32_e32 v14, v14, v21, vcc
	v_cndmask_b32_e32 v1, v5, v1, vcc
	v_mov_b32_e32 v5, 0x3b800000
	v_lshlrev_b32_e32 v1, 20, v1
	v_and_b32_e32 v3, 0x80000000, v3
	v_lshl_add_u32 v5, v14, 23, v5
	v_or3_b32 v1, v3, v5, v1
	v_trunc_f32_e32 v1, v1
	s_mov_b32 s16, 0x2f800000
	v_mul_f32_e64 v3, |v1|, s16
	v_floor_f32_e32 v3, v3
	s_mov_b32 s16, 0xcf800000
	v_fma_f32 v5, v3, s16, |v1|
	v_cvt_u32_f32_e32 v5, v5
	v_cvt_u32_f32_e32 v3, v3
	v_ashrrev_i32_e32 v1, 31, v1
	v_xor_b32_e32 v5, v5, v1
	v_xor_b32_e32 v3, v3, v1
	v_sub_co_u32_e32 v21, vcc, v5, v1
	v_subb_co_u32_e32 v22, vcc, v3, v1, vcc
.LBB215_2391:
	s_or_b64 exec, exec, s[10:11]
.LBB215_2392:
	s_mov_b64 s[10:11], -1
.LBB215_2393:
	s_mov_b64 s[16:17], 0
.LBB215_2394:
	s_and_b64 vcc, exec, s[16:17]
	s_cbranch_vccz .LBB215_2423
; %bb.2395:
	s_cmp_gt_i32 s18, 22
	s_cbranch_scc0 .LBB215_2405
; %bb.2396:
	s_cmp_lt_i32 s18, 24
	s_cbranch_scc1 .LBB215_2406
; %bb.2397:
	s_cmp_gt_i32 s18, 24
	s_cbranch_scc0 .LBB215_2407
; %bb.2398:
	global_load_ubyte v1, v[23:24], off
	s_movk_i32 s6, 0x7f
	s_mov_b64 s[10:11], 0
	s_waitcnt vmcnt(0)
	v_cmp_lt_i16_e32 vcc, s6, v1
	s_and_saveexec_b64 s[6:7], vcc
	s_xor_b64 s[6:7], exec, s[6:7]
; %bb.2399:
	s_movk_i32 s10, 0x80
	v_cmp_ne_u16_e32 vcc, s10, v1
	s_and_b64 s[10:11], vcc, exec
; %bb.2400:
	s_andn2_saveexec_b64 s[6:7], s[6:7]
; %bb.2401:
	v_cmp_ne_u16_e32 vcc, 0, v1
	s_andn2_b64 s[10:11], s[10:11], exec
	s_and_b64 s[16:17], vcc, exec
	s_or_b64 s[10:11], s[10:11], s[16:17]
; %bb.2402:
	s_or_b64 exec, exec, s[6:7]
	v_mov_b32_e32 v21, 0
	v_mov_b32_e32 v22, 0
	s_and_saveexec_b64 s[6:7], s[10:11]
	s_cbranch_execz .LBB215_2404
; %bb.2403:
	v_lshlrev_b32_e32 v3, 24, v1
	v_and_b32_e32 v1, 0xffff, v1
	v_and_b32_e32 v5, 3, v1
	v_ffbh_u32_e32 v21, v5
	v_min_u32_e32 v21, 32, v21
	v_subrev_u32_e32 v22, 29, v21
	v_bfe_u32 v14, v1, 2, 5
	v_lshlrev_b32_e32 v1, v22, v1
	v_sub_u32_e32 v21, 30, v21
	v_and_b32_e32 v1, 3, v1
	v_cmp_eq_u32_e32 vcc, 0, v14
	v_cndmask_b32_e32 v14, v14, v21, vcc
	v_cndmask_b32_e32 v1, v5, v1, vcc
	v_mov_b32_e32 v5, 0x37800000
	v_lshlrev_b32_e32 v1, 21, v1
	v_and_b32_e32 v3, 0x80000000, v3
	v_lshl_add_u32 v5, v14, 23, v5
	v_or3_b32 v1, v3, v5, v1
	v_trunc_f32_e32 v1, v1
	s_mov_b32 s10, 0x2f800000
	v_mul_f32_e64 v3, |v1|, s10
	v_floor_f32_e32 v3, v3
	s_mov_b32 s10, 0xcf800000
	v_fma_f32 v5, v3, s10, |v1|
	v_cvt_u32_f32_e32 v5, v5
	v_cvt_u32_f32_e32 v3, v3
	v_ashrrev_i32_e32 v1, 31, v1
	v_xor_b32_e32 v5, v5, v1
	v_xor_b32_e32 v3, v3, v1
	v_sub_co_u32_e32 v21, vcc, v5, v1
	v_subb_co_u32_e32 v22, vcc, v3, v1, vcc
.LBB215_2404:
	s_or_b64 exec, exec, s[6:7]
	s_mov_b64 s[6:7], 0
	s_branch .LBB215_2408
.LBB215_2405:
	s_mov_b64 s[6:7], -1
                                        ; implicit-def: $vgpr21_vgpr22
	s_branch .LBB215_2414
.LBB215_2406:
	s_mov_b64 s[6:7], -1
                                        ; implicit-def: $vgpr21_vgpr22
	s_branch .LBB215_2411
.LBB215_2407:
	s_mov_b64 s[6:7], -1
                                        ; implicit-def: $vgpr21_vgpr22
.LBB215_2408:
	s_and_b64 vcc, exec, s[6:7]
	s_cbranch_vccz .LBB215_2410
; %bb.2409:
	global_load_ubyte v1, v[23:24], off
	s_mov_b32 s6, 0x7f800000
	s_brev_b32 s7, 1
	s_mov_b32 s10, 0x2f800000
	s_mov_b32 s11, 0xcf800000
	s_waitcnt vmcnt(0)
	v_lshlrev_b32_e32 v1, 24, v1
	v_and_b32_e32 v3, 0x7f000000, v1
	v_ffbh_u32_e32 v5, v3
	v_min_u32_e32 v5, 32, v5
	v_sub_u32_e64 v5, v5, 4 clamp
	v_lshlrev_b32_e32 v21, v5, v3
	v_lshlrev_b32_e32 v5, 23, v5
	v_lshrrev_b32_e32 v21, 4, v21
	v_add_u32_e32 v14, 0x1000000, v3
	v_sub_u32_e32 v5, v21, v5
	v_ashrrev_i32_e32 v14, 8, v14
	v_add_u32_e32 v5, 0x3c000000, v5
	v_and_or_b32 v5, v14, s6, v5
	v_cmp_ne_u32_e32 vcc, 0, v3
	v_cndmask_b32_e32 v3, 0, v5, vcc
	v_and_or_b32 v1, v1, s7, v3
	v_trunc_f32_e32 v1, v1
	v_mul_f32_e64 v3, |v1|, s10
	v_floor_f32_e32 v3, v3
	v_fma_f32 v5, v3, s11, |v1|
	v_cvt_u32_f32_e32 v5, v5
	v_cvt_u32_f32_e32 v3, v3
	v_ashrrev_i32_e32 v1, 31, v1
	v_xor_b32_e32 v5, v5, v1
	v_xor_b32_e32 v3, v3, v1
	v_sub_co_u32_e32 v21, vcc, v5, v1
	v_subb_co_u32_e32 v22, vcc, v3, v1, vcc
.LBB215_2410:
	s_mov_b64 s[6:7], 0
.LBB215_2411:
	s_andn2_b64 vcc, exec, s[6:7]
	s_cbranch_vccnz .LBB215_2413
; %bb.2412:
	global_load_ubyte v1, v[23:24], off
	s_movk_i32 s6, 0x7f00
	s_brev_b32 s7, 16
	s_brev_b32 s10, 1
	s_mov_b32 s11, 0x2f800000
	s_mov_b32 s16, 0xcf800000
	s_waitcnt vmcnt(0)
	v_lshlrev_b16_e32 v3, 8, v1
	v_lshlrev_b32_e32 v1, 25, v1
	v_lshrrev_b32_e32 v5, 4, v1
	v_and_or_b32 v14, v3, s6, 0.5
	v_or_b32_e32 v5, 0x70000000, v5
	v_add_f32_e32 v14, -0.5, v14
	v_mul_f32_e32 v5, 0x7800000, v5
	v_cmp_gt_u32_e32 vcc, s7, v1
	v_bfe_i32 v3, v3, 0, 16
	v_cndmask_b32_e32 v1, v5, v14, vcc
	v_and_or_b32 v1, v3, s10, v1
	v_trunc_f32_e32 v1, v1
	v_mul_f32_e64 v3, |v1|, s11
	v_floor_f32_e32 v3, v3
	v_fma_f32 v5, v3, s16, |v1|
	v_cvt_u32_f32_e32 v5, v5
	v_cvt_u32_f32_e32 v3, v3
	v_ashrrev_i32_e32 v1, 31, v1
	v_xor_b32_e32 v5, v5, v1
	v_xor_b32_e32 v3, v3, v1
	v_sub_co_u32_e32 v21, vcc, v5, v1
	v_subb_co_u32_e32 v22, vcc, v3, v1, vcc
.LBB215_2413:
	s_mov_b64 s[6:7], 0
	s_mov_b64 s[10:11], -1
.LBB215_2414:
	s_andn2_b64 vcc, exec, s[6:7]
	s_mov_b64 s[6:7], 0
	s_cbranch_vccnz .LBB215_2423
; %bb.2415:
	s_cmp_gt_i32 s18, 14
	s_cbranch_scc0 .LBB215_2418
; %bb.2416:
	s_cmp_eq_u32 s18, 15
	s_cbranch_scc0 .LBB215_2419
; %bb.2417:
	global_load_ushort v1, v[23:24], off
	s_mov_b32 s2, 0x2f800000
	s_mov_b32 s3, 0xcf800000
	s_mov_b64 s[10:11], -1
	s_waitcnt vmcnt(0)
	v_lshlrev_b32_e32 v1, 16, v1
	v_trunc_f32_e32 v1, v1
	v_mul_f32_e64 v3, |v1|, s2
	v_floor_f32_e32 v3, v3
	v_fma_f32 v5, v3, s3, |v1|
	v_cvt_u32_f32_e32 v5, v5
	v_cvt_u32_f32_e32 v3, v3
	v_ashrrev_i32_e32 v1, 31, v1
	s_mov_b64 s[2:3], 0
	v_xor_b32_e32 v5, v5, v1
	v_xor_b32_e32 v3, v3, v1
	v_sub_co_u32_e32 v21, vcc, v5, v1
	v_subb_co_u32_e32 v22, vcc, v3, v1, vcc
	s_branch .LBB215_2420
.LBB215_2418:
	s_mov_b64 s[16:17], -1
                                        ; implicit-def: $vgpr21_vgpr22
	s_branch .LBB215_2421
.LBB215_2419:
	s_mov_b64 s[2:3], -1
                                        ; implicit-def: $vgpr21_vgpr22
.LBB215_2420:
	s_mov_b64 s[16:17], 0
.LBB215_2421:
	s_and_b64 vcc, exec, s[16:17]
	s_cbranch_vccz .LBB215_2423
; %bb.2422:
	s_cmp_lg_u32 s18, 11
	s_mov_b64 s[6:7], -1
	s_cselect_b64 s[2:3], -1, 0
.LBB215_2423:
	s_and_b64 vcc, exec, s[2:3]
	s_cbranch_vccnz .LBB215_2488
; %bb.2424:
	s_andn2_b64 vcc, exec, s[6:7]
	s_cbranch_vccnz .LBB215_2426
.LBB215_2425:
	global_load_ubyte v1, v[23:24], off
	s_mov_b32 s2, 0
	s_waitcnt vmcnt(1)
	v_mov_b32_e32 v22, s2
	s_mov_b64 s[10:11], -1
	s_waitcnt vmcnt(0)
	v_cmp_ne_u16_e32 vcc, 0, v1
	v_cndmask_b32_e64 v21, 0, 1, vcc
.LBB215_2426:
	s_mov_b64 s[2:3], 0
.LBB215_2427:
	s_and_b64 vcc, exec, s[2:3]
	s_cbranch_vccz .LBB215_2476
; %bb.2428:
	s_and_b32 s6, 0xffff, s22
	s_cmp_lt_i32 s6, 5
	s_cbranch_scc1 .LBB215_2433
; %bb.2429:
	s_cmp_lt_i32 s6, 8
	s_cbranch_scc1 .LBB215_2434
; %bb.2430:
	;; [unrolled: 3-line block ×3, first 2 shown]
	s_cmp_gt_i32 s6, 9
	s_cbranch_scc0 .LBB215_2436
; %bb.2432:
	global_load_dwordx2 v[21:22], v[23:24], off
	s_movk_i32 s2, 0xffe0
	s_waitcnt vmcnt(0)
	v_trunc_f64_e32 v[21:22], v[21:22]
	v_ldexp_f64 v[25:26], v[21:22], s2
	s_mov_b32 s2, 0
	s_mov_b32 s3, 0xc1f00000
	v_floor_f64_e32 v[25:26], v[25:26]
	v_fma_f64 v[27:28], v[25:26], s[2:3], v[21:22]
	v_cvt_i32_f64_e32 v22, v[25:26]
	s_mov_b64 s[2:3], 0
	v_cvt_u32_f64_e32 v21, v[27:28]
	s_branch .LBB215_2437
.LBB215_2433:
	s_mov_b64 s[2:3], -1
                                        ; implicit-def: $vgpr21_vgpr22
	s_branch .LBB215_2455
.LBB215_2434:
	s_mov_b64 s[2:3], -1
                                        ; implicit-def: $vgpr21_vgpr22
	s_branch .LBB215_2443
.LBB215_2435:
	s_mov_b64 s[2:3], -1
                                        ; implicit-def: $vgpr21_vgpr22
	s_branch .LBB215_2440
.LBB215_2436:
	s_mov_b64 s[2:3], -1
                                        ; implicit-def: $vgpr21_vgpr22
.LBB215_2437:
	s_andn2_b64 vcc, exec, s[2:3]
	s_cbranch_vccnz .LBB215_2439
; %bb.2438:
	global_load_dword v1, v[23:24], off
	s_mov_b32 s2, 0x2f800000
	s_mov_b32 s3, 0xcf800000
	s_waitcnt vmcnt(0)
	v_trunc_f32_e32 v1, v1
	v_mul_f32_e64 v3, |v1|, s2
	v_floor_f32_e32 v3, v3
	v_cvt_u32_f32_e32 v5, v3
	v_fma_f32 v3, v3, s3, |v1|
	v_cvt_u32_f32_e32 v3, v3
	v_ashrrev_i32_e32 v1, 31, v1
	v_xor_b32_e32 v5, v5, v1
	v_xor_b32_e32 v3, v3, v1
	v_sub_co_u32_e32 v21, vcc, v3, v1
	v_subb_co_u32_e32 v22, vcc, v5, v1, vcc
.LBB215_2439:
	s_mov_b64 s[2:3], 0
.LBB215_2440:
	s_andn2_b64 vcc, exec, s[2:3]
	s_cbranch_vccnz .LBB215_2442
; %bb.2441:
	global_load_dword v1, v[23:24], off
	s_waitcnt vmcnt(0)
	v_cvt_f32_f16_e32 v1, v1
	v_cvt_i32_f32_e32 v21, v1
	v_ashrrev_i32_e32 v22, 31, v21
.LBB215_2442:
	s_mov_b64 s[2:3], 0
.LBB215_2443:
	s_andn2_b64 vcc, exec, s[2:3]
	s_cbranch_vccnz .LBB215_2454
; %bb.2444:
	s_cmp_lt_i32 s6, 6
	s_cbranch_scc1 .LBB215_2447
; %bb.2445:
	s_cmp_gt_i32 s6, 6
	s_cbranch_scc0 .LBB215_2448
; %bb.2446:
	global_load_dwordx2 v[21:22], v[23:24], off
	s_movk_i32 s2, 0xffe0
	s_waitcnt vmcnt(0)
	v_trunc_f64_e32 v[21:22], v[21:22]
	v_ldexp_f64 v[25:26], v[21:22], s2
	s_mov_b32 s2, 0
	s_mov_b32 s3, 0xc1f00000
	v_floor_f64_e32 v[25:26], v[25:26]
	v_fma_f64 v[27:28], v[25:26], s[2:3], v[21:22]
	v_cvt_i32_f64_e32 v22, v[25:26]
	s_mov_b64 s[2:3], 0
	v_cvt_u32_f64_e32 v21, v[27:28]
	s_branch .LBB215_2449
.LBB215_2447:
	s_mov_b64 s[2:3], -1
                                        ; implicit-def: $vgpr21_vgpr22
	s_branch .LBB215_2452
.LBB215_2448:
	s_mov_b64 s[2:3], -1
                                        ; implicit-def: $vgpr21_vgpr22
.LBB215_2449:
	s_andn2_b64 vcc, exec, s[2:3]
	s_cbranch_vccnz .LBB215_2451
; %bb.2450:
	global_load_dword v1, v[23:24], off
	s_mov_b32 s2, 0x2f800000
	s_mov_b32 s3, 0xcf800000
	s_waitcnt vmcnt(0)
	v_trunc_f32_e32 v1, v1
	v_mul_f32_e64 v3, |v1|, s2
	v_floor_f32_e32 v3, v3
	v_cvt_u32_f32_e32 v5, v3
	v_fma_f32 v3, v3, s3, |v1|
	v_cvt_u32_f32_e32 v3, v3
	v_ashrrev_i32_e32 v1, 31, v1
	v_xor_b32_e32 v5, v5, v1
	v_xor_b32_e32 v3, v3, v1
	v_sub_co_u32_e32 v21, vcc, v3, v1
	v_subb_co_u32_e32 v22, vcc, v5, v1, vcc
.LBB215_2451:
	s_mov_b64 s[2:3], 0
.LBB215_2452:
	s_andn2_b64 vcc, exec, s[2:3]
	s_cbranch_vccnz .LBB215_2454
; %bb.2453:
	global_load_ushort v1, v[23:24], off
	s_waitcnt vmcnt(0)
	v_cvt_f32_f16_e32 v1, v1
	v_cvt_i32_f32_e32 v21, v1
	v_ashrrev_i32_e32 v22, 31, v21
.LBB215_2454:
	s_mov_b64 s[2:3], 0
.LBB215_2455:
	s_andn2_b64 vcc, exec, s[2:3]
	s_cbranch_vccnz .LBB215_2475
; %bb.2456:
	s_cmp_lt_i32 s6, 2
	s_cbranch_scc1 .LBB215_2460
; %bb.2457:
	s_cmp_lt_i32 s6, 3
	s_cbranch_scc1 .LBB215_2461
; %bb.2458:
	s_cmp_gt_i32 s6, 3
	s_cbranch_scc0 .LBB215_2462
; %bb.2459:
	global_load_dwordx2 v[21:22], v[23:24], off
	s_mov_b64 s[2:3], 0
	s_branch .LBB215_2463
.LBB215_2460:
	s_mov_b64 s[2:3], -1
                                        ; implicit-def: $vgpr21_vgpr22
	s_branch .LBB215_2469
.LBB215_2461:
	s_mov_b64 s[2:3], -1
                                        ; implicit-def: $vgpr21_vgpr22
	s_branch .LBB215_2466
.LBB215_2462:
	s_mov_b64 s[2:3], -1
                                        ; implicit-def: $vgpr21_vgpr22
.LBB215_2463:
	s_andn2_b64 vcc, exec, s[2:3]
	s_cbranch_vccnz .LBB215_2465
; %bb.2464:
	global_load_dword v21, v[23:24], off
	s_waitcnt vmcnt(0)
	v_ashrrev_i32_e32 v22, 31, v21
.LBB215_2465:
	s_mov_b64 s[2:3], 0
.LBB215_2466:
	s_andn2_b64 vcc, exec, s[2:3]
	s_cbranch_vccnz .LBB215_2468
; %bb.2467:
	global_load_ushort v1, v[23:24], off
	s_waitcnt vmcnt(0)
	v_bfe_i32 v21, v1, 0, 16
	v_ashrrev_i32_e32 v22, 31, v21
.LBB215_2468:
	s_mov_b64 s[2:3], 0
.LBB215_2469:
	s_andn2_b64 vcc, exec, s[2:3]
	s_cbranch_vccnz .LBB215_2475
; %bb.2470:
	s_cmp_gt_i32 s6, 0
	s_cbranch_scc0 .LBB215_2472
; %bb.2471:
	global_load_sbyte v1, v[23:24], off
	s_mov_b64 s[2:3], 0
	s_waitcnt vmcnt(0)
	v_bfe_i32 v21, v1, 0, 16
	v_ashrrev_i32_e32 v22, 31, v21
	s_branch .LBB215_2473
.LBB215_2472:
	s_mov_b64 s[2:3], -1
                                        ; implicit-def: $vgpr21_vgpr22
.LBB215_2473:
	s_andn2_b64 vcc, exec, s[2:3]
	s_cbranch_vccnz .LBB215_2475
; %bb.2474:
	global_load_ubyte v1, v[23:24], off
	s_mov_b32 s2, 0
	s_waitcnt vmcnt(1)
	v_mov_b32_e32 v22, s2
	s_waitcnt vmcnt(0)
	v_and_b32_e32 v21, 0xffff, v1
.LBB215_2475:
	s_mov_b64 s[10:11], -1
.LBB215_2476:
	s_andn2_b64 vcc, exec, s[10:11]
	s_cbranch_vccnz .LBB215_3036
; %bb.2477:
	v_mov_b32_e32 v1, s1
	v_add_co_u32_e32 v25, vcc, s0, v9
	s_cmp_lt_i32 s21, 11
	v_addc_co_u32_e32 v26, vcc, 0, v1, vcc
	s_cbranch_scc1 .LBB215_2484
; %bb.2478:
	s_cmp_gt_i32 s21, 25
	s_mov_b64 s[2:3], 0
	s_cbranch_scc0 .LBB215_2485
; %bb.2479:
	s_cmp_gt_i32 s21, 28
	s_cbranch_scc0 .LBB215_2486
; %bb.2480:
	s_cmp_gt_i32 s21, 43
	;; [unrolled: 3-line block ×3, first 2 shown]
	s_cbranch_scc0 .LBB215_2489
; %bb.2482:
	s_cmp_eq_u32 s21, 46
	s_mov_b64 s[10:11], 0
	s_cbranch_scc0 .LBB215_2490
; %bb.2483:
	global_load_dword v1, v[25:26], off
	s_mov_b32 s0, 0x2f800000
	s_mov_b32 s1, 0xcf800000
	s_mov_b64 s[6:7], -1
	s_waitcnt vmcnt(0)
	v_lshlrev_b32_e32 v1, 16, v1
	v_trunc_f32_e32 v1, v1
	v_mul_f32_e64 v3, |v1|, s0
	v_floor_f32_e32 v3, v3
	v_fma_f32 v5, v3, s1, |v1|
	v_cvt_u32_f32_e32 v5, v5
	v_cvt_u32_f32_e32 v3, v3
	v_ashrrev_i32_e32 v1, 31, v1
	s_mov_b64 s[0:1], 0
	v_xor_b32_e32 v5, v5, v1
	v_xor_b32_e32 v3, v3, v1
	v_sub_co_u32_e32 v23, vcc, v5, v1
	v_subb_co_u32_e32 v24, vcc, v3, v1, vcc
	s_branch .LBB215_2491
.LBB215_2484:
	s_mov_b64 s[0:1], -1
	s_mov_b64 s[6:7], 0
                                        ; implicit-def: $vgpr23_vgpr24
	s_branch .LBB215_2553
.LBB215_2485:
	s_mov_b64 s[10:11], -1
	s_mov_b64 s[6:7], 0
	s_mov_b64 s[0:1], 0
                                        ; implicit-def: $vgpr23_vgpr24
	s_branch .LBB215_2520
.LBB215_2486:
	s_mov_b64 s[10:11], -1
	s_mov_b64 s[6:7], 0
	s_mov_b64 s[0:1], 0
                                        ; implicit-def: $vgpr23_vgpr24
	s_branch .LBB215_2501
.LBB215_2487:
	s_mov_b64 s[10:11], -1
	s_mov_b64 s[6:7], 0
	s_mov_b64 s[0:1], 0
                                        ; implicit-def: $vgpr23_vgpr24
	s_branch .LBB215_2496
.LBB215_2488:
	s_trap 2
	s_or_b64 s[4:5], s[4:5], exec
	s_cbranch_execz .LBB215_2425
	s_branch .LBB215_2426
.LBB215_2489:
	s_mov_b64 s[10:11], -1
	s_mov_b64 s[6:7], 0
	s_mov_b64 s[0:1], 0
                                        ; implicit-def: $vgpr23_vgpr24
	s_branch .LBB215_2491
.LBB215_2490:
	s_mov_b64 s[0:1], -1
                                        ; implicit-def: $vgpr23_vgpr24
	s_mov_b64 s[6:7], 0
.LBB215_2491:
	s_and_b64 vcc, exec, s[10:11]
	s_cbranch_vccz .LBB215_2495
; %bb.2492:
	s_cmp_eq_u32 s21, 44
	s_cbranch_scc0 .LBB215_2494
; %bb.2493:
	global_load_ubyte v1, v[25:26], off
	s_mov_b32 s0, 0x2f800000
	s_mov_b32 s1, 0xcf800000
	s_mov_b64 s[6:7], -1
	s_waitcnt vmcnt(0)
	v_lshlrev_b32_e32 v3, 23, v1
	v_trunc_f32_e32 v3, v3
	v_mul_f32_e64 v5, |v3|, s0
	v_floor_f32_e32 v5, v5
	v_fma_f32 v9, v5, s1, |v3|
	v_cvt_u32_f32_e32 v9, v9
	v_cvt_u32_f32_e32 v5, v5
	v_ashrrev_i32_e32 v3, 31, v3
	s_mov_b64 s[0:1], 0
	v_xor_b32_e32 v9, v9, v3
	v_xor_b32_e32 v5, v5, v3
	v_sub_co_u32_e32 v9, vcc, v9, v3
	v_subb_co_u32_e32 v3, vcc, v5, v3, vcc
	v_cmp_ne_u32_e32 vcc, 0, v1
	v_cndmask_b32_e32 v24, 0, v3, vcc
	v_cndmask_b32_e32 v23, 0, v9, vcc
	s_branch .LBB215_2495
.LBB215_2494:
	s_mov_b64 s[0:1], -1
                                        ; implicit-def: $vgpr23_vgpr24
.LBB215_2495:
	s_mov_b64 s[10:11], 0
.LBB215_2496:
	s_and_b64 vcc, exec, s[10:11]
	s_cbranch_vccz .LBB215_2500
; %bb.2497:
	s_cmp_eq_u32 s21, 29
	s_cbranch_scc0 .LBB215_2499
; %bb.2498:
	global_load_dwordx2 v[23:24], v[25:26], off
	s_mov_b64 s[0:1], 0
	s_mov_b64 s[6:7], -1
	s_branch .LBB215_2500
.LBB215_2499:
	s_mov_b64 s[0:1], -1
                                        ; implicit-def: $vgpr23_vgpr24
.LBB215_2500:
	s_mov_b64 s[10:11], 0
.LBB215_2501:
	s_and_b64 vcc, exec, s[10:11]
	s_cbranch_vccz .LBB215_2519
; %bb.2502:
	s_cmp_lt_i32 s21, 27
	s_cbranch_scc1 .LBB215_2505
; %bb.2503:
	s_cmp_gt_i32 s21, 27
	s_cbranch_scc0 .LBB215_2506
; %bb.2504:
	global_load_dword v23, v[25:26], off
	s_waitcnt vmcnt(1)
	v_mov_b32_e32 v24, 0
	s_mov_b64 s[6:7], 0
	s_branch .LBB215_2507
.LBB215_2505:
	s_mov_b64 s[6:7], -1
                                        ; implicit-def: $vgpr23_vgpr24
	s_branch .LBB215_2510
.LBB215_2506:
	s_mov_b64 s[6:7], -1
                                        ; implicit-def: $vgpr23_vgpr24
.LBB215_2507:
	s_andn2_b64 vcc, exec, s[6:7]
	s_cbranch_vccnz .LBB215_2509
; %bb.2508:
	global_load_ushort v1, v[25:26], off
	s_mov_b32 s6, 0
	s_waitcnt vmcnt(1)
	v_mov_b32_e32 v24, s6
	s_waitcnt vmcnt(0)
	v_and_b32_e32 v23, 0xffff, v1
.LBB215_2509:
	s_mov_b64 s[6:7], 0
.LBB215_2510:
	s_andn2_b64 vcc, exec, s[6:7]
	s_cbranch_vccnz .LBB215_2518
; %bb.2511:
	global_load_ubyte v1, v[25:26], off
	s_movk_i32 s6, 0x7f
	s_mov_b64 s[10:11], 0
	s_waitcnt vmcnt(0)
	v_cmp_lt_i16_e32 vcc, s6, v1
	s_and_saveexec_b64 s[6:7], vcc
	s_xor_b64 s[6:7], exec, s[6:7]
; %bb.2512:
	s_movk_i32 s10, 0x80
	v_cmp_ne_u16_e32 vcc, s10, v1
	s_and_b64 s[10:11], vcc, exec
; %bb.2513:
	s_andn2_saveexec_b64 s[6:7], s[6:7]
; %bb.2514:
	v_cmp_ne_u16_e32 vcc, 0, v1
	s_andn2_b64 s[10:11], s[10:11], exec
	s_and_b64 s[16:17], vcc, exec
	s_or_b64 s[10:11], s[10:11], s[16:17]
; %bb.2515:
	s_or_b64 exec, exec, s[6:7]
	v_mov_b32_e32 v23, 0
	v_mov_b32_e32 v24, 0
	s_and_saveexec_b64 s[6:7], s[10:11]
	s_cbranch_execz .LBB215_2517
; %bb.2516:
	v_lshlrev_b32_e32 v3, 24, v1
	v_and_b32_e32 v1, 0xffff, v1
	v_and_b32_e32 v5, 7, v1
	v_ffbh_u32_e32 v14, v5
	v_min_u32_e32 v14, 32, v14
	v_subrev_u32_e32 v23, 28, v14
	v_bfe_u32 v9, v1, 3, 4
	v_lshlrev_b32_e32 v1, v23, v1
	v_sub_u32_e32 v14, 29, v14
	v_and_b32_e32 v1, 7, v1
	v_cmp_eq_u32_e32 vcc, 0, v9
	v_cndmask_b32_e32 v9, v9, v14, vcc
	v_cndmask_b32_e32 v1, v5, v1, vcc
	v_mov_b32_e32 v5, 0x3b800000
	v_lshlrev_b32_e32 v1, 20, v1
	v_and_b32_e32 v3, 0x80000000, v3
	v_lshl_add_u32 v5, v9, 23, v5
	v_or3_b32 v1, v3, v5, v1
	v_trunc_f32_e32 v1, v1
	s_mov_b32 s10, 0x2f800000
	v_mul_f32_e64 v3, |v1|, s10
	v_floor_f32_e32 v3, v3
	s_mov_b32 s10, 0xcf800000
	v_fma_f32 v5, v3, s10, |v1|
	v_cvt_u32_f32_e32 v5, v5
	v_cvt_u32_f32_e32 v3, v3
	v_ashrrev_i32_e32 v1, 31, v1
	v_xor_b32_e32 v5, v5, v1
	v_xor_b32_e32 v3, v3, v1
	v_sub_co_u32_e32 v23, vcc, v5, v1
	v_subb_co_u32_e32 v24, vcc, v3, v1, vcc
.LBB215_2517:
	s_or_b64 exec, exec, s[6:7]
.LBB215_2518:
	s_mov_b64 s[6:7], -1
.LBB215_2519:
	s_mov_b64 s[10:11], 0
.LBB215_2520:
	s_and_b64 vcc, exec, s[10:11]
	s_cbranch_vccz .LBB215_2549
; %bb.2521:
	s_cmp_gt_i32 s21, 22
	s_cbranch_scc0 .LBB215_2531
; %bb.2522:
	s_cmp_lt_i32 s21, 24
	s_cbranch_scc1 .LBB215_2532
; %bb.2523:
	s_cmp_gt_i32 s21, 24
	s_cbranch_scc0 .LBB215_2533
; %bb.2524:
	global_load_ubyte v1, v[25:26], off
	s_movk_i32 s2, 0x7f
	s_mov_b64 s[6:7], 0
	s_waitcnt vmcnt(0)
	v_cmp_lt_i16_e32 vcc, s2, v1
	s_and_saveexec_b64 s[2:3], vcc
	s_xor_b64 s[2:3], exec, s[2:3]
; %bb.2525:
	s_movk_i32 s6, 0x80
	v_cmp_ne_u16_e32 vcc, s6, v1
	s_and_b64 s[6:7], vcc, exec
; %bb.2526:
	s_andn2_saveexec_b64 s[2:3], s[2:3]
; %bb.2527:
	v_cmp_ne_u16_e32 vcc, 0, v1
	s_andn2_b64 s[6:7], s[6:7], exec
	s_and_b64 s[10:11], vcc, exec
	s_or_b64 s[6:7], s[6:7], s[10:11]
; %bb.2528:
	s_or_b64 exec, exec, s[2:3]
	v_mov_b32_e32 v23, 0
	v_mov_b32_e32 v24, 0
	s_and_saveexec_b64 s[2:3], s[6:7]
	s_cbranch_execz .LBB215_2530
; %bb.2529:
	v_lshlrev_b32_e32 v3, 24, v1
	v_and_b32_e32 v1, 0xffff, v1
	v_and_b32_e32 v5, 3, v1
	v_ffbh_u32_e32 v14, v5
	v_min_u32_e32 v14, 32, v14
	v_subrev_u32_e32 v23, 29, v14
	v_bfe_u32 v9, v1, 2, 5
	v_lshlrev_b32_e32 v1, v23, v1
	v_sub_u32_e32 v14, 30, v14
	v_and_b32_e32 v1, 3, v1
	v_cmp_eq_u32_e32 vcc, 0, v9
	v_cndmask_b32_e32 v9, v9, v14, vcc
	v_cndmask_b32_e32 v1, v5, v1, vcc
	v_mov_b32_e32 v5, 0x37800000
	v_lshlrev_b32_e32 v1, 21, v1
	v_and_b32_e32 v3, 0x80000000, v3
	v_lshl_add_u32 v5, v9, 23, v5
	v_or3_b32 v1, v3, v5, v1
	v_trunc_f32_e32 v1, v1
	s_mov_b32 s6, 0x2f800000
	v_mul_f32_e64 v3, |v1|, s6
	v_floor_f32_e32 v3, v3
	s_mov_b32 s6, 0xcf800000
	v_fma_f32 v5, v3, s6, |v1|
	v_cvt_u32_f32_e32 v5, v5
	v_cvt_u32_f32_e32 v3, v3
	v_ashrrev_i32_e32 v1, 31, v1
	v_xor_b32_e32 v5, v5, v1
	v_xor_b32_e32 v3, v3, v1
	v_sub_co_u32_e32 v23, vcc, v5, v1
	v_subb_co_u32_e32 v24, vcc, v3, v1, vcc
.LBB215_2530:
	s_or_b64 exec, exec, s[2:3]
	s_mov_b64 s[2:3], 0
	s_branch .LBB215_2534
.LBB215_2531:
	s_mov_b64 s[2:3], -1
                                        ; implicit-def: $vgpr23_vgpr24
	s_branch .LBB215_2540
.LBB215_2532:
	s_mov_b64 s[2:3], -1
                                        ; implicit-def: $vgpr23_vgpr24
	s_branch .LBB215_2537
.LBB215_2533:
	s_mov_b64 s[2:3], -1
                                        ; implicit-def: $vgpr23_vgpr24
.LBB215_2534:
	s_and_b64 vcc, exec, s[2:3]
	s_cbranch_vccz .LBB215_2536
; %bb.2535:
	global_load_ubyte v1, v[25:26], off
	s_mov_b32 s2, 0x7f800000
	s_brev_b32 s3, 1
	s_mov_b32 s6, 0x2f800000
	s_mov_b32 s7, 0xcf800000
	s_waitcnt vmcnt(0)
	v_lshlrev_b32_e32 v1, 24, v1
	v_and_b32_e32 v3, 0x7f000000, v1
	v_ffbh_u32_e32 v5, v3
	v_min_u32_e32 v5, 32, v5
	v_sub_u32_e64 v5, v5, 4 clamp
	v_lshlrev_b32_e32 v14, v5, v3
	v_lshlrev_b32_e32 v5, 23, v5
	v_lshrrev_b32_e32 v14, 4, v14
	v_add_u32_e32 v9, 0x1000000, v3
	v_sub_u32_e32 v5, v14, v5
	v_ashrrev_i32_e32 v9, 8, v9
	v_add_u32_e32 v5, 0x3c000000, v5
	v_and_or_b32 v5, v9, s2, v5
	v_cmp_ne_u32_e32 vcc, 0, v3
	v_cndmask_b32_e32 v3, 0, v5, vcc
	v_and_or_b32 v1, v1, s3, v3
	v_trunc_f32_e32 v1, v1
	v_mul_f32_e64 v3, |v1|, s6
	v_floor_f32_e32 v3, v3
	v_fma_f32 v5, v3, s7, |v1|
	v_cvt_u32_f32_e32 v5, v5
	v_cvt_u32_f32_e32 v3, v3
	v_ashrrev_i32_e32 v1, 31, v1
	v_xor_b32_e32 v5, v5, v1
	v_xor_b32_e32 v3, v3, v1
	v_sub_co_u32_e32 v23, vcc, v5, v1
	v_subb_co_u32_e32 v24, vcc, v3, v1, vcc
.LBB215_2536:
	s_mov_b64 s[2:3], 0
.LBB215_2537:
	s_andn2_b64 vcc, exec, s[2:3]
	s_cbranch_vccnz .LBB215_2539
; %bb.2538:
	global_load_ubyte v1, v[25:26], off
	s_movk_i32 s2, 0x7f00
	s_brev_b32 s3, 16
	s_brev_b32 s6, 1
	s_mov_b32 s7, 0x2f800000
	s_mov_b32 s10, 0xcf800000
	s_waitcnt vmcnt(0)
	v_lshlrev_b16_e32 v3, 8, v1
	v_lshlrev_b32_e32 v1, 25, v1
	v_lshrrev_b32_e32 v5, 4, v1
	v_and_or_b32 v9, v3, s2, 0.5
	v_or_b32_e32 v5, 0x70000000, v5
	v_add_f32_e32 v9, -0.5, v9
	v_mul_f32_e32 v5, 0x7800000, v5
	v_cmp_gt_u32_e32 vcc, s3, v1
	v_bfe_i32 v3, v3, 0, 16
	v_cndmask_b32_e32 v1, v5, v9, vcc
	v_and_or_b32 v1, v3, s6, v1
	v_trunc_f32_e32 v1, v1
	v_mul_f32_e64 v3, |v1|, s7
	v_floor_f32_e32 v3, v3
	v_fma_f32 v5, v3, s10, |v1|
	v_cvt_u32_f32_e32 v5, v5
	v_cvt_u32_f32_e32 v3, v3
	v_ashrrev_i32_e32 v1, 31, v1
	v_xor_b32_e32 v5, v5, v1
	v_xor_b32_e32 v3, v3, v1
	v_sub_co_u32_e32 v23, vcc, v5, v1
	v_subb_co_u32_e32 v24, vcc, v3, v1, vcc
.LBB215_2539:
	s_mov_b64 s[2:3], 0
	s_mov_b64 s[6:7], -1
.LBB215_2540:
	s_andn2_b64 vcc, exec, s[2:3]
	s_mov_b64 s[2:3], 0
	s_cbranch_vccnz .LBB215_2549
; %bb.2541:
	s_cmp_gt_i32 s21, 14
	s_cbranch_scc0 .LBB215_2544
; %bb.2542:
	s_cmp_eq_u32 s21, 15
	s_cbranch_scc0 .LBB215_2545
; %bb.2543:
	global_load_ushort v1, v[25:26], off
	s_mov_b32 s0, 0x2f800000
	s_mov_b32 s1, 0xcf800000
	s_mov_b64 s[6:7], -1
	s_waitcnt vmcnt(0)
	v_lshlrev_b32_e32 v1, 16, v1
	v_trunc_f32_e32 v1, v1
	v_mul_f32_e64 v3, |v1|, s0
	v_floor_f32_e32 v3, v3
	v_fma_f32 v5, v3, s1, |v1|
	v_cvt_u32_f32_e32 v5, v5
	v_cvt_u32_f32_e32 v3, v3
	v_ashrrev_i32_e32 v1, 31, v1
	s_mov_b64 s[0:1], 0
	v_xor_b32_e32 v5, v5, v1
	v_xor_b32_e32 v3, v3, v1
	v_sub_co_u32_e32 v23, vcc, v5, v1
	v_subb_co_u32_e32 v24, vcc, v3, v1, vcc
	s_branch .LBB215_2546
.LBB215_2544:
	s_mov_b64 s[10:11], -1
                                        ; implicit-def: $vgpr23_vgpr24
	s_branch .LBB215_2547
.LBB215_2545:
	s_mov_b64 s[0:1], -1
                                        ; implicit-def: $vgpr23_vgpr24
.LBB215_2546:
	s_mov_b64 s[10:11], 0
.LBB215_2547:
	s_and_b64 vcc, exec, s[10:11]
	s_cbranch_vccz .LBB215_2549
; %bb.2548:
	s_cmp_lg_u32 s21, 11
	s_mov_b64 s[2:3], -1
	s_cselect_b64 s[0:1], -1, 0
.LBB215_2549:
	s_and_b64 vcc, exec, s[0:1]
	s_cbranch_vccnz .LBB215_3082
; %bb.2550:
	s_andn2_b64 vcc, exec, s[2:3]
	s_cbranch_vccnz .LBB215_2552
.LBB215_2551:
	global_load_ubyte v1, v[25:26], off
	s_mov_b32 s0, 0
	s_waitcnt vmcnt(1)
	v_mov_b32_e32 v24, s0
	s_mov_b64 s[6:7], -1
	s_waitcnt vmcnt(0)
	v_cmp_ne_u16_e32 vcc, 0, v1
	v_cndmask_b32_e64 v23, 0, 1, vcc
.LBB215_2552:
	s_mov_b64 s[0:1], 0
.LBB215_2553:
	s_and_b64 vcc, exec, s[0:1]
	s_cbranch_vccz .LBB215_2602
; %bb.2554:
	s_cmp_lt_i32 s21, 5
	s_cbranch_scc1 .LBB215_2559
; %bb.2555:
	s_cmp_lt_i32 s21, 8
	s_cbranch_scc1 .LBB215_2560
	;; [unrolled: 3-line block ×3, first 2 shown]
; %bb.2557:
	s_cmp_gt_i32 s21, 9
	s_cbranch_scc0 .LBB215_2562
; %bb.2558:
	global_load_dwordx2 v[23:24], v[25:26], off
	s_movk_i32 s0, 0xffe0
	s_waitcnt vmcnt(0)
	v_trunc_f64_e32 v[23:24], v[23:24]
	v_ldexp_f64 v[27:28], v[23:24], s0
	s_mov_b32 s0, 0
	s_mov_b32 s1, 0xc1f00000
	v_floor_f64_e32 v[27:28], v[27:28]
	v_fma_f64 v[29:30], v[27:28], s[0:1], v[23:24]
	v_cvt_i32_f64_e32 v24, v[27:28]
	s_mov_b64 s[0:1], 0
	v_cvt_u32_f64_e32 v23, v[29:30]
	s_branch .LBB215_2563
.LBB215_2559:
	s_mov_b64 s[0:1], -1
                                        ; implicit-def: $vgpr23_vgpr24
	s_branch .LBB215_2581
.LBB215_2560:
	s_mov_b64 s[0:1], -1
                                        ; implicit-def: $vgpr23_vgpr24
	s_branch .LBB215_2569
.LBB215_2561:
	s_mov_b64 s[0:1], -1
                                        ; implicit-def: $vgpr23_vgpr24
	s_branch .LBB215_2566
.LBB215_2562:
	s_mov_b64 s[0:1], -1
                                        ; implicit-def: $vgpr23_vgpr24
.LBB215_2563:
	s_andn2_b64 vcc, exec, s[0:1]
	s_cbranch_vccnz .LBB215_2565
; %bb.2564:
	global_load_dword v1, v[25:26], off
	s_mov_b32 s0, 0x2f800000
	s_mov_b32 s1, 0xcf800000
	s_waitcnt vmcnt(0)
	v_trunc_f32_e32 v1, v1
	v_mul_f32_e64 v3, |v1|, s0
	v_floor_f32_e32 v3, v3
	v_cvt_u32_f32_e32 v5, v3
	v_fma_f32 v3, v3, s1, |v1|
	v_cvt_u32_f32_e32 v3, v3
	v_ashrrev_i32_e32 v1, 31, v1
	v_xor_b32_e32 v5, v5, v1
	v_xor_b32_e32 v3, v3, v1
	v_sub_co_u32_e32 v23, vcc, v3, v1
	v_subb_co_u32_e32 v24, vcc, v5, v1, vcc
.LBB215_2565:
	s_mov_b64 s[0:1], 0
.LBB215_2566:
	s_andn2_b64 vcc, exec, s[0:1]
	s_cbranch_vccnz .LBB215_2568
; %bb.2567:
	global_load_dword v1, v[25:26], off
	s_waitcnt vmcnt(0)
	v_cvt_f32_f16_e32 v1, v1
	v_cvt_i32_f32_e32 v23, v1
	v_ashrrev_i32_e32 v24, 31, v23
.LBB215_2568:
	s_mov_b64 s[0:1], 0
.LBB215_2569:
	s_andn2_b64 vcc, exec, s[0:1]
	s_cbranch_vccnz .LBB215_2580
; %bb.2570:
	s_cmp_lt_i32 s21, 6
	s_cbranch_scc1 .LBB215_2573
; %bb.2571:
	s_cmp_gt_i32 s21, 6
	s_cbranch_scc0 .LBB215_2574
; %bb.2572:
	global_load_dwordx2 v[23:24], v[25:26], off
	s_movk_i32 s0, 0xffe0
	s_waitcnt vmcnt(0)
	v_trunc_f64_e32 v[23:24], v[23:24]
	v_ldexp_f64 v[27:28], v[23:24], s0
	s_mov_b32 s0, 0
	s_mov_b32 s1, 0xc1f00000
	v_floor_f64_e32 v[27:28], v[27:28]
	v_fma_f64 v[29:30], v[27:28], s[0:1], v[23:24]
	v_cvt_i32_f64_e32 v24, v[27:28]
	s_mov_b64 s[0:1], 0
	v_cvt_u32_f64_e32 v23, v[29:30]
	s_branch .LBB215_2575
.LBB215_2573:
	s_mov_b64 s[0:1], -1
                                        ; implicit-def: $vgpr23_vgpr24
	s_branch .LBB215_2578
.LBB215_2574:
	s_mov_b64 s[0:1], -1
                                        ; implicit-def: $vgpr23_vgpr24
.LBB215_2575:
	s_andn2_b64 vcc, exec, s[0:1]
	s_cbranch_vccnz .LBB215_2577
; %bb.2576:
	global_load_dword v1, v[25:26], off
	s_mov_b32 s0, 0x2f800000
	s_mov_b32 s1, 0xcf800000
	s_waitcnt vmcnt(0)
	v_trunc_f32_e32 v1, v1
	v_mul_f32_e64 v3, |v1|, s0
	v_floor_f32_e32 v3, v3
	v_cvt_u32_f32_e32 v5, v3
	v_fma_f32 v3, v3, s1, |v1|
	v_cvt_u32_f32_e32 v3, v3
	v_ashrrev_i32_e32 v1, 31, v1
	v_xor_b32_e32 v5, v5, v1
	v_xor_b32_e32 v3, v3, v1
	v_sub_co_u32_e32 v23, vcc, v3, v1
	v_subb_co_u32_e32 v24, vcc, v5, v1, vcc
.LBB215_2577:
	s_mov_b64 s[0:1], 0
.LBB215_2578:
	s_andn2_b64 vcc, exec, s[0:1]
	s_cbranch_vccnz .LBB215_2580
; %bb.2579:
	global_load_ushort v1, v[25:26], off
	s_waitcnt vmcnt(0)
	v_cvt_f32_f16_e32 v1, v1
	v_cvt_i32_f32_e32 v23, v1
	v_ashrrev_i32_e32 v24, 31, v23
.LBB215_2580:
	s_mov_b64 s[0:1], 0
.LBB215_2581:
	s_andn2_b64 vcc, exec, s[0:1]
	s_cbranch_vccnz .LBB215_2601
; %bb.2582:
	s_cmp_lt_i32 s21, 2
	s_cbranch_scc1 .LBB215_2586
; %bb.2583:
	s_cmp_lt_i32 s21, 3
	s_cbranch_scc1 .LBB215_2587
; %bb.2584:
	s_cmp_gt_i32 s21, 3
	s_cbranch_scc0 .LBB215_2588
; %bb.2585:
	global_load_dwordx2 v[23:24], v[25:26], off
	s_mov_b64 s[0:1], 0
	s_branch .LBB215_2589
.LBB215_2586:
	s_mov_b64 s[0:1], -1
                                        ; implicit-def: $vgpr23_vgpr24
	s_branch .LBB215_2595
.LBB215_2587:
	s_mov_b64 s[0:1], -1
                                        ; implicit-def: $vgpr23_vgpr24
	s_branch .LBB215_2592
.LBB215_2588:
	s_mov_b64 s[0:1], -1
                                        ; implicit-def: $vgpr23_vgpr24
.LBB215_2589:
	s_andn2_b64 vcc, exec, s[0:1]
	s_cbranch_vccnz .LBB215_2591
; %bb.2590:
	global_load_dword v23, v[25:26], off
	s_waitcnt vmcnt(0)
	v_ashrrev_i32_e32 v24, 31, v23
.LBB215_2591:
	s_mov_b64 s[0:1], 0
.LBB215_2592:
	s_andn2_b64 vcc, exec, s[0:1]
	s_cbranch_vccnz .LBB215_2594
; %bb.2593:
	global_load_ushort v1, v[25:26], off
	s_waitcnt vmcnt(0)
	v_bfe_i32 v23, v1, 0, 16
	v_ashrrev_i32_e32 v24, 31, v23
.LBB215_2594:
	s_mov_b64 s[0:1], 0
.LBB215_2595:
	s_andn2_b64 vcc, exec, s[0:1]
	s_cbranch_vccnz .LBB215_2601
; %bb.2596:
	s_cmp_gt_i32 s21, 0
	s_cbranch_scc0 .LBB215_2598
; %bb.2597:
	global_load_sbyte v1, v[25:26], off
	s_mov_b64 s[0:1], 0
	s_waitcnt vmcnt(0)
	v_bfe_i32 v23, v1, 0, 16
	v_ashrrev_i32_e32 v24, 31, v23
	s_branch .LBB215_2599
.LBB215_2598:
	s_mov_b64 s[0:1], -1
                                        ; implicit-def: $vgpr23_vgpr24
.LBB215_2599:
	s_andn2_b64 vcc, exec, s[0:1]
	s_cbranch_vccnz .LBB215_2601
; %bb.2600:
	global_load_ubyte v1, v[25:26], off
	s_mov_b32 s0, 0
	s_waitcnt vmcnt(1)
	v_mov_b32_e32 v24, s0
	s_waitcnt vmcnt(0)
	v_and_b32_e32 v23, 0xffff, v1
.LBB215_2601:
	s_mov_b64 s[6:7], -1
.LBB215_2602:
	s_andn2_b64 vcc, exec, s[6:7]
	s_cbranch_vccnz .LBB215_3036
; %bb.2603:
	s_waitcnt vmcnt(0)
	v_cmp_gt_u64_e32 vcc, 63, v[10:11]
	s_bfe_u32 s18, s20, 0x80008
	v_cndmask_b32_e32 v1, 63, v10, vcc
	v_ashrrev_i64 v[7:8], v1, v[7:8]
	v_mov_b32_e32 v1, s9
	v_add_co_u32_e32 v5, vcc, s8, v6
	s_cmp_lt_i32 s18, 11
	v_addc_co_u32_e32 v6, vcc, 0, v1, vcc
	s_cbranch_scc1 .LBB215_2681
; %bb.2604:
	s_and_b32 s19, 0xffff, s18
	s_mov_b64 s[10:11], -1
	s_mov_b64 s[2:3], 0
	s_cmp_gt_i32 s19, 25
	s_mov_b64 s[6:7], 0
	s_mov_b64 s[0:1], 0
	s_cbranch_scc0 .LBB215_2637
; %bb.2605:
	s_cmp_gt_i32 s19, 28
	s_cbranch_scc0 .LBB215_2620
; %bb.2606:
	s_cmp_gt_i32 s19, 43
	;; [unrolled: 3-line block ×3, first 2 shown]
	s_cbranch_scc0 .LBB215_2610
; %bb.2608:
	s_mov_b64 s[0:1], -1
	s_mov_b64 s[10:11], 0
	s_cmp_eq_u32 s19, 46
	s_cbranch_scc0 .LBB215_2610
; %bb.2609:
	v_xor_b32_e32 v3, v7, v8
	v_ffbh_i32_e32 v1, v8
	v_ashrrev_i32_e32 v3, 31, v3
	v_add_u32_e32 v1, -1, v1
	v_add_u32_e32 v3, 32, v3
	v_min_u32_e32 v1, v1, v3
	v_lshlrev_b64 v[9:10], v1, v[7:8]
	v_sub_u32_e32 v1, 32, v1
	v_min_u32_e32 v3, 1, v9
	v_or_b32_e32 v3, v10, v3
	v_cvt_f32_i32_e32 v3, v3
	s_movk_i32 s0, 0x7fff
	s_mov_b64 s[6:7], -1
	v_ldexp_f32 v1, v3, v1
	v_bfe_u32 v3, v1, 16, 1
	v_add3_u32 v1, v1, v3, s0
	v_lshrrev_b32_e32 v1, 16, v1
	global_store_dword v[5:6], v1, off
	s_mov_b64 s[0:1], 0
.LBB215_2610:
	s_and_b64 vcc, exec, s[10:11]
	s_cbranch_vccz .LBB215_2615
; %bb.2611:
	s_cmp_eq_u32 s19, 44
	s_mov_b64 s[0:1], -1
	s_cbranch_scc0 .LBB215_2615
; %bb.2612:
	v_xor_b32_e32 v3, v7, v8
	v_ffbh_i32_e32 v1, v8
	v_ashrrev_i32_e32 v3, 31, v3
	v_add_u32_e32 v1, -1, v1
	v_add_u32_e32 v3, 32, v3
	v_min_u32_e32 v1, v1, v3
	v_lshlrev_b64 v[9:10], v1, v[7:8]
	v_sub_u32_e32 v1, 32, v1
	v_min_u32_e32 v3, 1, v9
	v_or_b32_e32 v3, v10, v3
	v_cvt_f32_i32_e32 v3, v3
	s_movk_i32 s0, 0xff
	v_mov_b32_e32 v9, 0xff
	v_ldexp_f32 v1, v3, v1
	v_bfe_u32 v3, v1, 23, 8
	v_cmp_ne_u32_e32 vcc, s0, v3
	s_and_saveexec_b64 s[6:7], vcc
; %bb.2613:
	s_mov_b32 s0, 0x3fffff
	v_lshrrev_b32_e32 v9, 23, v1
	v_and_b32_e32 v10, 0x400000, v1
	v_and_or_b32 v1, v1, s0, v3
	v_cmp_ne_u32_e32 vcc, 0, v10
	v_cmp_ne_u32_e64 s[0:1], 0, v1
	s_and_b64 s[0:1], vcc, s[0:1]
	v_cndmask_b32_e64 v1, 0, 1, s[0:1]
	v_add_u32_e32 v9, v9, v1
; %bb.2614:
	s_or_b64 exec, exec, s[6:7]
	s_mov_b64 s[0:1], 0
	s_mov_b64 s[6:7], -1
	global_store_byte v[5:6], v9, off
.LBB215_2615:
	s_mov_b64 s[10:11], 0
.LBB215_2616:
	s_and_b64 vcc, exec, s[10:11]
	s_cbranch_vccz .LBB215_2619
; %bb.2617:
	s_cmp_eq_u32 s19, 29
	s_mov_b64 s[0:1], -1
	s_cbranch_scc0 .LBB215_2619
; %bb.2618:
	global_store_dwordx2 v[5:6], v[7:8], off
	s_mov_b64 s[0:1], 0
	s_mov_b64 s[6:7], -1
.LBB215_2619:
	s_mov_b64 s[10:11], 0
.LBB215_2620:
	s_and_b64 vcc, exec, s[10:11]
	s_cbranch_vccz .LBB215_2636
; %bb.2621:
	s_cmp_lt_i32 s19, 27
	s_mov_b64 s[6:7], -1
	s_cbranch_scc1 .LBB215_2627
; %bb.2622:
	s_cmp_gt_i32 s19, 27
	s_cbranch_scc0 .LBB215_2624
; %bb.2623:
	s_mov_b64 s[6:7], 0
	global_store_dword v[5:6], v7, off
.LBB215_2624:
	s_andn2_b64 vcc, exec, s[6:7]
	s_cbranch_vccnz .LBB215_2626
; %bb.2625:
	global_store_short v[5:6], v7, off
.LBB215_2626:
	s_mov_b64 s[6:7], 0
.LBB215_2627:
	s_andn2_b64 vcc, exec, s[6:7]
	s_cbranch_vccnz .LBB215_2635
; %bb.2628:
	v_xor_b32_e32 v3, v7, v8
	v_ffbh_i32_e32 v1, v8
	v_ashrrev_i32_e32 v3, 31, v3
	v_add_u32_e32 v1, -1, v1
	v_add_u32_e32 v3, 32, v3
	v_min_u32_e32 v1, v1, v3
	v_lshlrev_b64 v[9:10], v1, v[7:8]
	v_sub_u32_e32 v1, 32, v1
	v_min_u32_e32 v3, 1, v9
	v_or_b32_e32 v3, v10, v3
	v_cvt_f32_i32_e32 v3, v3
	s_mov_b32 s6, 0x43800000
	v_mov_b32_e32 v9, 0x80
	v_ldexp_f32 v1, v3, v1
	v_and_b32_e32 v3, 0x7fffffff, v1
	v_cmp_gt_u32_e32 vcc, s6, v3
	s_and_saveexec_b64 s[6:7], vcc
	s_cbranch_execz .LBB215_2634
; %bb.2629:
	s_mov_b32 s10, 0x3bffffff
	v_cmp_lt_u32_e32 vcc, s10, v3
	s_mov_b64 s[10:11], 0
                                        ; implicit-def: $vgpr3
	s_and_saveexec_b64 s[16:17], vcc
	s_xor_b64 s[16:17], exec, s[16:17]
	s_cbranch_execz .LBB215_3083
; %bb.2630:
	v_bfe_u32 v3, v1, 20, 1
	s_mov_b32 s21, 0x487ffff
	v_add3_u32 v3, v1, v3, s21
	s_mov_b64 s[10:11], exec
	v_lshrrev_b32_e32 v3, 20, v3
	s_andn2_saveexec_b64 s[16:17], s[16:17]
	s_cbranch_execnz .LBB215_3084
.LBB215_2631:
	s_or_b64 exec, exec, s[16:17]
	v_mov_b32_e32 v9, 0
	s_and_saveexec_b64 s[16:17], s[10:11]
.LBB215_2632:
	v_lshrrev_b32_e32 v1, 24, v1
	s_movk_i32 s10, 0x80
	v_and_or_b32 v9, v1, s10, v3
.LBB215_2633:
	s_or_b64 exec, exec, s[16:17]
.LBB215_2634:
	s_or_b64 exec, exec, s[6:7]
	global_store_byte v[5:6], v9, off
.LBB215_2635:
	s_mov_b64 s[6:7], -1
.LBB215_2636:
	s_mov_b64 s[10:11], 0
.LBB215_2637:
	s_and_b64 vcc, exec, s[10:11]
	s_cbranch_vccz .LBB215_2677
; %bb.2638:
	s_cmp_gt_i32 s19, 22
	s_mov_b64 s[2:3], -1
	s_cbranch_scc0 .LBB215_2670
; %bb.2639:
	s_cmp_lt_i32 s19, 24
	s_cbranch_scc1 .LBB215_2659
; %bb.2640:
	s_cmp_gt_i32 s19, 24
	s_cbranch_scc0 .LBB215_2648
; %bb.2641:
	v_xor_b32_e32 v3, v7, v8
	v_ffbh_i32_e32 v1, v8
	v_ashrrev_i32_e32 v3, 31, v3
	v_add_u32_e32 v1, -1, v1
	v_add_u32_e32 v3, 32, v3
	v_min_u32_e32 v1, v1, v3
	v_lshlrev_b64 v[9:10], v1, v[7:8]
	v_sub_u32_e32 v1, 32, v1
	v_min_u32_e32 v3, 1, v9
	v_or_b32_e32 v3, v10, v3
	v_cvt_f32_i32_e32 v3, v3
	s_mov_b32 s2, 0x47800000
	v_mov_b32_e32 v9, 0x80
	v_ldexp_f32 v1, v3, v1
	v_and_b32_e32 v3, 0x7fffffff, v1
	v_cmp_gt_u32_e32 vcc, s2, v3
	s_and_saveexec_b64 s[2:3], vcc
	s_cbranch_execz .LBB215_2647
; %bb.2642:
	s_mov_b32 s6, 0x37ffffff
	v_cmp_lt_u32_e32 vcc, s6, v3
	s_mov_b64 s[6:7], 0
                                        ; implicit-def: $vgpr3
	s_and_saveexec_b64 s[10:11], vcc
	s_xor_b64 s[10:11], exec, s[10:11]
	s_cbranch_execz .LBB215_3086
; %bb.2643:
	v_bfe_u32 v3, v1, 21, 1
	s_mov_b32 s16, 0x88fffff
	v_add3_u32 v3, v1, v3, s16
	s_mov_b64 s[6:7], exec
	v_lshrrev_b32_e32 v3, 21, v3
	s_andn2_saveexec_b64 s[10:11], s[10:11]
	s_cbranch_execnz .LBB215_3087
.LBB215_2644:
	s_or_b64 exec, exec, s[10:11]
	v_mov_b32_e32 v9, 0
	s_and_saveexec_b64 s[10:11], s[6:7]
.LBB215_2645:
	v_lshrrev_b32_e32 v1, 24, v1
	s_movk_i32 s6, 0x80
	v_and_or_b32 v9, v1, s6, v3
.LBB215_2646:
	s_or_b64 exec, exec, s[10:11]
.LBB215_2647:
	s_or_b64 exec, exec, s[2:3]
	s_mov_b64 s[2:3], 0
	global_store_byte v[5:6], v9, off
.LBB215_2648:
	s_and_b64 vcc, exec, s[2:3]
	s_cbranch_vccz .LBB215_2658
; %bb.2649:
	v_xor_b32_e32 v3, v7, v8
	v_ffbh_i32_e32 v1, v8
	v_ashrrev_i32_e32 v3, 31, v3
	v_add_u32_e32 v1, -1, v1
	v_add_u32_e32 v3, 32, v3
	v_min_u32_e32 v1, v1, v3
	v_lshlrev_b64 v[9:10], v1, v[7:8]
	v_sub_u32_e32 v1, 32, v1
	v_min_u32_e32 v3, 1, v9
	v_or_b32_e32 v3, v10, v3
	v_cvt_f32_i32_e32 v3, v3
	s_mov_b32 s2, 0x43f00000
	v_ldexp_f32 v1, v3, v1
	v_and_b32_e32 v9, 0x7fffffff, v1
	v_cmp_gt_u32_e32 vcc, s2, v9
                                        ; implicit-def: $vgpr3
	s_and_saveexec_b64 s[2:3], vcc
	s_xor_b64 s[2:3], exec, s[2:3]
	s_cbranch_execz .LBB215_2655
; %bb.2650:
	s_mov_b32 s6, 0x3c7fffff
	v_cmp_lt_u32_e32 vcc, s6, v9
                                        ; implicit-def: $vgpr3
	s_and_saveexec_b64 s[6:7], vcc
	s_xor_b64 s[6:7], exec, s[6:7]
; %bb.2651:
	v_bfe_u32 v3, v1, 20, 1
	s_mov_b32 s10, 0x407ffff
	v_add3_u32 v3, v1, v3, s10
	v_lshrrev_b32_e32 v9, 20, v3
	v_and_b32_e32 v3, 0xff00000, v3
	s_mov_b32 s10, 0x7f00000
	v_mov_b32_e32 v10, 0x7e
	v_cmp_ne_u32_e32 vcc, s10, v3
	v_cndmask_b32_e32 v3, v10, v9, vcc
; %bb.2652:
	s_andn2_saveexec_b64 s[6:7], s[6:7]
; %bb.2653:
	s_mov_b32 s10, 0x46800000
	v_add_f32_e64 v3, |v1|, s10
; %bb.2654:
	s_or_b64 exec, exec, s[6:7]
                                        ; implicit-def: $vgpr9
.LBB215_2655:
	s_andn2_saveexec_b64 s[2:3], s[2:3]
; %bb.2656:
	s_mov_b32 s6, 0x7f800000
	v_mov_b32_e32 v3, 0x7e
	v_mov_b32_e32 v10, 0x7f
	v_cmp_lt_u32_e32 vcc, s6, v9
	v_cndmask_b32_e32 v3, v3, v10, vcc
; %bb.2657:
	s_or_b64 exec, exec, s[2:3]
	v_lshrrev_b32_e32 v1, 24, v1
	s_movk_i32 s2, 0x80
	v_and_or_b32 v1, v1, s2, v3
	global_store_byte v[5:6], v1, off
.LBB215_2658:
	s_mov_b64 s[2:3], 0
.LBB215_2659:
	s_andn2_b64 vcc, exec, s[2:3]
	s_cbranch_vccnz .LBB215_2669
; %bb.2660:
	v_xor_b32_e32 v3, v7, v8
	v_ffbh_i32_e32 v1, v8
	v_ashrrev_i32_e32 v3, 31, v3
	v_add_u32_e32 v1, -1, v1
	v_add_u32_e32 v3, 32, v3
	v_min_u32_e32 v1, v1, v3
	v_lshlrev_b64 v[9:10], v1, v[7:8]
	v_sub_u32_e32 v1, 32, v1
	v_min_u32_e32 v3, 1, v9
	v_or_b32_e32 v3, v10, v3
	v_cvt_f32_i32_e32 v3, v3
	s_mov_b32 s2, 0x47800000
	v_ldexp_f32 v1, v3, v1
	v_and_b32_e32 v9, 0x7fffffff, v1
	v_cmp_gt_u32_e32 vcc, s2, v9
                                        ; implicit-def: $vgpr3
	s_and_saveexec_b64 s[2:3], vcc
	s_xor_b64 s[2:3], exec, s[2:3]
	s_cbranch_execz .LBB215_2666
; %bb.2661:
	s_mov_b32 s6, 0x387fffff
	v_cmp_lt_u32_e32 vcc, s6, v9
                                        ; implicit-def: $vgpr3
	s_and_saveexec_b64 s[6:7], vcc
	s_xor_b64 s[6:7], exec, s[6:7]
; %bb.2662:
	v_bfe_u32 v3, v1, 21, 1
	s_mov_b32 s10, 0x80fffff
	v_add3_u32 v3, v1, v3, s10
	v_lshrrev_b32_e32 v3, 21, v3
; %bb.2663:
	s_andn2_saveexec_b64 s[6:7], s[6:7]
; %bb.2664:
	s_mov_b32 s10, 0x43000000
	v_add_f32_e64 v3, |v1|, s10
; %bb.2665:
	s_or_b64 exec, exec, s[6:7]
                                        ; implicit-def: $vgpr9
.LBB215_2666:
	s_andn2_saveexec_b64 s[2:3], s[2:3]
; %bb.2667:
	s_mov_b32 s6, 0x7f800000
	v_mov_b32_e32 v3, 0x7c
	v_mov_b32_e32 v10, 0x7f
	v_cmp_lt_u32_e32 vcc, s6, v9
	v_cndmask_b32_e32 v3, v3, v10, vcc
; %bb.2668:
	s_or_b64 exec, exec, s[2:3]
	v_lshrrev_b32_e32 v1, 24, v1
	s_movk_i32 s2, 0x80
	v_and_or_b32 v1, v1, s2, v3
	global_store_byte v[5:6], v1, off
.LBB215_2669:
	s_mov_b64 s[2:3], 0
	s_mov_b64 s[6:7], -1
.LBB215_2670:
	s_andn2_b64 vcc, exec, s[2:3]
	s_mov_b64 s[2:3], 0
	s_cbranch_vccnz .LBB215_2677
; %bb.2671:
	s_cmp_gt_i32 s19, 14
	s_mov_b64 s[10:11], -1
	s_cbranch_scc0 .LBB215_2675
; %bb.2672:
	s_cmp_eq_u32 s19, 15
	s_mov_b64 s[0:1], -1
	s_cbranch_scc0 .LBB215_2674
; %bb.2673:
	v_xor_b32_e32 v3, v7, v8
	v_ffbh_i32_e32 v1, v8
	v_ashrrev_i32_e32 v3, 31, v3
	v_add_u32_e32 v1, -1, v1
	v_add_u32_e32 v3, 32, v3
	v_min_u32_e32 v1, v1, v3
	v_lshlrev_b64 v[9:10], v1, v[7:8]
	v_sub_u32_e32 v1, 32, v1
	v_min_u32_e32 v3, 1, v9
	v_or_b32_e32 v3, v10, v3
	v_cvt_f32_i32_e32 v3, v3
	s_movk_i32 s0, 0x7fff
	s_mov_b64 s[6:7], -1
	v_ldexp_f32 v1, v3, v1
	v_bfe_u32 v3, v1, 16, 1
	v_add3_u32 v1, v1, v3, s0
	global_store_short_d16_hi v[5:6], v1, off
	s_mov_b64 s[0:1], 0
.LBB215_2674:
	s_mov_b64 s[10:11], 0
.LBB215_2675:
	s_and_b64 vcc, exec, s[10:11]
	s_cbranch_vccz .LBB215_2677
; %bb.2676:
	s_cmp_lg_u32 s19, 11
	s_mov_b64 s[2:3], -1
	s_cselect_b64 s[0:1], -1, 0
.LBB215_2677:
	s_and_b64 vcc, exec, s[0:1]
	s_cbranch_vccnz .LBB215_3085
; %bb.2678:
	s_andn2_b64 vcc, exec, s[2:3]
	s_cbranch_vccnz .LBB215_2680
.LBB215_2679:
	v_cmp_ne_u64_e32 vcc, 0, v[7:8]
	s_mov_b64 s[6:7], -1
	v_cndmask_b32_e64 v1, 0, 1, vcc
	global_store_byte v[5:6], v1, off
.LBB215_2680:
	s_mov_b64 s[0:1], 0
	s_branch .LBB215_2682
.LBB215_2681:
	s_mov_b64 s[0:1], -1
	s_mov_b64 s[6:7], 0
.LBB215_2682:
	s_and_b64 vcc, exec, s[0:1]
	s_cbranch_vccz .LBB215_2721
; %bb.2683:
	s_and_b32 s2, 0xffff, s18
	s_cmp_lt_i32 s2, 5
	s_mov_b64 s[0:1], -1
	s_cbranch_scc1 .LBB215_2704
; %bb.2684:
	s_cmp_lt_i32 s2, 8
	s_cbranch_scc1 .LBB215_2694
; %bb.2685:
	s_cmp_lt_i32 s2, 9
	s_cbranch_scc1 .LBB215_2691
; %bb.2686:
	s_cmp_gt_i32 s2, 9
	s_cbranch_scc0 .LBB215_2688
; %bb.2687:
	v_cvt_f64_i32_e32 v[9:10], v8
	v_cvt_f64_u32_e32 v[25:26], v7
	v_mov_b32_e32 v27, 0
	v_mov_b32_e32 v28, v27
	v_ldexp_f64 v[9:10], v[9:10], 32
	s_mov_b64 s[0:1], 0
	v_add_f64 v[25:26], v[9:10], v[25:26]
	global_store_dwordx4 v[5:6], v[25:28], off
.LBB215_2688:
	s_andn2_b64 vcc, exec, s[0:1]
	s_cbranch_vccnz .LBB215_2690
; %bb.2689:
	v_xor_b32_e32 v3, v7, v8
	v_ffbh_i32_e32 v1, v8
	v_ashrrev_i32_e32 v3, 31, v3
	v_add_u32_e32 v1, -1, v1
	v_add_u32_e32 v3, 32, v3
	v_min_u32_e32 v1, v1, v3
	v_lshlrev_b64 v[9:10], v1, v[7:8]
	v_sub_u32_e32 v1, 32, v1
	v_min_u32_e32 v3, 1, v9
	v_or_b32_e32 v3, v10, v3
	v_cvt_f32_i32_e32 v3, v3
	v_mov_b32_e32 v10, 0
	v_ldexp_f32 v9, v3, v1
	global_store_dwordx2 v[5:6], v[9:10], off
.LBB215_2690:
	s_mov_b64 s[0:1], 0
.LBB215_2691:
	s_andn2_b64 vcc, exec, s[0:1]
	s_cbranch_vccnz .LBB215_2693
; %bb.2692:
	v_xor_b32_e32 v3, v7, v8
	v_ffbh_i32_e32 v1, v8
	v_ashrrev_i32_e32 v3, 31, v3
	v_add_u32_e32 v1, -1, v1
	v_add_u32_e32 v3, 32, v3
	v_min_u32_e32 v1, v1, v3
	v_lshlrev_b64 v[9:10], v1, v[7:8]
	v_sub_u32_e32 v1, 32, v1
	v_min_u32_e32 v3, 1, v9
	v_or_b32_e32 v3, v10, v3
	v_cvt_f32_i32_e32 v3, v3
	v_ldexp_f32 v1, v3, v1
	v_cvt_f16_f32_e32 v1, v1
	global_store_dword v[5:6], v1, off
.LBB215_2693:
	s_mov_b64 s[0:1], 0
.LBB215_2694:
	s_andn2_b64 vcc, exec, s[0:1]
	s_cbranch_vccnz .LBB215_2703
; %bb.2695:
	s_cmp_lt_i32 s2, 6
	s_mov_b64 s[0:1], -1
	s_cbranch_scc1 .LBB215_2701
; %bb.2696:
	s_cmp_gt_i32 s2, 6
	s_cbranch_scc0 .LBB215_2698
; %bb.2697:
	v_cvt_f64_i32_e32 v[9:10], v8
	v_cvt_f64_u32_e32 v[25:26], v7
	s_mov_b64 s[0:1], 0
	v_ldexp_f64 v[9:10], v[9:10], 32
	v_add_f64 v[9:10], v[9:10], v[25:26]
	global_store_dwordx2 v[5:6], v[9:10], off
.LBB215_2698:
	s_andn2_b64 vcc, exec, s[0:1]
	s_cbranch_vccnz .LBB215_2700
; %bb.2699:
	v_xor_b32_e32 v3, v7, v8
	v_ffbh_i32_e32 v1, v8
	v_ashrrev_i32_e32 v3, 31, v3
	v_add_u32_e32 v1, -1, v1
	v_add_u32_e32 v3, 32, v3
	v_min_u32_e32 v1, v1, v3
	v_lshlrev_b64 v[9:10], v1, v[7:8]
	v_sub_u32_e32 v1, 32, v1
	v_min_u32_e32 v3, 1, v9
	v_or_b32_e32 v3, v10, v3
	v_cvt_f32_i32_e32 v3, v3
	v_ldexp_f32 v1, v3, v1
	global_store_dword v[5:6], v1, off
.LBB215_2700:
	s_mov_b64 s[0:1], 0
.LBB215_2701:
	s_andn2_b64 vcc, exec, s[0:1]
	s_cbranch_vccnz .LBB215_2703
; %bb.2702:
	v_xor_b32_e32 v3, v7, v8
	v_ffbh_i32_e32 v1, v8
	v_ashrrev_i32_e32 v3, 31, v3
	v_add_u32_e32 v1, -1, v1
	v_add_u32_e32 v3, 32, v3
	v_min_u32_e32 v1, v1, v3
	v_lshlrev_b64 v[9:10], v1, v[7:8]
	v_sub_u32_e32 v1, 32, v1
	v_min_u32_e32 v3, 1, v9
	v_or_b32_e32 v3, v10, v3
	v_cvt_f32_i32_e32 v3, v3
	v_ldexp_f32 v1, v3, v1
	v_cvt_f16_f32_e32 v1, v1
	global_store_short v[5:6], v1, off
.LBB215_2703:
	s_mov_b64 s[0:1], 0
.LBB215_2704:
	s_andn2_b64 vcc, exec, s[0:1]
	s_cbranch_vccnz .LBB215_2720
; %bb.2705:
	s_cmp_lt_i32 s2, 2
	s_mov_b64 s[0:1], -1
	s_cbranch_scc1 .LBB215_2715
; %bb.2706:
	s_cmp_lt_i32 s2, 3
	s_cbranch_scc1 .LBB215_2712
; %bb.2707:
	s_cmp_gt_i32 s2, 3
	s_cbranch_scc0 .LBB215_2709
; %bb.2708:
	global_store_dwordx2 v[5:6], v[7:8], off
	s_mov_b64 s[0:1], 0
.LBB215_2709:
	s_andn2_b64 vcc, exec, s[0:1]
	s_cbranch_vccnz .LBB215_2711
; %bb.2710:
	global_store_dword v[5:6], v7, off
.LBB215_2711:
	s_mov_b64 s[0:1], 0
.LBB215_2712:
	s_andn2_b64 vcc, exec, s[0:1]
	s_cbranch_vccnz .LBB215_2714
; %bb.2713:
	global_store_short v[5:6], v7, off
.LBB215_2714:
	s_mov_b64 s[0:1], 0
.LBB215_2715:
	s_andn2_b64 vcc, exec, s[0:1]
	s_cbranch_vccnz .LBB215_2720
; %bb.2716:
	s_cmp_gt_i32 s2, 0
	s_mov_b64 s[0:1], -1
	s_cbranch_scc0 .LBB215_2718
; %bb.2717:
	global_store_byte v[5:6], v7, off
	s_mov_b64 s[0:1], 0
.LBB215_2718:
	s_andn2_b64 vcc, exec, s[0:1]
	s_cbranch_vccnz .LBB215_2720
; %bb.2719:
	global_store_byte v[5:6], v7, off
.LBB215_2720:
	s_mov_b64 s[6:7], -1
.LBB215_2721:
	s_andn2_b64 vcc, exec, s[6:7]
	s_cbranch_vccnz .LBB215_3036
; %bb.2722:
	v_cmp_gt_u64_e32 vcc, 63, v[15:16]
	s_lshr_b32 s0, s20, 8
	v_cndmask_b32_e32 v1, 63, v15, vcc
	s_and_b32 s18, s0, 0xff
	v_ashrrev_i64 v[5:6], v1, v[12:13]
	v_mov_b32_e32 v1, s9
	v_add_co_u32_e32 v3, vcc, s8, v4
	s_cmp_lt_i32 s18, 11
	v_addc_co_u32_e32 v4, vcc, 0, v1, vcc
	s_cbranch_scc1 .LBB215_2800
; %bb.2723:
	s_and_b32 s19, 0xffff, s18
	s_mov_b64 s[10:11], -1
	s_mov_b64 s[2:3], 0
	s_cmp_gt_i32 s19, 25
	s_mov_b64 s[6:7], 0
	s_mov_b64 s[0:1], 0
	s_cbranch_scc0 .LBB215_2756
; %bb.2724:
	s_cmp_gt_i32 s19, 28
	s_cbranch_scc0 .LBB215_2739
; %bb.2725:
	s_cmp_gt_i32 s19, 43
	;; [unrolled: 3-line block ×3, first 2 shown]
	s_cbranch_scc0 .LBB215_2729
; %bb.2727:
	s_mov_b64 s[0:1], -1
	s_mov_b64 s[10:11], 0
	s_cmp_eq_u32 s19, 46
	s_cbranch_scc0 .LBB215_2729
; %bb.2728:
	v_xor_b32_e32 v7, v5, v6
	v_ffbh_i32_e32 v1, v6
	v_ashrrev_i32_e32 v7, 31, v7
	v_add_u32_e32 v1, -1, v1
	v_add_u32_e32 v7, 32, v7
	v_min_u32_e32 v1, v1, v7
	v_lshlrev_b64 v[7:8], v1, v[5:6]
	v_sub_u32_e32 v1, 32, v1
	v_min_u32_e32 v7, 1, v7
	v_or_b32_e32 v7, v8, v7
	v_cvt_f32_i32_e32 v7, v7
	s_movk_i32 s0, 0x7fff
	s_mov_b64 s[6:7], -1
	v_ldexp_f32 v1, v7, v1
	v_bfe_u32 v7, v1, 16, 1
	v_add3_u32 v1, v1, v7, s0
	v_lshrrev_b32_e32 v1, 16, v1
	global_store_dword v[3:4], v1, off
	s_mov_b64 s[0:1], 0
.LBB215_2729:
	s_and_b64 vcc, exec, s[10:11]
	s_cbranch_vccz .LBB215_2734
; %bb.2730:
	s_cmp_eq_u32 s19, 44
	s_mov_b64 s[0:1], -1
	s_cbranch_scc0 .LBB215_2734
; %bb.2731:
	v_xor_b32_e32 v7, v5, v6
	v_ffbh_i32_e32 v1, v6
	v_ashrrev_i32_e32 v7, 31, v7
	v_add_u32_e32 v1, -1, v1
	v_add_u32_e32 v7, 32, v7
	v_min_u32_e32 v1, v1, v7
	v_lshlrev_b64 v[7:8], v1, v[5:6]
	v_sub_u32_e32 v1, 32, v1
	v_min_u32_e32 v7, 1, v7
	v_or_b32_e32 v7, v8, v7
	v_cvt_f32_i32_e32 v7, v7
	s_movk_i32 s0, 0xff
	v_mov_b32_e32 v8, 0xff
	v_ldexp_f32 v1, v7, v1
	v_bfe_u32 v7, v1, 23, 8
	v_cmp_ne_u32_e32 vcc, s0, v7
	s_and_saveexec_b64 s[6:7], vcc
; %bb.2732:
	s_mov_b32 s0, 0x3fffff
	v_lshrrev_b32_e32 v8, 23, v1
	v_and_b32_e32 v9, 0x400000, v1
	v_and_or_b32 v1, v1, s0, v7
	v_cmp_ne_u32_e32 vcc, 0, v9
	v_cmp_ne_u32_e64 s[0:1], 0, v1
	s_and_b64 s[0:1], vcc, s[0:1]
	v_cndmask_b32_e64 v1, 0, 1, s[0:1]
	v_add_u32_e32 v8, v8, v1
; %bb.2733:
	s_or_b64 exec, exec, s[6:7]
	s_mov_b64 s[0:1], 0
	s_mov_b64 s[6:7], -1
	global_store_byte v[3:4], v8, off
.LBB215_2734:
	s_mov_b64 s[10:11], 0
.LBB215_2735:
	s_and_b64 vcc, exec, s[10:11]
	s_cbranch_vccz .LBB215_2738
; %bb.2736:
	s_cmp_eq_u32 s19, 29
	s_mov_b64 s[0:1], -1
	s_cbranch_scc0 .LBB215_2738
; %bb.2737:
	global_store_dwordx2 v[3:4], v[5:6], off
	s_mov_b64 s[0:1], 0
	s_mov_b64 s[6:7], -1
.LBB215_2738:
	s_mov_b64 s[10:11], 0
.LBB215_2739:
	s_and_b64 vcc, exec, s[10:11]
	s_cbranch_vccz .LBB215_2755
; %bb.2740:
	s_cmp_lt_i32 s19, 27
	s_mov_b64 s[6:7], -1
	s_cbranch_scc1 .LBB215_2746
; %bb.2741:
	s_cmp_gt_i32 s19, 27
	s_cbranch_scc0 .LBB215_2743
; %bb.2742:
	s_mov_b64 s[6:7], 0
	global_store_dword v[3:4], v5, off
.LBB215_2743:
	s_andn2_b64 vcc, exec, s[6:7]
	s_cbranch_vccnz .LBB215_2745
; %bb.2744:
	global_store_short v[3:4], v5, off
.LBB215_2745:
	s_mov_b64 s[6:7], 0
.LBB215_2746:
	s_andn2_b64 vcc, exec, s[6:7]
	s_cbranch_vccnz .LBB215_2754
; %bb.2747:
	v_xor_b32_e32 v7, v5, v6
	v_ffbh_i32_e32 v1, v6
	v_ashrrev_i32_e32 v7, 31, v7
	v_add_u32_e32 v1, -1, v1
	v_add_u32_e32 v7, 32, v7
	v_min_u32_e32 v1, v1, v7
	v_lshlrev_b64 v[7:8], v1, v[5:6]
	v_sub_u32_e32 v1, 32, v1
	v_min_u32_e32 v7, 1, v7
	v_or_b32_e32 v7, v8, v7
	v_cvt_f32_i32_e32 v7, v7
	s_mov_b32 s6, 0x43800000
	v_mov_b32_e32 v8, 0x80
	v_ldexp_f32 v1, v7, v1
	v_and_b32_e32 v7, 0x7fffffff, v1
	v_cmp_gt_u32_e32 vcc, s6, v7
	s_and_saveexec_b64 s[6:7], vcc
	s_cbranch_execz .LBB215_2753
; %bb.2748:
	s_mov_b32 s10, 0x3bffffff
	v_cmp_lt_u32_e32 vcc, s10, v7
	s_mov_b64 s[10:11], 0
                                        ; implicit-def: $vgpr7
	s_and_saveexec_b64 s[16:17], vcc
	s_xor_b64 s[16:17], exec, s[16:17]
	s_cbranch_execz .LBB215_3088
; %bb.2749:
	v_bfe_u32 v7, v1, 20, 1
	s_mov_b32 s20, 0x487ffff
	v_add3_u32 v7, v1, v7, s20
	s_mov_b64 s[10:11], exec
	v_lshrrev_b32_e32 v7, 20, v7
	s_andn2_saveexec_b64 s[16:17], s[16:17]
	s_cbranch_execnz .LBB215_3089
.LBB215_2750:
	s_or_b64 exec, exec, s[16:17]
	v_mov_b32_e32 v8, 0
	s_and_saveexec_b64 s[16:17], s[10:11]
.LBB215_2751:
	v_lshrrev_b32_e32 v1, 24, v1
	s_movk_i32 s10, 0x80
	v_and_or_b32 v8, v1, s10, v7
.LBB215_2752:
	s_or_b64 exec, exec, s[16:17]
.LBB215_2753:
	s_or_b64 exec, exec, s[6:7]
	global_store_byte v[3:4], v8, off
.LBB215_2754:
	s_mov_b64 s[6:7], -1
.LBB215_2755:
	s_mov_b64 s[10:11], 0
.LBB215_2756:
	s_and_b64 vcc, exec, s[10:11]
	s_cbranch_vccz .LBB215_2796
; %bb.2757:
	s_cmp_gt_i32 s19, 22
	s_mov_b64 s[2:3], -1
	s_cbranch_scc0 .LBB215_2789
; %bb.2758:
	s_cmp_lt_i32 s19, 24
	s_cbranch_scc1 .LBB215_2778
; %bb.2759:
	s_cmp_gt_i32 s19, 24
	s_cbranch_scc0 .LBB215_2767
; %bb.2760:
	v_xor_b32_e32 v7, v5, v6
	v_ffbh_i32_e32 v1, v6
	v_ashrrev_i32_e32 v7, 31, v7
	v_add_u32_e32 v1, -1, v1
	v_add_u32_e32 v7, 32, v7
	v_min_u32_e32 v1, v1, v7
	v_lshlrev_b64 v[7:8], v1, v[5:6]
	v_sub_u32_e32 v1, 32, v1
	v_min_u32_e32 v7, 1, v7
	v_or_b32_e32 v7, v8, v7
	v_cvt_f32_i32_e32 v7, v7
	s_mov_b32 s2, 0x47800000
	v_mov_b32_e32 v8, 0x80
	v_ldexp_f32 v1, v7, v1
	v_and_b32_e32 v7, 0x7fffffff, v1
	v_cmp_gt_u32_e32 vcc, s2, v7
	s_and_saveexec_b64 s[2:3], vcc
	s_cbranch_execz .LBB215_2766
; %bb.2761:
	s_mov_b32 s6, 0x37ffffff
	v_cmp_lt_u32_e32 vcc, s6, v7
	s_mov_b64 s[6:7], 0
                                        ; implicit-def: $vgpr7
	s_and_saveexec_b64 s[10:11], vcc
	s_xor_b64 s[10:11], exec, s[10:11]
	s_cbranch_execz .LBB215_3091
; %bb.2762:
	v_bfe_u32 v7, v1, 21, 1
	s_mov_b32 s16, 0x88fffff
	v_add3_u32 v7, v1, v7, s16
	s_mov_b64 s[6:7], exec
	v_lshrrev_b32_e32 v7, 21, v7
	s_andn2_saveexec_b64 s[10:11], s[10:11]
	s_cbranch_execnz .LBB215_3092
.LBB215_2763:
	s_or_b64 exec, exec, s[10:11]
	v_mov_b32_e32 v8, 0
	s_and_saveexec_b64 s[10:11], s[6:7]
.LBB215_2764:
	v_lshrrev_b32_e32 v1, 24, v1
	s_movk_i32 s6, 0x80
	v_and_or_b32 v8, v1, s6, v7
.LBB215_2765:
	s_or_b64 exec, exec, s[10:11]
.LBB215_2766:
	s_or_b64 exec, exec, s[2:3]
	s_mov_b64 s[2:3], 0
	global_store_byte v[3:4], v8, off
.LBB215_2767:
	s_and_b64 vcc, exec, s[2:3]
	s_cbranch_vccz .LBB215_2777
; %bb.2768:
	v_xor_b32_e32 v7, v5, v6
	v_ffbh_i32_e32 v1, v6
	v_ashrrev_i32_e32 v7, 31, v7
	v_add_u32_e32 v1, -1, v1
	v_add_u32_e32 v7, 32, v7
	v_min_u32_e32 v1, v1, v7
	v_lshlrev_b64 v[7:8], v1, v[5:6]
	v_sub_u32_e32 v1, 32, v1
	v_min_u32_e32 v7, 1, v7
	v_or_b32_e32 v7, v8, v7
	v_cvt_f32_i32_e32 v7, v7
	s_mov_b32 s2, 0x43f00000
	v_ldexp_f32 v1, v7, v1
	v_and_b32_e32 v8, 0x7fffffff, v1
	v_cmp_gt_u32_e32 vcc, s2, v8
                                        ; implicit-def: $vgpr7
	s_and_saveexec_b64 s[2:3], vcc
	s_xor_b64 s[2:3], exec, s[2:3]
	s_cbranch_execz .LBB215_2774
; %bb.2769:
	s_mov_b32 s6, 0x3c7fffff
	v_cmp_lt_u32_e32 vcc, s6, v8
                                        ; implicit-def: $vgpr7
	s_and_saveexec_b64 s[6:7], vcc
	s_xor_b64 s[6:7], exec, s[6:7]
; %bb.2770:
	v_bfe_u32 v7, v1, 20, 1
	s_mov_b32 s10, 0x407ffff
	v_add3_u32 v7, v1, v7, s10
	v_lshrrev_b32_e32 v8, 20, v7
	v_and_b32_e32 v7, 0xff00000, v7
	s_mov_b32 s10, 0x7f00000
	v_mov_b32_e32 v9, 0x7e
	v_cmp_ne_u32_e32 vcc, s10, v7
	v_cndmask_b32_e32 v7, v9, v8, vcc
; %bb.2771:
	s_andn2_saveexec_b64 s[6:7], s[6:7]
; %bb.2772:
	s_mov_b32 s10, 0x46800000
	v_add_f32_e64 v7, |v1|, s10
; %bb.2773:
	s_or_b64 exec, exec, s[6:7]
                                        ; implicit-def: $vgpr8
.LBB215_2774:
	s_andn2_saveexec_b64 s[2:3], s[2:3]
; %bb.2775:
	s_mov_b32 s6, 0x7f800000
	v_mov_b32_e32 v7, 0x7e
	v_mov_b32_e32 v9, 0x7f
	v_cmp_lt_u32_e32 vcc, s6, v8
	v_cndmask_b32_e32 v7, v7, v9, vcc
; %bb.2776:
	s_or_b64 exec, exec, s[2:3]
	v_lshrrev_b32_e32 v1, 24, v1
	s_movk_i32 s2, 0x80
	v_and_or_b32 v1, v1, s2, v7
	global_store_byte v[3:4], v1, off
.LBB215_2777:
	s_mov_b64 s[2:3], 0
.LBB215_2778:
	s_andn2_b64 vcc, exec, s[2:3]
	s_cbranch_vccnz .LBB215_2788
; %bb.2779:
	v_xor_b32_e32 v7, v5, v6
	v_ffbh_i32_e32 v1, v6
	v_ashrrev_i32_e32 v7, 31, v7
	v_add_u32_e32 v1, -1, v1
	v_add_u32_e32 v7, 32, v7
	v_min_u32_e32 v1, v1, v7
	v_lshlrev_b64 v[7:8], v1, v[5:6]
	v_sub_u32_e32 v1, 32, v1
	v_min_u32_e32 v7, 1, v7
	v_or_b32_e32 v7, v8, v7
	v_cvt_f32_i32_e32 v7, v7
	s_mov_b32 s2, 0x47800000
	v_ldexp_f32 v1, v7, v1
	v_and_b32_e32 v8, 0x7fffffff, v1
	v_cmp_gt_u32_e32 vcc, s2, v8
                                        ; implicit-def: $vgpr7
	s_and_saveexec_b64 s[2:3], vcc
	s_xor_b64 s[2:3], exec, s[2:3]
	s_cbranch_execz .LBB215_2785
; %bb.2780:
	s_mov_b32 s6, 0x387fffff
	v_cmp_lt_u32_e32 vcc, s6, v8
                                        ; implicit-def: $vgpr7
	s_and_saveexec_b64 s[6:7], vcc
	s_xor_b64 s[6:7], exec, s[6:7]
; %bb.2781:
	v_bfe_u32 v7, v1, 21, 1
	s_mov_b32 s10, 0x80fffff
	v_add3_u32 v7, v1, v7, s10
	v_lshrrev_b32_e32 v7, 21, v7
; %bb.2782:
	s_andn2_saveexec_b64 s[6:7], s[6:7]
; %bb.2783:
	s_mov_b32 s10, 0x43000000
	v_add_f32_e64 v7, |v1|, s10
; %bb.2784:
	s_or_b64 exec, exec, s[6:7]
                                        ; implicit-def: $vgpr8
.LBB215_2785:
	s_andn2_saveexec_b64 s[2:3], s[2:3]
; %bb.2786:
	s_mov_b32 s6, 0x7f800000
	v_mov_b32_e32 v7, 0x7c
	v_mov_b32_e32 v9, 0x7f
	v_cmp_lt_u32_e32 vcc, s6, v8
	v_cndmask_b32_e32 v7, v7, v9, vcc
; %bb.2787:
	s_or_b64 exec, exec, s[2:3]
	v_lshrrev_b32_e32 v1, 24, v1
	s_movk_i32 s2, 0x80
	v_and_or_b32 v1, v1, s2, v7
	global_store_byte v[3:4], v1, off
.LBB215_2788:
	s_mov_b64 s[2:3], 0
	s_mov_b64 s[6:7], -1
.LBB215_2789:
	s_andn2_b64 vcc, exec, s[2:3]
	s_mov_b64 s[2:3], 0
	s_cbranch_vccnz .LBB215_2796
; %bb.2790:
	s_cmp_gt_i32 s19, 14
	s_mov_b64 s[10:11], -1
	s_cbranch_scc0 .LBB215_2794
; %bb.2791:
	s_cmp_eq_u32 s19, 15
	s_mov_b64 s[0:1], -1
	s_cbranch_scc0 .LBB215_2793
; %bb.2792:
	v_xor_b32_e32 v7, v5, v6
	v_ffbh_i32_e32 v1, v6
	v_ashrrev_i32_e32 v7, 31, v7
	v_add_u32_e32 v1, -1, v1
	v_add_u32_e32 v7, 32, v7
	v_min_u32_e32 v1, v1, v7
	v_lshlrev_b64 v[7:8], v1, v[5:6]
	v_sub_u32_e32 v1, 32, v1
	v_min_u32_e32 v7, 1, v7
	v_or_b32_e32 v7, v8, v7
	v_cvt_f32_i32_e32 v7, v7
	s_movk_i32 s0, 0x7fff
	s_mov_b64 s[6:7], -1
	v_ldexp_f32 v1, v7, v1
	v_bfe_u32 v7, v1, 16, 1
	v_add3_u32 v1, v1, v7, s0
	global_store_short_d16_hi v[3:4], v1, off
	s_mov_b64 s[0:1], 0
.LBB215_2793:
	s_mov_b64 s[10:11], 0
.LBB215_2794:
	s_and_b64 vcc, exec, s[10:11]
	s_cbranch_vccz .LBB215_2796
; %bb.2795:
	s_cmp_lg_u32 s19, 11
	s_mov_b64 s[2:3], -1
	s_cselect_b64 s[0:1], -1, 0
.LBB215_2796:
	s_and_b64 vcc, exec, s[0:1]
	s_cbranch_vccnz .LBB215_3090
; %bb.2797:
	s_andn2_b64 vcc, exec, s[2:3]
	s_cbranch_vccnz .LBB215_2799
.LBB215_2798:
	v_cmp_ne_u64_e32 vcc, 0, v[5:6]
	s_mov_b64 s[6:7], -1
	v_cndmask_b32_e64 v1, 0, 1, vcc
	global_store_byte v[3:4], v1, off
.LBB215_2799:
	s_mov_b64 s[0:1], 0
	s_branch .LBB215_2801
.LBB215_2800:
	s_mov_b64 s[0:1], -1
	s_mov_b64 s[6:7], 0
.LBB215_2801:
	s_and_b64 vcc, exec, s[0:1]
	s_cbranch_vccz .LBB215_2840
; %bb.2802:
	s_and_b32 s2, 0xffff, s18
	s_cmp_lt_i32 s2, 5
	s_mov_b64 s[0:1], -1
	s_cbranch_scc1 .LBB215_2823
; %bb.2803:
	s_cmp_lt_i32 s2, 8
	s_cbranch_scc1 .LBB215_2813
; %bb.2804:
	s_cmp_lt_i32 s2, 9
	s_cbranch_scc1 .LBB215_2810
; %bb.2805:
	s_cmp_gt_i32 s2, 9
	s_cbranch_scc0 .LBB215_2807
; %bb.2806:
	v_cvt_f64_i32_e32 v[7:8], v6
	v_cvt_f64_u32_e32 v[9:10], v5
	s_mov_b64 s[0:1], 0
	v_ldexp_f64 v[7:8], v[7:8], 32
	v_add_f64 v[7:8], v[7:8], v[9:10]
	v_mov_b32_e32 v9, 0
	v_mov_b32_e32 v10, v9
	global_store_dwordx4 v[3:4], v[7:10], off
.LBB215_2807:
	s_andn2_b64 vcc, exec, s[0:1]
	s_cbranch_vccnz .LBB215_2809
; %bb.2808:
	v_xor_b32_e32 v7, v5, v6
	v_ffbh_i32_e32 v1, v6
	v_ashrrev_i32_e32 v7, 31, v7
	v_add_u32_e32 v1, -1, v1
	v_add_u32_e32 v7, 32, v7
	v_min_u32_e32 v1, v1, v7
	v_lshlrev_b64 v[7:8], v1, v[5:6]
	v_sub_u32_e32 v1, 32, v1
	v_min_u32_e32 v7, 1, v7
	v_or_b32_e32 v7, v8, v7
	v_cvt_f32_i32_e32 v7, v7
	v_mov_b32_e32 v8, 0
	v_ldexp_f32 v7, v7, v1
	global_store_dwordx2 v[3:4], v[7:8], off
.LBB215_2809:
	s_mov_b64 s[0:1], 0
.LBB215_2810:
	s_andn2_b64 vcc, exec, s[0:1]
	s_cbranch_vccnz .LBB215_2812
; %bb.2811:
	v_xor_b32_e32 v7, v5, v6
	v_ffbh_i32_e32 v1, v6
	v_ashrrev_i32_e32 v7, 31, v7
	v_add_u32_e32 v1, -1, v1
	v_add_u32_e32 v7, 32, v7
	v_min_u32_e32 v1, v1, v7
	v_lshlrev_b64 v[7:8], v1, v[5:6]
	v_sub_u32_e32 v1, 32, v1
	v_min_u32_e32 v7, 1, v7
	v_or_b32_e32 v7, v8, v7
	v_cvt_f32_i32_e32 v7, v7
	v_ldexp_f32 v1, v7, v1
	v_cvt_f16_f32_e32 v1, v1
	global_store_dword v[3:4], v1, off
.LBB215_2812:
	s_mov_b64 s[0:1], 0
.LBB215_2813:
	s_andn2_b64 vcc, exec, s[0:1]
	s_cbranch_vccnz .LBB215_2822
; %bb.2814:
	s_cmp_lt_i32 s2, 6
	s_mov_b64 s[0:1], -1
	s_cbranch_scc1 .LBB215_2820
; %bb.2815:
	s_cmp_gt_i32 s2, 6
	s_cbranch_scc0 .LBB215_2817
; %bb.2816:
	v_cvt_f64_i32_e32 v[7:8], v6
	v_cvt_f64_u32_e32 v[9:10], v5
	s_mov_b64 s[0:1], 0
	v_ldexp_f64 v[7:8], v[7:8], 32
	v_add_f64 v[7:8], v[7:8], v[9:10]
	global_store_dwordx2 v[3:4], v[7:8], off
.LBB215_2817:
	s_andn2_b64 vcc, exec, s[0:1]
	s_cbranch_vccnz .LBB215_2819
; %bb.2818:
	v_xor_b32_e32 v7, v5, v6
	v_ffbh_i32_e32 v1, v6
	v_ashrrev_i32_e32 v7, 31, v7
	v_add_u32_e32 v1, -1, v1
	v_add_u32_e32 v7, 32, v7
	v_min_u32_e32 v1, v1, v7
	v_lshlrev_b64 v[7:8], v1, v[5:6]
	v_sub_u32_e32 v1, 32, v1
	v_min_u32_e32 v7, 1, v7
	v_or_b32_e32 v7, v8, v7
	v_cvt_f32_i32_e32 v7, v7
	v_ldexp_f32 v1, v7, v1
	global_store_dword v[3:4], v1, off
.LBB215_2819:
	s_mov_b64 s[0:1], 0
.LBB215_2820:
	s_andn2_b64 vcc, exec, s[0:1]
	s_cbranch_vccnz .LBB215_2822
; %bb.2821:
	v_xor_b32_e32 v7, v5, v6
	v_ffbh_i32_e32 v1, v6
	v_ashrrev_i32_e32 v7, 31, v7
	v_add_u32_e32 v1, -1, v1
	v_add_u32_e32 v7, 32, v7
	v_min_u32_e32 v1, v1, v7
	v_lshlrev_b64 v[7:8], v1, v[5:6]
	v_sub_u32_e32 v1, 32, v1
	v_min_u32_e32 v7, 1, v7
	v_or_b32_e32 v7, v8, v7
	v_cvt_f32_i32_e32 v7, v7
	v_ldexp_f32 v1, v7, v1
	v_cvt_f16_f32_e32 v1, v1
	global_store_short v[3:4], v1, off
.LBB215_2822:
	s_mov_b64 s[0:1], 0
.LBB215_2823:
	s_andn2_b64 vcc, exec, s[0:1]
	s_cbranch_vccnz .LBB215_2839
; %bb.2824:
	s_cmp_lt_i32 s2, 2
	s_mov_b64 s[0:1], -1
	s_cbranch_scc1 .LBB215_2834
; %bb.2825:
	s_cmp_lt_i32 s2, 3
	s_cbranch_scc1 .LBB215_2831
; %bb.2826:
	s_cmp_gt_i32 s2, 3
	s_cbranch_scc0 .LBB215_2828
; %bb.2827:
	global_store_dwordx2 v[3:4], v[5:6], off
	s_mov_b64 s[0:1], 0
.LBB215_2828:
	s_andn2_b64 vcc, exec, s[0:1]
	s_cbranch_vccnz .LBB215_2830
; %bb.2829:
	global_store_dword v[3:4], v5, off
.LBB215_2830:
	s_mov_b64 s[0:1], 0
.LBB215_2831:
	s_andn2_b64 vcc, exec, s[0:1]
	s_cbranch_vccnz .LBB215_2833
; %bb.2832:
	global_store_short v[3:4], v5, off
.LBB215_2833:
	s_mov_b64 s[0:1], 0
.LBB215_2834:
	s_andn2_b64 vcc, exec, s[0:1]
	s_cbranch_vccnz .LBB215_2839
; %bb.2835:
	s_cmp_gt_i32 s2, 0
	s_mov_b64 s[0:1], -1
	s_cbranch_scc0 .LBB215_2837
; %bb.2836:
	global_store_byte v[3:4], v5, off
	s_mov_b64 s[0:1], 0
.LBB215_2837:
	s_andn2_b64 vcc, exec, s[0:1]
	s_cbranch_vccnz .LBB215_2839
; %bb.2838:
	global_store_byte v[3:4], v5, off
.LBB215_2839:
	s_mov_b64 s[6:7], -1
.LBB215_2840:
	s_andn2_b64 vcc, exec, s[6:7]
	s_cbranch_vccnz .LBB215_3036
; %bb.2841:
	v_cmp_gt_u64_e32 vcc, 63, v[19:20]
	v_mov_b32_e32 v5, s9
	v_cndmask_b32_e32 v1, 63, v19, vcc
	v_ashrrev_i64 v[3:4], v1, v[17:18]
	v_add_co_u32_e32 v1, vcc, s8, v2
	s_cmp_lt_i32 s18, 11
	v_addc_co_u32_e32 v2, vcc, 0, v5, vcc
	s_cbranch_scc1 .LBB215_2919
; %bb.2842:
	s_and_b32 s19, 0xffff, s18
	s_mov_b64 s[10:11], -1
	s_mov_b64 s[2:3], 0
	s_cmp_gt_i32 s19, 25
	s_mov_b64 s[6:7], 0
	s_mov_b64 s[0:1], 0
	s_cbranch_scc0 .LBB215_2875
; %bb.2843:
	s_cmp_gt_i32 s19, 28
	s_cbranch_scc0 .LBB215_2858
; %bb.2844:
	s_cmp_gt_i32 s19, 43
	;; [unrolled: 3-line block ×3, first 2 shown]
	s_cbranch_scc0 .LBB215_2848
; %bb.2846:
	s_mov_b64 s[0:1], -1
	s_mov_b64 s[10:11], 0
	s_cmp_eq_u32 s19, 46
	s_cbranch_scc0 .LBB215_2848
; %bb.2847:
	v_xor_b32_e32 v6, v3, v4
	v_ffbh_i32_e32 v5, v4
	v_ashrrev_i32_e32 v6, 31, v6
	v_add_u32_e32 v5, -1, v5
	v_add_u32_e32 v6, 32, v6
	v_min_u32_e32 v7, v5, v6
	v_lshlrev_b64 v[5:6], v7, v[3:4]
	s_movk_i32 s0, 0x7fff
	v_min_u32_e32 v5, 1, v5
	v_or_b32_e32 v5, v6, v5
	v_cvt_f32_i32_e32 v5, v5
	v_sub_u32_e32 v6, 32, v7
	s_mov_b64 s[6:7], -1
	v_ldexp_f32 v5, v5, v6
	v_bfe_u32 v6, v5, 16, 1
	v_add3_u32 v5, v5, v6, s0
	v_lshrrev_b32_e32 v5, 16, v5
	global_store_dword v[1:2], v5, off
	s_mov_b64 s[0:1], 0
.LBB215_2848:
	s_and_b64 vcc, exec, s[10:11]
	s_cbranch_vccz .LBB215_2853
; %bb.2849:
	s_cmp_eq_u32 s19, 44
	s_mov_b64 s[0:1], -1
	s_cbranch_scc0 .LBB215_2853
; %bb.2850:
	v_xor_b32_e32 v6, v3, v4
	v_ffbh_i32_e32 v5, v4
	v_ashrrev_i32_e32 v6, 31, v6
	v_add_u32_e32 v5, -1, v5
	v_add_u32_e32 v6, 32, v6
	v_min_u32_e32 v7, v5, v6
	v_lshlrev_b64 v[5:6], v7, v[3:4]
	s_movk_i32 s0, 0xff
	v_min_u32_e32 v5, 1, v5
	v_or_b32_e32 v5, v6, v5
	v_cvt_f32_i32_e32 v5, v5
	v_sub_u32_e32 v6, 32, v7
	v_mov_b32_e32 v7, 0xff
	v_ldexp_f32 v5, v5, v6
	v_bfe_u32 v6, v5, 23, 8
	v_cmp_ne_u32_e32 vcc, s0, v6
	s_and_saveexec_b64 s[6:7], vcc
; %bb.2851:
	s_mov_b32 s0, 0x3fffff
	v_lshrrev_b32_e32 v7, 23, v5
	v_and_b32_e32 v8, 0x400000, v5
	v_and_or_b32 v5, v5, s0, v6
	v_cmp_ne_u32_e32 vcc, 0, v8
	v_cmp_ne_u32_e64 s[0:1], 0, v5
	s_and_b64 s[0:1], vcc, s[0:1]
	v_cndmask_b32_e64 v5, 0, 1, s[0:1]
	v_add_u32_e32 v7, v7, v5
; %bb.2852:
	s_or_b64 exec, exec, s[6:7]
	s_mov_b64 s[0:1], 0
	s_mov_b64 s[6:7], -1
	global_store_byte v[1:2], v7, off
.LBB215_2853:
	s_mov_b64 s[10:11], 0
.LBB215_2854:
	s_and_b64 vcc, exec, s[10:11]
	s_cbranch_vccz .LBB215_2857
; %bb.2855:
	s_cmp_eq_u32 s19, 29
	s_mov_b64 s[0:1], -1
	s_cbranch_scc0 .LBB215_2857
; %bb.2856:
	global_store_dwordx2 v[1:2], v[3:4], off
	s_mov_b64 s[0:1], 0
	s_mov_b64 s[6:7], -1
.LBB215_2857:
	s_mov_b64 s[10:11], 0
.LBB215_2858:
	s_and_b64 vcc, exec, s[10:11]
	s_cbranch_vccz .LBB215_2874
; %bb.2859:
	s_cmp_lt_i32 s19, 27
	s_mov_b64 s[6:7], -1
	s_cbranch_scc1 .LBB215_2865
; %bb.2860:
	s_cmp_gt_i32 s19, 27
	s_cbranch_scc0 .LBB215_2862
; %bb.2861:
	s_mov_b64 s[6:7], 0
	global_store_dword v[1:2], v3, off
.LBB215_2862:
	s_andn2_b64 vcc, exec, s[6:7]
	s_cbranch_vccnz .LBB215_2864
; %bb.2863:
	global_store_short v[1:2], v3, off
.LBB215_2864:
	s_mov_b64 s[6:7], 0
.LBB215_2865:
	s_andn2_b64 vcc, exec, s[6:7]
	s_cbranch_vccnz .LBB215_2873
; %bb.2866:
	v_xor_b32_e32 v6, v3, v4
	v_ffbh_i32_e32 v5, v4
	v_ashrrev_i32_e32 v6, 31, v6
	v_add_u32_e32 v5, -1, v5
	v_add_u32_e32 v6, 32, v6
	v_min_u32_e32 v7, v5, v6
	v_lshlrev_b64 v[5:6], v7, v[3:4]
	s_mov_b32 s6, 0x43800000
	v_min_u32_e32 v5, 1, v5
	v_or_b32_e32 v5, v6, v5
	v_cvt_f32_i32_e32 v5, v5
	v_sub_u32_e32 v6, 32, v7
	v_mov_b32_e32 v7, 0x80
	v_ldexp_f32 v5, v5, v6
	v_and_b32_e32 v6, 0x7fffffff, v5
	v_cmp_gt_u32_e32 vcc, s6, v6
	s_and_saveexec_b64 s[6:7], vcc
	s_cbranch_execz .LBB215_2872
; %bb.2867:
	s_mov_b32 s10, 0x3bffffff
	v_cmp_lt_u32_e32 vcc, s10, v6
	s_mov_b64 s[10:11], 0
                                        ; implicit-def: $vgpr6
	s_and_saveexec_b64 s[16:17], vcc
	s_xor_b64 s[16:17], exec, s[16:17]
	s_cbranch_execz .LBB215_3093
; %bb.2868:
	v_bfe_u32 v6, v5, 20, 1
	s_mov_b32 s20, 0x487ffff
	v_add3_u32 v6, v5, v6, s20
	s_mov_b64 s[10:11], exec
	v_lshrrev_b32_e32 v6, 20, v6
	s_andn2_saveexec_b64 s[16:17], s[16:17]
	s_cbranch_execnz .LBB215_3094
.LBB215_2869:
	s_or_b64 exec, exec, s[16:17]
	v_mov_b32_e32 v7, 0
	s_and_saveexec_b64 s[16:17], s[10:11]
.LBB215_2870:
	v_lshrrev_b32_e32 v5, 24, v5
	s_movk_i32 s10, 0x80
	v_and_or_b32 v7, v5, s10, v6
.LBB215_2871:
	s_or_b64 exec, exec, s[16:17]
.LBB215_2872:
	s_or_b64 exec, exec, s[6:7]
	global_store_byte v[1:2], v7, off
.LBB215_2873:
	s_mov_b64 s[6:7], -1
.LBB215_2874:
	s_mov_b64 s[10:11], 0
.LBB215_2875:
	s_and_b64 vcc, exec, s[10:11]
	s_cbranch_vccz .LBB215_2915
; %bb.2876:
	s_cmp_gt_i32 s19, 22
	s_mov_b64 s[2:3], -1
	s_cbranch_scc0 .LBB215_2908
; %bb.2877:
	s_cmp_lt_i32 s19, 24
	s_cbranch_scc1 .LBB215_2897
; %bb.2878:
	s_cmp_gt_i32 s19, 24
	s_cbranch_scc0 .LBB215_2886
; %bb.2879:
	v_xor_b32_e32 v6, v3, v4
	v_ffbh_i32_e32 v5, v4
	v_ashrrev_i32_e32 v6, 31, v6
	v_add_u32_e32 v5, -1, v5
	v_add_u32_e32 v6, 32, v6
	v_min_u32_e32 v7, v5, v6
	v_lshlrev_b64 v[5:6], v7, v[3:4]
	s_mov_b32 s2, 0x47800000
	v_min_u32_e32 v5, 1, v5
	v_or_b32_e32 v5, v6, v5
	v_cvt_f32_i32_e32 v5, v5
	v_sub_u32_e32 v6, 32, v7
	v_mov_b32_e32 v7, 0x80
	v_ldexp_f32 v5, v5, v6
	v_and_b32_e32 v6, 0x7fffffff, v5
	v_cmp_gt_u32_e32 vcc, s2, v6
	s_and_saveexec_b64 s[2:3], vcc
	s_cbranch_execz .LBB215_2885
; %bb.2880:
	s_mov_b32 s6, 0x37ffffff
	v_cmp_lt_u32_e32 vcc, s6, v6
	s_mov_b64 s[6:7], 0
                                        ; implicit-def: $vgpr6
	s_and_saveexec_b64 s[10:11], vcc
	s_xor_b64 s[10:11], exec, s[10:11]
	s_cbranch_execz .LBB215_3096
; %bb.2881:
	v_bfe_u32 v6, v5, 21, 1
	s_mov_b32 s16, 0x88fffff
	v_add3_u32 v6, v5, v6, s16
	s_mov_b64 s[6:7], exec
	v_lshrrev_b32_e32 v6, 21, v6
	s_andn2_saveexec_b64 s[10:11], s[10:11]
	s_cbranch_execnz .LBB215_3097
.LBB215_2882:
	s_or_b64 exec, exec, s[10:11]
	v_mov_b32_e32 v7, 0
	s_and_saveexec_b64 s[10:11], s[6:7]
.LBB215_2883:
	v_lshrrev_b32_e32 v5, 24, v5
	s_movk_i32 s6, 0x80
	v_and_or_b32 v7, v5, s6, v6
.LBB215_2884:
	s_or_b64 exec, exec, s[10:11]
.LBB215_2885:
	s_or_b64 exec, exec, s[2:3]
	s_mov_b64 s[2:3], 0
	global_store_byte v[1:2], v7, off
.LBB215_2886:
	s_and_b64 vcc, exec, s[2:3]
	s_cbranch_vccz .LBB215_2896
; %bb.2887:
	v_xor_b32_e32 v6, v3, v4
	v_ffbh_i32_e32 v5, v4
	v_ashrrev_i32_e32 v6, 31, v6
	v_add_u32_e32 v5, -1, v5
	v_add_u32_e32 v6, 32, v6
	v_min_u32_e32 v7, v5, v6
	v_lshlrev_b64 v[5:6], v7, v[3:4]
	s_mov_b32 s2, 0x43f00000
	v_min_u32_e32 v5, 1, v5
	v_or_b32_e32 v5, v6, v5
	v_cvt_f32_i32_e32 v5, v5
	v_sub_u32_e32 v6, 32, v7
	v_ldexp_f32 v5, v5, v6
	v_and_b32_e32 v7, 0x7fffffff, v5
	v_cmp_gt_u32_e32 vcc, s2, v7
                                        ; implicit-def: $vgpr6
	s_and_saveexec_b64 s[2:3], vcc
	s_xor_b64 s[2:3], exec, s[2:3]
	s_cbranch_execz .LBB215_2893
; %bb.2888:
	s_mov_b32 s6, 0x3c7fffff
	v_cmp_lt_u32_e32 vcc, s6, v7
                                        ; implicit-def: $vgpr6
	s_and_saveexec_b64 s[6:7], vcc
	s_xor_b64 s[6:7], exec, s[6:7]
; %bb.2889:
	v_bfe_u32 v6, v5, 20, 1
	s_mov_b32 s10, 0x407ffff
	v_add3_u32 v6, v5, v6, s10
	v_lshrrev_b32_e32 v7, 20, v6
	v_and_b32_e32 v6, 0xff00000, v6
	s_mov_b32 s10, 0x7f00000
	v_mov_b32_e32 v8, 0x7e
	v_cmp_ne_u32_e32 vcc, s10, v6
	v_cndmask_b32_e32 v6, v8, v7, vcc
; %bb.2890:
	s_andn2_saveexec_b64 s[6:7], s[6:7]
; %bb.2891:
	s_mov_b32 s10, 0x46800000
	v_add_f32_e64 v6, |v5|, s10
; %bb.2892:
	s_or_b64 exec, exec, s[6:7]
                                        ; implicit-def: $vgpr7
.LBB215_2893:
	s_andn2_saveexec_b64 s[2:3], s[2:3]
; %bb.2894:
	s_mov_b32 s6, 0x7f800000
	v_mov_b32_e32 v6, 0x7e
	v_mov_b32_e32 v8, 0x7f
	v_cmp_lt_u32_e32 vcc, s6, v7
	v_cndmask_b32_e32 v6, v6, v8, vcc
; %bb.2895:
	s_or_b64 exec, exec, s[2:3]
	v_lshrrev_b32_e32 v5, 24, v5
	s_movk_i32 s2, 0x80
	v_and_or_b32 v5, v5, s2, v6
	global_store_byte v[1:2], v5, off
.LBB215_2896:
	s_mov_b64 s[2:3], 0
.LBB215_2897:
	s_andn2_b64 vcc, exec, s[2:3]
	s_cbranch_vccnz .LBB215_2907
; %bb.2898:
	v_xor_b32_e32 v6, v3, v4
	v_ffbh_i32_e32 v5, v4
	v_ashrrev_i32_e32 v6, 31, v6
	v_add_u32_e32 v5, -1, v5
	v_add_u32_e32 v6, 32, v6
	v_min_u32_e32 v7, v5, v6
	v_lshlrev_b64 v[5:6], v7, v[3:4]
	s_mov_b32 s2, 0x47800000
	v_min_u32_e32 v5, 1, v5
	v_or_b32_e32 v5, v6, v5
	v_cvt_f32_i32_e32 v5, v5
	v_sub_u32_e32 v6, 32, v7
	v_ldexp_f32 v5, v5, v6
	v_and_b32_e32 v7, 0x7fffffff, v5
	v_cmp_gt_u32_e32 vcc, s2, v7
                                        ; implicit-def: $vgpr6
	s_and_saveexec_b64 s[2:3], vcc
	s_xor_b64 s[2:3], exec, s[2:3]
	s_cbranch_execz .LBB215_2904
; %bb.2899:
	s_mov_b32 s6, 0x387fffff
	v_cmp_lt_u32_e32 vcc, s6, v7
                                        ; implicit-def: $vgpr6
	s_and_saveexec_b64 s[6:7], vcc
	s_xor_b64 s[6:7], exec, s[6:7]
; %bb.2900:
	v_bfe_u32 v6, v5, 21, 1
	s_mov_b32 s10, 0x80fffff
	v_add3_u32 v6, v5, v6, s10
	v_lshrrev_b32_e32 v6, 21, v6
; %bb.2901:
	s_andn2_saveexec_b64 s[6:7], s[6:7]
; %bb.2902:
	s_mov_b32 s10, 0x43000000
	v_add_f32_e64 v6, |v5|, s10
; %bb.2903:
	s_or_b64 exec, exec, s[6:7]
                                        ; implicit-def: $vgpr7
.LBB215_2904:
	s_andn2_saveexec_b64 s[2:3], s[2:3]
; %bb.2905:
	s_mov_b32 s6, 0x7f800000
	v_mov_b32_e32 v6, 0x7c
	v_mov_b32_e32 v8, 0x7f
	v_cmp_lt_u32_e32 vcc, s6, v7
	v_cndmask_b32_e32 v6, v6, v8, vcc
; %bb.2906:
	s_or_b64 exec, exec, s[2:3]
	v_lshrrev_b32_e32 v5, 24, v5
	s_movk_i32 s2, 0x80
	v_and_or_b32 v5, v5, s2, v6
	global_store_byte v[1:2], v5, off
.LBB215_2907:
	s_mov_b64 s[2:3], 0
	s_mov_b64 s[6:7], -1
.LBB215_2908:
	s_andn2_b64 vcc, exec, s[2:3]
	s_mov_b64 s[2:3], 0
	s_cbranch_vccnz .LBB215_2915
; %bb.2909:
	s_cmp_gt_i32 s19, 14
	s_mov_b64 s[10:11], -1
	s_cbranch_scc0 .LBB215_2913
; %bb.2910:
	s_cmp_eq_u32 s19, 15
	s_mov_b64 s[0:1], -1
	s_cbranch_scc0 .LBB215_2912
; %bb.2911:
	v_xor_b32_e32 v6, v3, v4
	v_ffbh_i32_e32 v5, v4
	v_ashrrev_i32_e32 v6, 31, v6
	v_add_u32_e32 v5, -1, v5
	v_add_u32_e32 v6, 32, v6
	v_min_u32_e32 v7, v5, v6
	v_lshlrev_b64 v[5:6], v7, v[3:4]
	s_movk_i32 s0, 0x7fff
	v_min_u32_e32 v5, 1, v5
	v_or_b32_e32 v5, v6, v5
	v_cvt_f32_i32_e32 v5, v5
	v_sub_u32_e32 v6, 32, v7
	s_mov_b64 s[6:7], -1
	v_ldexp_f32 v5, v5, v6
	v_bfe_u32 v6, v5, 16, 1
	v_add3_u32 v5, v5, v6, s0
	global_store_short_d16_hi v[1:2], v5, off
	s_mov_b64 s[0:1], 0
.LBB215_2912:
	s_mov_b64 s[10:11], 0
.LBB215_2913:
	s_and_b64 vcc, exec, s[10:11]
	s_cbranch_vccz .LBB215_2915
; %bb.2914:
	s_cmp_lg_u32 s19, 11
	s_mov_b64 s[2:3], -1
	s_cselect_b64 s[0:1], -1, 0
.LBB215_2915:
	s_and_b64 vcc, exec, s[0:1]
	s_cbranch_vccnz .LBB215_3095
; %bb.2916:
	s_andn2_b64 vcc, exec, s[2:3]
	s_cbranch_vccnz .LBB215_2918
.LBB215_2917:
	v_cmp_ne_u64_e32 vcc, 0, v[3:4]
	s_mov_b64 s[6:7], -1
	v_cndmask_b32_e64 v5, 0, 1, vcc
	global_store_byte v[1:2], v5, off
.LBB215_2918:
	s_mov_b64 s[0:1], 0
	s_branch .LBB215_2920
.LBB215_2919:
	s_mov_b64 s[0:1], -1
	s_mov_b64 s[6:7], 0
.LBB215_2920:
	s_and_b64 vcc, exec, s[0:1]
	s_cbranch_vccz .LBB215_2959
; %bb.2921:
	s_and_b32 s2, 0xffff, s18
	s_cmp_lt_i32 s2, 5
	s_mov_b64 s[0:1], -1
	s_cbranch_scc1 .LBB215_2942
; %bb.2922:
	s_cmp_lt_i32 s2, 8
	s_cbranch_scc1 .LBB215_2932
; %bb.2923:
	s_cmp_lt_i32 s2, 9
	s_cbranch_scc1 .LBB215_2929
; %bb.2924:
	s_cmp_gt_i32 s2, 9
	s_cbranch_scc0 .LBB215_2926
; %bb.2925:
	v_cvt_f64_i32_e32 v[5:6], v4
	v_cvt_f64_u32_e32 v[7:8], v3
	s_mov_b64 s[0:1], 0
	v_ldexp_f64 v[5:6], v[5:6], 32
	v_add_f64 v[5:6], v[5:6], v[7:8]
	v_mov_b32_e32 v7, 0
	v_mov_b32_e32 v8, v7
	global_store_dwordx4 v[1:2], v[5:8], off
.LBB215_2926:
	s_andn2_b64 vcc, exec, s[0:1]
	s_cbranch_vccnz .LBB215_2928
; %bb.2927:
	v_xor_b32_e32 v6, v3, v4
	v_ffbh_i32_e32 v5, v4
	v_ashrrev_i32_e32 v6, 31, v6
	v_add_u32_e32 v5, -1, v5
	v_add_u32_e32 v6, 32, v6
	v_min_u32_e32 v7, v5, v6
	v_lshlrev_b64 v[5:6], v7, v[3:4]
	v_min_u32_e32 v5, 1, v5
	v_or_b32_e32 v5, v6, v5
	v_cvt_f32_i32_e32 v5, v5
	v_sub_u32_e32 v6, 32, v7
	v_ldexp_f32 v5, v5, v6
	v_mov_b32_e32 v6, 0
	global_store_dwordx2 v[1:2], v[5:6], off
.LBB215_2928:
	s_mov_b64 s[0:1], 0
.LBB215_2929:
	s_andn2_b64 vcc, exec, s[0:1]
	s_cbranch_vccnz .LBB215_2931
; %bb.2930:
	v_xor_b32_e32 v6, v3, v4
	v_ffbh_i32_e32 v5, v4
	v_ashrrev_i32_e32 v6, 31, v6
	v_add_u32_e32 v5, -1, v5
	v_add_u32_e32 v6, 32, v6
	v_min_u32_e32 v7, v5, v6
	v_lshlrev_b64 v[5:6], v7, v[3:4]
	v_min_u32_e32 v5, 1, v5
	v_or_b32_e32 v5, v6, v5
	v_cvt_f32_i32_e32 v5, v5
	v_sub_u32_e32 v6, 32, v7
	v_ldexp_f32 v5, v5, v6
	v_cvt_f16_f32_e32 v5, v5
	global_store_dword v[1:2], v5, off
.LBB215_2931:
	s_mov_b64 s[0:1], 0
.LBB215_2932:
	s_andn2_b64 vcc, exec, s[0:1]
	s_cbranch_vccnz .LBB215_2941
; %bb.2933:
	s_cmp_lt_i32 s2, 6
	s_mov_b64 s[0:1], -1
	s_cbranch_scc1 .LBB215_2939
; %bb.2934:
	s_cmp_gt_i32 s2, 6
	s_cbranch_scc0 .LBB215_2936
; %bb.2935:
	v_cvt_f64_i32_e32 v[5:6], v4
	v_cvt_f64_u32_e32 v[7:8], v3
	s_mov_b64 s[0:1], 0
	v_ldexp_f64 v[5:6], v[5:6], 32
	v_add_f64 v[5:6], v[5:6], v[7:8]
	global_store_dwordx2 v[1:2], v[5:6], off
.LBB215_2936:
	s_andn2_b64 vcc, exec, s[0:1]
	s_cbranch_vccnz .LBB215_2938
; %bb.2937:
	v_xor_b32_e32 v6, v3, v4
	v_ffbh_i32_e32 v5, v4
	v_ashrrev_i32_e32 v6, 31, v6
	v_add_u32_e32 v5, -1, v5
	v_add_u32_e32 v6, 32, v6
	v_min_u32_e32 v7, v5, v6
	v_lshlrev_b64 v[5:6], v7, v[3:4]
	v_min_u32_e32 v5, 1, v5
	v_or_b32_e32 v5, v6, v5
	v_cvt_f32_i32_e32 v5, v5
	v_sub_u32_e32 v6, 32, v7
	v_ldexp_f32 v5, v5, v6
	global_store_dword v[1:2], v5, off
.LBB215_2938:
	s_mov_b64 s[0:1], 0
.LBB215_2939:
	s_andn2_b64 vcc, exec, s[0:1]
	s_cbranch_vccnz .LBB215_2941
; %bb.2940:
	v_xor_b32_e32 v6, v3, v4
	v_ffbh_i32_e32 v5, v4
	v_ashrrev_i32_e32 v6, 31, v6
	v_add_u32_e32 v5, -1, v5
	v_add_u32_e32 v6, 32, v6
	v_min_u32_e32 v7, v5, v6
	v_lshlrev_b64 v[5:6], v7, v[3:4]
	v_min_u32_e32 v5, 1, v5
	v_or_b32_e32 v5, v6, v5
	v_cvt_f32_i32_e32 v5, v5
	v_sub_u32_e32 v6, 32, v7
	v_ldexp_f32 v5, v5, v6
	v_cvt_f16_f32_e32 v5, v5
	global_store_short v[1:2], v5, off
.LBB215_2941:
	s_mov_b64 s[0:1], 0
.LBB215_2942:
	s_andn2_b64 vcc, exec, s[0:1]
	s_cbranch_vccnz .LBB215_2958
; %bb.2943:
	s_cmp_lt_i32 s2, 2
	s_mov_b64 s[0:1], -1
	s_cbranch_scc1 .LBB215_2953
; %bb.2944:
	s_cmp_lt_i32 s2, 3
	s_cbranch_scc1 .LBB215_2950
; %bb.2945:
	s_cmp_gt_i32 s2, 3
	s_cbranch_scc0 .LBB215_2947
; %bb.2946:
	global_store_dwordx2 v[1:2], v[3:4], off
	s_mov_b64 s[0:1], 0
.LBB215_2947:
	s_andn2_b64 vcc, exec, s[0:1]
	s_cbranch_vccnz .LBB215_2949
; %bb.2948:
	global_store_dword v[1:2], v3, off
.LBB215_2949:
	s_mov_b64 s[0:1], 0
.LBB215_2950:
	s_andn2_b64 vcc, exec, s[0:1]
	s_cbranch_vccnz .LBB215_2952
; %bb.2951:
	global_store_short v[1:2], v3, off
.LBB215_2952:
	s_mov_b64 s[0:1], 0
.LBB215_2953:
	s_andn2_b64 vcc, exec, s[0:1]
	s_cbranch_vccnz .LBB215_2958
; %bb.2954:
	s_cmp_gt_i32 s2, 0
	s_mov_b64 s[0:1], -1
	s_cbranch_scc0 .LBB215_2956
; %bb.2955:
	global_store_byte v[1:2], v3, off
	s_mov_b64 s[0:1], 0
.LBB215_2956:
	s_andn2_b64 vcc, exec, s[0:1]
	s_cbranch_vccnz .LBB215_2958
; %bb.2957:
	global_store_byte v[1:2], v3, off
.LBB215_2958:
	s_mov_b64 s[6:7], -1
.LBB215_2959:
	s_andn2_b64 vcc, exec, s[6:7]
	s_cbranch_vccnz .LBB215_3036
; %bb.2960:
	v_cmp_gt_u64_e32 vcc, 63, v[23:24]
	s_cmp_lt_i32 s18, 11
	v_cndmask_b32_e32 v1, 63, v23, vcc
	v_ashrrev_i64 v[2:3], v1, v[21:22]
	v_mov_b32_e32 v1, s9
	v_add_co_u32_e32 v0, vcc, s8, v0
	v_addc_co_u32_e32 v1, vcc, 0, v1, vcc
	s_cbranch_scc1 .LBB215_3081
; %bb.2961:
	s_and_b32 s16, 0xffff, s18
	s_mov_b64 s[6:7], -1
	s_mov_b64 s[2:3], 0
	s_cmp_gt_i32 s16, 25
	s_mov_b64 s[0:1], 0
	s_cbranch_scc0 .LBB215_2994
; %bb.2962:
	s_cmp_gt_i32 s16, 28
	s_cbranch_scc0 .LBB215_2978
; %bb.2963:
	s_cmp_gt_i32 s16, 43
	;; [unrolled: 3-line block ×3, first 2 shown]
	s_cbranch_scc0 .LBB215_2968
; %bb.2965:
	s_cmp_eq_u32 s16, 46
	s_mov_b64 s[0:1], -1
	s_cbranch_scc0 .LBB215_2967
; %bb.2966:
	v_xor_b32_e32 v5, v2, v3
	v_ffbh_i32_e32 v4, v3
	v_ashrrev_i32_e32 v5, 31, v5
	v_add_u32_e32 v4, -1, v4
	v_add_u32_e32 v5, 32, v5
	v_min_u32_e32 v6, v4, v5
	v_lshlrev_b64 v[4:5], v6, v[2:3]
	s_movk_i32 s0, 0x7fff
	v_min_u32_e32 v4, 1, v4
	v_or_b32_e32 v4, v5, v4
	v_cvt_f32_i32_e32 v4, v4
	v_sub_u32_e32 v5, 32, v6
	v_ldexp_f32 v4, v4, v5
	v_bfe_u32 v5, v4, 16, 1
	v_add3_u32 v4, v4, v5, s0
	v_lshrrev_b32_e32 v4, 16, v4
	global_store_dword v[0:1], v4, off
	s_mov_b64 s[0:1], 0
.LBB215_2967:
	s_mov_b64 s[6:7], 0
.LBB215_2968:
	s_and_b64 vcc, exec, s[6:7]
	s_cbranch_vccz .LBB215_2973
; %bb.2969:
	s_cmp_eq_u32 s16, 44
	s_mov_b64 s[0:1], -1
	s_cbranch_scc0 .LBB215_2973
; %bb.2970:
	v_xor_b32_e32 v5, v2, v3
	v_ffbh_i32_e32 v4, v3
	v_ashrrev_i32_e32 v5, 31, v5
	v_add_u32_e32 v4, -1, v4
	v_add_u32_e32 v5, 32, v5
	v_min_u32_e32 v6, v4, v5
	v_lshlrev_b64 v[4:5], v6, v[2:3]
	s_movk_i32 s0, 0xff
	v_min_u32_e32 v4, 1, v4
	v_or_b32_e32 v4, v5, v4
	v_cvt_f32_i32_e32 v4, v4
	v_sub_u32_e32 v5, 32, v6
	v_mov_b32_e32 v6, 0xff
	v_ldexp_f32 v4, v4, v5
	v_bfe_u32 v5, v4, 23, 8
	v_cmp_ne_u32_e32 vcc, s0, v5
	s_and_saveexec_b64 s[6:7], vcc
; %bb.2971:
	s_mov_b32 s0, 0x3fffff
	v_lshrrev_b32_e32 v6, 23, v4
	v_and_b32_e32 v7, 0x400000, v4
	v_and_or_b32 v4, v4, s0, v5
	v_cmp_ne_u32_e32 vcc, 0, v7
	v_cmp_ne_u32_e64 s[0:1], 0, v4
	s_and_b64 s[0:1], vcc, s[0:1]
	v_cndmask_b32_e64 v4, 0, 1, s[0:1]
	v_add_u32_e32 v6, v6, v4
; %bb.2972:
	s_or_b64 exec, exec, s[6:7]
	s_mov_b64 s[0:1], 0
	global_store_byte v[0:1], v6, off
.LBB215_2973:
	s_mov_b64 s[6:7], 0
.LBB215_2974:
	s_and_b64 vcc, exec, s[6:7]
	s_cbranch_vccz .LBB215_2977
; %bb.2975:
	s_cmp_eq_u32 s16, 29
	s_mov_b64 s[0:1], -1
	s_cbranch_scc0 .LBB215_2977
; %bb.2976:
	global_store_dwordx2 v[0:1], v[2:3], off
	s_mov_b64 s[0:1], 0
.LBB215_2977:
	s_mov_b64 s[6:7], 0
.LBB215_2978:
	s_and_b64 vcc, exec, s[6:7]
	s_cbranch_vccz .LBB215_2993
; %bb.2979:
	s_cmp_lt_i32 s16, 27
	s_mov_b64 s[6:7], -1
	s_cbranch_scc1 .LBB215_2985
; %bb.2980:
	s_cmp_gt_i32 s16, 27
	s_cbranch_scc0 .LBB215_2982
; %bb.2981:
	global_store_dword v[0:1], v2, off
	s_mov_b64 s[6:7], 0
.LBB215_2982:
	s_andn2_b64 vcc, exec, s[6:7]
	s_cbranch_vccnz .LBB215_2984
; %bb.2983:
	global_store_short v[0:1], v2, off
.LBB215_2984:
	s_mov_b64 s[6:7], 0
.LBB215_2985:
	s_andn2_b64 vcc, exec, s[6:7]
	s_cbranch_vccnz .LBB215_2993
; %bb.2986:
	v_xor_b32_e32 v5, v2, v3
	v_ffbh_i32_e32 v4, v3
	v_ashrrev_i32_e32 v5, 31, v5
	v_add_u32_e32 v4, -1, v4
	v_add_u32_e32 v5, 32, v5
	v_min_u32_e32 v6, v4, v5
	v_lshlrev_b64 v[4:5], v6, v[2:3]
	s_mov_b32 s6, 0x43800000
	v_min_u32_e32 v4, 1, v4
	v_or_b32_e32 v4, v5, v4
	v_cvt_f32_i32_e32 v4, v4
	v_sub_u32_e32 v5, 32, v6
	v_mov_b32_e32 v6, 0x80
	v_ldexp_f32 v4, v4, v5
	v_and_b32_e32 v5, 0x7fffffff, v4
	v_cmp_gt_u32_e32 vcc, s6, v5
	s_and_saveexec_b64 s[6:7], vcc
	s_cbranch_execz .LBB215_2992
; %bb.2987:
	s_mov_b32 s8, 0x3bffffff
	v_cmp_lt_u32_e32 vcc, s8, v5
	s_mov_b64 s[8:9], 0
                                        ; implicit-def: $vgpr5
	s_and_saveexec_b64 s[10:11], vcc
	s_xor_b64 s[10:11], exec, s[10:11]
	s_cbranch_execz .LBB215_3098
; %bb.2988:
	v_bfe_u32 v5, v4, 20, 1
	s_mov_b32 s17, 0x487ffff
	v_add3_u32 v5, v4, v5, s17
	s_mov_b64 s[8:9], exec
	v_lshrrev_b32_e32 v5, 20, v5
	s_andn2_saveexec_b64 s[10:11], s[10:11]
	s_cbranch_execnz .LBB215_3099
.LBB215_2989:
	s_or_b64 exec, exec, s[10:11]
	v_mov_b32_e32 v6, 0
	s_and_saveexec_b64 s[10:11], s[8:9]
.LBB215_2990:
	v_lshrrev_b32_e32 v4, 24, v4
	s_movk_i32 s8, 0x80
	v_and_or_b32 v6, v4, s8, v5
.LBB215_2991:
	s_or_b64 exec, exec, s[10:11]
.LBB215_2992:
	s_or_b64 exec, exec, s[6:7]
	global_store_byte v[0:1], v6, off
.LBB215_2993:
	s_mov_b64 s[6:7], 0
.LBB215_2994:
	s_and_b64 vcc, exec, s[6:7]
	s_cbranch_vccz .LBB215_3034
; %bb.2995:
	s_cmp_gt_i32 s16, 22
	s_mov_b64 s[2:3], -1
	s_cbranch_scc0 .LBB215_3027
; %bb.2996:
	s_cmp_lt_i32 s16, 24
	s_cbranch_scc1 .LBB215_3016
; %bb.2997:
	s_cmp_gt_i32 s16, 24
	s_cbranch_scc0 .LBB215_3005
; %bb.2998:
	v_xor_b32_e32 v5, v2, v3
	v_ffbh_i32_e32 v4, v3
	v_ashrrev_i32_e32 v5, 31, v5
	v_add_u32_e32 v4, -1, v4
	v_add_u32_e32 v5, 32, v5
	v_min_u32_e32 v6, v4, v5
	v_lshlrev_b64 v[4:5], v6, v[2:3]
	s_mov_b32 s2, 0x47800000
	v_min_u32_e32 v4, 1, v4
	v_or_b32_e32 v4, v5, v4
	v_cvt_f32_i32_e32 v4, v4
	v_sub_u32_e32 v5, 32, v6
	v_mov_b32_e32 v6, 0x80
	v_ldexp_f32 v4, v4, v5
	v_and_b32_e32 v5, 0x7fffffff, v4
	v_cmp_gt_u32_e32 vcc, s2, v5
	s_and_saveexec_b64 s[2:3], vcc
	s_cbranch_execz .LBB215_3004
; %bb.2999:
	s_mov_b32 s6, 0x37ffffff
	v_cmp_lt_u32_e32 vcc, s6, v5
	s_mov_b64 s[6:7], 0
                                        ; implicit-def: $vgpr5
	s_and_saveexec_b64 s[8:9], vcc
	s_xor_b64 s[8:9], exec, s[8:9]
	s_cbranch_execz .LBB215_3101
; %bb.3000:
	v_bfe_u32 v5, v4, 21, 1
	s_mov_b32 s10, 0x88fffff
	v_add3_u32 v5, v4, v5, s10
	s_mov_b64 s[6:7], exec
	v_lshrrev_b32_e32 v5, 21, v5
	s_andn2_saveexec_b64 s[8:9], s[8:9]
	s_cbranch_execnz .LBB215_3102
.LBB215_3001:
	s_or_b64 exec, exec, s[8:9]
	v_mov_b32_e32 v6, 0
	s_and_saveexec_b64 s[8:9], s[6:7]
.LBB215_3002:
	v_lshrrev_b32_e32 v4, 24, v4
	s_movk_i32 s6, 0x80
	v_and_or_b32 v6, v4, s6, v5
.LBB215_3003:
	s_or_b64 exec, exec, s[8:9]
.LBB215_3004:
	s_or_b64 exec, exec, s[2:3]
	s_mov_b64 s[2:3], 0
	global_store_byte v[0:1], v6, off
.LBB215_3005:
	s_and_b64 vcc, exec, s[2:3]
	s_cbranch_vccz .LBB215_3015
; %bb.3006:
	v_xor_b32_e32 v5, v2, v3
	v_ffbh_i32_e32 v4, v3
	v_ashrrev_i32_e32 v5, 31, v5
	v_add_u32_e32 v4, -1, v4
	v_add_u32_e32 v5, 32, v5
	v_min_u32_e32 v6, v4, v5
	v_lshlrev_b64 v[4:5], v6, v[2:3]
	s_mov_b32 s2, 0x43f00000
	v_min_u32_e32 v4, 1, v4
	v_or_b32_e32 v4, v5, v4
	v_cvt_f32_i32_e32 v4, v4
	v_sub_u32_e32 v5, 32, v6
	v_ldexp_f32 v4, v4, v5
	v_and_b32_e32 v6, 0x7fffffff, v4
	v_cmp_gt_u32_e32 vcc, s2, v6
                                        ; implicit-def: $vgpr5
	s_and_saveexec_b64 s[2:3], vcc
	s_xor_b64 s[2:3], exec, s[2:3]
	s_cbranch_execz .LBB215_3012
; %bb.3007:
	s_mov_b32 s6, 0x3c7fffff
	v_cmp_lt_u32_e32 vcc, s6, v6
                                        ; implicit-def: $vgpr5
	s_and_saveexec_b64 s[6:7], vcc
	s_xor_b64 s[6:7], exec, s[6:7]
; %bb.3008:
	v_bfe_u32 v5, v4, 20, 1
	s_mov_b32 s8, 0x407ffff
	v_add3_u32 v5, v4, v5, s8
	v_lshrrev_b32_e32 v6, 20, v5
	v_and_b32_e32 v5, 0xff00000, v5
	s_mov_b32 s8, 0x7f00000
	v_mov_b32_e32 v7, 0x7e
	v_cmp_ne_u32_e32 vcc, s8, v5
	v_cndmask_b32_e32 v5, v7, v6, vcc
; %bb.3009:
	s_andn2_saveexec_b64 s[6:7], s[6:7]
; %bb.3010:
	s_mov_b32 s8, 0x46800000
	v_add_f32_e64 v5, |v4|, s8
; %bb.3011:
	s_or_b64 exec, exec, s[6:7]
                                        ; implicit-def: $vgpr6
.LBB215_3012:
	s_andn2_saveexec_b64 s[2:3], s[2:3]
; %bb.3013:
	s_mov_b32 s6, 0x7f800000
	v_mov_b32_e32 v5, 0x7e
	v_mov_b32_e32 v7, 0x7f
	v_cmp_lt_u32_e32 vcc, s6, v6
	v_cndmask_b32_e32 v5, v5, v7, vcc
; %bb.3014:
	s_or_b64 exec, exec, s[2:3]
	v_lshrrev_b32_e32 v4, 24, v4
	s_movk_i32 s2, 0x80
	v_and_or_b32 v4, v4, s2, v5
	global_store_byte v[0:1], v4, off
.LBB215_3015:
	s_mov_b64 s[2:3], 0
.LBB215_3016:
	s_andn2_b64 vcc, exec, s[2:3]
	s_cbranch_vccnz .LBB215_3026
; %bb.3017:
	v_xor_b32_e32 v5, v2, v3
	v_ffbh_i32_e32 v4, v3
	v_ashrrev_i32_e32 v5, 31, v5
	v_add_u32_e32 v4, -1, v4
	v_add_u32_e32 v5, 32, v5
	v_min_u32_e32 v6, v4, v5
	v_lshlrev_b64 v[4:5], v6, v[2:3]
	s_mov_b32 s2, 0x47800000
	v_min_u32_e32 v4, 1, v4
	v_or_b32_e32 v4, v5, v4
	v_cvt_f32_i32_e32 v4, v4
	v_sub_u32_e32 v5, 32, v6
	v_ldexp_f32 v4, v4, v5
	v_and_b32_e32 v6, 0x7fffffff, v4
	v_cmp_gt_u32_e32 vcc, s2, v6
                                        ; implicit-def: $vgpr5
	s_and_saveexec_b64 s[2:3], vcc
	s_xor_b64 s[2:3], exec, s[2:3]
	s_cbranch_execz .LBB215_3023
; %bb.3018:
	s_mov_b32 s6, 0x387fffff
	v_cmp_lt_u32_e32 vcc, s6, v6
                                        ; implicit-def: $vgpr5
	s_and_saveexec_b64 s[6:7], vcc
	s_xor_b64 s[6:7], exec, s[6:7]
; %bb.3019:
	v_bfe_u32 v5, v4, 21, 1
	s_mov_b32 s8, 0x80fffff
	v_add3_u32 v5, v4, v5, s8
	v_lshrrev_b32_e32 v5, 21, v5
; %bb.3020:
	s_andn2_saveexec_b64 s[6:7], s[6:7]
; %bb.3021:
	s_mov_b32 s8, 0x43000000
	v_add_f32_e64 v5, |v4|, s8
; %bb.3022:
	s_or_b64 exec, exec, s[6:7]
                                        ; implicit-def: $vgpr6
.LBB215_3023:
	s_andn2_saveexec_b64 s[2:3], s[2:3]
; %bb.3024:
	s_mov_b32 s6, 0x7f800000
	v_mov_b32_e32 v5, 0x7c
	v_mov_b32_e32 v7, 0x7f
	v_cmp_lt_u32_e32 vcc, s6, v6
	v_cndmask_b32_e32 v5, v5, v7, vcc
; %bb.3025:
	s_or_b64 exec, exec, s[2:3]
	v_lshrrev_b32_e32 v4, 24, v4
	s_movk_i32 s2, 0x80
	v_and_or_b32 v4, v4, s2, v5
	global_store_byte v[0:1], v4, off
.LBB215_3026:
	s_mov_b64 s[2:3], 0
.LBB215_3027:
	s_andn2_b64 vcc, exec, s[2:3]
	s_mov_b64 s[2:3], 0
	s_cbranch_vccnz .LBB215_3034
; %bb.3028:
	s_cmp_gt_i32 s16, 14
	s_mov_b64 s[6:7], -1
	s_cbranch_scc0 .LBB215_3032
; %bb.3029:
	s_cmp_eq_u32 s16, 15
	s_mov_b64 s[0:1], -1
	s_cbranch_scc0 .LBB215_3031
; %bb.3030:
	v_xor_b32_e32 v5, v2, v3
	v_ffbh_i32_e32 v4, v3
	v_ashrrev_i32_e32 v5, 31, v5
	v_add_u32_e32 v4, -1, v4
	v_add_u32_e32 v5, 32, v5
	v_min_u32_e32 v6, v4, v5
	v_lshlrev_b64 v[4:5], v6, v[2:3]
	s_movk_i32 s0, 0x7fff
	v_min_u32_e32 v4, 1, v4
	v_or_b32_e32 v4, v5, v4
	v_cvt_f32_i32_e32 v4, v4
	v_sub_u32_e32 v5, 32, v6
	v_ldexp_f32 v4, v4, v5
	v_bfe_u32 v5, v4, 16, 1
	v_add3_u32 v4, v4, v5, s0
	global_store_short_d16_hi v[0:1], v4, off
	s_mov_b64 s[0:1], 0
.LBB215_3031:
	s_mov_b64 s[6:7], 0
.LBB215_3032:
	s_and_b64 vcc, exec, s[6:7]
	s_cbranch_vccz .LBB215_3034
; %bb.3033:
	s_cmp_lg_u32 s16, 11
	s_mov_b64 s[2:3], -1
	s_cselect_b64 s[0:1], -1, 0
.LBB215_3034:
	s_and_b64 vcc, exec, s[0:1]
	s_cbranch_vccnz .LBB215_3100
.LBB215_3035:
	s_mov_b64 s[0:1], 0
	s_branch .LBB215_3037
.LBB215_3036:
	s_mov_b64 s[0:1], 0
	s_mov_b64 s[2:3], 0
                                        ; implicit-def: $vgpr0_vgpr1
                                        ; implicit-def: $sgpr18
                                        ; implicit-def: $vgpr2_vgpr3
.LBB215_3037:
	s_and_b64 s[6:7], s[2:3], exec
	s_andn2_b64 s[2:3], s[12:13], exec
	s_and_b64 s[4:5], s[4:5], exec
	s_and_b64 s[0:1], s[0:1], exec
	s_or_b64 s[12:13], s[2:3], s[4:5]
.LBB215_3038:
	s_or_b64 exec, exec, s[14:15]
	s_and_saveexec_b64 s[2:3], s[12:13]
	s_cbranch_execz .LBB215_3041
; %bb.3039:
	; divergent unreachable
	s_or_b64 exec, exec, s[2:3]
	s_and_saveexec_b64 s[2:3], s[6:7]
	s_xor_b64 s[2:3], exec, s[2:3]
	s_cbranch_execnz .LBB215_3042
.LBB215_3040:
	s_or_b64 exec, exec, s[2:3]
	s_and_saveexec_b64 s[2:3], s[0:1]
	s_cbranch_execnz .LBB215_3043
	s_branch .LBB215_3080
.LBB215_3041:
	s_or_b64 exec, exec, s[2:3]
	s_and_saveexec_b64 s[2:3], s[6:7]
	s_xor_b64 s[2:3], exec, s[2:3]
	s_cbranch_execz .LBB215_3040
.LBB215_3042:
	s_waitcnt vmcnt(0)
	v_cmp_ne_u64_e32 vcc, 0, v[2:3]
	v_cndmask_b32_e64 v4, 0, 1, vcc
	global_store_byte v[0:1], v4, off
	s_or_b64 exec, exec, s[2:3]
	s_and_saveexec_b64 s[2:3], s[0:1]
	s_cbranch_execz .LBB215_3080
.LBB215_3043:
	s_sext_i32_i16 s2, s18
	s_cmp_lt_i32 s2, 5
	s_mov_b64 s[0:1], -1
	s_cbranch_scc1 .LBB215_3064
; %bb.3044:
	s_cmp_lt_i32 s2, 8
	s_cbranch_scc1 .LBB215_3054
; %bb.3045:
	s_cmp_lt_i32 s2, 9
	s_cbranch_scc1 .LBB215_3051
; %bb.3046:
	s_cmp_gt_i32 s2, 9
	s_cbranch_scc0 .LBB215_3048
; %bb.3047:
	s_waitcnt vmcnt(0)
	v_cvt_f64_i32_e32 v[4:5], v3
	v_cvt_f64_u32_e32 v[6:7], v2
	s_mov_b64 s[0:1], 0
	v_ldexp_f64 v[4:5], v[4:5], 32
	v_add_f64 v[4:5], v[4:5], v[6:7]
	v_mov_b32_e32 v6, 0
	v_mov_b32_e32 v7, v6
	global_store_dwordx4 v[0:1], v[4:7], off
.LBB215_3048:
	s_andn2_b64 vcc, exec, s[0:1]
	s_cbranch_vccnz .LBB215_3050
; %bb.3049:
	s_waitcnt vmcnt(0)
	v_xor_b32_e32 v5, v2, v3
	v_ffbh_i32_e32 v4, v3
	v_ashrrev_i32_e32 v5, 31, v5
	v_add_u32_e32 v4, -1, v4
	v_add_u32_e32 v5, 32, v5
	v_min_u32_e32 v6, v4, v5
	v_lshlrev_b64 v[4:5], v6, v[2:3]
	v_min_u32_e32 v4, 1, v4
	v_or_b32_e32 v4, v5, v4
	v_cvt_f32_i32_e32 v4, v4
	v_sub_u32_e32 v5, 32, v6
	v_ldexp_f32 v4, v4, v5
	v_mov_b32_e32 v5, 0
	global_store_dwordx2 v[0:1], v[4:5], off
.LBB215_3050:
	s_mov_b64 s[0:1], 0
.LBB215_3051:
	s_andn2_b64 vcc, exec, s[0:1]
	s_cbranch_vccnz .LBB215_3053
; %bb.3052:
	s_waitcnt vmcnt(0)
	v_xor_b32_e32 v5, v2, v3
	v_ffbh_i32_e32 v4, v3
	v_ashrrev_i32_e32 v5, 31, v5
	v_add_u32_e32 v4, -1, v4
	v_add_u32_e32 v5, 32, v5
	v_min_u32_e32 v6, v4, v5
	v_lshlrev_b64 v[4:5], v6, v[2:3]
	v_min_u32_e32 v4, 1, v4
	v_or_b32_e32 v4, v5, v4
	v_cvt_f32_i32_e32 v4, v4
	v_sub_u32_e32 v5, 32, v6
	v_ldexp_f32 v4, v4, v5
	v_cvt_f16_f32_e32 v4, v4
	global_store_dword v[0:1], v4, off
.LBB215_3053:
	s_mov_b64 s[0:1], 0
.LBB215_3054:
	s_andn2_b64 vcc, exec, s[0:1]
	s_cbranch_vccnz .LBB215_3063
; %bb.3055:
	s_sext_i32_i16 s2, s18
	s_cmp_lt_i32 s2, 6
	s_mov_b64 s[0:1], -1
	s_cbranch_scc1 .LBB215_3061
; %bb.3056:
	s_cmp_gt_i32 s2, 6
	s_cbranch_scc0 .LBB215_3058
; %bb.3057:
	s_waitcnt vmcnt(0)
	v_cvt_f64_i32_e32 v[4:5], v3
	v_cvt_f64_u32_e32 v[6:7], v2
	s_mov_b64 s[0:1], 0
	v_ldexp_f64 v[4:5], v[4:5], 32
	v_add_f64 v[4:5], v[4:5], v[6:7]
	global_store_dwordx2 v[0:1], v[4:5], off
.LBB215_3058:
	s_andn2_b64 vcc, exec, s[0:1]
	s_cbranch_vccnz .LBB215_3060
; %bb.3059:
	s_waitcnt vmcnt(0)
	v_xor_b32_e32 v5, v2, v3
	v_ffbh_i32_e32 v4, v3
	v_ashrrev_i32_e32 v5, 31, v5
	v_add_u32_e32 v4, -1, v4
	v_add_u32_e32 v5, 32, v5
	v_min_u32_e32 v6, v4, v5
	v_lshlrev_b64 v[4:5], v6, v[2:3]
	v_min_u32_e32 v4, 1, v4
	v_or_b32_e32 v4, v5, v4
	v_cvt_f32_i32_e32 v4, v4
	v_sub_u32_e32 v5, 32, v6
	v_ldexp_f32 v4, v4, v5
	global_store_dword v[0:1], v4, off
.LBB215_3060:
	s_mov_b64 s[0:1], 0
.LBB215_3061:
	s_andn2_b64 vcc, exec, s[0:1]
	s_cbranch_vccnz .LBB215_3063
; %bb.3062:
	s_waitcnt vmcnt(0)
	v_xor_b32_e32 v5, v2, v3
	v_ffbh_i32_e32 v4, v3
	v_ashrrev_i32_e32 v5, 31, v5
	v_add_u32_e32 v4, -1, v4
	v_add_u32_e32 v5, 32, v5
	v_min_u32_e32 v6, v4, v5
	v_lshlrev_b64 v[4:5], v6, v[2:3]
	v_min_u32_e32 v4, 1, v4
	v_or_b32_e32 v4, v5, v4
	v_cvt_f32_i32_e32 v4, v4
	v_sub_u32_e32 v5, 32, v6
	v_ldexp_f32 v4, v4, v5
	v_cvt_f16_f32_e32 v4, v4
	global_store_short v[0:1], v4, off
.LBB215_3063:
	s_mov_b64 s[0:1], 0
.LBB215_3064:
	s_andn2_b64 vcc, exec, s[0:1]
	s_cbranch_vccnz .LBB215_3080
; %bb.3065:
	s_sext_i32_i16 s2, s18
	s_cmp_lt_i32 s2, 2
	s_mov_b64 s[0:1], -1
	s_cbranch_scc1 .LBB215_3075
; %bb.3066:
	s_cmp_lt_i32 s2, 3
	s_cbranch_scc1 .LBB215_3072
; %bb.3067:
	s_cmp_gt_i32 s2, 3
	s_cbranch_scc0 .LBB215_3069
; %bb.3068:
	s_waitcnt vmcnt(0)
	global_store_dwordx2 v[0:1], v[2:3], off
	s_mov_b64 s[0:1], 0
.LBB215_3069:
	s_andn2_b64 vcc, exec, s[0:1]
	s_cbranch_vccnz .LBB215_3071
; %bb.3070:
	s_waitcnt vmcnt(0)
	global_store_dword v[0:1], v2, off
.LBB215_3071:
	s_mov_b64 s[0:1], 0
.LBB215_3072:
	s_andn2_b64 vcc, exec, s[0:1]
	s_cbranch_vccnz .LBB215_3074
; %bb.3073:
	s_waitcnt vmcnt(0)
	global_store_short v[0:1], v2, off
.LBB215_3074:
	s_mov_b64 s[0:1], 0
.LBB215_3075:
	s_andn2_b64 vcc, exec, s[0:1]
	s_cbranch_vccnz .LBB215_3080
; %bb.3076:
	s_sext_i32_i16 s0, s18
	s_cmp_gt_i32 s0, 0
	s_mov_b64 s[0:1], -1
	s_cbranch_scc0 .LBB215_3078
; %bb.3077:
	s_waitcnt vmcnt(0)
	global_store_byte v[0:1], v2, off
	s_mov_b64 s[0:1], 0
.LBB215_3078:
	s_andn2_b64 vcc, exec, s[0:1]
	s_cbranch_vccnz .LBB215_3080
; %bb.3079:
	s_waitcnt vmcnt(0)
	global_store_byte v[0:1], v2, off
	s_endpgm
.LBB215_3080:
	s_endpgm
.LBB215_3081:
	s_mov_b64 s[2:3], 0
	s_mov_b64 s[0:1], -1
	s_branch .LBB215_3037
.LBB215_3082:
	s_trap 2
	s_or_b64 s[4:5], s[4:5], exec
	s_cbranch_execz .LBB215_2551
	s_branch .LBB215_2552
.LBB215_3083:
	s_andn2_saveexec_b64 s[16:17], s[16:17]
	s_cbranch_execz .LBB215_2631
.LBB215_3084:
	s_mov_b32 s21, 0x46000000
	v_add_f32_e64 v3, |v1|, s21
	v_and_b32_e32 v3, 0xff, v3
	v_cmp_ne_u32_e32 vcc, 0, v3
	s_andn2_b64 s[10:11], s[10:11], exec
	s_and_b64 s[22:23], vcc, exec
	s_or_b64 s[10:11], s[10:11], s[22:23]
	s_or_b64 exec, exec, s[16:17]
	v_mov_b32_e32 v9, 0
	s_and_saveexec_b64 s[16:17], s[10:11]
	s_cbranch_execnz .LBB215_2632
	s_branch .LBB215_2633
.LBB215_3085:
	s_trap 2
	s_or_b64 s[4:5], s[4:5], exec
	s_cbranch_execz .LBB215_2679
	s_branch .LBB215_2680
.LBB215_3086:
	s_andn2_saveexec_b64 s[10:11], s[10:11]
	s_cbranch_execz .LBB215_2644
.LBB215_3087:
	s_mov_b32 s16, 0x42800000
	v_add_f32_e64 v3, |v1|, s16
	v_and_b32_e32 v3, 0xff, v3
	v_cmp_ne_u32_e32 vcc, 0, v3
	s_andn2_b64 s[6:7], s[6:7], exec
	s_and_b64 s[16:17], vcc, exec
	s_or_b64 s[6:7], s[6:7], s[16:17]
	s_or_b64 exec, exec, s[10:11]
	v_mov_b32_e32 v9, 0
	s_and_saveexec_b64 s[10:11], s[6:7]
	s_cbranch_execnz .LBB215_2645
	s_branch .LBB215_2646
.LBB215_3088:
	s_andn2_saveexec_b64 s[16:17], s[16:17]
	s_cbranch_execz .LBB215_2750
.LBB215_3089:
	s_mov_b32 s20, 0x46000000
	v_add_f32_e64 v7, |v1|, s20
	v_and_b32_e32 v7, 0xff, v7
	v_cmp_ne_u32_e32 vcc, 0, v7
	s_andn2_b64 s[10:11], s[10:11], exec
	s_and_b64 s[20:21], vcc, exec
	s_or_b64 s[10:11], s[10:11], s[20:21]
	s_or_b64 exec, exec, s[16:17]
	v_mov_b32_e32 v8, 0
	s_and_saveexec_b64 s[16:17], s[10:11]
	s_cbranch_execnz .LBB215_2751
	s_branch .LBB215_2752
.LBB215_3090:
	s_trap 2
	s_or_b64 s[4:5], s[4:5], exec
	s_cbranch_execz .LBB215_2798
	s_branch .LBB215_2799
.LBB215_3091:
	s_andn2_saveexec_b64 s[10:11], s[10:11]
	s_cbranch_execz .LBB215_2763
.LBB215_3092:
	s_mov_b32 s16, 0x42800000
	v_add_f32_e64 v7, |v1|, s16
	v_and_b32_e32 v7, 0xff, v7
	v_cmp_ne_u32_e32 vcc, 0, v7
	s_andn2_b64 s[6:7], s[6:7], exec
	s_and_b64 s[16:17], vcc, exec
	s_or_b64 s[6:7], s[6:7], s[16:17]
	s_or_b64 exec, exec, s[10:11]
	v_mov_b32_e32 v8, 0
	s_and_saveexec_b64 s[10:11], s[6:7]
	s_cbranch_execnz .LBB215_2764
	s_branch .LBB215_2765
.LBB215_3093:
	s_andn2_saveexec_b64 s[16:17], s[16:17]
	s_cbranch_execz .LBB215_2869
.LBB215_3094:
	s_mov_b32 s20, 0x46000000
	v_add_f32_e64 v6, |v5|, s20
	v_and_b32_e32 v6, 0xff, v6
	v_cmp_ne_u32_e32 vcc, 0, v6
	s_andn2_b64 s[10:11], s[10:11], exec
	s_and_b64 s[20:21], vcc, exec
	s_or_b64 s[10:11], s[10:11], s[20:21]
	s_or_b64 exec, exec, s[16:17]
	v_mov_b32_e32 v7, 0
	s_and_saveexec_b64 s[16:17], s[10:11]
	s_cbranch_execnz .LBB215_2870
	s_branch .LBB215_2871
.LBB215_3095:
	s_trap 2
	s_or_b64 s[4:5], s[4:5], exec
	s_cbranch_execz .LBB215_2917
	s_branch .LBB215_2918
.LBB215_3096:
	s_andn2_saveexec_b64 s[10:11], s[10:11]
	s_cbranch_execz .LBB215_2882
.LBB215_3097:
	s_mov_b32 s16, 0x42800000
	v_add_f32_e64 v6, |v5|, s16
	v_and_b32_e32 v6, 0xff, v6
	v_cmp_ne_u32_e32 vcc, 0, v6
	s_andn2_b64 s[6:7], s[6:7], exec
	s_and_b64 s[16:17], vcc, exec
	s_or_b64 s[6:7], s[6:7], s[16:17]
	s_or_b64 exec, exec, s[10:11]
	v_mov_b32_e32 v7, 0
	s_and_saveexec_b64 s[10:11], s[6:7]
	s_cbranch_execnz .LBB215_2883
	s_branch .LBB215_2884
.LBB215_3098:
	s_andn2_saveexec_b64 s[10:11], s[10:11]
	s_cbranch_execz .LBB215_2989
.LBB215_3099:
	s_mov_b32 s17, 0x46000000
	v_add_f32_e64 v5, |v4|, s17
	v_and_b32_e32 v5, 0xff, v5
	v_cmp_ne_u32_e32 vcc, 0, v5
	s_andn2_b64 s[8:9], s[8:9], exec
	s_and_b64 s[20:21], vcc, exec
	s_or_b64 s[8:9], s[8:9], s[20:21]
	s_or_b64 exec, exec, s[10:11]
	v_mov_b32_e32 v6, 0
	s_and_saveexec_b64 s[10:11], s[8:9]
	s_cbranch_execnz .LBB215_2990
	s_branch .LBB215_2991
.LBB215_3100:
	s_mov_b64 s[2:3], 0
	s_or_b64 s[4:5], s[4:5], exec
	s_trap 2
	s_branch .LBB215_3035
.LBB215_3101:
	s_andn2_saveexec_b64 s[8:9], s[8:9]
	s_cbranch_execz .LBB215_3001
.LBB215_3102:
	s_mov_b32 s10, 0x42800000
	v_add_f32_e64 v5, |v4|, s10
	v_and_b32_e32 v5, 0xff, v5
	v_cmp_ne_u32_e32 vcc, 0, v5
	s_andn2_b64 s[6:7], s[6:7], exec
	s_and_b64 s[10:11], vcc, exec
	s_or_b64 s[6:7], s[6:7], s[10:11]
	s_or_b64 exec, exec, s[8:9]
	v_mov_b32_e32 v6, 0
	s_and_saveexec_b64 s[8:9], s[6:7]
	s_cbranch_execnz .LBB215_3002
	s_branch .LBB215_3003
	.section	.rodata,"a",@progbits
	.p2align	6, 0x0
	.amdhsa_kernel _ZN2at6native32elementwise_kernel_manual_unrollILi128ELi4EZNS0_15gpu_kernel_implINS0_13BinaryFunctorIlllZZZNS0_18rshift_kernel_cudaERNS_18TensorIteratorBaseEENKUlvE_clEvENKUlvE2_clEvEUlllE_EEEEvS5_RKT_EUlibE0_EEviT1_
		.amdhsa_group_segment_fixed_size 0
		.amdhsa_private_segment_fixed_size 0
		.amdhsa_kernarg_size 432
		.amdhsa_user_sgpr_count 6
		.amdhsa_user_sgpr_private_segment_buffer 1
		.amdhsa_user_sgpr_dispatch_ptr 0
		.amdhsa_user_sgpr_queue_ptr 0
		.amdhsa_user_sgpr_kernarg_segment_ptr 1
		.amdhsa_user_sgpr_dispatch_id 0
		.amdhsa_user_sgpr_flat_scratch_init 0
		.amdhsa_user_sgpr_private_segment_size 0
		.amdhsa_uses_dynamic_stack 0
		.amdhsa_system_sgpr_private_segment_wavefront_offset 0
		.amdhsa_system_sgpr_workgroup_id_x 1
		.amdhsa_system_sgpr_workgroup_id_y 0
		.amdhsa_system_sgpr_workgroup_id_z 0
		.amdhsa_system_sgpr_workgroup_info 0
		.amdhsa_system_vgpr_workitem_id 0
		.amdhsa_next_free_vgpr 31
		.amdhsa_next_free_sgpr 80
		.amdhsa_reserve_vcc 1
		.amdhsa_reserve_flat_scratch 0
		.amdhsa_float_round_mode_32 0
		.amdhsa_float_round_mode_16_64 0
		.amdhsa_float_denorm_mode_32 3
		.amdhsa_float_denorm_mode_16_64 3
		.amdhsa_dx10_clamp 1
		.amdhsa_ieee_mode 1
		.amdhsa_fp16_overflow 0
		.amdhsa_exception_fp_ieee_invalid_op 0
		.amdhsa_exception_fp_denorm_src 0
		.amdhsa_exception_fp_ieee_div_zero 0
		.amdhsa_exception_fp_ieee_overflow 0
		.amdhsa_exception_fp_ieee_underflow 0
		.amdhsa_exception_fp_ieee_inexact 0
		.amdhsa_exception_int_div_zero 0
	.end_amdhsa_kernel
	.section	.text._ZN2at6native32elementwise_kernel_manual_unrollILi128ELi4EZNS0_15gpu_kernel_implINS0_13BinaryFunctorIlllZZZNS0_18rshift_kernel_cudaERNS_18TensorIteratorBaseEENKUlvE_clEvENKUlvE2_clEvEUlllE_EEEEvS5_RKT_EUlibE0_EEviT1_,"axG",@progbits,_ZN2at6native32elementwise_kernel_manual_unrollILi128ELi4EZNS0_15gpu_kernel_implINS0_13BinaryFunctorIlllZZZNS0_18rshift_kernel_cudaERNS_18TensorIteratorBaseEENKUlvE_clEvENKUlvE2_clEvEUlllE_EEEEvS5_RKT_EUlibE0_EEviT1_,comdat
.Lfunc_end215:
	.size	_ZN2at6native32elementwise_kernel_manual_unrollILi128ELi4EZNS0_15gpu_kernel_implINS0_13BinaryFunctorIlllZZZNS0_18rshift_kernel_cudaERNS_18TensorIteratorBaseEENKUlvE_clEvENKUlvE2_clEvEUlllE_EEEEvS5_RKT_EUlibE0_EEviT1_, .Lfunc_end215-_ZN2at6native32elementwise_kernel_manual_unrollILi128ELi4EZNS0_15gpu_kernel_implINS0_13BinaryFunctorIlllZZZNS0_18rshift_kernel_cudaERNS_18TensorIteratorBaseEENKUlvE_clEvENKUlvE2_clEvEUlllE_EEEEvS5_RKT_EUlibE0_EEviT1_
                                        ; -- End function
	.set _ZN2at6native32elementwise_kernel_manual_unrollILi128ELi4EZNS0_15gpu_kernel_implINS0_13BinaryFunctorIlllZZZNS0_18rshift_kernel_cudaERNS_18TensorIteratorBaseEENKUlvE_clEvENKUlvE2_clEvEUlllE_EEEEvS5_RKT_EUlibE0_EEviT1_.num_vgpr, 31
	.set _ZN2at6native32elementwise_kernel_manual_unrollILi128ELi4EZNS0_15gpu_kernel_implINS0_13BinaryFunctorIlllZZZNS0_18rshift_kernel_cudaERNS_18TensorIteratorBaseEENKUlvE_clEvENKUlvE2_clEvEUlllE_EEEEvS5_RKT_EUlibE0_EEviT1_.num_agpr, 0
	.set _ZN2at6native32elementwise_kernel_manual_unrollILi128ELi4EZNS0_15gpu_kernel_implINS0_13BinaryFunctorIlllZZZNS0_18rshift_kernel_cudaERNS_18TensorIteratorBaseEENKUlvE_clEvENKUlvE2_clEvEUlllE_EEEEvS5_RKT_EUlibE0_EEviT1_.numbered_sgpr, 80
	.set _ZN2at6native32elementwise_kernel_manual_unrollILi128ELi4EZNS0_15gpu_kernel_implINS0_13BinaryFunctorIlllZZZNS0_18rshift_kernel_cudaERNS_18TensorIteratorBaseEENKUlvE_clEvENKUlvE2_clEvEUlllE_EEEEvS5_RKT_EUlibE0_EEviT1_.num_named_barrier, 0
	.set _ZN2at6native32elementwise_kernel_manual_unrollILi128ELi4EZNS0_15gpu_kernel_implINS0_13BinaryFunctorIlllZZZNS0_18rshift_kernel_cudaERNS_18TensorIteratorBaseEENKUlvE_clEvENKUlvE2_clEvEUlllE_EEEEvS5_RKT_EUlibE0_EEviT1_.private_seg_size, 0
	.set _ZN2at6native32elementwise_kernel_manual_unrollILi128ELi4EZNS0_15gpu_kernel_implINS0_13BinaryFunctorIlllZZZNS0_18rshift_kernel_cudaERNS_18TensorIteratorBaseEENKUlvE_clEvENKUlvE2_clEvEUlllE_EEEEvS5_RKT_EUlibE0_EEviT1_.uses_vcc, 1
	.set _ZN2at6native32elementwise_kernel_manual_unrollILi128ELi4EZNS0_15gpu_kernel_implINS0_13BinaryFunctorIlllZZZNS0_18rshift_kernel_cudaERNS_18TensorIteratorBaseEENKUlvE_clEvENKUlvE2_clEvEUlllE_EEEEvS5_RKT_EUlibE0_EEviT1_.uses_flat_scratch, 0
	.set _ZN2at6native32elementwise_kernel_manual_unrollILi128ELi4EZNS0_15gpu_kernel_implINS0_13BinaryFunctorIlllZZZNS0_18rshift_kernel_cudaERNS_18TensorIteratorBaseEENKUlvE_clEvENKUlvE2_clEvEUlllE_EEEEvS5_RKT_EUlibE0_EEviT1_.has_dyn_sized_stack, 0
	.set _ZN2at6native32elementwise_kernel_manual_unrollILi128ELi4EZNS0_15gpu_kernel_implINS0_13BinaryFunctorIlllZZZNS0_18rshift_kernel_cudaERNS_18TensorIteratorBaseEENKUlvE_clEvENKUlvE2_clEvEUlllE_EEEEvS5_RKT_EUlibE0_EEviT1_.has_recursion, 0
	.set _ZN2at6native32elementwise_kernel_manual_unrollILi128ELi4EZNS0_15gpu_kernel_implINS0_13BinaryFunctorIlllZZZNS0_18rshift_kernel_cudaERNS_18TensorIteratorBaseEENKUlvE_clEvENKUlvE2_clEvEUlllE_EEEEvS5_RKT_EUlibE0_EEviT1_.has_indirect_call, 0
	.section	.AMDGPU.csdata,"",@progbits
; Kernel info:
; codeLenInByte = 64176
; TotalNumSgprs: 84
; NumVgprs: 31
; ScratchSize: 0
; MemoryBound: 1
; FloatMode: 240
; IeeeMode: 1
; LDSByteSize: 0 bytes/workgroup (compile time only)
; SGPRBlocks: 10
; VGPRBlocks: 7
; NumSGPRsForWavesPerEU: 84
; NumVGPRsForWavesPerEU: 31
; Occupancy: 8
; WaveLimiterHint : 1
; COMPUTE_PGM_RSRC2:SCRATCH_EN: 0
; COMPUTE_PGM_RSRC2:USER_SGPR: 6
; COMPUTE_PGM_RSRC2:TRAP_HANDLER: 0
; COMPUTE_PGM_RSRC2:TGID_X_EN: 1
; COMPUTE_PGM_RSRC2:TGID_Y_EN: 0
; COMPUTE_PGM_RSRC2:TGID_Z_EN: 0
; COMPUTE_PGM_RSRC2:TIDIG_COMP_CNT: 0
	.section	.text._ZN2at6native29vectorized_elementwise_kernelILi16ENS0_13AUnaryFunctorIsssZZZNS0_18rshift_kernel_cudaERNS_18TensorIteratorBaseEENKUlvE_clEvENKUlvE3_clEvEUlssE_EESt5arrayIPcLm2EEEEviT0_T1_,"axG",@progbits,_ZN2at6native29vectorized_elementwise_kernelILi16ENS0_13AUnaryFunctorIsssZZZNS0_18rshift_kernel_cudaERNS_18TensorIteratorBaseEENKUlvE_clEvENKUlvE3_clEvEUlssE_EESt5arrayIPcLm2EEEEviT0_T1_,comdat
	.globl	_ZN2at6native29vectorized_elementwise_kernelILi16ENS0_13AUnaryFunctorIsssZZZNS0_18rshift_kernel_cudaERNS_18TensorIteratorBaseEENKUlvE_clEvENKUlvE3_clEvEUlssE_EESt5arrayIPcLm2EEEEviT0_T1_ ; -- Begin function _ZN2at6native29vectorized_elementwise_kernelILi16ENS0_13AUnaryFunctorIsssZZZNS0_18rshift_kernel_cudaERNS_18TensorIteratorBaseEENKUlvE_clEvENKUlvE3_clEvEUlssE_EESt5arrayIPcLm2EEEEviT0_T1_
	.p2align	8
	.type	_ZN2at6native29vectorized_elementwise_kernelILi16ENS0_13AUnaryFunctorIsssZZZNS0_18rshift_kernel_cudaERNS_18TensorIteratorBaseEENKUlvE_clEvENKUlvE3_clEvEUlssE_EESt5arrayIPcLm2EEEEviT0_T1_,@function
_ZN2at6native29vectorized_elementwise_kernelILi16ENS0_13AUnaryFunctorIsssZZZNS0_18rshift_kernel_cudaERNS_18TensorIteratorBaseEENKUlvE_clEvENKUlvE3_clEvEUlssE_EESt5arrayIPcLm2EEEEviT0_T1_: ; @_ZN2at6native29vectorized_elementwise_kernelILi16ENS0_13AUnaryFunctorIsssZZZNS0_18rshift_kernel_cudaERNS_18TensorIteratorBaseEENKUlvE_clEvENKUlvE3_clEvEUlssE_EESt5arrayIPcLm2EEEEviT0_T1_
; %bb.0:
	s_load_dwordx2 s[12:13], s[4:5], 0x0
	s_load_dwordx4 s[8:11], s[4:5], 0x8
	s_lshl_b32 s2, s6, 11
	s_mov_b64 s[0:1], -1
	s_waitcnt lgkmcnt(0)
	s_sub_i32 s6, s12, s2
	s_lshr_b32 s3, s13, 16
	s_cmpk_gt_i32 s6, 0x7ff
	s_sext_i32_i16 s7, s3
	s_cbranch_scc0 .LBB216_2
; %bb.1:
	s_ashr_i32 s3, s2, 31
	s_lshl_b64 s[0:1], s[2:3], 1
	s_add_u32 s4, s10, s0
	s_addc_u32 s5, s11, s1
	v_lshlrev_b32_e32 v5, 4, v0
	global_load_dwordx4 v[1:4], v5, s[4:5]
	s_lshr_b32 s4, s7, 15
	s_ashr_i32 s5, s13, 16
	v_mov_b32_e32 v6, 14
	v_mov_b32_e32 v7, s4
	s_mov_b32 s3, 0x5040100
	s_add_u32 s0, s8, s0
	s_addc_u32 s1, s9, s1
	s_waitcnt vmcnt(0)
	v_ashrrev_i32_e64 v8, v1, s5
	v_cmp_lt_u16_e32 vcc, 14, v1
	v_ashrrev_i32_sdwa v9, v1, s5 dst_sel:DWORD dst_unused:UNUSED_PAD src0_sel:WORD_1 src1_sel:DWORD
	v_cndmask_b32_e32 v8, v8, v7, vcc
	v_cmp_gt_u16_sdwa vcc, v1, v6 src0_sel:WORD_1 src1_sel:DWORD
	v_ashrrev_i32_e64 v10, v2, s5
	v_cndmask_b32_e32 v1, v9, v7, vcc
	v_cmp_lt_u16_e32 vcc, 14, v2
	v_ashrrev_i32_sdwa v11, v2, s5 dst_sel:DWORD dst_unused:UNUSED_PAD src0_sel:WORD_1 src1_sel:DWORD
	v_cndmask_b32_e32 v9, v10, v7, vcc
	v_cmp_gt_u16_sdwa vcc, v2, v6 src0_sel:WORD_1 src1_sel:DWORD
	v_ashrrev_i32_e64 v12, v3, s5
	v_cndmask_b32_e32 v2, v11, v7, vcc
	;; [unrolled: 6-line block ×3, first 2 shown]
	v_cmp_lt_u16_e32 vcc, 14, v4
	v_ashrrev_i32_sdwa v15, v4, s5 dst_sel:DWORD dst_unused:UNUSED_PAD src0_sel:WORD_1 src1_sel:DWORD
	v_cndmask_b32_e32 v11, v14, v7, vcc
	v_cmp_gt_u16_sdwa vcc, v4, v6 src0_sel:WORD_1 src1_sel:DWORD
	v_cndmask_b32_e32 v4, v15, v7, vcc
	v_perm_b32 v4, v4, v11, s3
	v_perm_b32 v3, v3, v10, s3
	;; [unrolled: 1-line block ×4, first 2 shown]
	global_store_dwordx4 v5, v[1:4], s[0:1]
	s_mov_b64 s[0:1], 0
.LBB216_2:
	s_andn2_b64 vcc, exec, s[0:1]
	s_cbranch_vccnz .LBB216_28
; %bb.3:
	v_cmp_gt_i32_e32 vcc, s6, v0
	v_mov_b32_e32 v3, 0
	v_or_b32_e32 v1, s2, v0
	v_mov_b32_e32 v2, 0
	v_mov_b32_e32 v4, v0
	s_and_saveexec_b64 s[4:5], vcc
	s_cbranch_execz .LBB216_5
; %bb.4:
	v_mov_b32_e32 v2, 0
	v_lshlrev_b64 v[4:5], 1, v[1:2]
	v_mov_b32_e32 v2, s11
	v_add_co_u32_e64 v4, s[0:1], s10, v4
	v_addc_co_u32_e64 v5, s[0:1], v2, v5, s[0:1]
	global_load_ushort v2, v[4:5], off
	v_or_b32_e32 v4, 0x100, v0
.LBB216_5:
	s_or_b64 exec, exec, s[4:5]
	v_cmp_gt_i32_e64 s[0:1], s6, v4
	s_and_saveexec_b64 s[4:5], s[0:1]
	s_cbranch_execz .LBB216_7
; %bb.6:
	v_add_u32_e32 v5, s2, v4
	v_mov_b32_e32 v6, 0
	v_lshlrev_b64 v[5:6], 1, v[5:6]
	v_mov_b32_e32 v3, s11
	v_add_co_u32_e64 v5, s[0:1], s10, v5
	v_addc_co_u32_e64 v6, s[0:1], v3, v6, s[0:1]
	global_load_ushort v3, v[5:6], off
	v_add_u32_e32 v4, 0x100, v4
.LBB216_7:
	s_or_b64 exec, exec, s[4:5]
	v_cmp_gt_i32_e64 s[0:1], s6, v4
	v_mov_b32_e32 v5, 0
	v_mov_b32_e32 v6, 0
	s_and_saveexec_b64 s[4:5], s[0:1]
	s_cbranch_execz .LBB216_9
; %bb.8:
	v_add_u32_e32 v6, s2, v4
	v_mov_b32_e32 v7, 0
	v_lshlrev_b64 v[6:7], 1, v[6:7]
	v_mov_b32_e32 v8, s11
	v_add_co_u32_e64 v6, s[0:1], s10, v6
	v_addc_co_u32_e64 v7, s[0:1], v8, v7, s[0:1]
	global_load_ushort v6, v[6:7], off
	v_add_u32_e32 v4, 0x100, v4
.LBB216_9:
	s_or_b64 exec, exec, s[4:5]
	v_cmp_gt_i32_e64 s[0:1], s6, v4
	s_and_saveexec_b64 s[4:5], s[0:1]
	s_cbranch_execz .LBB216_11
; %bb.10:
	v_add_u32_e32 v7, s2, v4
	v_mov_b32_e32 v8, 0
	v_lshlrev_b64 v[7:8], 1, v[7:8]
	v_mov_b32_e32 v5, s11
	v_add_co_u32_e64 v7, s[0:1], s10, v7
	v_addc_co_u32_e64 v8, s[0:1], v5, v8, s[0:1]
	global_load_ushort v5, v[7:8], off
	v_add_u32_e32 v4, 0x100, v4
.LBB216_11:
	s_or_b64 exec, exec, s[4:5]
	v_cmp_gt_i32_e64 s[0:1], s6, v4
	v_mov_b32_e32 v7, 0
	v_mov_b32_e32 v8, 0
	s_and_saveexec_b64 s[4:5], s[0:1]
	s_cbranch_execz .LBB216_13
; %bb.12:
	v_add_u32_e32 v8, s2, v4
	v_mov_b32_e32 v9, 0
	v_lshlrev_b64 v[8:9], 1, v[8:9]
	v_mov_b32_e32 v10, s11
	v_add_co_u32_e64 v8, s[0:1], s10, v8
	v_addc_co_u32_e64 v9, s[0:1], v10, v9, s[0:1]
	global_load_ushort v8, v[8:9], off
	v_add_u32_e32 v4, 0x100, v4
.LBB216_13:
	;; [unrolled: 30-line block ×3, first 2 shown]
	s_or_b64 exec, exec, s[4:5]
	v_cmp_gt_i32_e64 s[0:1], s6, v4
	s_and_saveexec_b64 s[4:5], s[0:1]
	s_cbranch_execz .LBB216_19
; %bb.18:
	v_add_u32_e32 v11, s2, v4
	v_mov_b32_e32 v12, 0
	v_lshlrev_b64 v[11:12], 1, v[11:12]
	v_mov_b32_e32 v4, s11
	v_add_co_u32_e64 v11, s[0:1], s10, v11
	v_addc_co_u32_e64 v12, s[0:1], v4, v12, s[0:1]
	global_load_ushort v9, v[11:12], off
.LBB216_19:
	s_or_b64 exec, exec, s[4:5]
	s_lshr_b32 s0, s7, 15
	s_ashr_i32 s3, s13, 16
	s_waitcnt vmcnt(0)
	v_ashrrev_i32_sdwa v4, v2, s3 dst_sel:DWORD dst_unused:UNUSED_PAD src0_sel:WORD_0 src1_sel:DWORD
	v_mov_b32_e32 v13, s0
	v_cmp_lt_u16_e64 s[0:1], 14, v2
	v_cndmask_b32_e64 v2, v4, v13, s[0:1]
	v_and_b32_e32 v2, 0xffff, v2
	v_ashrrev_i32_sdwa v4, v3, s3 dst_sel:DWORD dst_unused:UNUSED_PAD src0_sel:WORD_0 src1_sel:DWORD
	v_cmp_lt_u16_e64 s[0:1], 14, v3
	v_cndmask_b32_e32 v2, 0, v2, vcc
	v_or_b32_e32 v12, 0x100, v0
	v_cndmask_b32_e64 v3, v4, v13, s[0:1]
	s_mov_b32 s4, 0x5040100
	v_perm_b32 v3, v3, v2, s4
	v_cmp_gt_i32_e64 s[0:1], s6, v12
	v_cndmask_b32_e64 v11, v2, v3, s[0:1]
	v_ashrrev_i32_sdwa v3, v6, s3 dst_sel:DWORD dst_unused:UNUSED_PAD src0_sel:WORD_0 src1_sel:DWORD
	v_cmp_lt_u16_e64 s[0:1], 14, v6
	v_or_b32_e32 v2, 0x200, v0
	v_cndmask_b32_e64 v3, v3, v13, s[0:1]
	v_and_b32_e32 v3, 0xffff, v3
	v_cmp_gt_i32_e64 s[0:1], s6, v2
	v_cndmask_b32_e64 v2, 0, v3, s[0:1]
	v_ashrrev_i32_sdwa v4, v5, s3 dst_sel:DWORD dst_unused:UNUSED_PAD src0_sel:WORD_0 src1_sel:DWORD
	v_cmp_lt_u16_e64 s[0:1], 14, v5
	v_or_b32_e32 v3, 0x300, v0
	v_cndmask_b32_e64 v4, v4, v13, s[0:1]
	v_perm_b32 v4, v4, v2, s4
	v_cmp_gt_i32_e64 s[0:1], s6, v3
	v_cndmask_b32_e64 v5, v2, v4, s[0:1]
	v_ashrrev_i32_sdwa v3, v8, s3 dst_sel:DWORD dst_unused:UNUSED_PAD src0_sel:WORD_0 src1_sel:DWORD
	v_cmp_lt_u16_e64 s[0:1], 14, v8
	v_or_b32_e32 v2, 0x400, v0
	v_cndmask_b32_e64 v3, v3, v13, s[0:1]
	v_and_b32_e32 v3, 0xffff, v3
	v_cmp_gt_i32_e64 s[0:1], s6, v2
	v_cndmask_b32_e64 v2, 0, v3, s[0:1]
	v_ashrrev_i32_sdwa v4, v7, s3 dst_sel:DWORD dst_unused:UNUSED_PAD src0_sel:WORD_0 src1_sel:DWORD
	v_cmp_lt_u16_e64 s[0:1], 14, v7
	v_or_b32_e32 v3, 0x500, v0
	v_cndmask_b32_e64 v4, v4, v13, s[0:1]
	;; [unrolled: 14-line block ×3, first 2 shown]
	v_perm_b32 v6, v6, v2, s4
	v_cmp_gt_i32_e64 s[0:1], s6, v3
	v_cndmask_b32_e64 v3, v2, v6, s[0:1]
	s_and_saveexec_b64 s[0:1], vcc
	s_cbranch_execnz .LBB216_29
; %bb.20:
	s_or_b64 exec, exec, s[0:1]
	v_cmp_gt_i32_e32 vcc, s6, v0
	s_and_saveexec_b64 s[0:1], vcc
	s_cbranch_execnz .LBB216_30
.LBB216_21:
	s_or_b64 exec, exec, s[0:1]
	v_cmp_gt_i32_e32 vcc, s6, v0
	s_and_saveexec_b64 s[0:1], vcc
	s_cbranch_execnz .LBB216_31
.LBB216_22:
	s_or_b64 exec, exec, s[0:1]
	v_cmp_gt_i32_e32 vcc, s6, v0
	s_and_saveexec_b64 s[0:1], vcc
	s_cbranch_execnz .LBB216_32
.LBB216_23:
	s_or_b64 exec, exec, s[0:1]
	v_cmp_gt_i32_e32 vcc, s6, v0
	s_and_saveexec_b64 s[0:1], vcc
	s_cbranch_execnz .LBB216_33
.LBB216_24:
	s_or_b64 exec, exec, s[0:1]
	v_cmp_gt_i32_e32 vcc, s6, v0
	s_and_saveexec_b64 s[0:1], vcc
	s_cbranch_execnz .LBB216_34
.LBB216_25:
	s_or_b64 exec, exec, s[0:1]
	v_cmp_gt_i32_e32 vcc, s6, v0
	s_and_saveexec_b64 s[0:1], vcc
	s_cbranch_execnz .LBB216_35
.LBB216_26:
	s_or_b64 exec, exec, s[0:1]
	v_cmp_gt_i32_e32 vcc, s6, v0
	s_and_saveexec_b64 s[0:1], vcc
	s_cbranch_execz .LBB216_28
.LBB216_27:
	v_add_u32_e32 v0, s2, v0
	v_mov_b32_e32 v1, 0
	v_lshlrev_b64 v[0:1], 1, v[0:1]
	v_mov_b32_e32 v2, s9
	v_add_co_u32_e32 v0, vcc, s8, v0
	v_addc_co_u32_e32 v1, vcc, v2, v1, vcc
	global_store_short_d16_hi v[0:1], v3, off
.LBB216_28:
	s_endpgm
.LBB216_29:
	v_mov_b32_e32 v2, 0
	v_lshlrev_b64 v[0:1], 1, v[1:2]
	v_mov_b32_e32 v2, s9
	v_add_co_u32_e32 v0, vcc, s8, v0
	v_addc_co_u32_e32 v1, vcc, v2, v1, vcc
	global_store_short v[0:1], v11, off
	v_mov_b32_e32 v0, v12
	s_or_b64 exec, exec, s[0:1]
	v_cmp_gt_i32_e32 vcc, s6, v0
	s_and_saveexec_b64 s[0:1], vcc
	s_cbranch_execz .LBB216_21
.LBB216_30:
	v_add_u32_e32 v1, s2, v0
	v_mov_b32_e32 v2, 0
	v_lshlrev_b64 v[1:2], 1, v[1:2]
	v_mov_b32_e32 v6, s9
	v_add_co_u32_e32 v1, vcc, s8, v1
	v_addc_co_u32_e32 v2, vcc, v6, v2, vcc
	v_add_u32_e32 v0, 0x100, v0
	global_store_short_d16_hi v[1:2], v11, off
	s_or_b64 exec, exec, s[0:1]
	v_cmp_gt_i32_e32 vcc, s6, v0
	s_and_saveexec_b64 s[0:1], vcc
	s_cbranch_execz .LBB216_22
.LBB216_31:
	v_add_u32_e32 v1, s2, v0
	v_mov_b32_e32 v2, 0
	v_lshlrev_b64 v[1:2], 1, v[1:2]
	v_mov_b32_e32 v6, s9
	v_add_co_u32_e32 v1, vcc, s8, v1
	v_addc_co_u32_e32 v2, vcc, v6, v2, vcc
	v_add_u32_e32 v0, 0x100, v0
	global_store_short v[1:2], v5, off
	s_or_b64 exec, exec, s[0:1]
	v_cmp_gt_i32_e32 vcc, s6, v0
	s_and_saveexec_b64 s[0:1], vcc
	s_cbranch_execz .LBB216_23
.LBB216_32:
	v_add_u32_e32 v1, s2, v0
	v_mov_b32_e32 v2, 0
	v_lshlrev_b64 v[1:2], 1, v[1:2]
	v_mov_b32_e32 v6, s9
	v_add_co_u32_e32 v1, vcc, s8, v1
	v_addc_co_u32_e32 v2, vcc, v6, v2, vcc
	v_add_u32_e32 v0, 0x100, v0
	global_store_short_d16_hi v[1:2], v5, off
	s_or_b64 exec, exec, s[0:1]
	v_cmp_gt_i32_e32 vcc, s6, v0
	s_and_saveexec_b64 s[0:1], vcc
	s_cbranch_execz .LBB216_24
.LBB216_33:
	v_add_u32_e32 v1, s2, v0
	v_mov_b32_e32 v2, 0
	v_lshlrev_b64 v[1:2], 1, v[1:2]
	v_mov_b32_e32 v5, s9
	v_add_co_u32_e32 v1, vcc, s8, v1
	v_addc_co_u32_e32 v2, vcc, v5, v2, vcc
	v_add_u32_e32 v0, 0x100, v0
	global_store_short v[1:2], v4, off
	s_or_b64 exec, exec, s[0:1]
	v_cmp_gt_i32_e32 vcc, s6, v0
	s_and_saveexec_b64 s[0:1], vcc
	s_cbranch_execz .LBB216_25
.LBB216_34:
	v_add_u32_e32 v1, s2, v0
	v_mov_b32_e32 v2, 0
	v_lshlrev_b64 v[1:2], 1, v[1:2]
	v_mov_b32_e32 v5, s9
	v_add_co_u32_e32 v1, vcc, s8, v1
	v_addc_co_u32_e32 v2, vcc, v5, v2, vcc
	v_add_u32_e32 v0, 0x100, v0
	global_store_short_d16_hi v[1:2], v4, off
	s_or_b64 exec, exec, s[0:1]
	v_cmp_gt_i32_e32 vcc, s6, v0
	s_and_saveexec_b64 s[0:1], vcc
	s_cbranch_execz .LBB216_26
.LBB216_35:
	v_add_u32_e32 v1, s2, v0
	v_mov_b32_e32 v2, 0
	v_lshlrev_b64 v[1:2], 1, v[1:2]
	v_mov_b32_e32 v4, s9
	v_add_co_u32_e32 v1, vcc, s8, v1
	v_addc_co_u32_e32 v2, vcc, v4, v2, vcc
	v_add_u32_e32 v0, 0x100, v0
	global_store_short v[1:2], v3, off
	s_or_b64 exec, exec, s[0:1]
	v_cmp_gt_i32_e32 vcc, s6, v0
	s_and_saveexec_b64 s[0:1], vcc
	s_cbranch_execnz .LBB216_27
	s_branch .LBB216_28
	.section	.rodata,"a",@progbits
	.p2align	6, 0x0
	.amdhsa_kernel _ZN2at6native29vectorized_elementwise_kernelILi16ENS0_13AUnaryFunctorIsssZZZNS0_18rshift_kernel_cudaERNS_18TensorIteratorBaseEENKUlvE_clEvENKUlvE3_clEvEUlssE_EESt5arrayIPcLm2EEEEviT0_T1_
		.amdhsa_group_segment_fixed_size 0
		.amdhsa_private_segment_fixed_size 0
		.amdhsa_kernarg_size 24
		.amdhsa_user_sgpr_count 6
		.amdhsa_user_sgpr_private_segment_buffer 1
		.amdhsa_user_sgpr_dispatch_ptr 0
		.amdhsa_user_sgpr_queue_ptr 0
		.amdhsa_user_sgpr_kernarg_segment_ptr 1
		.amdhsa_user_sgpr_dispatch_id 0
		.amdhsa_user_sgpr_flat_scratch_init 0
		.amdhsa_user_sgpr_private_segment_size 0
		.amdhsa_uses_dynamic_stack 0
		.amdhsa_system_sgpr_private_segment_wavefront_offset 0
		.amdhsa_system_sgpr_workgroup_id_x 1
		.amdhsa_system_sgpr_workgroup_id_y 0
		.amdhsa_system_sgpr_workgroup_id_z 0
		.amdhsa_system_sgpr_workgroup_info 0
		.amdhsa_system_vgpr_workitem_id 0
		.amdhsa_next_free_vgpr 16
		.amdhsa_next_free_sgpr 14
		.amdhsa_reserve_vcc 1
		.amdhsa_reserve_flat_scratch 0
		.amdhsa_float_round_mode_32 0
		.amdhsa_float_round_mode_16_64 0
		.amdhsa_float_denorm_mode_32 3
		.amdhsa_float_denorm_mode_16_64 3
		.amdhsa_dx10_clamp 1
		.amdhsa_ieee_mode 1
		.amdhsa_fp16_overflow 0
		.amdhsa_exception_fp_ieee_invalid_op 0
		.amdhsa_exception_fp_denorm_src 0
		.amdhsa_exception_fp_ieee_div_zero 0
		.amdhsa_exception_fp_ieee_overflow 0
		.amdhsa_exception_fp_ieee_underflow 0
		.amdhsa_exception_fp_ieee_inexact 0
		.amdhsa_exception_int_div_zero 0
	.end_amdhsa_kernel
	.section	.text._ZN2at6native29vectorized_elementwise_kernelILi16ENS0_13AUnaryFunctorIsssZZZNS0_18rshift_kernel_cudaERNS_18TensorIteratorBaseEENKUlvE_clEvENKUlvE3_clEvEUlssE_EESt5arrayIPcLm2EEEEviT0_T1_,"axG",@progbits,_ZN2at6native29vectorized_elementwise_kernelILi16ENS0_13AUnaryFunctorIsssZZZNS0_18rshift_kernel_cudaERNS_18TensorIteratorBaseEENKUlvE_clEvENKUlvE3_clEvEUlssE_EESt5arrayIPcLm2EEEEviT0_T1_,comdat
.Lfunc_end216:
	.size	_ZN2at6native29vectorized_elementwise_kernelILi16ENS0_13AUnaryFunctorIsssZZZNS0_18rshift_kernel_cudaERNS_18TensorIteratorBaseEENKUlvE_clEvENKUlvE3_clEvEUlssE_EESt5arrayIPcLm2EEEEviT0_T1_, .Lfunc_end216-_ZN2at6native29vectorized_elementwise_kernelILi16ENS0_13AUnaryFunctorIsssZZZNS0_18rshift_kernel_cudaERNS_18TensorIteratorBaseEENKUlvE_clEvENKUlvE3_clEvEUlssE_EESt5arrayIPcLm2EEEEviT0_T1_
                                        ; -- End function
	.set _ZN2at6native29vectorized_elementwise_kernelILi16ENS0_13AUnaryFunctorIsssZZZNS0_18rshift_kernel_cudaERNS_18TensorIteratorBaseEENKUlvE_clEvENKUlvE3_clEvEUlssE_EESt5arrayIPcLm2EEEEviT0_T1_.num_vgpr, 16
	.set _ZN2at6native29vectorized_elementwise_kernelILi16ENS0_13AUnaryFunctorIsssZZZNS0_18rshift_kernel_cudaERNS_18TensorIteratorBaseEENKUlvE_clEvENKUlvE3_clEvEUlssE_EESt5arrayIPcLm2EEEEviT0_T1_.num_agpr, 0
	.set _ZN2at6native29vectorized_elementwise_kernelILi16ENS0_13AUnaryFunctorIsssZZZNS0_18rshift_kernel_cudaERNS_18TensorIteratorBaseEENKUlvE_clEvENKUlvE3_clEvEUlssE_EESt5arrayIPcLm2EEEEviT0_T1_.numbered_sgpr, 14
	.set _ZN2at6native29vectorized_elementwise_kernelILi16ENS0_13AUnaryFunctorIsssZZZNS0_18rshift_kernel_cudaERNS_18TensorIteratorBaseEENKUlvE_clEvENKUlvE3_clEvEUlssE_EESt5arrayIPcLm2EEEEviT0_T1_.num_named_barrier, 0
	.set _ZN2at6native29vectorized_elementwise_kernelILi16ENS0_13AUnaryFunctorIsssZZZNS0_18rshift_kernel_cudaERNS_18TensorIteratorBaseEENKUlvE_clEvENKUlvE3_clEvEUlssE_EESt5arrayIPcLm2EEEEviT0_T1_.private_seg_size, 0
	.set _ZN2at6native29vectorized_elementwise_kernelILi16ENS0_13AUnaryFunctorIsssZZZNS0_18rshift_kernel_cudaERNS_18TensorIteratorBaseEENKUlvE_clEvENKUlvE3_clEvEUlssE_EESt5arrayIPcLm2EEEEviT0_T1_.uses_vcc, 1
	.set _ZN2at6native29vectorized_elementwise_kernelILi16ENS0_13AUnaryFunctorIsssZZZNS0_18rshift_kernel_cudaERNS_18TensorIteratorBaseEENKUlvE_clEvENKUlvE3_clEvEUlssE_EESt5arrayIPcLm2EEEEviT0_T1_.uses_flat_scratch, 0
	.set _ZN2at6native29vectorized_elementwise_kernelILi16ENS0_13AUnaryFunctorIsssZZZNS0_18rshift_kernel_cudaERNS_18TensorIteratorBaseEENKUlvE_clEvENKUlvE3_clEvEUlssE_EESt5arrayIPcLm2EEEEviT0_T1_.has_dyn_sized_stack, 0
	.set _ZN2at6native29vectorized_elementwise_kernelILi16ENS0_13AUnaryFunctorIsssZZZNS0_18rshift_kernel_cudaERNS_18TensorIteratorBaseEENKUlvE_clEvENKUlvE3_clEvEUlssE_EESt5arrayIPcLm2EEEEviT0_T1_.has_recursion, 0
	.set _ZN2at6native29vectorized_elementwise_kernelILi16ENS0_13AUnaryFunctorIsssZZZNS0_18rshift_kernel_cudaERNS_18TensorIteratorBaseEENKUlvE_clEvENKUlvE3_clEvEUlssE_EESt5arrayIPcLm2EEEEviT0_T1_.has_indirect_call, 0
	.section	.AMDGPU.csdata,"",@progbits
; Kernel info:
; codeLenInByte = 1936
; TotalNumSgprs: 18
; NumVgprs: 16
; ScratchSize: 0
; MemoryBound: 0
; FloatMode: 240
; IeeeMode: 1
; LDSByteSize: 0 bytes/workgroup (compile time only)
; SGPRBlocks: 2
; VGPRBlocks: 3
; NumSGPRsForWavesPerEU: 18
; NumVGPRsForWavesPerEU: 16
; Occupancy: 10
; WaveLimiterHint : 0
; COMPUTE_PGM_RSRC2:SCRATCH_EN: 0
; COMPUTE_PGM_RSRC2:USER_SGPR: 6
; COMPUTE_PGM_RSRC2:TRAP_HANDLER: 0
; COMPUTE_PGM_RSRC2:TGID_X_EN: 1
; COMPUTE_PGM_RSRC2:TGID_Y_EN: 0
; COMPUTE_PGM_RSRC2:TGID_Z_EN: 0
; COMPUTE_PGM_RSRC2:TIDIG_COMP_CNT: 0
	.section	.text._ZN2at6native29vectorized_elementwise_kernelILi8ENS0_13AUnaryFunctorIsssZZZNS0_18rshift_kernel_cudaERNS_18TensorIteratorBaseEENKUlvE_clEvENKUlvE3_clEvEUlssE_EESt5arrayIPcLm2EEEEviT0_T1_,"axG",@progbits,_ZN2at6native29vectorized_elementwise_kernelILi8ENS0_13AUnaryFunctorIsssZZZNS0_18rshift_kernel_cudaERNS_18TensorIteratorBaseEENKUlvE_clEvENKUlvE3_clEvEUlssE_EESt5arrayIPcLm2EEEEviT0_T1_,comdat
	.globl	_ZN2at6native29vectorized_elementwise_kernelILi8ENS0_13AUnaryFunctorIsssZZZNS0_18rshift_kernel_cudaERNS_18TensorIteratorBaseEENKUlvE_clEvENKUlvE3_clEvEUlssE_EESt5arrayIPcLm2EEEEviT0_T1_ ; -- Begin function _ZN2at6native29vectorized_elementwise_kernelILi8ENS0_13AUnaryFunctorIsssZZZNS0_18rshift_kernel_cudaERNS_18TensorIteratorBaseEENKUlvE_clEvENKUlvE3_clEvEUlssE_EESt5arrayIPcLm2EEEEviT0_T1_
	.p2align	8
	.type	_ZN2at6native29vectorized_elementwise_kernelILi8ENS0_13AUnaryFunctorIsssZZZNS0_18rshift_kernel_cudaERNS_18TensorIteratorBaseEENKUlvE_clEvENKUlvE3_clEvEUlssE_EESt5arrayIPcLm2EEEEviT0_T1_,@function
_ZN2at6native29vectorized_elementwise_kernelILi8ENS0_13AUnaryFunctorIsssZZZNS0_18rshift_kernel_cudaERNS_18TensorIteratorBaseEENKUlvE_clEvENKUlvE3_clEvEUlssE_EESt5arrayIPcLm2EEEEviT0_T1_: ; @_ZN2at6native29vectorized_elementwise_kernelILi8ENS0_13AUnaryFunctorIsssZZZNS0_18rshift_kernel_cudaERNS_18TensorIteratorBaseEENKUlvE_clEvENKUlvE3_clEvEUlssE_EESt5arrayIPcLm2EEEEviT0_T1_
; %bb.0:
	s_load_dwordx2 s[12:13], s[4:5], 0x0
	s_load_dwordx4 s[8:11], s[4:5], 0x8
	s_lshl_b32 s2, s6, 11
	s_mov_b64 s[0:1], -1
	s_waitcnt lgkmcnt(0)
	s_sub_i32 s6, s12, s2
	s_lshr_b32 s3, s13, 16
	s_cmpk_gt_i32 s6, 0x7ff
	s_sext_i32_i16 s7, s3
	s_cbranch_scc0 .LBB217_2
; %bb.1:
	s_ashr_i32 s3, s2, 31
	s_lshl_b64 s[0:1], s[2:3], 1
	s_add_u32 s4, s10, s0
	s_addc_u32 s5, s11, s1
	v_lshlrev_b32_e32 v5, 4, v0
	global_load_dwordx4 v[1:4], v5, s[4:5]
	s_lshr_b32 s4, s7, 15
	s_ashr_i32 s5, s13, 16
	v_mov_b32_e32 v6, 14
	v_mov_b32_e32 v7, s4
	s_mov_b32 s3, 0x5040100
	s_add_u32 s0, s8, s0
	s_addc_u32 s1, s9, s1
	s_waitcnt vmcnt(0)
	v_ashrrev_i32_e64 v8, v1, s5
	v_cmp_lt_u16_e32 vcc, 14, v1
	v_ashrrev_i32_sdwa v9, v1, s5 dst_sel:DWORD dst_unused:UNUSED_PAD src0_sel:WORD_1 src1_sel:DWORD
	v_cndmask_b32_e32 v8, v8, v7, vcc
	v_cmp_gt_u16_sdwa vcc, v1, v6 src0_sel:WORD_1 src1_sel:DWORD
	v_ashrrev_i32_e64 v10, v2, s5
	v_cndmask_b32_e32 v1, v9, v7, vcc
	v_cmp_lt_u16_e32 vcc, 14, v2
	v_ashrrev_i32_sdwa v11, v2, s5 dst_sel:DWORD dst_unused:UNUSED_PAD src0_sel:WORD_1 src1_sel:DWORD
	v_cndmask_b32_e32 v9, v10, v7, vcc
	v_cmp_gt_u16_sdwa vcc, v2, v6 src0_sel:WORD_1 src1_sel:DWORD
	v_ashrrev_i32_e64 v12, v3, s5
	v_cndmask_b32_e32 v2, v11, v7, vcc
	;; [unrolled: 6-line block ×3, first 2 shown]
	v_cmp_lt_u16_e32 vcc, 14, v4
	v_ashrrev_i32_sdwa v15, v4, s5 dst_sel:DWORD dst_unused:UNUSED_PAD src0_sel:WORD_1 src1_sel:DWORD
	v_cndmask_b32_e32 v11, v14, v7, vcc
	v_cmp_gt_u16_sdwa vcc, v4, v6 src0_sel:WORD_1 src1_sel:DWORD
	v_cndmask_b32_e32 v4, v15, v7, vcc
	v_perm_b32 v4, v4, v11, s3
	v_perm_b32 v3, v3, v10, s3
	;; [unrolled: 1-line block ×4, first 2 shown]
	global_store_dwordx4 v5, v[1:4], s[0:1]
	s_mov_b64 s[0:1], 0
.LBB217_2:
	s_andn2_b64 vcc, exec, s[0:1]
	s_cbranch_vccnz .LBB217_28
; %bb.3:
	v_cmp_gt_i32_e32 vcc, s6, v0
	v_mov_b32_e32 v3, 0
	v_or_b32_e32 v1, s2, v0
	v_mov_b32_e32 v2, 0
	v_mov_b32_e32 v4, v0
	s_and_saveexec_b64 s[4:5], vcc
	s_cbranch_execz .LBB217_5
; %bb.4:
	v_mov_b32_e32 v2, 0
	v_lshlrev_b64 v[4:5], 1, v[1:2]
	v_mov_b32_e32 v2, s11
	v_add_co_u32_e64 v4, s[0:1], s10, v4
	v_addc_co_u32_e64 v5, s[0:1], v2, v5, s[0:1]
	global_load_ushort v2, v[4:5], off
	v_or_b32_e32 v4, 0x100, v0
.LBB217_5:
	s_or_b64 exec, exec, s[4:5]
	v_cmp_gt_i32_e64 s[0:1], s6, v4
	s_and_saveexec_b64 s[4:5], s[0:1]
	s_cbranch_execz .LBB217_7
; %bb.6:
	v_add_u32_e32 v5, s2, v4
	v_mov_b32_e32 v6, 0
	v_lshlrev_b64 v[5:6], 1, v[5:6]
	v_mov_b32_e32 v3, s11
	v_add_co_u32_e64 v5, s[0:1], s10, v5
	v_addc_co_u32_e64 v6, s[0:1], v3, v6, s[0:1]
	global_load_ushort v3, v[5:6], off
	v_add_u32_e32 v4, 0x100, v4
.LBB217_7:
	s_or_b64 exec, exec, s[4:5]
	v_cmp_gt_i32_e64 s[0:1], s6, v4
	v_mov_b32_e32 v5, 0
	v_mov_b32_e32 v6, 0
	s_and_saveexec_b64 s[4:5], s[0:1]
	s_cbranch_execz .LBB217_9
; %bb.8:
	v_add_u32_e32 v6, s2, v4
	v_mov_b32_e32 v7, 0
	v_lshlrev_b64 v[6:7], 1, v[6:7]
	v_mov_b32_e32 v8, s11
	v_add_co_u32_e64 v6, s[0:1], s10, v6
	v_addc_co_u32_e64 v7, s[0:1], v8, v7, s[0:1]
	global_load_ushort v6, v[6:7], off
	v_add_u32_e32 v4, 0x100, v4
.LBB217_9:
	s_or_b64 exec, exec, s[4:5]
	v_cmp_gt_i32_e64 s[0:1], s6, v4
	s_and_saveexec_b64 s[4:5], s[0:1]
	s_cbranch_execz .LBB217_11
; %bb.10:
	v_add_u32_e32 v7, s2, v4
	v_mov_b32_e32 v8, 0
	v_lshlrev_b64 v[7:8], 1, v[7:8]
	v_mov_b32_e32 v5, s11
	v_add_co_u32_e64 v7, s[0:1], s10, v7
	v_addc_co_u32_e64 v8, s[0:1], v5, v8, s[0:1]
	global_load_ushort v5, v[7:8], off
	v_add_u32_e32 v4, 0x100, v4
.LBB217_11:
	s_or_b64 exec, exec, s[4:5]
	v_cmp_gt_i32_e64 s[0:1], s6, v4
	v_mov_b32_e32 v7, 0
	v_mov_b32_e32 v8, 0
	s_and_saveexec_b64 s[4:5], s[0:1]
	s_cbranch_execz .LBB217_13
; %bb.12:
	v_add_u32_e32 v8, s2, v4
	v_mov_b32_e32 v9, 0
	v_lshlrev_b64 v[8:9], 1, v[8:9]
	v_mov_b32_e32 v10, s11
	v_add_co_u32_e64 v8, s[0:1], s10, v8
	v_addc_co_u32_e64 v9, s[0:1], v10, v9, s[0:1]
	global_load_ushort v8, v[8:9], off
	v_add_u32_e32 v4, 0x100, v4
.LBB217_13:
	;; [unrolled: 30-line block ×3, first 2 shown]
	s_or_b64 exec, exec, s[4:5]
	v_cmp_gt_i32_e64 s[0:1], s6, v4
	s_and_saveexec_b64 s[4:5], s[0:1]
	s_cbranch_execz .LBB217_19
; %bb.18:
	v_add_u32_e32 v11, s2, v4
	v_mov_b32_e32 v12, 0
	v_lshlrev_b64 v[11:12], 1, v[11:12]
	v_mov_b32_e32 v4, s11
	v_add_co_u32_e64 v11, s[0:1], s10, v11
	v_addc_co_u32_e64 v12, s[0:1], v4, v12, s[0:1]
	global_load_ushort v9, v[11:12], off
.LBB217_19:
	s_or_b64 exec, exec, s[4:5]
	s_lshr_b32 s0, s7, 15
	s_ashr_i32 s3, s13, 16
	s_waitcnt vmcnt(0)
	v_ashrrev_i32_sdwa v4, v2, s3 dst_sel:DWORD dst_unused:UNUSED_PAD src0_sel:WORD_0 src1_sel:DWORD
	v_mov_b32_e32 v13, s0
	v_cmp_lt_u16_e64 s[0:1], 14, v2
	v_cndmask_b32_e64 v2, v4, v13, s[0:1]
	v_and_b32_e32 v2, 0xffff, v2
	v_ashrrev_i32_sdwa v4, v3, s3 dst_sel:DWORD dst_unused:UNUSED_PAD src0_sel:WORD_0 src1_sel:DWORD
	v_cmp_lt_u16_e64 s[0:1], 14, v3
	v_cndmask_b32_e32 v2, 0, v2, vcc
	v_or_b32_e32 v12, 0x100, v0
	v_cndmask_b32_e64 v3, v4, v13, s[0:1]
	s_mov_b32 s4, 0x5040100
	v_perm_b32 v3, v3, v2, s4
	v_cmp_gt_i32_e64 s[0:1], s6, v12
	v_cndmask_b32_e64 v11, v2, v3, s[0:1]
	v_ashrrev_i32_sdwa v3, v6, s3 dst_sel:DWORD dst_unused:UNUSED_PAD src0_sel:WORD_0 src1_sel:DWORD
	v_cmp_lt_u16_e64 s[0:1], 14, v6
	v_or_b32_e32 v2, 0x200, v0
	v_cndmask_b32_e64 v3, v3, v13, s[0:1]
	v_and_b32_e32 v3, 0xffff, v3
	v_cmp_gt_i32_e64 s[0:1], s6, v2
	v_cndmask_b32_e64 v2, 0, v3, s[0:1]
	v_ashrrev_i32_sdwa v4, v5, s3 dst_sel:DWORD dst_unused:UNUSED_PAD src0_sel:WORD_0 src1_sel:DWORD
	v_cmp_lt_u16_e64 s[0:1], 14, v5
	v_or_b32_e32 v3, 0x300, v0
	v_cndmask_b32_e64 v4, v4, v13, s[0:1]
	v_perm_b32 v4, v4, v2, s4
	v_cmp_gt_i32_e64 s[0:1], s6, v3
	v_cndmask_b32_e64 v5, v2, v4, s[0:1]
	v_ashrrev_i32_sdwa v3, v8, s3 dst_sel:DWORD dst_unused:UNUSED_PAD src0_sel:WORD_0 src1_sel:DWORD
	v_cmp_lt_u16_e64 s[0:1], 14, v8
	v_or_b32_e32 v2, 0x400, v0
	v_cndmask_b32_e64 v3, v3, v13, s[0:1]
	v_and_b32_e32 v3, 0xffff, v3
	v_cmp_gt_i32_e64 s[0:1], s6, v2
	v_cndmask_b32_e64 v2, 0, v3, s[0:1]
	v_ashrrev_i32_sdwa v4, v7, s3 dst_sel:DWORD dst_unused:UNUSED_PAD src0_sel:WORD_0 src1_sel:DWORD
	v_cmp_lt_u16_e64 s[0:1], 14, v7
	v_or_b32_e32 v3, 0x500, v0
	v_cndmask_b32_e64 v4, v4, v13, s[0:1]
	;; [unrolled: 14-line block ×3, first 2 shown]
	v_perm_b32 v6, v6, v2, s4
	v_cmp_gt_i32_e64 s[0:1], s6, v3
	v_cndmask_b32_e64 v3, v2, v6, s[0:1]
	s_and_saveexec_b64 s[0:1], vcc
	s_cbranch_execnz .LBB217_29
; %bb.20:
	s_or_b64 exec, exec, s[0:1]
	v_cmp_gt_i32_e32 vcc, s6, v0
	s_and_saveexec_b64 s[0:1], vcc
	s_cbranch_execnz .LBB217_30
.LBB217_21:
	s_or_b64 exec, exec, s[0:1]
	v_cmp_gt_i32_e32 vcc, s6, v0
	s_and_saveexec_b64 s[0:1], vcc
	s_cbranch_execnz .LBB217_31
.LBB217_22:
	s_or_b64 exec, exec, s[0:1]
	v_cmp_gt_i32_e32 vcc, s6, v0
	s_and_saveexec_b64 s[0:1], vcc
	s_cbranch_execnz .LBB217_32
.LBB217_23:
	s_or_b64 exec, exec, s[0:1]
	v_cmp_gt_i32_e32 vcc, s6, v0
	s_and_saveexec_b64 s[0:1], vcc
	s_cbranch_execnz .LBB217_33
.LBB217_24:
	s_or_b64 exec, exec, s[0:1]
	v_cmp_gt_i32_e32 vcc, s6, v0
	s_and_saveexec_b64 s[0:1], vcc
	s_cbranch_execnz .LBB217_34
.LBB217_25:
	s_or_b64 exec, exec, s[0:1]
	v_cmp_gt_i32_e32 vcc, s6, v0
	s_and_saveexec_b64 s[0:1], vcc
	s_cbranch_execnz .LBB217_35
.LBB217_26:
	s_or_b64 exec, exec, s[0:1]
	v_cmp_gt_i32_e32 vcc, s6, v0
	s_and_saveexec_b64 s[0:1], vcc
	s_cbranch_execz .LBB217_28
.LBB217_27:
	v_add_u32_e32 v0, s2, v0
	v_mov_b32_e32 v1, 0
	v_lshlrev_b64 v[0:1], 1, v[0:1]
	v_mov_b32_e32 v2, s9
	v_add_co_u32_e32 v0, vcc, s8, v0
	v_addc_co_u32_e32 v1, vcc, v2, v1, vcc
	global_store_short_d16_hi v[0:1], v3, off
.LBB217_28:
	s_endpgm
.LBB217_29:
	v_mov_b32_e32 v2, 0
	v_lshlrev_b64 v[0:1], 1, v[1:2]
	v_mov_b32_e32 v2, s9
	v_add_co_u32_e32 v0, vcc, s8, v0
	v_addc_co_u32_e32 v1, vcc, v2, v1, vcc
	global_store_short v[0:1], v11, off
	v_mov_b32_e32 v0, v12
	s_or_b64 exec, exec, s[0:1]
	v_cmp_gt_i32_e32 vcc, s6, v0
	s_and_saveexec_b64 s[0:1], vcc
	s_cbranch_execz .LBB217_21
.LBB217_30:
	v_add_u32_e32 v1, s2, v0
	v_mov_b32_e32 v2, 0
	v_lshlrev_b64 v[1:2], 1, v[1:2]
	v_mov_b32_e32 v6, s9
	v_add_co_u32_e32 v1, vcc, s8, v1
	v_addc_co_u32_e32 v2, vcc, v6, v2, vcc
	v_add_u32_e32 v0, 0x100, v0
	global_store_short_d16_hi v[1:2], v11, off
	s_or_b64 exec, exec, s[0:1]
	v_cmp_gt_i32_e32 vcc, s6, v0
	s_and_saveexec_b64 s[0:1], vcc
	s_cbranch_execz .LBB217_22
.LBB217_31:
	v_add_u32_e32 v1, s2, v0
	v_mov_b32_e32 v2, 0
	v_lshlrev_b64 v[1:2], 1, v[1:2]
	v_mov_b32_e32 v6, s9
	v_add_co_u32_e32 v1, vcc, s8, v1
	v_addc_co_u32_e32 v2, vcc, v6, v2, vcc
	v_add_u32_e32 v0, 0x100, v0
	global_store_short v[1:2], v5, off
	s_or_b64 exec, exec, s[0:1]
	v_cmp_gt_i32_e32 vcc, s6, v0
	s_and_saveexec_b64 s[0:1], vcc
	s_cbranch_execz .LBB217_23
.LBB217_32:
	v_add_u32_e32 v1, s2, v0
	v_mov_b32_e32 v2, 0
	v_lshlrev_b64 v[1:2], 1, v[1:2]
	v_mov_b32_e32 v6, s9
	v_add_co_u32_e32 v1, vcc, s8, v1
	v_addc_co_u32_e32 v2, vcc, v6, v2, vcc
	v_add_u32_e32 v0, 0x100, v0
	global_store_short_d16_hi v[1:2], v5, off
	s_or_b64 exec, exec, s[0:1]
	v_cmp_gt_i32_e32 vcc, s6, v0
	s_and_saveexec_b64 s[0:1], vcc
	s_cbranch_execz .LBB217_24
.LBB217_33:
	v_add_u32_e32 v1, s2, v0
	v_mov_b32_e32 v2, 0
	v_lshlrev_b64 v[1:2], 1, v[1:2]
	v_mov_b32_e32 v5, s9
	v_add_co_u32_e32 v1, vcc, s8, v1
	v_addc_co_u32_e32 v2, vcc, v5, v2, vcc
	v_add_u32_e32 v0, 0x100, v0
	global_store_short v[1:2], v4, off
	s_or_b64 exec, exec, s[0:1]
	v_cmp_gt_i32_e32 vcc, s6, v0
	s_and_saveexec_b64 s[0:1], vcc
	s_cbranch_execz .LBB217_25
.LBB217_34:
	v_add_u32_e32 v1, s2, v0
	v_mov_b32_e32 v2, 0
	v_lshlrev_b64 v[1:2], 1, v[1:2]
	v_mov_b32_e32 v5, s9
	v_add_co_u32_e32 v1, vcc, s8, v1
	v_addc_co_u32_e32 v2, vcc, v5, v2, vcc
	v_add_u32_e32 v0, 0x100, v0
	global_store_short_d16_hi v[1:2], v4, off
	s_or_b64 exec, exec, s[0:1]
	v_cmp_gt_i32_e32 vcc, s6, v0
	s_and_saveexec_b64 s[0:1], vcc
	s_cbranch_execz .LBB217_26
.LBB217_35:
	v_add_u32_e32 v1, s2, v0
	v_mov_b32_e32 v2, 0
	v_lshlrev_b64 v[1:2], 1, v[1:2]
	v_mov_b32_e32 v4, s9
	v_add_co_u32_e32 v1, vcc, s8, v1
	v_addc_co_u32_e32 v2, vcc, v4, v2, vcc
	v_add_u32_e32 v0, 0x100, v0
	global_store_short v[1:2], v3, off
	s_or_b64 exec, exec, s[0:1]
	v_cmp_gt_i32_e32 vcc, s6, v0
	s_and_saveexec_b64 s[0:1], vcc
	s_cbranch_execnz .LBB217_27
	s_branch .LBB217_28
	.section	.rodata,"a",@progbits
	.p2align	6, 0x0
	.amdhsa_kernel _ZN2at6native29vectorized_elementwise_kernelILi8ENS0_13AUnaryFunctorIsssZZZNS0_18rshift_kernel_cudaERNS_18TensorIteratorBaseEENKUlvE_clEvENKUlvE3_clEvEUlssE_EESt5arrayIPcLm2EEEEviT0_T1_
		.amdhsa_group_segment_fixed_size 0
		.amdhsa_private_segment_fixed_size 0
		.amdhsa_kernarg_size 24
		.amdhsa_user_sgpr_count 6
		.amdhsa_user_sgpr_private_segment_buffer 1
		.amdhsa_user_sgpr_dispatch_ptr 0
		.amdhsa_user_sgpr_queue_ptr 0
		.amdhsa_user_sgpr_kernarg_segment_ptr 1
		.amdhsa_user_sgpr_dispatch_id 0
		.amdhsa_user_sgpr_flat_scratch_init 0
		.amdhsa_user_sgpr_private_segment_size 0
		.amdhsa_uses_dynamic_stack 0
		.amdhsa_system_sgpr_private_segment_wavefront_offset 0
		.amdhsa_system_sgpr_workgroup_id_x 1
		.amdhsa_system_sgpr_workgroup_id_y 0
		.amdhsa_system_sgpr_workgroup_id_z 0
		.amdhsa_system_sgpr_workgroup_info 0
		.amdhsa_system_vgpr_workitem_id 0
		.amdhsa_next_free_vgpr 16
		.amdhsa_next_free_sgpr 14
		.amdhsa_reserve_vcc 1
		.amdhsa_reserve_flat_scratch 0
		.amdhsa_float_round_mode_32 0
		.amdhsa_float_round_mode_16_64 0
		.amdhsa_float_denorm_mode_32 3
		.amdhsa_float_denorm_mode_16_64 3
		.amdhsa_dx10_clamp 1
		.amdhsa_ieee_mode 1
		.amdhsa_fp16_overflow 0
		.amdhsa_exception_fp_ieee_invalid_op 0
		.amdhsa_exception_fp_denorm_src 0
		.amdhsa_exception_fp_ieee_div_zero 0
		.amdhsa_exception_fp_ieee_overflow 0
		.amdhsa_exception_fp_ieee_underflow 0
		.amdhsa_exception_fp_ieee_inexact 0
		.amdhsa_exception_int_div_zero 0
	.end_amdhsa_kernel
	.section	.text._ZN2at6native29vectorized_elementwise_kernelILi8ENS0_13AUnaryFunctorIsssZZZNS0_18rshift_kernel_cudaERNS_18TensorIteratorBaseEENKUlvE_clEvENKUlvE3_clEvEUlssE_EESt5arrayIPcLm2EEEEviT0_T1_,"axG",@progbits,_ZN2at6native29vectorized_elementwise_kernelILi8ENS0_13AUnaryFunctorIsssZZZNS0_18rshift_kernel_cudaERNS_18TensorIteratorBaseEENKUlvE_clEvENKUlvE3_clEvEUlssE_EESt5arrayIPcLm2EEEEviT0_T1_,comdat
.Lfunc_end217:
	.size	_ZN2at6native29vectorized_elementwise_kernelILi8ENS0_13AUnaryFunctorIsssZZZNS0_18rshift_kernel_cudaERNS_18TensorIteratorBaseEENKUlvE_clEvENKUlvE3_clEvEUlssE_EESt5arrayIPcLm2EEEEviT0_T1_, .Lfunc_end217-_ZN2at6native29vectorized_elementwise_kernelILi8ENS0_13AUnaryFunctorIsssZZZNS0_18rshift_kernel_cudaERNS_18TensorIteratorBaseEENKUlvE_clEvENKUlvE3_clEvEUlssE_EESt5arrayIPcLm2EEEEviT0_T1_
                                        ; -- End function
	.set _ZN2at6native29vectorized_elementwise_kernelILi8ENS0_13AUnaryFunctorIsssZZZNS0_18rshift_kernel_cudaERNS_18TensorIteratorBaseEENKUlvE_clEvENKUlvE3_clEvEUlssE_EESt5arrayIPcLm2EEEEviT0_T1_.num_vgpr, 16
	.set _ZN2at6native29vectorized_elementwise_kernelILi8ENS0_13AUnaryFunctorIsssZZZNS0_18rshift_kernel_cudaERNS_18TensorIteratorBaseEENKUlvE_clEvENKUlvE3_clEvEUlssE_EESt5arrayIPcLm2EEEEviT0_T1_.num_agpr, 0
	.set _ZN2at6native29vectorized_elementwise_kernelILi8ENS0_13AUnaryFunctorIsssZZZNS0_18rshift_kernel_cudaERNS_18TensorIteratorBaseEENKUlvE_clEvENKUlvE3_clEvEUlssE_EESt5arrayIPcLm2EEEEviT0_T1_.numbered_sgpr, 14
	.set _ZN2at6native29vectorized_elementwise_kernelILi8ENS0_13AUnaryFunctorIsssZZZNS0_18rshift_kernel_cudaERNS_18TensorIteratorBaseEENKUlvE_clEvENKUlvE3_clEvEUlssE_EESt5arrayIPcLm2EEEEviT0_T1_.num_named_barrier, 0
	.set _ZN2at6native29vectorized_elementwise_kernelILi8ENS0_13AUnaryFunctorIsssZZZNS0_18rshift_kernel_cudaERNS_18TensorIteratorBaseEENKUlvE_clEvENKUlvE3_clEvEUlssE_EESt5arrayIPcLm2EEEEviT0_T1_.private_seg_size, 0
	.set _ZN2at6native29vectorized_elementwise_kernelILi8ENS0_13AUnaryFunctorIsssZZZNS0_18rshift_kernel_cudaERNS_18TensorIteratorBaseEENKUlvE_clEvENKUlvE3_clEvEUlssE_EESt5arrayIPcLm2EEEEviT0_T1_.uses_vcc, 1
	.set _ZN2at6native29vectorized_elementwise_kernelILi8ENS0_13AUnaryFunctorIsssZZZNS0_18rshift_kernel_cudaERNS_18TensorIteratorBaseEENKUlvE_clEvENKUlvE3_clEvEUlssE_EESt5arrayIPcLm2EEEEviT0_T1_.uses_flat_scratch, 0
	.set _ZN2at6native29vectorized_elementwise_kernelILi8ENS0_13AUnaryFunctorIsssZZZNS0_18rshift_kernel_cudaERNS_18TensorIteratorBaseEENKUlvE_clEvENKUlvE3_clEvEUlssE_EESt5arrayIPcLm2EEEEviT0_T1_.has_dyn_sized_stack, 0
	.set _ZN2at6native29vectorized_elementwise_kernelILi8ENS0_13AUnaryFunctorIsssZZZNS0_18rshift_kernel_cudaERNS_18TensorIteratorBaseEENKUlvE_clEvENKUlvE3_clEvEUlssE_EESt5arrayIPcLm2EEEEviT0_T1_.has_recursion, 0
	.set _ZN2at6native29vectorized_elementwise_kernelILi8ENS0_13AUnaryFunctorIsssZZZNS0_18rshift_kernel_cudaERNS_18TensorIteratorBaseEENKUlvE_clEvENKUlvE3_clEvEUlssE_EESt5arrayIPcLm2EEEEviT0_T1_.has_indirect_call, 0
	.section	.AMDGPU.csdata,"",@progbits
; Kernel info:
; codeLenInByte = 1936
; TotalNumSgprs: 18
; NumVgprs: 16
; ScratchSize: 0
; MemoryBound: 0
; FloatMode: 240
; IeeeMode: 1
; LDSByteSize: 0 bytes/workgroup (compile time only)
; SGPRBlocks: 2
; VGPRBlocks: 3
; NumSGPRsForWavesPerEU: 18
; NumVGPRsForWavesPerEU: 16
; Occupancy: 10
; WaveLimiterHint : 0
; COMPUTE_PGM_RSRC2:SCRATCH_EN: 0
; COMPUTE_PGM_RSRC2:USER_SGPR: 6
; COMPUTE_PGM_RSRC2:TRAP_HANDLER: 0
; COMPUTE_PGM_RSRC2:TGID_X_EN: 1
; COMPUTE_PGM_RSRC2:TGID_Y_EN: 0
; COMPUTE_PGM_RSRC2:TGID_Z_EN: 0
; COMPUTE_PGM_RSRC2:TIDIG_COMP_CNT: 0
	.section	.text._ZN2at6native29vectorized_elementwise_kernelILi4ENS0_13AUnaryFunctorIsssZZZNS0_18rshift_kernel_cudaERNS_18TensorIteratorBaseEENKUlvE_clEvENKUlvE3_clEvEUlssE_EESt5arrayIPcLm2EEEEviT0_T1_,"axG",@progbits,_ZN2at6native29vectorized_elementwise_kernelILi4ENS0_13AUnaryFunctorIsssZZZNS0_18rshift_kernel_cudaERNS_18TensorIteratorBaseEENKUlvE_clEvENKUlvE3_clEvEUlssE_EESt5arrayIPcLm2EEEEviT0_T1_,comdat
	.globl	_ZN2at6native29vectorized_elementwise_kernelILi4ENS0_13AUnaryFunctorIsssZZZNS0_18rshift_kernel_cudaERNS_18TensorIteratorBaseEENKUlvE_clEvENKUlvE3_clEvEUlssE_EESt5arrayIPcLm2EEEEviT0_T1_ ; -- Begin function _ZN2at6native29vectorized_elementwise_kernelILi4ENS0_13AUnaryFunctorIsssZZZNS0_18rshift_kernel_cudaERNS_18TensorIteratorBaseEENKUlvE_clEvENKUlvE3_clEvEUlssE_EESt5arrayIPcLm2EEEEviT0_T1_
	.p2align	8
	.type	_ZN2at6native29vectorized_elementwise_kernelILi4ENS0_13AUnaryFunctorIsssZZZNS0_18rshift_kernel_cudaERNS_18TensorIteratorBaseEENKUlvE_clEvENKUlvE3_clEvEUlssE_EESt5arrayIPcLm2EEEEviT0_T1_,@function
_ZN2at6native29vectorized_elementwise_kernelILi4ENS0_13AUnaryFunctorIsssZZZNS0_18rshift_kernel_cudaERNS_18TensorIteratorBaseEENKUlvE_clEvENKUlvE3_clEvEUlssE_EESt5arrayIPcLm2EEEEviT0_T1_: ; @_ZN2at6native29vectorized_elementwise_kernelILi4ENS0_13AUnaryFunctorIsssZZZNS0_18rshift_kernel_cudaERNS_18TensorIteratorBaseEENKUlvE_clEvENKUlvE3_clEvEUlssE_EESt5arrayIPcLm2EEEEviT0_T1_
; %bb.0:
	s_load_dwordx2 s[12:13], s[4:5], 0x0
	s_load_dwordx4 s[8:11], s[4:5], 0x8
	s_lshl_b32 s2, s6, 11
	s_mov_b64 s[0:1], -1
	s_waitcnt lgkmcnt(0)
	s_sub_i32 s6, s12, s2
	s_lshr_b32 s3, s13, 16
	s_cmpk_gt_i32 s6, 0x7ff
	s_sext_i32_i16 s7, s3
	s_cbranch_scc0 .LBB218_2
; %bb.1:
	s_ashr_i32 s3, s2, 31
	s_lshl_b64 s[0:1], s[2:3], 1
	s_add_u32 s4, s10, s0
	s_addc_u32 s5, s11, s1
	v_lshlrev_b32_e32 v5, 3, v0
	global_load_dwordx2 v[1:2], v5, s[4:5]
	global_load_dwordx2 v[3:4], v5, s[4:5] offset:2048
	s_lshr_b32 s5, s7, 15
	s_ashr_i32 s12, s13, 16
	s_mov_b32 s3, 0xeffff
	v_mov_b32_e32 v6, s5
	s_mov_b32 s4, 0x5040100
	s_add_u32 s0, s8, s0
	s_addc_u32 s1, s9, s1
	s_waitcnt vmcnt(1)
	v_ashrrev_i32_e64 v7, v1, s12
	v_cmp_lt_u16_e32 vcc, 14, v1
	v_ashrrev_i32_sdwa v8, v1, s12 dst_sel:DWORD dst_unused:UNUSED_PAD src0_sel:WORD_1 src1_sel:DWORD
	v_cndmask_b32_e32 v7, v7, v6, vcc
	v_cmp_lt_u32_e32 vcc, s3, v1
	v_ashrrev_i32_e64 v9, v2, s12
	v_cndmask_b32_e32 v8, v8, v6, vcc
	v_cmp_lt_u16_e32 vcc, 14, v2
	v_ashrrev_i32_sdwa v10, v2, s12 dst_sel:DWORD dst_unused:UNUSED_PAD src0_sel:WORD_1 src1_sel:DWORD
	v_cndmask_b32_e32 v9, v9, v6, vcc
	v_cmp_lt_u32_e32 vcc, s3, v2
	s_waitcnt vmcnt(0)
	v_ashrrev_i32_e64 v11, v3, s12
	v_cndmask_b32_e32 v10, v10, v6, vcc
	v_cmp_lt_u16_e32 vcc, 14, v3
	v_ashrrev_i32_sdwa v12, v3, s12 dst_sel:DWORD dst_unused:UNUSED_PAD src0_sel:WORD_1 src1_sel:DWORD
	v_cndmask_b32_e32 v1, v11, v6, vcc
	v_cmp_lt_u32_e32 vcc, s3, v3
	v_ashrrev_i32_e64 v13, v4, s12
	v_cndmask_b32_e32 v3, v12, v6, vcc
	v_cmp_lt_u16_e32 vcc, 14, v4
	v_ashrrev_i32_sdwa v14, v4, s12 dst_sel:DWORD dst_unused:UNUSED_PAD src0_sel:WORD_1 src1_sel:DWORD
	v_cndmask_b32_e32 v2, v13, v6, vcc
	v_cmp_lt_u32_e32 vcc, s3, v4
	v_cndmask_b32_e32 v4, v14, v6, vcc
	v_perm_b32 v2, v4, v2, s4
	v_perm_b32 v1, v3, v1, s4
	;; [unrolled: 1-line block ×4, first 2 shown]
	global_store_dwordx2 v5, v[3:4], s[0:1]
	global_store_dwordx2 v5, v[1:2], s[0:1] offset:2048
	s_mov_b64 s[0:1], 0
.LBB218_2:
	s_andn2_b64 vcc, exec, s[0:1]
	s_cbranch_vccnz .LBB218_28
; %bb.3:
	v_cmp_gt_i32_e32 vcc, s6, v0
	v_mov_b32_e32 v3, 0
	v_or_b32_e32 v1, s2, v0
	v_mov_b32_e32 v2, 0
	v_mov_b32_e32 v4, v0
	s_and_saveexec_b64 s[4:5], vcc
	s_cbranch_execz .LBB218_5
; %bb.4:
	v_mov_b32_e32 v2, 0
	v_lshlrev_b64 v[4:5], 1, v[1:2]
	v_mov_b32_e32 v2, s11
	v_add_co_u32_e64 v4, s[0:1], s10, v4
	v_addc_co_u32_e64 v5, s[0:1], v2, v5, s[0:1]
	global_load_ushort v2, v[4:5], off
	v_or_b32_e32 v4, 0x100, v0
.LBB218_5:
	s_or_b64 exec, exec, s[4:5]
	v_cmp_gt_i32_e64 s[0:1], s6, v4
	s_and_saveexec_b64 s[4:5], s[0:1]
	s_cbranch_execz .LBB218_7
; %bb.6:
	v_add_u32_e32 v5, s2, v4
	v_mov_b32_e32 v6, 0
	v_lshlrev_b64 v[5:6], 1, v[5:6]
	v_mov_b32_e32 v3, s11
	v_add_co_u32_e64 v5, s[0:1], s10, v5
	v_addc_co_u32_e64 v6, s[0:1], v3, v6, s[0:1]
	global_load_ushort v3, v[5:6], off
	v_add_u32_e32 v4, 0x100, v4
.LBB218_7:
	s_or_b64 exec, exec, s[4:5]
	v_cmp_gt_i32_e64 s[0:1], s6, v4
	v_mov_b32_e32 v5, 0
	v_mov_b32_e32 v6, 0
	s_and_saveexec_b64 s[4:5], s[0:1]
	s_cbranch_execz .LBB218_9
; %bb.8:
	v_add_u32_e32 v6, s2, v4
	v_mov_b32_e32 v7, 0
	v_lshlrev_b64 v[6:7], 1, v[6:7]
	v_mov_b32_e32 v8, s11
	v_add_co_u32_e64 v6, s[0:1], s10, v6
	v_addc_co_u32_e64 v7, s[0:1], v8, v7, s[0:1]
	global_load_ushort v6, v[6:7], off
	v_add_u32_e32 v4, 0x100, v4
.LBB218_9:
	s_or_b64 exec, exec, s[4:5]
	v_cmp_gt_i32_e64 s[0:1], s6, v4
	s_and_saveexec_b64 s[4:5], s[0:1]
	s_cbranch_execz .LBB218_11
; %bb.10:
	v_add_u32_e32 v7, s2, v4
	v_mov_b32_e32 v8, 0
	v_lshlrev_b64 v[7:8], 1, v[7:8]
	v_mov_b32_e32 v5, s11
	v_add_co_u32_e64 v7, s[0:1], s10, v7
	v_addc_co_u32_e64 v8, s[0:1], v5, v8, s[0:1]
	global_load_ushort v5, v[7:8], off
	v_add_u32_e32 v4, 0x100, v4
.LBB218_11:
	s_or_b64 exec, exec, s[4:5]
	v_cmp_gt_i32_e64 s[0:1], s6, v4
	v_mov_b32_e32 v7, 0
	v_mov_b32_e32 v8, 0
	s_and_saveexec_b64 s[4:5], s[0:1]
	s_cbranch_execz .LBB218_13
; %bb.12:
	v_add_u32_e32 v8, s2, v4
	v_mov_b32_e32 v9, 0
	v_lshlrev_b64 v[8:9], 1, v[8:9]
	v_mov_b32_e32 v10, s11
	v_add_co_u32_e64 v8, s[0:1], s10, v8
	v_addc_co_u32_e64 v9, s[0:1], v10, v9, s[0:1]
	global_load_ushort v8, v[8:9], off
	v_add_u32_e32 v4, 0x100, v4
.LBB218_13:
	;; [unrolled: 30-line block ×3, first 2 shown]
	s_or_b64 exec, exec, s[4:5]
	v_cmp_gt_i32_e64 s[0:1], s6, v4
	s_and_saveexec_b64 s[4:5], s[0:1]
	s_cbranch_execz .LBB218_19
; %bb.18:
	v_add_u32_e32 v11, s2, v4
	v_mov_b32_e32 v12, 0
	v_lshlrev_b64 v[11:12], 1, v[11:12]
	v_mov_b32_e32 v4, s11
	v_add_co_u32_e64 v11, s[0:1], s10, v11
	v_addc_co_u32_e64 v12, s[0:1], v4, v12, s[0:1]
	global_load_ushort v9, v[11:12], off
.LBB218_19:
	s_or_b64 exec, exec, s[4:5]
	s_lshr_b32 s0, s7, 15
	s_ashr_i32 s3, s13, 16
	s_waitcnt vmcnt(0)
	v_ashrrev_i32_sdwa v4, v2, s3 dst_sel:DWORD dst_unused:UNUSED_PAD src0_sel:WORD_0 src1_sel:DWORD
	v_mov_b32_e32 v13, s0
	v_cmp_lt_u16_e64 s[0:1], 14, v2
	v_cndmask_b32_e64 v2, v4, v13, s[0:1]
	v_and_b32_e32 v2, 0xffff, v2
	v_ashrrev_i32_sdwa v4, v3, s3 dst_sel:DWORD dst_unused:UNUSED_PAD src0_sel:WORD_0 src1_sel:DWORD
	v_cmp_lt_u16_e64 s[0:1], 14, v3
	v_cndmask_b32_e32 v2, 0, v2, vcc
	v_or_b32_e32 v12, 0x100, v0
	v_cndmask_b32_e64 v3, v4, v13, s[0:1]
	s_mov_b32 s4, 0x5040100
	v_perm_b32 v3, v3, v2, s4
	v_cmp_gt_i32_e64 s[0:1], s6, v12
	v_cndmask_b32_e64 v11, v2, v3, s[0:1]
	v_ashrrev_i32_sdwa v3, v6, s3 dst_sel:DWORD dst_unused:UNUSED_PAD src0_sel:WORD_0 src1_sel:DWORD
	v_cmp_lt_u16_e64 s[0:1], 14, v6
	v_or_b32_e32 v2, 0x200, v0
	v_cndmask_b32_e64 v3, v3, v13, s[0:1]
	v_and_b32_e32 v3, 0xffff, v3
	v_cmp_gt_i32_e64 s[0:1], s6, v2
	v_cndmask_b32_e64 v2, 0, v3, s[0:1]
	v_ashrrev_i32_sdwa v4, v5, s3 dst_sel:DWORD dst_unused:UNUSED_PAD src0_sel:WORD_0 src1_sel:DWORD
	v_cmp_lt_u16_e64 s[0:1], 14, v5
	v_or_b32_e32 v3, 0x300, v0
	v_cndmask_b32_e64 v4, v4, v13, s[0:1]
	v_perm_b32 v4, v4, v2, s4
	v_cmp_gt_i32_e64 s[0:1], s6, v3
	v_cndmask_b32_e64 v5, v2, v4, s[0:1]
	v_ashrrev_i32_sdwa v3, v8, s3 dst_sel:DWORD dst_unused:UNUSED_PAD src0_sel:WORD_0 src1_sel:DWORD
	v_cmp_lt_u16_e64 s[0:1], 14, v8
	v_or_b32_e32 v2, 0x400, v0
	v_cndmask_b32_e64 v3, v3, v13, s[0:1]
	v_and_b32_e32 v3, 0xffff, v3
	v_cmp_gt_i32_e64 s[0:1], s6, v2
	v_cndmask_b32_e64 v2, 0, v3, s[0:1]
	v_ashrrev_i32_sdwa v4, v7, s3 dst_sel:DWORD dst_unused:UNUSED_PAD src0_sel:WORD_0 src1_sel:DWORD
	v_cmp_lt_u16_e64 s[0:1], 14, v7
	v_or_b32_e32 v3, 0x500, v0
	v_cndmask_b32_e64 v4, v4, v13, s[0:1]
	;; [unrolled: 14-line block ×3, first 2 shown]
	v_perm_b32 v6, v6, v2, s4
	v_cmp_gt_i32_e64 s[0:1], s6, v3
	v_cndmask_b32_e64 v3, v2, v6, s[0:1]
	s_and_saveexec_b64 s[0:1], vcc
	s_cbranch_execnz .LBB218_29
; %bb.20:
	s_or_b64 exec, exec, s[0:1]
	v_cmp_gt_i32_e32 vcc, s6, v0
	s_and_saveexec_b64 s[0:1], vcc
	s_cbranch_execnz .LBB218_30
.LBB218_21:
	s_or_b64 exec, exec, s[0:1]
	v_cmp_gt_i32_e32 vcc, s6, v0
	s_and_saveexec_b64 s[0:1], vcc
	s_cbranch_execnz .LBB218_31
.LBB218_22:
	s_or_b64 exec, exec, s[0:1]
	v_cmp_gt_i32_e32 vcc, s6, v0
	s_and_saveexec_b64 s[0:1], vcc
	s_cbranch_execnz .LBB218_32
.LBB218_23:
	s_or_b64 exec, exec, s[0:1]
	v_cmp_gt_i32_e32 vcc, s6, v0
	s_and_saveexec_b64 s[0:1], vcc
	s_cbranch_execnz .LBB218_33
.LBB218_24:
	s_or_b64 exec, exec, s[0:1]
	v_cmp_gt_i32_e32 vcc, s6, v0
	s_and_saveexec_b64 s[0:1], vcc
	s_cbranch_execnz .LBB218_34
.LBB218_25:
	s_or_b64 exec, exec, s[0:1]
	v_cmp_gt_i32_e32 vcc, s6, v0
	s_and_saveexec_b64 s[0:1], vcc
	s_cbranch_execnz .LBB218_35
.LBB218_26:
	s_or_b64 exec, exec, s[0:1]
	v_cmp_gt_i32_e32 vcc, s6, v0
	s_and_saveexec_b64 s[0:1], vcc
	s_cbranch_execz .LBB218_28
.LBB218_27:
	v_add_u32_e32 v0, s2, v0
	v_mov_b32_e32 v1, 0
	v_lshlrev_b64 v[0:1], 1, v[0:1]
	v_mov_b32_e32 v2, s9
	v_add_co_u32_e32 v0, vcc, s8, v0
	v_addc_co_u32_e32 v1, vcc, v2, v1, vcc
	global_store_short_d16_hi v[0:1], v3, off
.LBB218_28:
	s_endpgm
.LBB218_29:
	v_mov_b32_e32 v2, 0
	v_lshlrev_b64 v[0:1], 1, v[1:2]
	v_mov_b32_e32 v2, s9
	v_add_co_u32_e32 v0, vcc, s8, v0
	v_addc_co_u32_e32 v1, vcc, v2, v1, vcc
	global_store_short v[0:1], v11, off
	v_mov_b32_e32 v0, v12
	s_or_b64 exec, exec, s[0:1]
	v_cmp_gt_i32_e32 vcc, s6, v0
	s_and_saveexec_b64 s[0:1], vcc
	s_cbranch_execz .LBB218_21
.LBB218_30:
	v_add_u32_e32 v1, s2, v0
	v_mov_b32_e32 v2, 0
	v_lshlrev_b64 v[1:2], 1, v[1:2]
	v_mov_b32_e32 v6, s9
	v_add_co_u32_e32 v1, vcc, s8, v1
	v_addc_co_u32_e32 v2, vcc, v6, v2, vcc
	v_add_u32_e32 v0, 0x100, v0
	global_store_short_d16_hi v[1:2], v11, off
	s_or_b64 exec, exec, s[0:1]
	v_cmp_gt_i32_e32 vcc, s6, v0
	s_and_saveexec_b64 s[0:1], vcc
	s_cbranch_execz .LBB218_22
.LBB218_31:
	v_add_u32_e32 v1, s2, v0
	v_mov_b32_e32 v2, 0
	v_lshlrev_b64 v[1:2], 1, v[1:2]
	v_mov_b32_e32 v6, s9
	v_add_co_u32_e32 v1, vcc, s8, v1
	v_addc_co_u32_e32 v2, vcc, v6, v2, vcc
	v_add_u32_e32 v0, 0x100, v0
	global_store_short v[1:2], v5, off
	s_or_b64 exec, exec, s[0:1]
	v_cmp_gt_i32_e32 vcc, s6, v0
	s_and_saveexec_b64 s[0:1], vcc
	s_cbranch_execz .LBB218_23
.LBB218_32:
	v_add_u32_e32 v1, s2, v0
	v_mov_b32_e32 v2, 0
	v_lshlrev_b64 v[1:2], 1, v[1:2]
	v_mov_b32_e32 v6, s9
	v_add_co_u32_e32 v1, vcc, s8, v1
	v_addc_co_u32_e32 v2, vcc, v6, v2, vcc
	v_add_u32_e32 v0, 0x100, v0
	global_store_short_d16_hi v[1:2], v5, off
	s_or_b64 exec, exec, s[0:1]
	v_cmp_gt_i32_e32 vcc, s6, v0
	s_and_saveexec_b64 s[0:1], vcc
	s_cbranch_execz .LBB218_24
.LBB218_33:
	v_add_u32_e32 v1, s2, v0
	v_mov_b32_e32 v2, 0
	v_lshlrev_b64 v[1:2], 1, v[1:2]
	v_mov_b32_e32 v5, s9
	v_add_co_u32_e32 v1, vcc, s8, v1
	v_addc_co_u32_e32 v2, vcc, v5, v2, vcc
	v_add_u32_e32 v0, 0x100, v0
	global_store_short v[1:2], v4, off
	s_or_b64 exec, exec, s[0:1]
	v_cmp_gt_i32_e32 vcc, s6, v0
	s_and_saveexec_b64 s[0:1], vcc
	s_cbranch_execz .LBB218_25
.LBB218_34:
	v_add_u32_e32 v1, s2, v0
	v_mov_b32_e32 v2, 0
	v_lshlrev_b64 v[1:2], 1, v[1:2]
	v_mov_b32_e32 v5, s9
	v_add_co_u32_e32 v1, vcc, s8, v1
	v_addc_co_u32_e32 v2, vcc, v5, v2, vcc
	v_add_u32_e32 v0, 0x100, v0
	global_store_short_d16_hi v[1:2], v4, off
	s_or_b64 exec, exec, s[0:1]
	v_cmp_gt_i32_e32 vcc, s6, v0
	s_and_saveexec_b64 s[0:1], vcc
	s_cbranch_execz .LBB218_26
.LBB218_35:
	v_add_u32_e32 v1, s2, v0
	v_mov_b32_e32 v2, 0
	v_lshlrev_b64 v[1:2], 1, v[1:2]
	v_mov_b32_e32 v4, s9
	v_add_co_u32_e32 v1, vcc, s8, v1
	v_addc_co_u32_e32 v2, vcc, v4, v2, vcc
	v_add_u32_e32 v0, 0x100, v0
	global_store_short v[1:2], v3, off
	s_or_b64 exec, exec, s[0:1]
	v_cmp_gt_i32_e32 vcc, s6, v0
	s_and_saveexec_b64 s[0:1], vcc
	s_cbranch_execnz .LBB218_27
	s_branch .LBB218_28
	.section	.rodata,"a",@progbits
	.p2align	6, 0x0
	.amdhsa_kernel _ZN2at6native29vectorized_elementwise_kernelILi4ENS0_13AUnaryFunctorIsssZZZNS0_18rshift_kernel_cudaERNS_18TensorIteratorBaseEENKUlvE_clEvENKUlvE3_clEvEUlssE_EESt5arrayIPcLm2EEEEviT0_T1_
		.amdhsa_group_segment_fixed_size 0
		.amdhsa_private_segment_fixed_size 0
		.amdhsa_kernarg_size 24
		.amdhsa_user_sgpr_count 6
		.amdhsa_user_sgpr_private_segment_buffer 1
		.amdhsa_user_sgpr_dispatch_ptr 0
		.amdhsa_user_sgpr_queue_ptr 0
		.amdhsa_user_sgpr_kernarg_segment_ptr 1
		.amdhsa_user_sgpr_dispatch_id 0
		.amdhsa_user_sgpr_flat_scratch_init 0
		.amdhsa_user_sgpr_private_segment_size 0
		.amdhsa_uses_dynamic_stack 0
		.amdhsa_system_sgpr_private_segment_wavefront_offset 0
		.amdhsa_system_sgpr_workgroup_id_x 1
		.amdhsa_system_sgpr_workgroup_id_y 0
		.amdhsa_system_sgpr_workgroup_id_z 0
		.amdhsa_system_sgpr_workgroup_info 0
		.amdhsa_system_vgpr_workitem_id 0
		.amdhsa_next_free_vgpr 15
		.amdhsa_next_free_sgpr 14
		.amdhsa_reserve_vcc 1
		.amdhsa_reserve_flat_scratch 0
		.amdhsa_float_round_mode_32 0
		.amdhsa_float_round_mode_16_64 0
		.amdhsa_float_denorm_mode_32 3
		.amdhsa_float_denorm_mode_16_64 3
		.amdhsa_dx10_clamp 1
		.amdhsa_ieee_mode 1
		.amdhsa_fp16_overflow 0
		.amdhsa_exception_fp_ieee_invalid_op 0
		.amdhsa_exception_fp_denorm_src 0
		.amdhsa_exception_fp_ieee_div_zero 0
		.amdhsa_exception_fp_ieee_overflow 0
		.amdhsa_exception_fp_ieee_underflow 0
		.amdhsa_exception_fp_ieee_inexact 0
		.amdhsa_exception_int_div_zero 0
	.end_amdhsa_kernel
	.section	.text._ZN2at6native29vectorized_elementwise_kernelILi4ENS0_13AUnaryFunctorIsssZZZNS0_18rshift_kernel_cudaERNS_18TensorIteratorBaseEENKUlvE_clEvENKUlvE3_clEvEUlssE_EESt5arrayIPcLm2EEEEviT0_T1_,"axG",@progbits,_ZN2at6native29vectorized_elementwise_kernelILi4ENS0_13AUnaryFunctorIsssZZZNS0_18rshift_kernel_cudaERNS_18TensorIteratorBaseEENKUlvE_clEvENKUlvE3_clEvEUlssE_EESt5arrayIPcLm2EEEEviT0_T1_,comdat
.Lfunc_end218:
	.size	_ZN2at6native29vectorized_elementwise_kernelILi4ENS0_13AUnaryFunctorIsssZZZNS0_18rshift_kernel_cudaERNS_18TensorIteratorBaseEENKUlvE_clEvENKUlvE3_clEvEUlssE_EESt5arrayIPcLm2EEEEviT0_T1_, .Lfunc_end218-_ZN2at6native29vectorized_elementwise_kernelILi4ENS0_13AUnaryFunctorIsssZZZNS0_18rshift_kernel_cudaERNS_18TensorIteratorBaseEENKUlvE_clEvENKUlvE3_clEvEUlssE_EESt5arrayIPcLm2EEEEviT0_T1_
                                        ; -- End function
	.set _ZN2at6native29vectorized_elementwise_kernelILi4ENS0_13AUnaryFunctorIsssZZZNS0_18rshift_kernel_cudaERNS_18TensorIteratorBaseEENKUlvE_clEvENKUlvE3_clEvEUlssE_EESt5arrayIPcLm2EEEEviT0_T1_.num_vgpr, 15
	.set _ZN2at6native29vectorized_elementwise_kernelILi4ENS0_13AUnaryFunctorIsssZZZNS0_18rshift_kernel_cudaERNS_18TensorIteratorBaseEENKUlvE_clEvENKUlvE3_clEvEUlssE_EESt5arrayIPcLm2EEEEviT0_T1_.num_agpr, 0
	.set _ZN2at6native29vectorized_elementwise_kernelILi4ENS0_13AUnaryFunctorIsssZZZNS0_18rshift_kernel_cudaERNS_18TensorIteratorBaseEENKUlvE_clEvENKUlvE3_clEvEUlssE_EESt5arrayIPcLm2EEEEviT0_T1_.numbered_sgpr, 14
	.set _ZN2at6native29vectorized_elementwise_kernelILi4ENS0_13AUnaryFunctorIsssZZZNS0_18rshift_kernel_cudaERNS_18TensorIteratorBaseEENKUlvE_clEvENKUlvE3_clEvEUlssE_EESt5arrayIPcLm2EEEEviT0_T1_.num_named_barrier, 0
	.set _ZN2at6native29vectorized_elementwise_kernelILi4ENS0_13AUnaryFunctorIsssZZZNS0_18rshift_kernel_cudaERNS_18TensorIteratorBaseEENKUlvE_clEvENKUlvE3_clEvEUlssE_EESt5arrayIPcLm2EEEEviT0_T1_.private_seg_size, 0
	.set _ZN2at6native29vectorized_elementwise_kernelILi4ENS0_13AUnaryFunctorIsssZZZNS0_18rshift_kernel_cudaERNS_18TensorIteratorBaseEENKUlvE_clEvENKUlvE3_clEvEUlssE_EESt5arrayIPcLm2EEEEviT0_T1_.uses_vcc, 1
	.set _ZN2at6native29vectorized_elementwise_kernelILi4ENS0_13AUnaryFunctorIsssZZZNS0_18rshift_kernel_cudaERNS_18TensorIteratorBaseEENKUlvE_clEvENKUlvE3_clEvEUlssE_EESt5arrayIPcLm2EEEEviT0_T1_.uses_flat_scratch, 0
	.set _ZN2at6native29vectorized_elementwise_kernelILi4ENS0_13AUnaryFunctorIsssZZZNS0_18rshift_kernel_cudaERNS_18TensorIteratorBaseEENKUlvE_clEvENKUlvE3_clEvEUlssE_EESt5arrayIPcLm2EEEEviT0_T1_.has_dyn_sized_stack, 0
	.set _ZN2at6native29vectorized_elementwise_kernelILi4ENS0_13AUnaryFunctorIsssZZZNS0_18rshift_kernel_cudaERNS_18TensorIteratorBaseEENKUlvE_clEvENKUlvE3_clEvEUlssE_EESt5arrayIPcLm2EEEEviT0_T1_.has_recursion, 0
	.set _ZN2at6native29vectorized_elementwise_kernelILi4ENS0_13AUnaryFunctorIsssZZZNS0_18rshift_kernel_cudaERNS_18TensorIteratorBaseEENKUlvE_clEvENKUlvE3_clEvEUlssE_EESt5arrayIPcLm2EEEEviT0_T1_.has_indirect_call, 0
	.section	.AMDGPU.csdata,"",@progbits
; Kernel info:
; codeLenInByte = 1944
; TotalNumSgprs: 18
; NumVgprs: 15
; ScratchSize: 0
; MemoryBound: 0
; FloatMode: 240
; IeeeMode: 1
; LDSByteSize: 0 bytes/workgroup (compile time only)
; SGPRBlocks: 2
; VGPRBlocks: 3
; NumSGPRsForWavesPerEU: 18
; NumVGPRsForWavesPerEU: 15
; Occupancy: 10
; WaveLimiterHint : 1
; COMPUTE_PGM_RSRC2:SCRATCH_EN: 0
; COMPUTE_PGM_RSRC2:USER_SGPR: 6
; COMPUTE_PGM_RSRC2:TRAP_HANDLER: 0
; COMPUTE_PGM_RSRC2:TGID_X_EN: 1
; COMPUTE_PGM_RSRC2:TGID_Y_EN: 0
; COMPUTE_PGM_RSRC2:TGID_Z_EN: 0
; COMPUTE_PGM_RSRC2:TIDIG_COMP_CNT: 0
	.section	.text._ZN2at6native29vectorized_elementwise_kernelILi2ENS0_13AUnaryFunctorIsssZZZNS0_18rshift_kernel_cudaERNS_18TensorIteratorBaseEENKUlvE_clEvENKUlvE3_clEvEUlssE_EESt5arrayIPcLm2EEEEviT0_T1_,"axG",@progbits,_ZN2at6native29vectorized_elementwise_kernelILi2ENS0_13AUnaryFunctorIsssZZZNS0_18rshift_kernel_cudaERNS_18TensorIteratorBaseEENKUlvE_clEvENKUlvE3_clEvEUlssE_EESt5arrayIPcLm2EEEEviT0_T1_,comdat
	.globl	_ZN2at6native29vectorized_elementwise_kernelILi2ENS0_13AUnaryFunctorIsssZZZNS0_18rshift_kernel_cudaERNS_18TensorIteratorBaseEENKUlvE_clEvENKUlvE3_clEvEUlssE_EESt5arrayIPcLm2EEEEviT0_T1_ ; -- Begin function _ZN2at6native29vectorized_elementwise_kernelILi2ENS0_13AUnaryFunctorIsssZZZNS0_18rshift_kernel_cudaERNS_18TensorIteratorBaseEENKUlvE_clEvENKUlvE3_clEvEUlssE_EESt5arrayIPcLm2EEEEviT0_T1_
	.p2align	8
	.type	_ZN2at6native29vectorized_elementwise_kernelILi2ENS0_13AUnaryFunctorIsssZZZNS0_18rshift_kernel_cudaERNS_18TensorIteratorBaseEENKUlvE_clEvENKUlvE3_clEvEUlssE_EESt5arrayIPcLm2EEEEviT0_T1_,@function
_ZN2at6native29vectorized_elementwise_kernelILi2ENS0_13AUnaryFunctorIsssZZZNS0_18rshift_kernel_cudaERNS_18TensorIteratorBaseEENKUlvE_clEvENKUlvE3_clEvEUlssE_EESt5arrayIPcLm2EEEEviT0_T1_: ; @_ZN2at6native29vectorized_elementwise_kernelILi2ENS0_13AUnaryFunctorIsssZZZNS0_18rshift_kernel_cudaERNS_18TensorIteratorBaseEENKUlvE_clEvENKUlvE3_clEvEUlssE_EESt5arrayIPcLm2EEEEviT0_T1_
; %bb.0:
	s_load_dwordx2 s[12:13], s[4:5], 0x0
	s_load_dwordx4 s[8:11], s[4:5], 0x8
	s_lshl_b32 s2, s6, 11
	s_mov_b64 s[0:1], -1
	s_waitcnt lgkmcnt(0)
	s_sub_i32 s6, s12, s2
	s_lshr_b32 s3, s13, 16
	s_cmpk_gt_i32 s6, 0x7ff
	s_sext_i32_i16 s7, s3
	s_cbranch_scc0 .LBB219_2
; %bb.1:
	s_ashr_i32 s3, s2, 31
	s_lshl_b64 s[0:1], s[2:3], 1
	s_add_u32 s4, s10, s0
	s_addc_u32 s5, s11, s1
	v_lshlrev_b32_e32 v1, 2, v0
	global_load_dword v2, v1, s[4:5]
	global_load_dword v3, v1, s[4:5] offset:1024
	global_load_dword v4, v1, s[4:5] offset:2048
	;; [unrolled: 1-line block ×3, first 2 shown]
	s_lshr_b32 s5, s7, 15
	s_ashr_i32 s12, s13, 16
	s_mov_b32 s3, 0xeffff
	v_mov_b32_e32 v6, s5
	s_mov_b32 s4, 0x5040100
	s_add_u32 s0, s8, s0
	s_addc_u32 s1, s9, s1
	s_waitcnt vmcnt(3)
	v_ashrrev_i32_e64 v7, v2, s12
	v_cmp_lt_u16_e32 vcc, 14, v2
	v_ashrrev_i32_sdwa v8, v2, s12 dst_sel:DWORD dst_unused:UNUSED_PAD src0_sel:WORD_1 src1_sel:DWORD
	v_cndmask_b32_e32 v7, v7, v6, vcc
	v_cmp_lt_u32_e32 vcc, s3, v2
	s_waitcnt vmcnt(2)
	v_ashrrev_i32_e64 v9, v3, s12
	v_cndmask_b32_e32 v2, v8, v6, vcc
	v_cmp_lt_u16_e32 vcc, 14, v3
	v_ashrrev_i32_sdwa v10, v3, s12 dst_sel:DWORD dst_unused:UNUSED_PAD src0_sel:WORD_1 src1_sel:DWORD
	v_cndmask_b32_e32 v8, v9, v6, vcc
	v_cmp_lt_u32_e32 vcc, s3, v3
	s_waitcnt vmcnt(1)
	v_ashrrev_i32_e64 v11, v4, s12
	v_cndmask_b32_e32 v3, v10, v6, vcc
	v_cmp_lt_u16_e32 vcc, 14, v4
	v_ashrrev_i32_sdwa v12, v4, s12 dst_sel:DWORD dst_unused:UNUSED_PAD src0_sel:WORD_1 src1_sel:DWORD
	v_cndmask_b32_e32 v9, v11, v6, vcc
	v_cmp_lt_u32_e32 vcc, s3, v4
	s_waitcnt vmcnt(0)
	v_ashrrev_i32_e64 v13, v5, s12
	v_cndmask_b32_e32 v4, v12, v6, vcc
	v_cmp_lt_u16_e32 vcc, 14, v5
	v_ashrrev_i32_sdwa v14, v5, s12 dst_sel:DWORD dst_unused:UNUSED_PAD src0_sel:WORD_1 src1_sel:DWORD
	v_cndmask_b32_e32 v10, v13, v6, vcc
	v_cmp_lt_u32_e32 vcc, s3, v5
	v_cndmask_b32_e32 v5, v14, v6, vcc
	v_perm_b32 v2, v2, v7, s4
	v_perm_b32 v5, v5, v10, s4
	;; [unrolled: 1-line block ×4, first 2 shown]
	global_store_dword v1, v2, s[0:1]
	global_store_dword v1, v3, s[0:1] offset:1024
	global_store_dword v1, v4, s[0:1] offset:2048
	global_store_dword v1, v5, s[0:1] offset:3072
	s_mov_b64 s[0:1], 0
.LBB219_2:
	s_andn2_b64 vcc, exec, s[0:1]
	s_cbranch_vccnz .LBB219_28
; %bb.3:
	v_cmp_gt_i32_e32 vcc, s6, v0
	v_mov_b32_e32 v3, 0
	v_or_b32_e32 v1, s2, v0
	v_mov_b32_e32 v2, 0
	v_mov_b32_e32 v4, v0
	s_and_saveexec_b64 s[4:5], vcc
	s_cbranch_execz .LBB219_5
; %bb.4:
	v_mov_b32_e32 v2, 0
	v_lshlrev_b64 v[4:5], 1, v[1:2]
	v_mov_b32_e32 v2, s11
	v_add_co_u32_e64 v4, s[0:1], s10, v4
	v_addc_co_u32_e64 v5, s[0:1], v2, v5, s[0:1]
	global_load_ushort v2, v[4:5], off
	v_or_b32_e32 v4, 0x100, v0
.LBB219_5:
	s_or_b64 exec, exec, s[4:5]
	v_cmp_gt_i32_e64 s[0:1], s6, v4
	s_and_saveexec_b64 s[4:5], s[0:1]
	s_cbranch_execz .LBB219_7
; %bb.6:
	v_add_u32_e32 v5, s2, v4
	v_mov_b32_e32 v6, 0
	v_lshlrev_b64 v[5:6], 1, v[5:6]
	v_mov_b32_e32 v3, s11
	v_add_co_u32_e64 v5, s[0:1], s10, v5
	v_addc_co_u32_e64 v6, s[0:1], v3, v6, s[0:1]
	global_load_ushort v3, v[5:6], off
	v_add_u32_e32 v4, 0x100, v4
.LBB219_7:
	s_or_b64 exec, exec, s[4:5]
	v_cmp_gt_i32_e64 s[0:1], s6, v4
	v_mov_b32_e32 v5, 0
	v_mov_b32_e32 v6, 0
	s_and_saveexec_b64 s[4:5], s[0:1]
	s_cbranch_execz .LBB219_9
; %bb.8:
	v_add_u32_e32 v6, s2, v4
	v_mov_b32_e32 v7, 0
	v_lshlrev_b64 v[6:7], 1, v[6:7]
	v_mov_b32_e32 v8, s11
	v_add_co_u32_e64 v6, s[0:1], s10, v6
	v_addc_co_u32_e64 v7, s[0:1], v8, v7, s[0:1]
	global_load_ushort v6, v[6:7], off
	v_add_u32_e32 v4, 0x100, v4
.LBB219_9:
	s_or_b64 exec, exec, s[4:5]
	v_cmp_gt_i32_e64 s[0:1], s6, v4
	s_and_saveexec_b64 s[4:5], s[0:1]
	s_cbranch_execz .LBB219_11
; %bb.10:
	v_add_u32_e32 v7, s2, v4
	v_mov_b32_e32 v8, 0
	v_lshlrev_b64 v[7:8], 1, v[7:8]
	v_mov_b32_e32 v5, s11
	v_add_co_u32_e64 v7, s[0:1], s10, v7
	v_addc_co_u32_e64 v8, s[0:1], v5, v8, s[0:1]
	global_load_ushort v5, v[7:8], off
	v_add_u32_e32 v4, 0x100, v4
.LBB219_11:
	s_or_b64 exec, exec, s[4:5]
	v_cmp_gt_i32_e64 s[0:1], s6, v4
	v_mov_b32_e32 v7, 0
	v_mov_b32_e32 v8, 0
	s_and_saveexec_b64 s[4:5], s[0:1]
	s_cbranch_execz .LBB219_13
; %bb.12:
	v_add_u32_e32 v8, s2, v4
	v_mov_b32_e32 v9, 0
	v_lshlrev_b64 v[8:9], 1, v[8:9]
	v_mov_b32_e32 v10, s11
	v_add_co_u32_e64 v8, s[0:1], s10, v8
	v_addc_co_u32_e64 v9, s[0:1], v10, v9, s[0:1]
	global_load_ushort v8, v[8:9], off
	v_add_u32_e32 v4, 0x100, v4
.LBB219_13:
	;; [unrolled: 30-line block ×3, first 2 shown]
	s_or_b64 exec, exec, s[4:5]
	v_cmp_gt_i32_e64 s[0:1], s6, v4
	s_and_saveexec_b64 s[4:5], s[0:1]
	s_cbranch_execz .LBB219_19
; %bb.18:
	v_add_u32_e32 v11, s2, v4
	v_mov_b32_e32 v12, 0
	v_lshlrev_b64 v[11:12], 1, v[11:12]
	v_mov_b32_e32 v4, s11
	v_add_co_u32_e64 v11, s[0:1], s10, v11
	v_addc_co_u32_e64 v12, s[0:1], v4, v12, s[0:1]
	global_load_ushort v9, v[11:12], off
.LBB219_19:
	s_or_b64 exec, exec, s[4:5]
	s_lshr_b32 s0, s7, 15
	s_ashr_i32 s3, s13, 16
	s_waitcnt vmcnt(0)
	v_ashrrev_i32_sdwa v4, v2, s3 dst_sel:DWORD dst_unused:UNUSED_PAD src0_sel:WORD_0 src1_sel:DWORD
	v_mov_b32_e32 v13, s0
	v_cmp_lt_u16_e64 s[0:1], 14, v2
	v_cndmask_b32_e64 v2, v4, v13, s[0:1]
	v_and_b32_e32 v2, 0xffff, v2
	v_ashrrev_i32_sdwa v4, v3, s3 dst_sel:DWORD dst_unused:UNUSED_PAD src0_sel:WORD_0 src1_sel:DWORD
	v_cmp_lt_u16_e64 s[0:1], 14, v3
	v_cndmask_b32_e32 v2, 0, v2, vcc
	v_or_b32_e32 v12, 0x100, v0
	v_cndmask_b32_e64 v3, v4, v13, s[0:1]
	s_mov_b32 s4, 0x5040100
	v_perm_b32 v3, v3, v2, s4
	v_cmp_gt_i32_e64 s[0:1], s6, v12
	v_cndmask_b32_e64 v11, v2, v3, s[0:1]
	v_ashrrev_i32_sdwa v3, v6, s3 dst_sel:DWORD dst_unused:UNUSED_PAD src0_sel:WORD_0 src1_sel:DWORD
	v_cmp_lt_u16_e64 s[0:1], 14, v6
	v_or_b32_e32 v2, 0x200, v0
	v_cndmask_b32_e64 v3, v3, v13, s[0:1]
	v_and_b32_e32 v3, 0xffff, v3
	v_cmp_gt_i32_e64 s[0:1], s6, v2
	v_cndmask_b32_e64 v2, 0, v3, s[0:1]
	v_ashrrev_i32_sdwa v4, v5, s3 dst_sel:DWORD dst_unused:UNUSED_PAD src0_sel:WORD_0 src1_sel:DWORD
	v_cmp_lt_u16_e64 s[0:1], 14, v5
	v_or_b32_e32 v3, 0x300, v0
	v_cndmask_b32_e64 v4, v4, v13, s[0:1]
	v_perm_b32 v4, v4, v2, s4
	v_cmp_gt_i32_e64 s[0:1], s6, v3
	v_cndmask_b32_e64 v5, v2, v4, s[0:1]
	v_ashrrev_i32_sdwa v3, v8, s3 dst_sel:DWORD dst_unused:UNUSED_PAD src0_sel:WORD_0 src1_sel:DWORD
	v_cmp_lt_u16_e64 s[0:1], 14, v8
	v_or_b32_e32 v2, 0x400, v0
	v_cndmask_b32_e64 v3, v3, v13, s[0:1]
	v_and_b32_e32 v3, 0xffff, v3
	v_cmp_gt_i32_e64 s[0:1], s6, v2
	v_cndmask_b32_e64 v2, 0, v3, s[0:1]
	v_ashrrev_i32_sdwa v4, v7, s3 dst_sel:DWORD dst_unused:UNUSED_PAD src0_sel:WORD_0 src1_sel:DWORD
	v_cmp_lt_u16_e64 s[0:1], 14, v7
	v_or_b32_e32 v3, 0x500, v0
	v_cndmask_b32_e64 v4, v4, v13, s[0:1]
	;; [unrolled: 14-line block ×3, first 2 shown]
	v_perm_b32 v6, v6, v2, s4
	v_cmp_gt_i32_e64 s[0:1], s6, v3
	v_cndmask_b32_e64 v3, v2, v6, s[0:1]
	s_and_saveexec_b64 s[0:1], vcc
	s_cbranch_execnz .LBB219_29
; %bb.20:
	s_or_b64 exec, exec, s[0:1]
	v_cmp_gt_i32_e32 vcc, s6, v0
	s_and_saveexec_b64 s[0:1], vcc
	s_cbranch_execnz .LBB219_30
.LBB219_21:
	s_or_b64 exec, exec, s[0:1]
	v_cmp_gt_i32_e32 vcc, s6, v0
	s_and_saveexec_b64 s[0:1], vcc
	s_cbranch_execnz .LBB219_31
.LBB219_22:
	s_or_b64 exec, exec, s[0:1]
	v_cmp_gt_i32_e32 vcc, s6, v0
	s_and_saveexec_b64 s[0:1], vcc
	s_cbranch_execnz .LBB219_32
.LBB219_23:
	s_or_b64 exec, exec, s[0:1]
	v_cmp_gt_i32_e32 vcc, s6, v0
	s_and_saveexec_b64 s[0:1], vcc
	s_cbranch_execnz .LBB219_33
.LBB219_24:
	s_or_b64 exec, exec, s[0:1]
	v_cmp_gt_i32_e32 vcc, s6, v0
	s_and_saveexec_b64 s[0:1], vcc
	s_cbranch_execnz .LBB219_34
.LBB219_25:
	s_or_b64 exec, exec, s[0:1]
	v_cmp_gt_i32_e32 vcc, s6, v0
	s_and_saveexec_b64 s[0:1], vcc
	s_cbranch_execnz .LBB219_35
.LBB219_26:
	s_or_b64 exec, exec, s[0:1]
	v_cmp_gt_i32_e32 vcc, s6, v0
	s_and_saveexec_b64 s[0:1], vcc
	s_cbranch_execz .LBB219_28
.LBB219_27:
	v_add_u32_e32 v0, s2, v0
	v_mov_b32_e32 v1, 0
	v_lshlrev_b64 v[0:1], 1, v[0:1]
	v_mov_b32_e32 v2, s9
	v_add_co_u32_e32 v0, vcc, s8, v0
	v_addc_co_u32_e32 v1, vcc, v2, v1, vcc
	global_store_short_d16_hi v[0:1], v3, off
.LBB219_28:
	s_endpgm
.LBB219_29:
	v_mov_b32_e32 v2, 0
	v_lshlrev_b64 v[0:1], 1, v[1:2]
	v_mov_b32_e32 v2, s9
	v_add_co_u32_e32 v0, vcc, s8, v0
	v_addc_co_u32_e32 v1, vcc, v2, v1, vcc
	global_store_short v[0:1], v11, off
	v_mov_b32_e32 v0, v12
	s_or_b64 exec, exec, s[0:1]
	v_cmp_gt_i32_e32 vcc, s6, v0
	s_and_saveexec_b64 s[0:1], vcc
	s_cbranch_execz .LBB219_21
.LBB219_30:
	v_add_u32_e32 v1, s2, v0
	v_mov_b32_e32 v2, 0
	v_lshlrev_b64 v[1:2], 1, v[1:2]
	v_mov_b32_e32 v6, s9
	v_add_co_u32_e32 v1, vcc, s8, v1
	v_addc_co_u32_e32 v2, vcc, v6, v2, vcc
	v_add_u32_e32 v0, 0x100, v0
	global_store_short_d16_hi v[1:2], v11, off
	s_or_b64 exec, exec, s[0:1]
	v_cmp_gt_i32_e32 vcc, s6, v0
	s_and_saveexec_b64 s[0:1], vcc
	s_cbranch_execz .LBB219_22
.LBB219_31:
	v_add_u32_e32 v1, s2, v0
	v_mov_b32_e32 v2, 0
	v_lshlrev_b64 v[1:2], 1, v[1:2]
	v_mov_b32_e32 v6, s9
	v_add_co_u32_e32 v1, vcc, s8, v1
	v_addc_co_u32_e32 v2, vcc, v6, v2, vcc
	v_add_u32_e32 v0, 0x100, v0
	global_store_short v[1:2], v5, off
	s_or_b64 exec, exec, s[0:1]
	v_cmp_gt_i32_e32 vcc, s6, v0
	s_and_saveexec_b64 s[0:1], vcc
	s_cbranch_execz .LBB219_23
.LBB219_32:
	v_add_u32_e32 v1, s2, v0
	v_mov_b32_e32 v2, 0
	v_lshlrev_b64 v[1:2], 1, v[1:2]
	v_mov_b32_e32 v6, s9
	v_add_co_u32_e32 v1, vcc, s8, v1
	v_addc_co_u32_e32 v2, vcc, v6, v2, vcc
	v_add_u32_e32 v0, 0x100, v0
	global_store_short_d16_hi v[1:2], v5, off
	s_or_b64 exec, exec, s[0:1]
	v_cmp_gt_i32_e32 vcc, s6, v0
	s_and_saveexec_b64 s[0:1], vcc
	s_cbranch_execz .LBB219_24
.LBB219_33:
	v_add_u32_e32 v1, s2, v0
	v_mov_b32_e32 v2, 0
	v_lshlrev_b64 v[1:2], 1, v[1:2]
	v_mov_b32_e32 v5, s9
	v_add_co_u32_e32 v1, vcc, s8, v1
	v_addc_co_u32_e32 v2, vcc, v5, v2, vcc
	v_add_u32_e32 v0, 0x100, v0
	global_store_short v[1:2], v4, off
	s_or_b64 exec, exec, s[0:1]
	v_cmp_gt_i32_e32 vcc, s6, v0
	s_and_saveexec_b64 s[0:1], vcc
	s_cbranch_execz .LBB219_25
.LBB219_34:
	v_add_u32_e32 v1, s2, v0
	v_mov_b32_e32 v2, 0
	v_lshlrev_b64 v[1:2], 1, v[1:2]
	v_mov_b32_e32 v5, s9
	v_add_co_u32_e32 v1, vcc, s8, v1
	v_addc_co_u32_e32 v2, vcc, v5, v2, vcc
	v_add_u32_e32 v0, 0x100, v0
	global_store_short_d16_hi v[1:2], v4, off
	s_or_b64 exec, exec, s[0:1]
	v_cmp_gt_i32_e32 vcc, s6, v0
	s_and_saveexec_b64 s[0:1], vcc
	s_cbranch_execz .LBB219_26
.LBB219_35:
	v_add_u32_e32 v1, s2, v0
	v_mov_b32_e32 v2, 0
	v_lshlrev_b64 v[1:2], 1, v[1:2]
	v_mov_b32_e32 v4, s9
	v_add_co_u32_e32 v1, vcc, s8, v1
	v_addc_co_u32_e32 v2, vcc, v4, v2, vcc
	v_add_u32_e32 v0, 0x100, v0
	global_store_short v[1:2], v3, off
	s_or_b64 exec, exec, s[0:1]
	v_cmp_gt_i32_e32 vcc, s6, v0
	s_and_saveexec_b64 s[0:1], vcc
	s_cbranch_execnz .LBB219_27
	s_branch .LBB219_28
	.section	.rodata,"a",@progbits
	.p2align	6, 0x0
	.amdhsa_kernel _ZN2at6native29vectorized_elementwise_kernelILi2ENS0_13AUnaryFunctorIsssZZZNS0_18rshift_kernel_cudaERNS_18TensorIteratorBaseEENKUlvE_clEvENKUlvE3_clEvEUlssE_EESt5arrayIPcLm2EEEEviT0_T1_
		.amdhsa_group_segment_fixed_size 0
		.amdhsa_private_segment_fixed_size 0
		.amdhsa_kernarg_size 24
		.amdhsa_user_sgpr_count 6
		.amdhsa_user_sgpr_private_segment_buffer 1
		.amdhsa_user_sgpr_dispatch_ptr 0
		.amdhsa_user_sgpr_queue_ptr 0
		.amdhsa_user_sgpr_kernarg_segment_ptr 1
		.amdhsa_user_sgpr_dispatch_id 0
		.amdhsa_user_sgpr_flat_scratch_init 0
		.amdhsa_user_sgpr_private_segment_size 0
		.amdhsa_uses_dynamic_stack 0
		.amdhsa_system_sgpr_private_segment_wavefront_offset 0
		.amdhsa_system_sgpr_workgroup_id_x 1
		.amdhsa_system_sgpr_workgroup_id_y 0
		.amdhsa_system_sgpr_workgroup_id_z 0
		.amdhsa_system_sgpr_workgroup_info 0
		.amdhsa_system_vgpr_workitem_id 0
		.amdhsa_next_free_vgpr 15
		.amdhsa_next_free_sgpr 14
		.amdhsa_reserve_vcc 1
		.amdhsa_reserve_flat_scratch 0
		.amdhsa_float_round_mode_32 0
		.amdhsa_float_round_mode_16_64 0
		.amdhsa_float_denorm_mode_32 3
		.amdhsa_float_denorm_mode_16_64 3
		.amdhsa_dx10_clamp 1
		.amdhsa_ieee_mode 1
		.amdhsa_fp16_overflow 0
		.amdhsa_exception_fp_ieee_invalid_op 0
		.amdhsa_exception_fp_denorm_src 0
		.amdhsa_exception_fp_ieee_div_zero 0
		.amdhsa_exception_fp_ieee_overflow 0
		.amdhsa_exception_fp_ieee_underflow 0
		.amdhsa_exception_fp_ieee_inexact 0
		.amdhsa_exception_int_div_zero 0
	.end_amdhsa_kernel
	.section	.text._ZN2at6native29vectorized_elementwise_kernelILi2ENS0_13AUnaryFunctorIsssZZZNS0_18rshift_kernel_cudaERNS_18TensorIteratorBaseEENKUlvE_clEvENKUlvE3_clEvEUlssE_EESt5arrayIPcLm2EEEEviT0_T1_,"axG",@progbits,_ZN2at6native29vectorized_elementwise_kernelILi2ENS0_13AUnaryFunctorIsssZZZNS0_18rshift_kernel_cudaERNS_18TensorIteratorBaseEENKUlvE_clEvENKUlvE3_clEvEUlssE_EESt5arrayIPcLm2EEEEviT0_T1_,comdat
.Lfunc_end219:
	.size	_ZN2at6native29vectorized_elementwise_kernelILi2ENS0_13AUnaryFunctorIsssZZZNS0_18rshift_kernel_cudaERNS_18TensorIteratorBaseEENKUlvE_clEvENKUlvE3_clEvEUlssE_EESt5arrayIPcLm2EEEEviT0_T1_, .Lfunc_end219-_ZN2at6native29vectorized_elementwise_kernelILi2ENS0_13AUnaryFunctorIsssZZZNS0_18rshift_kernel_cudaERNS_18TensorIteratorBaseEENKUlvE_clEvENKUlvE3_clEvEUlssE_EESt5arrayIPcLm2EEEEviT0_T1_
                                        ; -- End function
	.set _ZN2at6native29vectorized_elementwise_kernelILi2ENS0_13AUnaryFunctorIsssZZZNS0_18rshift_kernel_cudaERNS_18TensorIteratorBaseEENKUlvE_clEvENKUlvE3_clEvEUlssE_EESt5arrayIPcLm2EEEEviT0_T1_.num_vgpr, 15
	.set _ZN2at6native29vectorized_elementwise_kernelILi2ENS0_13AUnaryFunctorIsssZZZNS0_18rshift_kernel_cudaERNS_18TensorIteratorBaseEENKUlvE_clEvENKUlvE3_clEvEUlssE_EESt5arrayIPcLm2EEEEviT0_T1_.num_agpr, 0
	.set _ZN2at6native29vectorized_elementwise_kernelILi2ENS0_13AUnaryFunctorIsssZZZNS0_18rshift_kernel_cudaERNS_18TensorIteratorBaseEENKUlvE_clEvENKUlvE3_clEvEUlssE_EESt5arrayIPcLm2EEEEviT0_T1_.numbered_sgpr, 14
	.set _ZN2at6native29vectorized_elementwise_kernelILi2ENS0_13AUnaryFunctorIsssZZZNS0_18rshift_kernel_cudaERNS_18TensorIteratorBaseEENKUlvE_clEvENKUlvE3_clEvEUlssE_EESt5arrayIPcLm2EEEEviT0_T1_.num_named_barrier, 0
	.set _ZN2at6native29vectorized_elementwise_kernelILi2ENS0_13AUnaryFunctorIsssZZZNS0_18rshift_kernel_cudaERNS_18TensorIteratorBaseEENKUlvE_clEvENKUlvE3_clEvEUlssE_EESt5arrayIPcLm2EEEEviT0_T1_.private_seg_size, 0
	.set _ZN2at6native29vectorized_elementwise_kernelILi2ENS0_13AUnaryFunctorIsssZZZNS0_18rshift_kernel_cudaERNS_18TensorIteratorBaseEENKUlvE_clEvENKUlvE3_clEvEUlssE_EESt5arrayIPcLm2EEEEviT0_T1_.uses_vcc, 1
	.set _ZN2at6native29vectorized_elementwise_kernelILi2ENS0_13AUnaryFunctorIsssZZZNS0_18rshift_kernel_cudaERNS_18TensorIteratorBaseEENKUlvE_clEvENKUlvE3_clEvEUlssE_EESt5arrayIPcLm2EEEEviT0_T1_.uses_flat_scratch, 0
	.set _ZN2at6native29vectorized_elementwise_kernelILi2ENS0_13AUnaryFunctorIsssZZZNS0_18rshift_kernel_cudaERNS_18TensorIteratorBaseEENKUlvE_clEvENKUlvE3_clEvEUlssE_EESt5arrayIPcLm2EEEEviT0_T1_.has_dyn_sized_stack, 0
	.set _ZN2at6native29vectorized_elementwise_kernelILi2ENS0_13AUnaryFunctorIsssZZZNS0_18rshift_kernel_cudaERNS_18TensorIteratorBaseEENKUlvE_clEvENKUlvE3_clEvEUlssE_EESt5arrayIPcLm2EEEEviT0_T1_.has_recursion, 0
	.set _ZN2at6native29vectorized_elementwise_kernelILi2ENS0_13AUnaryFunctorIsssZZZNS0_18rshift_kernel_cudaERNS_18TensorIteratorBaseEENKUlvE_clEvENKUlvE3_clEvEUlssE_EESt5arrayIPcLm2EEEEviT0_T1_.has_indirect_call, 0
	.section	.AMDGPU.csdata,"",@progbits
; Kernel info:
; codeLenInByte = 1984
; TotalNumSgprs: 18
; NumVgprs: 15
; ScratchSize: 0
; MemoryBound: 0
; FloatMode: 240
; IeeeMode: 1
; LDSByteSize: 0 bytes/workgroup (compile time only)
; SGPRBlocks: 2
; VGPRBlocks: 3
; NumSGPRsForWavesPerEU: 18
; NumVGPRsForWavesPerEU: 15
; Occupancy: 10
; WaveLimiterHint : 1
; COMPUTE_PGM_RSRC2:SCRATCH_EN: 0
; COMPUTE_PGM_RSRC2:USER_SGPR: 6
; COMPUTE_PGM_RSRC2:TRAP_HANDLER: 0
; COMPUTE_PGM_RSRC2:TGID_X_EN: 1
; COMPUTE_PGM_RSRC2:TGID_Y_EN: 0
; COMPUTE_PGM_RSRC2:TGID_Z_EN: 0
; COMPUTE_PGM_RSRC2:TIDIG_COMP_CNT: 0
	.section	.text._ZN2at6native27unrolled_elementwise_kernelINS0_13AUnaryFunctorIsssZZZNS0_18rshift_kernel_cudaERNS_18TensorIteratorBaseEENKUlvE_clEvENKUlvE3_clEvEUlssE_EESt5arrayIPcLm2EELi4E23TrivialOffsetCalculatorILi1EjESD_NS0_6memory15LoadWithoutCastENSE_16StoreWithoutCastEEEviT_T0_T2_T3_T4_T5_,"axG",@progbits,_ZN2at6native27unrolled_elementwise_kernelINS0_13AUnaryFunctorIsssZZZNS0_18rshift_kernel_cudaERNS_18TensorIteratorBaseEENKUlvE_clEvENKUlvE3_clEvEUlssE_EESt5arrayIPcLm2EELi4E23TrivialOffsetCalculatorILi1EjESD_NS0_6memory15LoadWithoutCastENSE_16StoreWithoutCastEEEviT_T0_T2_T3_T4_T5_,comdat
	.globl	_ZN2at6native27unrolled_elementwise_kernelINS0_13AUnaryFunctorIsssZZZNS0_18rshift_kernel_cudaERNS_18TensorIteratorBaseEENKUlvE_clEvENKUlvE3_clEvEUlssE_EESt5arrayIPcLm2EELi4E23TrivialOffsetCalculatorILi1EjESD_NS0_6memory15LoadWithoutCastENSE_16StoreWithoutCastEEEviT_T0_T2_T3_T4_T5_ ; -- Begin function _ZN2at6native27unrolled_elementwise_kernelINS0_13AUnaryFunctorIsssZZZNS0_18rshift_kernel_cudaERNS_18TensorIteratorBaseEENKUlvE_clEvENKUlvE3_clEvEUlssE_EESt5arrayIPcLm2EELi4E23TrivialOffsetCalculatorILi1EjESD_NS0_6memory15LoadWithoutCastENSE_16StoreWithoutCastEEEviT_T0_T2_T3_T4_T5_
	.p2align	8
	.type	_ZN2at6native27unrolled_elementwise_kernelINS0_13AUnaryFunctorIsssZZZNS0_18rshift_kernel_cudaERNS_18TensorIteratorBaseEENKUlvE_clEvENKUlvE3_clEvEUlssE_EESt5arrayIPcLm2EELi4E23TrivialOffsetCalculatorILi1EjESD_NS0_6memory15LoadWithoutCastENSE_16StoreWithoutCastEEEviT_T0_T2_T3_T4_T5_,@function
_ZN2at6native27unrolled_elementwise_kernelINS0_13AUnaryFunctorIsssZZZNS0_18rshift_kernel_cudaERNS_18TensorIteratorBaseEENKUlvE_clEvENKUlvE3_clEvEUlssE_EESt5arrayIPcLm2EELi4E23TrivialOffsetCalculatorILi1EjESD_NS0_6memory15LoadWithoutCastENSE_16StoreWithoutCastEEEviT_T0_T2_T3_T4_T5_: ; @_ZN2at6native27unrolled_elementwise_kernelINS0_13AUnaryFunctorIsssZZZNS0_18rshift_kernel_cudaERNS_18TensorIteratorBaseEENKUlvE_clEvENKUlvE3_clEvEUlssE_EESt5arrayIPcLm2EELi4E23TrivialOffsetCalculatorILi1EjESD_NS0_6memory15LoadWithoutCastENSE_16StoreWithoutCastEEEviT_T0_T2_T3_T4_T5_
; %bb.0:
	s_load_dwordx2 s[2:3], s[4:5], 0x0
	s_load_dwordx4 s[8:11], s[4:5], 0x8
	s_lshl_b32 s6, s6, 10
	v_mov_b32_e32 v3, 0
	v_or_b32_e32 v1, s6, v0
	s_waitcnt lgkmcnt(0)
	s_sub_i32 s2, s2, s6
	v_cmp_gt_i32_e32 vcc, s2, v0
	v_mov_b32_e32 v2, 0
	v_mov_b32_e32 v4, v0
	s_and_saveexec_b64 s[4:5], vcc
	s_cbranch_execz .LBB220_2
; %bb.1:
	v_mov_b32_e32 v2, 0
	v_lshlrev_b64 v[4:5], 1, v[1:2]
	v_mov_b32_e32 v2, s11
	v_add_co_u32_e64 v4, s[0:1], s10, v4
	v_addc_co_u32_e64 v5, s[0:1], v2, v5, s[0:1]
	global_load_ushort v2, v[4:5], off
	v_or_b32_e32 v4, 0x100, v0
.LBB220_2:
	s_or_b64 exec, exec, s[4:5]
	v_cmp_gt_i32_e64 s[0:1], s2, v4
	s_and_saveexec_b64 s[4:5], s[0:1]
	s_cbranch_execz .LBB220_4
; %bb.3:
	v_add_u32_e32 v5, s6, v4
	v_mov_b32_e32 v6, 0
	v_lshlrev_b64 v[5:6], 1, v[5:6]
	v_mov_b32_e32 v3, s11
	v_add_co_u32_e64 v5, s[0:1], s10, v5
	v_addc_co_u32_e64 v6, s[0:1], v3, v6, s[0:1]
	global_load_ushort v3, v[5:6], off
	v_add_u32_e32 v4, 0x100, v4
.LBB220_4:
	s_or_b64 exec, exec, s[4:5]
	v_cmp_gt_i32_e64 s[0:1], s2, v4
	v_mov_b32_e32 v5, 0
	v_mov_b32_e32 v6, 0
	s_and_saveexec_b64 s[4:5], s[0:1]
	s_cbranch_execz .LBB220_6
; %bb.5:
	v_add_u32_e32 v6, s6, v4
	v_mov_b32_e32 v7, 0
	v_lshlrev_b64 v[6:7], 1, v[6:7]
	v_mov_b32_e32 v8, s11
	v_add_co_u32_e64 v6, s[0:1], s10, v6
	v_addc_co_u32_e64 v7, s[0:1], v8, v7, s[0:1]
	global_load_ushort v6, v[6:7], off
	v_add_u32_e32 v4, 0x100, v4
.LBB220_6:
	s_or_b64 exec, exec, s[4:5]
	v_cmp_gt_i32_e64 s[0:1], s2, v4
	s_and_saveexec_b64 s[4:5], s[0:1]
	s_cbranch_execz .LBB220_8
; %bb.7:
	v_add_u32_e32 v4, s6, v4
	v_mov_b32_e32 v5, 0
	v_lshlrev_b64 v[4:5], 1, v[4:5]
	v_mov_b32_e32 v7, s11
	v_add_co_u32_e64 v4, s[0:1], s10, v4
	v_addc_co_u32_e64 v5, s[0:1], v7, v5, s[0:1]
	global_load_ushort v5, v[4:5], off
.LBB220_8:
	s_or_b64 exec, exec, s[4:5]
	s_ashr_i32 s3, s3, 16
	s_lshr_b32 s0, s3, 15
	s_waitcnt vmcnt(0)
	v_ashrrev_i32_sdwa v4, v2, s3 dst_sel:DWORD dst_unused:UNUSED_PAD src0_sel:WORD_0 src1_sel:DWORD
	v_mov_b32_e32 v8, s0
	v_cmp_lt_u16_e64 s[0:1], 14, v2
	v_cndmask_b32_e64 v2, v4, v8, s[0:1]
	v_and_b32_e32 v2, 0xffff, v2
	v_ashrrev_i32_sdwa v4, v3, s3 dst_sel:DWORD dst_unused:UNUSED_PAD src0_sel:WORD_0 src1_sel:DWORD
	v_cmp_lt_u16_e64 s[0:1], 14, v3
	v_cndmask_b32_e32 v2, 0, v2, vcc
	v_or_b32_e32 v7, 0x100, v0
	v_cndmask_b32_e64 v3, v4, v8, s[0:1]
	s_mov_b32 s4, 0x5040100
	v_perm_b32 v3, v3, v2, s4
	v_cmp_gt_i32_e64 s[0:1], s2, v7
	v_cndmask_b32_e64 v4, v2, v3, s[0:1]
	v_ashrrev_i32_sdwa v3, v6, s3 dst_sel:DWORD dst_unused:UNUSED_PAD src0_sel:WORD_0 src1_sel:DWORD
	v_cmp_lt_u16_e64 s[0:1], 14, v6
	v_or_b32_e32 v2, 0x200, v0
	v_cndmask_b32_e64 v3, v3, v8, s[0:1]
	v_and_b32_e32 v3, 0xffff, v3
	v_cmp_gt_i32_e64 s[0:1], s2, v2
	v_cndmask_b32_e64 v2, 0, v3, s[0:1]
	v_ashrrev_i32_sdwa v6, v5, s3 dst_sel:DWORD dst_unused:UNUSED_PAD src0_sel:WORD_0 src1_sel:DWORD
	v_cmp_lt_u16_e64 s[0:1], 14, v5
	v_or_b32_e32 v3, 0x300, v0
	v_cndmask_b32_e64 v5, v6, v8, s[0:1]
	v_perm_b32 v5, v5, v2, s4
	v_cmp_gt_i32_e64 s[0:1], s2, v3
	v_cndmask_b32_e64 v3, v2, v5, s[0:1]
	s_and_saveexec_b64 s[0:1], vcc
	s_cbranch_execnz .LBB220_13
; %bb.9:
	s_or_b64 exec, exec, s[0:1]
	v_cmp_gt_i32_e32 vcc, s2, v0
	s_and_saveexec_b64 s[0:1], vcc
	s_cbranch_execnz .LBB220_14
.LBB220_10:
	s_or_b64 exec, exec, s[0:1]
	v_cmp_gt_i32_e32 vcc, s2, v0
	s_and_saveexec_b64 s[0:1], vcc
	s_cbranch_execnz .LBB220_15
.LBB220_11:
	s_or_b64 exec, exec, s[0:1]
	v_cmp_gt_i32_e32 vcc, s2, v0
	s_and_saveexec_b64 s[0:1], vcc
	s_cbranch_execnz .LBB220_16
.LBB220_12:
	s_endpgm
.LBB220_13:
	v_mov_b32_e32 v2, 0
	v_lshlrev_b64 v[0:1], 1, v[1:2]
	v_mov_b32_e32 v2, s9
	v_add_co_u32_e32 v0, vcc, s8, v0
	v_addc_co_u32_e32 v1, vcc, v2, v1, vcc
	global_store_short v[0:1], v4, off
	v_mov_b32_e32 v0, v7
	s_or_b64 exec, exec, s[0:1]
	v_cmp_gt_i32_e32 vcc, s2, v0
	s_and_saveexec_b64 s[0:1], vcc
	s_cbranch_execz .LBB220_10
.LBB220_14:
	v_add_u32_e32 v2, 0x100, v0
	v_add_u32_e32 v0, s6, v0
	v_mov_b32_e32 v1, 0
	v_lshlrev_b64 v[0:1], 1, v[0:1]
	v_mov_b32_e32 v5, s9
	v_add_co_u32_e32 v0, vcc, s8, v0
	v_addc_co_u32_e32 v1, vcc, v5, v1, vcc
	global_store_short_d16_hi v[0:1], v4, off
	v_mov_b32_e32 v0, v2
	s_or_b64 exec, exec, s[0:1]
	v_cmp_gt_i32_e32 vcc, s2, v0
	s_and_saveexec_b64 s[0:1], vcc
	s_cbranch_execz .LBB220_11
.LBB220_15:
	v_add_u32_e32 v2, 0x100, v0
	v_add_u32_e32 v0, s6, v0
	v_mov_b32_e32 v1, 0
	v_lshlrev_b64 v[0:1], 1, v[0:1]
	v_mov_b32_e32 v4, s9
	v_add_co_u32_e32 v0, vcc, s8, v0
	v_addc_co_u32_e32 v1, vcc, v4, v1, vcc
	global_store_short v[0:1], v3, off
	v_mov_b32_e32 v0, v2
	s_or_b64 exec, exec, s[0:1]
	v_cmp_gt_i32_e32 vcc, s2, v0
	s_and_saveexec_b64 s[0:1], vcc
	s_cbranch_execz .LBB220_12
.LBB220_16:
	v_add_u32_e32 v0, s6, v0
	v_mov_b32_e32 v1, 0
	v_lshlrev_b64 v[0:1], 1, v[0:1]
	v_mov_b32_e32 v2, s9
	v_add_co_u32_e32 v0, vcc, s8, v0
	v_addc_co_u32_e32 v1, vcc, v2, v1, vcc
	global_store_short_d16_hi v[0:1], v3, off
	s_endpgm
	.section	.rodata,"a",@progbits
	.p2align	6, 0x0
	.amdhsa_kernel _ZN2at6native27unrolled_elementwise_kernelINS0_13AUnaryFunctorIsssZZZNS0_18rshift_kernel_cudaERNS_18TensorIteratorBaseEENKUlvE_clEvENKUlvE3_clEvEUlssE_EESt5arrayIPcLm2EELi4E23TrivialOffsetCalculatorILi1EjESD_NS0_6memory15LoadWithoutCastENSE_16StoreWithoutCastEEEviT_T0_T2_T3_T4_T5_
		.amdhsa_group_segment_fixed_size 0
		.amdhsa_private_segment_fixed_size 0
		.amdhsa_kernarg_size 28
		.amdhsa_user_sgpr_count 6
		.amdhsa_user_sgpr_private_segment_buffer 1
		.amdhsa_user_sgpr_dispatch_ptr 0
		.amdhsa_user_sgpr_queue_ptr 0
		.amdhsa_user_sgpr_kernarg_segment_ptr 1
		.amdhsa_user_sgpr_dispatch_id 0
		.amdhsa_user_sgpr_flat_scratch_init 0
		.amdhsa_user_sgpr_private_segment_size 0
		.amdhsa_uses_dynamic_stack 0
		.amdhsa_system_sgpr_private_segment_wavefront_offset 0
		.amdhsa_system_sgpr_workgroup_id_x 1
		.amdhsa_system_sgpr_workgroup_id_y 0
		.amdhsa_system_sgpr_workgroup_id_z 0
		.amdhsa_system_sgpr_workgroup_info 0
		.amdhsa_system_vgpr_workitem_id 0
		.amdhsa_next_free_vgpr 9
		.amdhsa_next_free_sgpr 12
		.amdhsa_reserve_vcc 1
		.amdhsa_reserve_flat_scratch 0
		.amdhsa_float_round_mode_32 0
		.amdhsa_float_round_mode_16_64 0
		.amdhsa_float_denorm_mode_32 3
		.amdhsa_float_denorm_mode_16_64 3
		.amdhsa_dx10_clamp 1
		.amdhsa_ieee_mode 1
		.amdhsa_fp16_overflow 0
		.amdhsa_exception_fp_ieee_invalid_op 0
		.amdhsa_exception_fp_denorm_src 0
		.amdhsa_exception_fp_ieee_div_zero 0
		.amdhsa_exception_fp_ieee_overflow 0
		.amdhsa_exception_fp_ieee_underflow 0
		.amdhsa_exception_fp_ieee_inexact 0
		.amdhsa_exception_int_div_zero 0
	.end_amdhsa_kernel
	.section	.text._ZN2at6native27unrolled_elementwise_kernelINS0_13AUnaryFunctorIsssZZZNS0_18rshift_kernel_cudaERNS_18TensorIteratorBaseEENKUlvE_clEvENKUlvE3_clEvEUlssE_EESt5arrayIPcLm2EELi4E23TrivialOffsetCalculatorILi1EjESD_NS0_6memory15LoadWithoutCastENSE_16StoreWithoutCastEEEviT_T0_T2_T3_T4_T5_,"axG",@progbits,_ZN2at6native27unrolled_elementwise_kernelINS0_13AUnaryFunctorIsssZZZNS0_18rshift_kernel_cudaERNS_18TensorIteratorBaseEENKUlvE_clEvENKUlvE3_clEvEUlssE_EESt5arrayIPcLm2EELi4E23TrivialOffsetCalculatorILi1EjESD_NS0_6memory15LoadWithoutCastENSE_16StoreWithoutCastEEEviT_T0_T2_T3_T4_T5_,comdat
.Lfunc_end220:
	.size	_ZN2at6native27unrolled_elementwise_kernelINS0_13AUnaryFunctorIsssZZZNS0_18rshift_kernel_cudaERNS_18TensorIteratorBaseEENKUlvE_clEvENKUlvE3_clEvEUlssE_EESt5arrayIPcLm2EELi4E23TrivialOffsetCalculatorILi1EjESD_NS0_6memory15LoadWithoutCastENSE_16StoreWithoutCastEEEviT_T0_T2_T3_T4_T5_, .Lfunc_end220-_ZN2at6native27unrolled_elementwise_kernelINS0_13AUnaryFunctorIsssZZZNS0_18rshift_kernel_cudaERNS_18TensorIteratorBaseEENKUlvE_clEvENKUlvE3_clEvEUlssE_EESt5arrayIPcLm2EELi4E23TrivialOffsetCalculatorILi1EjESD_NS0_6memory15LoadWithoutCastENSE_16StoreWithoutCastEEEviT_T0_T2_T3_T4_T5_
                                        ; -- End function
	.set _ZN2at6native27unrolled_elementwise_kernelINS0_13AUnaryFunctorIsssZZZNS0_18rshift_kernel_cudaERNS_18TensorIteratorBaseEENKUlvE_clEvENKUlvE3_clEvEUlssE_EESt5arrayIPcLm2EELi4E23TrivialOffsetCalculatorILi1EjESD_NS0_6memory15LoadWithoutCastENSE_16StoreWithoutCastEEEviT_T0_T2_T3_T4_T5_.num_vgpr, 9
	.set _ZN2at6native27unrolled_elementwise_kernelINS0_13AUnaryFunctorIsssZZZNS0_18rshift_kernel_cudaERNS_18TensorIteratorBaseEENKUlvE_clEvENKUlvE3_clEvEUlssE_EESt5arrayIPcLm2EELi4E23TrivialOffsetCalculatorILi1EjESD_NS0_6memory15LoadWithoutCastENSE_16StoreWithoutCastEEEviT_T0_T2_T3_T4_T5_.num_agpr, 0
	.set _ZN2at6native27unrolled_elementwise_kernelINS0_13AUnaryFunctorIsssZZZNS0_18rshift_kernel_cudaERNS_18TensorIteratorBaseEENKUlvE_clEvENKUlvE3_clEvEUlssE_EESt5arrayIPcLm2EELi4E23TrivialOffsetCalculatorILi1EjESD_NS0_6memory15LoadWithoutCastENSE_16StoreWithoutCastEEEviT_T0_T2_T3_T4_T5_.numbered_sgpr, 12
	.set _ZN2at6native27unrolled_elementwise_kernelINS0_13AUnaryFunctorIsssZZZNS0_18rshift_kernel_cudaERNS_18TensorIteratorBaseEENKUlvE_clEvENKUlvE3_clEvEUlssE_EESt5arrayIPcLm2EELi4E23TrivialOffsetCalculatorILi1EjESD_NS0_6memory15LoadWithoutCastENSE_16StoreWithoutCastEEEviT_T0_T2_T3_T4_T5_.num_named_barrier, 0
	.set _ZN2at6native27unrolled_elementwise_kernelINS0_13AUnaryFunctorIsssZZZNS0_18rshift_kernel_cudaERNS_18TensorIteratorBaseEENKUlvE_clEvENKUlvE3_clEvEUlssE_EESt5arrayIPcLm2EELi4E23TrivialOffsetCalculatorILi1EjESD_NS0_6memory15LoadWithoutCastENSE_16StoreWithoutCastEEEviT_T0_T2_T3_T4_T5_.private_seg_size, 0
	.set _ZN2at6native27unrolled_elementwise_kernelINS0_13AUnaryFunctorIsssZZZNS0_18rshift_kernel_cudaERNS_18TensorIteratorBaseEENKUlvE_clEvENKUlvE3_clEvEUlssE_EESt5arrayIPcLm2EELi4E23TrivialOffsetCalculatorILi1EjESD_NS0_6memory15LoadWithoutCastENSE_16StoreWithoutCastEEEviT_T0_T2_T3_T4_T5_.uses_vcc, 1
	.set _ZN2at6native27unrolled_elementwise_kernelINS0_13AUnaryFunctorIsssZZZNS0_18rshift_kernel_cudaERNS_18TensorIteratorBaseEENKUlvE_clEvENKUlvE3_clEvEUlssE_EESt5arrayIPcLm2EELi4E23TrivialOffsetCalculatorILi1EjESD_NS0_6memory15LoadWithoutCastENSE_16StoreWithoutCastEEEviT_T0_T2_T3_T4_T5_.uses_flat_scratch, 0
	.set _ZN2at6native27unrolled_elementwise_kernelINS0_13AUnaryFunctorIsssZZZNS0_18rshift_kernel_cudaERNS_18TensorIteratorBaseEENKUlvE_clEvENKUlvE3_clEvEUlssE_EESt5arrayIPcLm2EELi4E23TrivialOffsetCalculatorILi1EjESD_NS0_6memory15LoadWithoutCastENSE_16StoreWithoutCastEEEviT_T0_T2_T3_T4_T5_.has_dyn_sized_stack, 0
	.set _ZN2at6native27unrolled_elementwise_kernelINS0_13AUnaryFunctorIsssZZZNS0_18rshift_kernel_cudaERNS_18TensorIteratorBaseEENKUlvE_clEvENKUlvE3_clEvEUlssE_EESt5arrayIPcLm2EELi4E23TrivialOffsetCalculatorILi1EjESD_NS0_6memory15LoadWithoutCastENSE_16StoreWithoutCastEEEviT_T0_T2_T3_T4_T5_.has_recursion, 0
	.set _ZN2at6native27unrolled_elementwise_kernelINS0_13AUnaryFunctorIsssZZZNS0_18rshift_kernel_cudaERNS_18TensorIteratorBaseEENKUlvE_clEvENKUlvE3_clEvEUlssE_EESt5arrayIPcLm2EELi4E23TrivialOffsetCalculatorILi1EjESD_NS0_6memory15LoadWithoutCastENSE_16StoreWithoutCastEEEviT_T0_T2_T3_T4_T5_.has_indirect_call, 0
	.section	.AMDGPU.csdata,"",@progbits
; Kernel info:
; codeLenInByte = 832
; TotalNumSgprs: 16
; NumVgprs: 9
; ScratchSize: 0
; MemoryBound: 0
; FloatMode: 240
; IeeeMode: 1
; LDSByteSize: 0 bytes/workgroup (compile time only)
; SGPRBlocks: 1
; VGPRBlocks: 2
; NumSGPRsForWavesPerEU: 16
; NumVGPRsForWavesPerEU: 9
; Occupancy: 10
; WaveLimiterHint : 0
; COMPUTE_PGM_RSRC2:SCRATCH_EN: 0
; COMPUTE_PGM_RSRC2:USER_SGPR: 6
; COMPUTE_PGM_RSRC2:TRAP_HANDLER: 0
; COMPUTE_PGM_RSRC2:TGID_X_EN: 1
; COMPUTE_PGM_RSRC2:TGID_Y_EN: 0
; COMPUTE_PGM_RSRC2:TGID_Z_EN: 0
; COMPUTE_PGM_RSRC2:TIDIG_COMP_CNT: 0
	.section	.text._ZN2at6native32elementwise_kernel_manual_unrollILi128ELi8EZNS0_22gpu_kernel_impl_nocastINS0_13AUnaryFunctorIsssZZZNS0_18rshift_kernel_cudaERNS_18TensorIteratorBaseEENKUlvE_clEvENKUlvE3_clEvEUlssE_EEEEvS5_RKT_EUlibE_EEviT1_,"axG",@progbits,_ZN2at6native32elementwise_kernel_manual_unrollILi128ELi8EZNS0_22gpu_kernel_impl_nocastINS0_13AUnaryFunctorIsssZZZNS0_18rshift_kernel_cudaERNS_18TensorIteratorBaseEENKUlvE_clEvENKUlvE3_clEvEUlssE_EEEEvS5_RKT_EUlibE_EEviT1_,comdat
	.globl	_ZN2at6native32elementwise_kernel_manual_unrollILi128ELi8EZNS0_22gpu_kernel_impl_nocastINS0_13AUnaryFunctorIsssZZZNS0_18rshift_kernel_cudaERNS_18TensorIteratorBaseEENKUlvE_clEvENKUlvE3_clEvEUlssE_EEEEvS5_RKT_EUlibE_EEviT1_ ; -- Begin function _ZN2at6native32elementwise_kernel_manual_unrollILi128ELi8EZNS0_22gpu_kernel_impl_nocastINS0_13AUnaryFunctorIsssZZZNS0_18rshift_kernel_cudaERNS_18TensorIteratorBaseEENKUlvE_clEvENKUlvE3_clEvEUlssE_EEEEvS5_RKT_EUlibE_EEviT1_
	.p2align	8
	.type	_ZN2at6native32elementwise_kernel_manual_unrollILi128ELi8EZNS0_22gpu_kernel_impl_nocastINS0_13AUnaryFunctorIsssZZZNS0_18rshift_kernel_cudaERNS_18TensorIteratorBaseEENKUlvE_clEvENKUlvE3_clEvEUlssE_EEEEvS5_RKT_EUlibE_EEviT1_,@function
_ZN2at6native32elementwise_kernel_manual_unrollILi128ELi8EZNS0_22gpu_kernel_impl_nocastINS0_13AUnaryFunctorIsssZZZNS0_18rshift_kernel_cudaERNS_18TensorIteratorBaseEENKUlvE_clEvENKUlvE3_clEvEUlssE_EEEEvS5_RKT_EUlibE_EEviT1_: ; @_ZN2at6native32elementwise_kernel_manual_unrollILi128ELi8EZNS0_22gpu_kernel_impl_nocastINS0_13AUnaryFunctorIsssZZZNS0_18rshift_kernel_cudaERNS_18TensorIteratorBaseEENKUlvE_clEvENKUlvE3_clEvEUlssE_EEEEvS5_RKT_EUlibE_EEviT1_
; %bb.0:
	s_load_dword s59, s[4:5], 0x0
	s_load_dword s33, s[4:5], 0x8
	s_add_u32 s34, s4, 8
	s_addc_u32 s35, s5, 0
	v_lshl_or_b32 v19, s6, 10, v0
	v_or_b32_e32 v25, 0x380, v19
	s_waitcnt lgkmcnt(0)
	s_add_i32 s56, s33, -1
	s_cmp_gt_u32 s56, 1
	v_cmp_le_i32_e32 vcc, s59, v25
	s_cselect_b64 s[6:7], -1, 0
	s_and_saveexec_b64 s[0:1], vcc
	s_xor_b64 s[40:41], exec, s[0:1]
	s_cbranch_execz .LBB221_7
; %bb.1:
	s_load_dwordx4 s[24:27], s[34:35], 0x4
	s_load_dwordx2 s[42:43], s[34:35], 0x14
	s_load_dword s8, s[4:5], 0x160
	s_cmp_lg_u32 s33, 0
	s_cselect_b64 s[48:49], -1, 0
	s_add_u32 s46, s34, 0xc4
	s_load_dwordx4 s[28:31], s[34:35], 0xc4
	s_load_dwordx4 s[0:3], s[34:35], 0x148
	s_addc_u32 s47, s35, 0
	s_min_u32 s60, s56, 15
	s_cmp_gt_u32 s33, 1
	s_cselect_b64 s[44:45], -1, 0
	s_waitcnt lgkmcnt(0)
	s_ashr_i32 s57, s8, 16
	s_lshr_b32 s58, s57, 15
	v_cmp_gt_i32_e32 vcc, s59, v19
	s_and_saveexec_b64 s[50:51], vcc
	s_cbranch_execz .LBB221_14
; %bb.2:
	s_andn2_b64 vcc, exec, s[6:7]
	s_cbranch_vccnz .LBB221_21
; %bb.3:
	s_andn2_b64 vcc, exec, s[48:49]
	s_cbranch_vccnz .LBB221_129
; %bb.4:
	s_add_i32 s62, s60, 1
	s_cmp_eq_u32 s56, 2
	s_cbranch_scc1 .LBB221_131
; %bb.5:
	s_and_b32 s61, s62, 28
	v_mov_b32_e32 v2, 0
	s_mov_b32 s63, 0
	s_mov_b64 s[52:53], s[34:35]
	s_mov_b64 s[54:55], s[46:47]
	v_mov_b32_e32 v0, 0
	v_mov_b32_e32 v1, v19
.LBB221_6:                              ; =>This Inner Loop Header: Depth=1
	s_load_dwordx8 s[16:23], s[52:53], 0x4
	s_load_dwordx4 s[36:39], s[52:53], 0x24
	s_load_dwordx8 s[8:15], s[54:55], 0x0
	s_add_u32 s52, s52, 48
	s_addc_u32 s53, s53, 0
	s_waitcnt lgkmcnt(0)
	v_mul_hi_u32 v3, s17, v1
	s_add_i32 s63, s63, 4
	s_add_u32 s54, s54, 32
	s_addc_u32 s55, s55, 0
	v_add_u32_e32 v3, v1, v3
	v_lshrrev_b32_e32 v3, s18, v3
	v_mul_lo_u32 v4, v3, s16
	v_mul_hi_u32 v5, s20, v3
	s_cmp_lg_u32 s61, s63
	v_sub_u32_e32 v1, v1, v4
	v_add_u32_e32 v4, v3, v5
	v_mul_lo_u32 v5, v1, s8
	v_mul_lo_u32 v6, v1, s9
	v_lshrrev_b32_e32 v1, s21, v4
	v_mul_lo_u32 v4, v1, s19
	v_mul_hi_u32 v7, s23, v1
	v_sub_u32_e32 v3, v3, v4
	v_add_u32_e32 v4, v1, v7
	v_lshrrev_b32_e32 v4, s36, v4
	v_mul_hi_u32 v8, s38, v4
	v_mul_lo_u32 v9, v4, s22
	v_mul_lo_u32 v7, v3, s10
	;; [unrolled: 1-line block ×3, first 2 shown]
	v_sub_u32_e32 v9, v1, v9
	v_add_u32_e32 v1, v4, v8
	v_lshrrev_b32_e32 v1, s39, v1
	v_mul_lo_u32 v8, v1, s37
	v_mul_lo_u32 v10, v9, s12
	;; [unrolled: 1-line block ×3, first 2 shown]
	v_add3_u32 v0, v5, v0, v7
	v_sub_u32_e32 v4, v4, v8
	v_mul_lo_u32 v8, v4, s14
	v_mul_lo_u32 v4, v4, s15
	v_add3_u32 v2, v6, v2, v3
	v_add3_u32 v0, v10, v0, v8
	;; [unrolled: 1-line block ×3, first 2 shown]
	s_cbranch_scc1 .LBB221_6
	s_branch .LBB221_132
.LBB221_7:
	s_andn2_saveexec_b64 s[0:1], s[40:41]
	s_cbranch_execz .LBB221_221
.LBB221_8:
	v_cndmask_b32_e64 v0, 0, 1, s[6:7]
	v_cmp_ne_u32_e64 s[0:1], 1, v0
	s_andn2_b64 vcc, exec, s[6:7]
	s_cbranch_vccnz .LBB221_20
; %bb.9:
	s_cmp_lg_u32 s33, 0
	s_mov_b32 s28, 0
	s_cbranch_scc0 .LBB221_23
; %bb.10:
	s_min_u32 s29, s56, 15
	s_add_i32 s29, s29, 1
	s_cmp_eq_u32 s56, 2
	s_cbranch_scc1 .LBB221_24
; %bb.11:
	s_and_b32 s28, s29, 28
	s_add_u32 s2, s34, 0xc4
	s_addc_u32 s3, s35, 0
	v_mov_b32_e32 v2, 0
	s_mov_b32 s30, 0
	s_mov_b64 s[6:7], s[34:35]
	v_mov_b32_e32 v0, 0
	v_mov_b32_e32 v1, v19
.LBB221_12:                             ; =>This Inner Loop Header: Depth=1
	s_load_dwordx8 s[16:23], s[6:7], 0x4
	s_load_dwordx4 s[24:27], s[6:7], 0x24
	s_load_dwordx8 s[8:15], s[2:3], 0x0
	s_add_u32 s6, s6, 48
	s_addc_u32 s7, s7, 0
	s_waitcnt lgkmcnt(0)
	v_mul_hi_u32 v3, s17, v1
	s_add_i32 s30, s30, 4
	s_add_u32 s2, s2, 32
	s_addc_u32 s3, s3, 0
	v_add_u32_e32 v3, v1, v3
	v_lshrrev_b32_e32 v3, s18, v3
	v_mul_lo_u32 v4, v3, s16
	v_mul_hi_u32 v5, s20, v3
	s_cmp_lg_u32 s28, s30
	v_sub_u32_e32 v1, v1, v4
	v_add_u32_e32 v4, v3, v5
	v_mul_lo_u32 v5, v1, s8
	v_mul_lo_u32 v6, v1, s9
	v_lshrrev_b32_e32 v1, s21, v4
	v_mul_lo_u32 v4, v1, s19
	v_mul_hi_u32 v7, s23, v1
	v_sub_u32_e32 v3, v3, v4
	v_add_u32_e32 v4, v1, v7
	v_lshrrev_b32_e32 v4, s24, v4
	v_mul_hi_u32 v8, s26, v4
	v_mul_lo_u32 v9, v4, s22
	v_mul_lo_u32 v7, v3, s10
	;; [unrolled: 1-line block ×3, first 2 shown]
	v_sub_u32_e32 v9, v1, v9
	v_add_u32_e32 v1, v4, v8
	v_lshrrev_b32_e32 v1, s27, v1
	v_mul_lo_u32 v8, v1, s25
	v_mul_lo_u32 v10, v9, s12
	;; [unrolled: 1-line block ×3, first 2 shown]
	v_add3_u32 v0, v5, v0, v7
	v_sub_u32_e32 v4, v4, v8
	v_mul_lo_u32 v8, v4, s14
	v_mul_lo_u32 v4, v4, s15
	v_add3_u32 v2, v6, v2, v3
	v_add3_u32 v0, v10, v0, v8
	;; [unrolled: 1-line block ×3, first 2 shown]
	s_cbranch_scc1 .LBB221_12
; %bb.13:
	s_and_b32 s8, s29, 3
	s_cmp_eq_u32 s8, 0
	s_cbranch_scc0 .LBB221_25
	s_branch .LBB221_27
.LBB221_14:
	s_or_b64 exec, exec, s[50:51]
	v_cmp_gt_i32_e32 vcc, s59, v19
	s_and_saveexec_b64 s[50:51], vcc
	s_cbranch_execz .LBB221_139
.LBB221_15:
	s_andn2_b64 vcc, exec, s[6:7]
	s_cbranch_vccnz .LBB221_22
; %bb.16:
	s_andn2_b64 vcc, exec, s[48:49]
	s_cbranch_vccnz .LBB221_130
; %bb.17:
	s_add_i32 s62, s60, 1
	s_cmp_eq_u32 s56, 2
	s_cbranch_scc1 .LBB221_147
; %bb.18:
	s_and_b32 s61, s62, 28
	v_mov_b32_e32 v2, 0
	s_mov_b32 s63, 0
	s_mov_b64 s[52:53], s[34:35]
	s_mov_b64 s[54:55], s[46:47]
	v_mov_b32_e32 v0, 0
	v_mov_b32_e32 v1, v19
.LBB221_19:                             ; =>This Inner Loop Header: Depth=1
	s_load_dwordx8 s[16:23], s[52:53], 0x4
	s_load_dwordx4 s[36:39], s[52:53], 0x24
	s_load_dwordx8 s[8:15], s[54:55], 0x0
	s_add_u32 s52, s52, 48
	s_addc_u32 s53, s53, 0
	s_waitcnt lgkmcnt(0)
	v_mul_hi_u32 v3, s17, v1
	s_add_i32 s63, s63, 4
	s_add_u32 s54, s54, 32
	s_addc_u32 s55, s55, 0
	v_add_u32_e32 v3, v1, v3
	v_lshrrev_b32_e32 v3, s18, v3
	v_mul_lo_u32 v4, v3, s16
	v_mul_hi_u32 v5, s20, v3
	s_cmp_eq_u32 s61, s63
	v_sub_u32_e32 v1, v1, v4
	v_add_u32_e32 v4, v3, v5
	v_mul_lo_u32 v5, v1, s8
	v_mul_lo_u32 v6, v1, s9
	v_lshrrev_b32_e32 v1, s21, v4
	v_mul_lo_u32 v4, v1, s19
	v_mul_hi_u32 v7, s23, v1
	v_sub_u32_e32 v3, v3, v4
	v_add_u32_e32 v4, v1, v7
	v_lshrrev_b32_e32 v4, s36, v4
	v_mul_hi_u32 v8, s38, v4
	v_mul_lo_u32 v9, v4, s22
	v_mul_lo_u32 v7, v3, s10
	;; [unrolled: 1-line block ×3, first 2 shown]
	v_sub_u32_e32 v9, v1, v9
	v_add_u32_e32 v1, v4, v8
	v_lshrrev_b32_e32 v1, s39, v1
	v_mul_lo_u32 v8, v1, s37
	v_mul_lo_u32 v10, v9, s12
	;; [unrolled: 1-line block ×3, first 2 shown]
	v_add3_u32 v0, v5, v0, v7
	v_sub_u32_e32 v4, v4, v8
	v_mul_lo_u32 v8, v4, s14
	v_mul_lo_u32 v4, v4, s15
	v_add3_u32 v2, v6, v2, v3
	v_add3_u32 v0, v10, v0, v8
	;; [unrolled: 1-line block ×3, first 2 shown]
	s_cbranch_scc0 .LBB221_19
	s_branch .LBB221_148
.LBB221_20:
                                        ; implicit-def: $vgpr0
                                        ; implicit-def: $vgpr2
	s_branch .LBB221_28
.LBB221_21:
                                        ; implicit-def: $vgpr0
                                        ; implicit-def: $vgpr2
	s_branch .LBB221_136
.LBB221_22:
                                        ; implicit-def: $vgpr0
                                        ; implicit-def: $vgpr2
	s_branch .LBB221_152
.LBB221_23:
	v_mov_b32_e32 v0, 0
	v_mov_b32_e32 v2, 0
	s_branch .LBB221_27
.LBB221_24:
	v_mov_b32_e32 v0, 0
	v_mov_b32_e32 v2, 0
	v_mov_b32_e32 v1, v19
	s_and_b32 s8, s29, 3
	s_cmp_eq_u32 s8, 0
	s_cbranch_scc1 .LBB221_27
.LBB221_25:
	s_lshl_b32 s2, s28, 3
	s_add_u32 s2, s34, s2
	s_addc_u32 s3, s35, 0
	s_add_u32 s2, s2, 0xc4
	s_addc_u32 s3, s3, 0
	s_mul_i32 s6, s28, 12
	s_add_u32 s6, s34, s6
	s_addc_u32 s7, s35, 0
.LBB221_26:                             ; =>This Inner Loop Header: Depth=1
	s_load_dwordx2 s[10:11], s[6:7], 0x4
	s_load_dword s9, s[6:7], 0xc
	s_load_dwordx2 s[12:13], s[2:3], 0x0
	s_add_u32 s6, s6, 12
	s_addc_u32 s7, s7, 0
	s_waitcnt lgkmcnt(0)
	v_mul_hi_u32 v4, s11, v1
	s_add_u32 s2, s2, 8
	s_addc_u32 s3, s3, 0
	s_add_i32 s8, s8, -1
	v_add_u32_e32 v4, v1, v4
	v_lshrrev_b32_e32 v4, s9, v4
	v_mul_lo_u32 v5, v4, s10
	s_cmp_lg_u32 s8, 0
	v_sub_u32_e32 v5, v1, v5
	v_mad_u64_u32 v[0:1], s[10:11], v5, s12, v[0:1]
	v_mad_u64_u32 v[2:3], s[10:11], v5, s13, v[2:3]
	v_mov_b32_e32 v1, v4
	s_cbranch_scc1 .LBB221_26
.LBB221_27:
	s_cbranch_execnz .LBB221_30
.LBB221_28:
	s_load_dwordx4 s[8:11], s[34:35], 0x4
	s_load_dwordx2 s[2:3], s[34:35], 0xc4
	s_cmp_lt_u32 s33, 2
	s_waitcnt lgkmcnt(0)
	v_mul_hi_u32 v0, s9, v19
	v_add_u32_e32 v0, v19, v0
	v_lshrrev_b32_e32 v1, s10, v0
	v_mul_lo_u32 v0, v1, s8
	v_sub_u32_e32 v2, v19, v0
	v_mul_lo_u32 v0, v2, s2
	v_mul_lo_u32 v2, v2, s3
	s_cbranch_scc1 .LBB221_30
; %bb.29:
	s_load_dwordx4 s[8:11], s[34:35], 0x10
	s_load_dwordx2 s[2:3], s[34:35], 0xcc
	s_waitcnt lgkmcnt(0)
	v_mul_hi_u32 v3, s9, v1
	v_add_u32_e32 v3, v1, v3
	v_lshrrev_b32_e32 v3, s10, v3
	v_mul_lo_u32 v3, v3, s8
	v_sub_u32_e32 v3, v1, v3
	v_mad_u64_u32 v[0:1], s[6:7], v3, s2, v[0:1]
	v_mad_u64_u32 v[2:3], s[2:3], v3, s3, v[2:3]
.LBB221_30:
	s_and_b64 vcc, exec, s[0:1]
	v_add_u32_e32 v1, 0x80, v19
	s_cbranch_vccnz .LBB221_36
; %bb.31:
	s_cmp_lg_u32 s33, 0
	s_mov_b32 s28, 0
	s_cbranch_scc0 .LBB221_37
; %bb.32:
	s_min_u32 s29, s56, 15
	s_add_i32 s29, s29, 1
	s_cmp_eq_u32 s56, 2
	s_cbranch_scc1 .LBB221_38
; %bb.33:
	s_and_b32 s28, s29, 28
	s_add_u32 s2, s34, 0xc4
	s_addc_u32 s3, s35, 0
	v_mov_b32_e32 v5, 0
	s_mov_b32 s30, 0
	s_mov_b64 s[6:7], s[34:35]
	v_mov_b32_e32 v3, 0
	v_mov_b32_e32 v4, v1
.LBB221_34:                             ; =>This Inner Loop Header: Depth=1
	s_load_dwordx8 s[16:23], s[6:7], 0x4
	s_load_dwordx4 s[24:27], s[6:7], 0x24
	s_load_dwordx8 s[8:15], s[2:3], 0x0
	s_add_u32 s6, s6, 48
	s_addc_u32 s7, s7, 0
	s_waitcnt lgkmcnt(0)
	v_mul_hi_u32 v6, s17, v4
	s_add_i32 s30, s30, 4
	s_add_u32 s2, s2, 32
	s_addc_u32 s3, s3, 0
	v_add_u32_e32 v6, v4, v6
	v_lshrrev_b32_e32 v6, s18, v6
	v_mul_lo_u32 v7, v6, s16
	v_mul_hi_u32 v8, s20, v6
	s_cmp_lg_u32 s28, s30
	v_sub_u32_e32 v4, v4, v7
	v_add_u32_e32 v7, v6, v8
	v_mul_lo_u32 v8, v4, s8
	v_mul_lo_u32 v9, v4, s9
	v_lshrrev_b32_e32 v4, s21, v7
	v_mul_lo_u32 v7, v4, s19
	v_mul_hi_u32 v10, s23, v4
	v_sub_u32_e32 v6, v6, v7
	v_add_u32_e32 v7, v4, v10
	v_lshrrev_b32_e32 v7, s24, v7
	v_mul_hi_u32 v11, s26, v7
	v_mul_lo_u32 v12, v7, s22
	v_mul_lo_u32 v10, v6, s10
	;; [unrolled: 1-line block ×3, first 2 shown]
	v_sub_u32_e32 v12, v4, v12
	v_add_u32_e32 v4, v7, v11
	v_lshrrev_b32_e32 v4, s27, v4
	v_mul_lo_u32 v11, v4, s25
	v_mul_lo_u32 v13, v12, s12
	;; [unrolled: 1-line block ×3, first 2 shown]
	v_add3_u32 v3, v8, v3, v10
	v_sub_u32_e32 v7, v7, v11
	v_mul_lo_u32 v11, v7, s14
	v_mul_lo_u32 v7, v7, s15
	v_add3_u32 v5, v9, v5, v6
	v_add3_u32 v3, v13, v3, v11
	;; [unrolled: 1-line block ×3, first 2 shown]
	s_cbranch_scc1 .LBB221_34
; %bb.35:
	s_and_b32 s8, s29, 3
	s_cmp_eq_u32 s8, 0
	s_cbranch_scc0 .LBB221_39
	s_branch .LBB221_41
.LBB221_36:
                                        ; implicit-def: $vgpr3
                                        ; implicit-def: $vgpr5
	s_branch .LBB221_42
.LBB221_37:
	v_mov_b32_e32 v3, 0
	v_mov_b32_e32 v5, 0
	s_branch .LBB221_41
.LBB221_38:
	v_mov_b32_e32 v3, 0
	v_mov_b32_e32 v5, 0
	;; [unrolled: 1-line block ×3, first 2 shown]
	s_and_b32 s8, s29, 3
	s_cmp_eq_u32 s8, 0
	s_cbranch_scc1 .LBB221_41
.LBB221_39:
	s_lshl_b32 s2, s28, 3
	s_add_u32 s2, s34, s2
	s_addc_u32 s3, s35, 0
	s_add_u32 s2, s2, 0xc4
	s_addc_u32 s3, s3, 0
	s_mul_i32 s6, s28, 12
	s_add_u32 s6, s34, s6
	s_addc_u32 s7, s35, 0
.LBB221_40:                             ; =>This Inner Loop Header: Depth=1
	s_load_dwordx2 s[10:11], s[6:7], 0x4
	s_load_dword s9, s[6:7], 0xc
	s_load_dwordx2 s[12:13], s[2:3], 0x0
	s_add_u32 s6, s6, 12
	s_addc_u32 s7, s7, 0
	s_waitcnt lgkmcnt(0)
	v_mul_hi_u32 v7, s11, v4
	s_add_u32 s2, s2, 8
	s_addc_u32 s3, s3, 0
	s_add_i32 s8, s8, -1
	v_add_u32_e32 v7, v4, v7
	v_lshrrev_b32_e32 v7, s9, v7
	v_mul_lo_u32 v8, v7, s10
	s_cmp_lg_u32 s8, 0
	v_sub_u32_e32 v8, v4, v8
	v_mad_u64_u32 v[3:4], s[10:11], v8, s12, v[3:4]
	v_mad_u64_u32 v[5:6], s[10:11], v8, s13, v[5:6]
	v_mov_b32_e32 v4, v7
	s_cbranch_scc1 .LBB221_40
.LBB221_41:
	s_cbranch_execnz .LBB221_44
.LBB221_42:
	s_load_dwordx4 s[8:11], s[34:35], 0x4
	s_load_dwordx2 s[2:3], s[34:35], 0xc4
	s_cmp_lt_u32 s33, 2
	s_waitcnt lgkmcnt(0)
	v_mul_hi_u32 v3, s9, v1
	v_add_u32_e32 v3, v1, v3
	v_lshrrev_b32_e32 v4, s10, v3
	v_mul_lo_u32 v3, v4, s8
	v_sub_u32_e32 v1, v1, v3
	v_mul_lo_u32 v3, v1, s2
	v_mul_lo_u32 v5, v1, s3
	s_cbranch_scc1 .LBB221_44
; %bb.43:
	s_load_dwordx4 s[8:11], s[34:35], 0x10
	s_load_dwordx2 s[2:3], s[34:35], 0xcc
	s_waitcnt lgkmcnt(0)
	v_mul_hi_u32 v1, s9, v4
	v_add_u32_e32 v1, v4, v1
	v_lshrrev_b32_e32 v1, s10, v1
	v_mul_lo_u32 v1, v1, s8
	v_sub_u32_e32 v1, v4, v1
	v_mad_u64_u32 v[3:4], s[6:7], v1, s2, v[3:4]
	v_mad_u64_u32 v[5:6], s[2:3], v1, s3, v[5:6]
.LBB221_44:
	s_and_b64 vcc, exec, s[0:1]
	v_add_u32_e32 v1, 0x100, v19
	s_cbranch_vccnz .LBB221_50
; %bb.45:
	s_cmp_lg_u32 s33, 0
	s_mov_b32 s28, 0
	s_cbranch_scc0 .LBB221_51
; %bb.46:
	s_min_u32 s29, s56, 15
	s_add_i32 s29, s29, 1
	s_cmp_eq_u32 s56, 2
	s_cbranch_scc1 .LBB221_52
; %bb.47:
	s_and_b32 s28, s29, 28
	s_add_u32 s2, s34, 0xc4
	s_addc_u32 s3, s35, 0
	v_mov_b32_e32 v8, 0
	s_mov_b32 s30, 0
	s_mov_b64 s[6:7], s[34:35]
	v_mov_b32_e32 v6, 0
	v_mov_b32_e32 v4, v1
.LBB221_48:                             ; =>This Inner Loop Header: Depth=1
	s_load_dwordx8 s[16:23], s[6:7], 0x4
	s_load_dwordx4 s[24:27], s[6:7], 0x24
	s_load_dwordx8 s[8:15], s[2:3], 0x0
	s_add_u32 s6, s6, 48
	s_addc_u32 s7, s7, 0
	s_waitcnt lgkmcnt(0)
	v_mul_hi_u32 v7, s17, v4
	s_add_i32 s30, s30, 4
	s_add_u32 s2, s2, 32
	s_addc_u32 s3, s3, 0
	v_add_u32_e32 v7, v4, v7
	v_lshrrev_b32_e32 v7, s18, v7
	v_mul_lo_u32 v9, v7, s16
	v_mul_hi_u32 v10, s20, v7
	s_cmp_lg_u32 s28, s30
	v_sub_u32_e32 v4, v4, v9
	v_add_u32_e32 v9, v7, v10
	v_mul_lo_u32 v10, v4, s8
	v_mul_lo_u32 v11, v4, s9
	v_lshrrev_b32_e32 v4, s21, v9
	v_mul_lo_u32 v9, v4, s19
	v_mul_hi_u32 v12, s23, v4
	v_sub_u32_e32 v7, v7, v9
	v_add_u32_e32 v9, v4, v12
	v_lshrrev_b32_e32 v9, s24, v9
	v_mul_hi_u32 v13, s26, v9
	v_mul_lo_u32 v14, v9, s22
	v_mul_lo_u32 v12, v7, s10
	;; [unrolled: 1-line block ×3, first 2 shown]
	v_sub_u32_e32 v14, v4, v14
	v_add_u32_e32 v4, v9, v13
	v_lshrrev_b32_e32 v4, s27, v4
	v_mul_lo_u32 v13, v4, s25
	v_mul_lo_u32 v15, v14, s12
	;; [unrolled: 1-line block ×3, first 2 shown]
	v_add3_u32 v6, v10, v6, v12
	v_sub_u32_e32 v9, v9, v13
	v_mul_lo_u32 v13, v9, s14
	v_mul_lo_u32 v9, v9, s15
	v_add3_u32 v7, v11, v8, v7
	v_add3_u32 v6, v15, v6, v13
	;; [unrolled: 1-line block ×3, first 2 shown]
	s_cbranch_scc1 .LBB221_48
; %bb.49:
	s_and_b32 s8, s29, 3
	s_cmp_eq_u32 s8, 0
	s_cbranch_scc0 .LBB221_53
	s_branch .LBB221_55
.LBB221_50:
                                        ; implicit-def: $vgpr6
                                        ; implicit-def: $vgpr8
	s_branch .LBB221_56
.LBB221_51:
	v_mov_b32_e32 v6, 0
	v_mov_b32_e32 v8, 0
	s_branch .LBB221_55
.LBB221_52:
	v_mov_b32_e32 v6, 0
	v_mov_b32_e32 v8, 0
	;; [unrolled: 1-line block ×3, first 2 shown]
	s_and_b32 s8, s29, 3
	s_cmp_eq_u32 s8, 0
	s_cbranch_scc1 .LBB221_55
.LBB221_53:
	s_lshl_b32 s2, s28, 3
	s_add_u32 s2, s34, s2
	s_addc_u32 s3, s35, 0
	s_add_u32 s2, s2, 0xc4
	s_addc_u32 s3, s3, 0
	s_mul_i32 s6, s28, 12
	s_add_u32 s6, s34, s6
	s_addc_u32 s7, s35, 0
.LBB221_54:                             ; =>This Inner Loop Header: Depth=1
	s_load_dwordx2 s[10:11], s[6:7], 0x4
	s_load_dword s9, s[6:7], 0xc
	s_load_dwordx2 s[12:13], s[2:3], 0x0
	s_add_u32 s6, s6, 12
	s_addc_u32 s7, s7, 0
	s_waitcnt lgkmcnt(0)
	v_mul_hi_u32 v7, s11, v4
	s_add_u32 s2, s2, 8
	s_addc_u32 s3, s3, 0
	s_add_i32 s8, s8, -1
	v_add_u32_e32 v7, v4, v7
	v_lshrrev_b32_e32 v10, s9, v7
	v_mul_lo_u32 v7, v10, s10
	s_cmp_lg_u32 s8, 0
	v_sub_u32_e32 v4, v4, v7
	v_mad_u64_u32 v[6:7], s[10:11], v4, s12, v[6:7]
	v_mad_u64_u32 v[8:9], s[10:11], v4, s13, v[8:9]
	v_mov_b32_e32 v4, v10
	s_cbranch_scc1 .LBB221_54
.LBB221_55:
	s_cbranch_execnz .LBB221_58
.LBB221_56:
	s_load_dwordx4 s[8:11], s[34:35], 0x4
	s_load_dwordx2 s[2:3], s[34:35], 0xc4
	s_cmp_lt_u32 s33, 2
	s_waitcnt lgkmcnt(0)
	v_mul_hi_u32 v4, s9, v1
	v_add_u32_e32 v4, v1, v4
	v_lshrrev_b32_e32 v4, s10, v4
	v_mul_lo_u32 v6, v4, s8
	v_sub_u32_e32 v1, v1, v6
	v_mul_lo_u32 v6, v1, s2
	v_mul_lo_u32 v8, v1, s3
	s_cbranch_scc1 .LBB221_58
; %bb.57:
	s_load_dwordx4 s[8:11], s[34:35], 0x10
	s_load_dwordx2 s[2:3], s[34:35], 0xcc
	s_waitcnt lgkmcnt(0)
	v_mul_hi_u32 v1, s9, v4
	v_add_u32_e32 v1, v4, v1
	v_lshrrev_b32_e32 v1, s10, v1
	v_mul_lo_u32 v1, v1, s8
	v_sub_u32_e32 v1, v4, v1
	v_mad_u64_u32 v[6:7], s[6:7], v1, s2, v[6:7]
	v_mad_u64_u32 v[8:9], s[2:3], v1, s3, v[8:9]
.LBB221_58:
	s_and_b64 vcc, exec, s[0:1]
	v_add_u32_e32 v1, 0x180, v19
	s_cbranch_vccnz .LBB221_64
; %bb.59:
	s_cmp_lg_u32 s33, 0
	s_mov_b32 s28, 0
	s_cbranch_scc0 .LBB221_65
; %bb.60:
	s_min_u32 s29, s56, 15
	s_add_i32 s29, s29, 1
	s_cmp_eq_u32 s56, 2
	s_cbranch_scc1 .LBB221_66
; %bb.61:
	s_and_b32 s28, s29, 28
	s_add_u32 s2, s34, 0xc4
	s_addc_u32 s3, s35, 0
	v_mov_b32_e32 v11, 0
	s_mov_b32 s30, 0
	s_mov_b64 s[6:7], s[34:35]
	v_mov_b32_e32 v9, 0
	v_mov_b32_e32 v4, v1
.LBB221_62:                             ; =>This Inner Loop Header: Depth=1
	s_load_dwordx8 s[16:23], s[6:7], 0x4
	s_load_dwordx4 s[24:27], s[6:7], 0x24
	s_load_dwordx8 s[8:15], s[2:3], 0x0
	s_add_u32 s6, s6, 48
	s_addc_u32 s7, s7, 0
	s_waitcnt lgkmcnt(0)
	v_mul_hi_u32 v7, s17, v4
	s_add_i32 s30, s30, 4
	s_add_u32 s2, s2, 32
	s_addc_u32 s3, s3, 0
	v_add_u32_e32 v7, v4, v7
	v_lshrrev_b32_e32 v7, s18, v7
	v_mul_lo_u32 v10, v7, s16
	v_mul_hi_u32 v12, s20, v7
	s_cmp_lg_u32 s28, s30
	v_sub_u32_e32 v4, v4, v10
	v_add_u32_e32 v10, v7, v12
	v_mul_lo_u32 v12, v4, s8
	v_mul_lo_u32 v13, v4, s9
	v_lshrrev_b32_e32 v4, s21, v10
	v_mul_lo_u32 v10, v4, s19
	v_mul_hi_u32 v14, s23, v4
	v_sub_u32_e32 v7, v7, v10
	v_add_u32_e32 v10, v4, v14
	v_lshrrev_b32_e32 v10, s24, v10
	v_mul_hi_u32 v15, s26, v10
	v_mul_lo_u32 v16, v10, s22
	v_mul_lo_u32 v14, v7, s10
	;; [unrolled: 1-line block ×3, first 2 shown]
	v_sub_u32_e32 v16, v4, v16
	v_add_u32_e32 v4, v10, v15
	v_lshrrev_b32_e32 v4, s27, v4
	v_mul_lo_u32 v15, v4, s25
	v_mul_lo_u32 v17, v16, s12
	;; [unrolled: 1-line block ×3, first 2 shown]
	v_add3_u32 v9, v12, v9, v14
	v_sub_u32_e32 v10, v10, v15
	v_mul_lo_u32 v15, v10, s14
	v_mul_lo_u32 v10, v10, s15
	v_add3_u32 v7, v13, v11, v7
	v_add3_u32 v9, v17, v9, v15
	;; [unrolled: 1-line block ×3, first 2 shown]
	s_cbranch_scc1 .LBB221_62
; %bb.63:
	s_and_b32 s8, s29, 3
	s_cmp_eq_u32 s8, 0
	s_cbranch_scc0 .LBB221_67
	s_branch .LBB221_69
.LBB221_64:
                                        ; implicit-def: $vgpr9
                                        ; implicit-def: $vgpr11
	s_branch .LBB221_70
.LBB221_65:
	v_mov_b32_e32 v9, 0
	v_mov_b32_e32 v11, 0
	s_branch .LBB221_69
.LBB221_66:
	v_mov_b32_e32 v9, 0
	v_mov_b32_e32 v11, 0
	;; [unrolled: 1-line block ×3, first 2 shown]
	s_and_b32 s8, s29, 3
	s_cmp_eq_u32 s8, 0
	s_cbranch_scc1 .LBB221_69
.LBB221_67:
	s_lshl_b32 s2, s28, 3
	s_add_u32 s2, s34, s2
	s_addc_u32 s3, s35, 0
	s_add_u32 s2, s2, 0xc4
	s_addc_u32 s3, s3, 0
	s_mul_i32 s6, s28, 12
	s_add_u32 s6, s34, s6
	s_addc_u32 s7, s35, 0
.LBB221_68:                             ; =>This Inner Loop Header: Depth=1
	s_load_dwordx2 s[10:11], s[6:7], 0x4
	s_load_dword s9, s[6:7], 0xc
	s_load_dwordx2 s[12:13], s[2:3], 0x0
	s_add_u32 s6, s6, 12
	s_addc_u32 s7, s7, 0
	s_waitcnt lgkmcnt(0)
	v_mul_hi_u32 v7, s11, v4
	s_add_u32 s2, s2, 8
	s_addc_u32 s3, s3, 0
	s_add_i32 s8, s8, -1
	v_add_u32_e32 v7, v4, v7
	v_lshrrev_b32_e32 v7, s9, v7
	v_mul_lo_u32 v10, v7, s10
	s_cmp_lg_u32 s8, 0
	v_sub_u32_e32 v4, v4, v10
	v_mad_u64_u32 v[9:10], s[10:11], v4, s12, v[9:10]
	v_mad_u64_u32 v[11:12], s[10:11], v4, s13, v[11:12]
	v_mov_b32_e32 v4, v7
	s_cbranch_scc1 .LBB221_68
.LBB221_69:
	s_cbranch_execnz .LBB221_72
.LBB221_70:
	s_load_dwordx4 s[8:11], s[34:35], 0x4
	s_load_dwordx2 s[2:3], s[34:35], 0xc4
	s_cmp_lt_u32 s33, 2
	s_waitcnt lgkmcnt(0)
	v_mul_hi_u32 v4, s9, v1
	v_add_u32_e32 v4, v1, v4
	v_lshrrev_b32_e32 v4, s10, v4
	v_mul_lo_u32 v7, v4, s8
	v_sub_u32_e32 v1, v1, v7
	v_mul_lo_u32 v9, v1, s2
	v_mul_lo_u32 v11, v1, s3
	s_cbranch_scc1 .LBB221_72
; %bb.71:
	s_load_dwordx4 s[8:11], s[34:35], 0x10
	s_load_dwordx2 s[2:3], s[34:35], 0xcc
	s_waitcnt lgkmcnt(0)
	v_mul_hi_u32 v1, s9, v4
	v_add_u32_e32 v1, v4, v1
	v_lshrrev_b32_e32 v1, s10, v1
	v_mul_lo_u32 v1, v1, s8
	v_sub_u32_e32 v1, v4, v1
	v_mad_u64_u32 v[9:10], s[6:7], v1, s2, v[9:10]
	v_mad_u64_u32 v[11:12], s[2:3], v1, s3, v[11:12]
.LBB221_72:
	s_and_b64 vcc, exec, s[0:1]
	v_add_u32_e32 v1, 0x200, v19
	s_cbranch_vccnz .LBB221_78
; %bb.73:
	s_cmp_lg_u32 s33, 0
	s_mov_b32 s28, 0
	s_cbranch_scc0 .LBB221_79
; %bb.74:
	s_min_u32 s29, s56, 15
	s_add_i32 s29, s29, 1
	s_cmp_eq_u32 s56, 2
	s_cbranch_scc1 .LBB221_80
; %bb.75:
	s_and_b32 s28, s29, 28
	s_add_u32 s2, s34, 0xc4
	s_addc_u32 s3, s35, 0
	v_mov_b32_e32 v14, 0
	s_mov_b32 s30, 0
	s_mov_b64 s[6:7], s[34:35]
	v_mov_b32_e32 v12, 0
	v_mov_b32_e32 v4, v1
.LBB221_76:                             ; =>This Inner Loop Header: Depth=1
	s_load_dwordx8 s[16:23], s[6:7], 0x4
	s_load_dwordx4 s[24:27], s[6:7], 0x24
	s_load_dwordx8 s[8:15], s[2:3], 0x0
	s_add_u32 s6, s6, 48
	s_addc_u32 s7, s7, 0
	s_waitcnt lgkmcnt(0)
	v_mul_hi_u32 v7, s17, v4
	s_add_i32 s30, s30, 4
	s_add_u32 s2, s2, 32
	s_addc_u32 s3, s3, 0
	v_add_u32_e32 v7, v4, v7
	v_lshrrev_b32_e32 v7, s18, v7
	v_mul_lo_u32 v10, v7, s16
	v_mul_hi_u32 v13, s20, v7
	s_cmp_lg_u32 s28, s30
	v_sub_u32_e32 v4, v4, v10
	v_add_u32_e32 v10, v7, v13
	v_mul_lo_u32 v13, v4, s8
	v_mul_lo_u32 v15, v4, s9
	v_lshrrev_b32_e32 v4, s21, v10
	v_mul_lo_u32 v10, v4, s19
	v_mul_hi_u32 v16, s23, v4
	v_sub_u32_e32 v7, v7, v10
	v_add_u32_e32 v10, v4, v16
	v_lshrrev_b32_e32 v10, s24, v10
	v_mul_hi_u32 v17, s26, v10
	v_mul_lo_u32 v18, v10, s22
	v_mul_lo_u32 v16, v7, s10
	;; [unrolled: 1-line block ×3, first 2 shown]
	v_sub_u32_e32 v18, v4, v18
	v_add_u32_e32 v4, v10, v17
	v_lshrrev_b32_e32 v4, s27, v4
	v_mul_lo_u32 v17, v4, s25
	v_mul_lo_u32 v20, v18, s12
	;; [unrolled: 1-line block ×3, first 2 shown]
	v_add3_u32 v12, v13, v12, v16
	v_sub_u32_e32 v10, v10, v17
	v_mul_lo_u32 v17, v10, s14
	v_mul_lo_u32 v10, v10, s15
	v_add3_u32 v7, v15, v14, v7
	v_add3_u32 v12, v20, v12, v17
	;; [unrolled: 1-line block ×3, first 2 shown]
	s_cbranch_scc1 .LBB221_76
; %bb.77:
	s_and_b32 s8, s29, 3
	s_cmp_eq_u32 s8, 0
	s_cbranch_scc0 .LBB221_81
	s_branch .LBB221_83
.LBB221_78:
                                        ; implicit-def: $vgpr12
                                        ; implicit-def: $vgpr14
	s_branch .LBB221_84
.LBB221_79:
	v_mov_b32_e32 v12, 0
	v_mov_b32_e32 v14, 0
	s_branch .LBB221_83
.LBB221_80:
	v_mov_b32_e32 v12, 0
	v_mov_b32_e32 v14, 0
	;; [unrolled: 1-line block ×3, first 2 shown]
	s_and_b32 s8, s29, 3
	s_cmp_eq_u32 s8, 0
	s_cbranch_scc1 .LBB221_83
.LBB221_81:
	s_lshl_b32 s2, s28, 3
	s_add_u32 s2, s34, s2
	s_addc_u32 s3, s35, 0
	s_add_u32 s2, s2, 0xc4
	s_addc_u32 s3, s3, 0
	s_mul_i32 s6, s28, 12
	s_add_u32 s6, s34, s6
	s_addc_u32 s7, s35, 0
.LBB221_82:                             ; =>This Inner Loop Header: Depth=1
	s_load_dwordx2 s[10:11], s[6:7], 0x4
	s_load_dword s9, s[6:7], 0xc
	s_load_dwordx2 s[12:13], s[2:3], 0x0
	s_add_u32 s6, s6, 12
	s_addc_u32 s7, s7, 0
	s_waitcnt lgkmcnt(0)
	v_mul_hi_u32 v7, s11, v4
	s_add_u32 s2, s2, 8
	s_addc_u32 s3, s3, 0
	s_add_i32 s8, s8, -1
	v_add_u32_e32 v7, v4, v7
	v_lshrrev_b32_e32 v7, s9, v7
	v_mul_lo_u32 v10, v7, s10
	s_cmp_lg_u32 s8, 0
	v_sub_u32_e32 v4, v4, v10
	v_mad_u64_u32 v[12:13], s[10:11], v4, s12, v[12:13]
	v_mad_u64_u32 v[14:15], s[10:11], v4, s13, v[14:15]
	v_mov_b32_e32 v4, v7
	s_cbranch_scc1 .LBB221_82
.LBB221_83:
	s_cbranch_execnz .LBB221_86
.LBB221_84:
	s_load_dwordx4 s[8:11], s[34:35], 0x4
	s_load_dwordx2 s[2:3], s[34:35], 0xc4
	s_cmp_lt_u32 s33, 2
	s_waitcnt lgkmcnt(0)
	v_mul_hi_u32 v4, s9, v1
	v_add_u32_e32 v4, v1, v4
	v_lshrrev_b32_e32 v4, s10, v4
	v_mul_lo_u32 v7, v4, s8
	v_sub_u32_e32 v1, v1, v7
	v_mul_lo_u32 v12, v1, s2
	v_mul_lo_u32 v14, v1, s3
	s_cbranch_scc1 .LBB221_86
; %bb.85:
	s_load_dwordx4 s[8:11], s[34:35], 0x10
	s_load_dwordx2 s[2:3], s[34:35], 0xcc
	s_waitcnt lgkmcnt(0)
	v_mul_hi_u32 v1, s9, v4
	v_add_u32_e32 v1, v4, v1
	v_lshrrev_b32_e32 v1, s10, v1
	v_mul_lo_u32 v1, v1, s8
	v_sub_u32_e32 v1, v4, v1
	v_mad_u64_u32 v[12:13], s[6:7], v1, s2, v[12:13]
	v_mad_u64_u32 v[14:15], s[2:3], v1, s3, v[14:15]
.LBB221_86:
	s_and_b64 vcc, exec, s[0:1]
	v_add_u32_e32 v1, 0x280, v19
	s_cbranch_vccnz .LBB221_92
; %bb.87:
	s_cmp_lg_u32 s33, 0
	s_mov_b32 s28, 0
	s_cbranch_scc0 .LBB221_93
; %bb.88:
	s_min_u32 s29, s56, 15
	s_add_i32 s29, s29, 1
	s_cmp_eq_u32 s56, 2
	s_cbranch_scc1 .LBB221_94
; %bb.89:
	s_and_b32 s28, s29, 28
	s_add_u32 s2, s34, 0xc4
	s_addc_u32 s3, s35, 0
	v_mov_b32_e32 v17, 0
	s_mov_b32 s30, 0
	s_mov_b64 s[6:7], s[34:35]
	v_mov_b32_e32 v15, 0
	v_mov_b32_e32 v4, v1
.LBB221_90:                             ; =>This Inner Loop Header: Depth=1
	s_load_dwordx8 s[16:23], s[6:7], 0x4
	s_load_dwordx4 s[24:27], s[6:7], 0x24
	s_load_dwordx8 s[8:15], s[2:3], 0x0
	s_add_u32 s6, s6, 48
	s_addc_u32 s7, s7, 0
	s_waitcnt lgkmcnt(0)
	v_mul_hi_u32 v7, s17, v4
	s_add_i32 s30, s30, 4
	s_add_u32 s2, s2, 32
	s_addc_u32 s3, s3, 0
	v_add_u32_e32 v7, v4, v7
	v_lshrrev_b32_e32 v7, s18, v7
	v_mul_lo_u32 v10, v7, s16
	v_mul_hi_u32 v13, s20, v7
	s_cmp_lg_u32 s28, s30
	v_sub_u32_e32 v4, v4, v10
	v_add_u32_e32 v10, v7, v13
	v_mul_lo_u32 v13, v4, s8
	v_mul_lo_u32 v16, v4, s9
	v_lshrrev_b32_e32 v4, s21, v10
	v_mul_lo_u32 v10, v4, s19
	v_mul_hi_u32 v18, s23, v4
	v_sub_u32_e32 v7, v7, v10
	v_add_u32_e32 v10, v4, v18
	v_lshrrev_b32_e32 v10, s24, v10
	v_mul_hi_u32 v20, s26, v10
	v_mul_lo_u32 v21, v10, s22
	v_mul_lo_u32 v18, v7, s10
	;; [unrolled: 1-line block ×3, first 2 shown]
	v_sub_u32_e32 v21, v4, v21
	v_add_u32_e32 v4, v10, v20
	v_lshrrev_b32_e32 v4, s27, v4
	v_mul_lo_u32 v20, v4, s25
	v_mul_lo_u32 v22, v21, s12
	;; [unrolled: 1-line block ×3, first 2 shown]
	v_add3_u32 v13, v13, v15, v18
	v_sub_u32_e32 v10, v10, v20
	v_mul_lo_u32 v20, v10, s14
	v_mul_lo_u32 v10, v10, s15
	v_add3_u32 v7, v16, v17, v7
	v_add3_u32 v15, v22, v13, v20
	v_add3_u32 v17, v21, v7, v10
	s_cbranch_scc1 .LBB221_90
; %bb.91:
	s_and_b32 s8, s29, 3
	s_cmp_eq_u32 s8, 0
	s_cbranch_scc0 .LBB221_95
	s_branch .LBB221_97
.LBB221_92:
                                        ; implicit-def: $vgpr15
                                        ; implicit-def: $vgpr17
	s_branch .LBB221_98
.LBB221_93:
	v_mov_b32_e32 v15, 0
	v_mov_b32_e32 v17, 0
	s_branch .LBB221_97
.LBB221_94:
	v_mov_b32_e32 v15, 0
	v_mov_b32_e32 v17, 0
	;; [unrolled: 1-line block ×3, first 2 shown]
	s_and_b32 s8, s29, 3
	s_cmp_eq_u32 s8, 0
	s_cbranch_scc1 .LBB221_97
.LBB221_95:
	s_lshl_b32 s2, s28, 3
	s_add_u32 s2, s34, s2
	s_addc_u32 s3, s35, 0
	s_add_u32 s2, s2, 0xc4
	s_addc_u32 s3, s3, 0
	s_mul_i32 s6, s28, 12
	s_add_u32 s6, s34, s6
	s_addc_u32 s7, s35, 0
.LBB221_96:                             ; =>This Inner Loop Header: Depth=1
	s_load_dwordx2 s[10:11], s[6:7], 0x4
	s_load_dword s9, s[6:7], 0xc
	s_load_dwordx2 s[12:13], s[2:3], 0x0
	s_add_u32 s6, s6, 12
	s_addc_u32 s7, s7, 0
	s_waitcnt lgkmcnt(0)
	v_mul_hi_u32 v7, s11, v4
	s_add_u32 s2, s2, 8
	s_addc_u32 s3, s3, 0
	s_add_i32 s8, s8, -1
	v_add_u32_e32 v7, v4, v7
	v_lshrrev_b32_e32 v7, s9, v7
	v_mul_lo_u32 v10, v7, s10
	s_cmp_lg_u32 s8, 0
	v_sub_u32_e32 v4, v4, v10
	v_mad_u64_u32 v[15:16], s[10:11], v4, s12, v[15:16]
	v_mad_u64_u32 v[17:18], s[10:11], v4, s13, v[17:18]
	v_mov_b32_e32 v4, v7
	s_cbranch_scc1 .LBB221_96
.LBB221_97:
	s_cbranch_execnz .LBB221_100
.LBB221_98:
	s_load_dwordx4 s[8:11], s[34:35], 0x4
	s_load_dwordx2 s[2:3], s[34:35], 0xc4
	s_cmp_lt_u32 s33, 2
	s_waitcnt lgkmcnt(0)
	v_mul_hi_u32 v4, s9, v1
	v_add_u32_e32 v4, v1, v4
	v_lshrrev_b32_e32 v4, s10, v4
	v_mul_lo_u32 v7, v4, s8
	v_sub_u32_e32 v1, v1, v7
	v_mul_lo_u32 v15, v1, s2
	v_mul_lo_u32 v17, v1, s3
	s_cbranch_scc1 .LBB221_100
; %bb.99:
	s_load_dwordx4 s[8:11], s[34:35], 0x10
	s_load_dwordx2 s[2:3], s[34:35], 0xcc
	s_waitcnt lgkmcnt(0)
	v_mul_hi_u32 v1, s9, v4
	v_add_u32_e32 v1, v4, v1
	v_lshrrev_b32_e32 v1, s10, v1
	v_mul_lo_u32 v1, v1, s8
	v_sub_u32_e32 v1, v4, v1
	v_mad_u64_u32 v[15:16], s[6:7], v1, s2, v[15:16]
	v_mad_u64_u32 v[17:18], s[2:3], v1, s3, v[17:18]
.LBB221_100:
	s_and_b64 vcc, exec, s[0:1]
	v_add_u32_e32 v1, 0x300, v19
	s_cbranch_vccnz .LBB221_106
; %bb.101:
	s_cmp_lg_u32 s33, 0
	s_mov_b32 s28, 0
	s_cbranch_scc0 .LBB221_107
; %bb.102:
	s_min_u32 s29, s56, 15
	s_add_i32 s29, s29, 1
	s_cmp_eq_u32 s56, 2
	s_cbranch_scc1 .LBB221_108
; %bb.103:
	s_and_b32 s28, s29, 28
	s_add_u32 s2, s34, 0xc4
	s_addc_u32 s3, s35, 0
	v_mov_b32_e32 v20, 0
	s_mov_b32 s30, 0
	s_mov_b64 s[6:7], s[34:35]
	v_mov_b32_e32 v18, 0
	v_mov_b32_e32 v4, v1
.LBB221_104:                            ; =>This Inner Loop Header: Depth=1
	s_load_dwordx8 s[16:23], s[6:7], 0x4
	s_load_dwordx4 s[24:27], s[6:7], 0x24
	s_load_dwordx8 s[8:15], s[2:3], 0x0
	s_add_u32 s6, s6, 48
	s_addc_u32 s7, s7, 0
	s_waitcnt lgkmcnt(0)
	v_mul_hi_u32 v7, s17, v4
	s_add_i32 s30, s30, 4
	s_add_u32 s2, s2, 32
	s_addc_u32 s3, s3, 0
	v_add_u32_e32 v7, v4, v7
	v_lshrrev_b32_e32 v7, s18, v7
	v_mul_lo_u32 v10, v7, s16
	v_mul_hi_u32 v13, s20, v7
	s_cmp_lg_u32 s28, s30
	v_sub_u32_e32 v4, v4, v10
	v_add_u32_e32 v10, v7, v13
	v_mul_lo_u32 v13, v4, s8
	v_mul_lo_u32 v16, v4, s9
	v_lshrrev_b32_e32 v4, s21, v10
	v_mul_lo_u32 v10, v4, s19
	v_mul_hi_u32 v19, s23, v4
	v_sub_u32_e32 v7, v7, v10
	v_add_u32_e32 v10, v4, v19
	v_lshrrev_b32_e32 v10, s24, v10
	v_mul_hi_u32 v21, s26, v10
	v_mul_lo_u32 v22, v10, s22
	v_mul_lo_u32 v19, v7, s10
	;; [unrolled: 1-line block ×3, first 2 shown]
	v_sub_u32_e32 v22, v4, v22
	v_add_u32_e32 v4, v10, v21
	v_lshrrev_b32_e32 v4, s27, v4
	v_mul_lo_u32 v21, v4, s25
	v_mul_lo_u32 v23, v22, s12
	;; [unrolled: 1-line block ×3, first 2 shown]
	v_add3_u32 v13, v13, v18, v19
	v_sub_u32_e32 v10, v10, v21
	v_mul_lo_u32 v21, v10, s14
	v_mul_lo_u32 v10, v10, s15
	v_add3_u32 v7, v16, v20, v7
	v_add3_u32 v18, v23, v13, v21
	v_add3_u32 v20, v22, v7, v10
	s_cbranch_scc1 .LBB221_104
; %bb.105:
	s_and_b32 s8, s29, 3
	s_cmp_eq_u32 s8, 0
	s_cbranch_scc0 .LBB221_109
	s_branch .LBB221_111
.LBB221_106:
                                        ; implicit-def: $vgpr18
                                        ; implicit-def: $vgpr20
	s_branch .LBB221_112
.LBB221_107:
	v_mov_b32_e32 v18, 0
	v_mov_b32_e32 v20, 0
	s_branch .LBB221_111
.LBB221_108:
	v_mov_b32_e32 v18, 0
	v_mov_b32_e32 v20, 0
	;; [unrolled: 1-line block ×3, first 2 shown]
	s_and_b32 s8, s29, 3
	s_cmp_eq_u32 s8, 0
	s_cbranch_scc1 .LBB221_111
.LBB221_109:
	s_lshl_b32 s2, s28, 3
	s_add_u32 s2, s34, s2
	s_addc_u32 s3, s35, 0
	s_add_u32 s2, s2, 0xc4
	s_addc_u32 s3, s3, 0
	s_mul_i32 s6, s28, 12
	s_add_u32 s6, s34, s6
	s_addc_u32 s7, s35, 0
.LBB221_110:                            ; =>This Inner Loop Header: Depth=1
	s_load_dwordx2 s[10:11], s[6:7], 0x4
	s_load_dword s9, s[6:7], 0xc
	s_load_dwordx2 s[12:13], s[2:3], 0x0
	s_add_u32 s6, s6, 12
	s_addc_u32 s7, s7, 0
	s_waitcnt lgkmcnt(0)
	v_mul_hi_u32 v7, s11, v4
	s_add_u32 s2, s2, 8
	s_addc_u32 s3, s3, 0
	s_add_i32 s8, s8, -1
	v_add_u32_e32 v7, v4, v7
	v_lshrrev_b32_e32 v7, s9, v7
	v_mul_lo_u32 v10, v7, s10
	s_cmp_lg_u32 s8, 0
	v_sub_u32_e32 v4, v4, v10
	v_mad_u64_u32 v[18:19], s[10:11], v4, s12, v[18:19]
	v_mad_u64_u32 v[20:21], s[10:11], v4, s13, v[20:21]
	v_mov_b32_e32 v4, v7
	s_cbranch_scc1 .LBB221_110
.LBB221_111:
	s_cbranch_execnz .LBB221_114
.LBB221_112:
	s_load_dwordx4 s[8:11], s[34:35], 0x4
	s_load_dwordx2 s[2:3], s[34:35], 0xc4
	s_cmp_lt_u32 s33, 2
	s_waitcnt lgkmcnt(0)
	v_mul_hi_u32 v4, s9, v1
	v_add_u32_e32 v4, v1, v4
	v_lshrrev_b32_e32 v4, s10, v4
	v_mul_lo_u32 v7, v4, s8
	v_sub_u32_e32 v1, v1, v7
	v_mul_lo_u32 v18, v1, s2
	v_mul_lo_u32 v20, v1, s3
	s_cbranch_scc1 .LBB221_114
; %bb.113:
	s_load_dwordx4 s[8:11], s[34:35], 0x10
	s_load_dwordx2 s[2:3], s[34:35], 0xcc
	s_waitcnt lgkmcnt(0)
	v_mul_hi_u32 v1, s9, v4
	v_add_u32_e32 v1, v4, v1
	v_lshrrev_b32_e32 v1, s10, v1
	v_mul_lo_u32 v1, v1, s8
	v_sub_u32_e32 v1, v4, v1
	v_mad_u64_u32 v[18:19], s[6:7], v1, s2, v[18:19]
	v_mad_u64_u32 v[20:21], s[2:3], v1, s3, v[20:21]
.LBB221_114:
	s_and_b64 vcc, exec, s[0:1]
	s_cbranch_vccnz .LBB221_120
; %bb.115:
	s_cmp_lg_u32 s33, 0
	s_mov_b32 s26, 0
	s_cbranch_scc0 .LBB221_121
; %bb.116:
	s_min_u32 s27, s56, 15
	s_add_i32 s27, s27, 1
	s_cmp_eq_u32 s56, 2
	s_cbranch_scc1 .LBB221_122
; %bb.117:
	s_and_b32 s26, s27, 28
	s_add_u32 s6, s34, 0xc4
	s_addc_u32 s7, s35, 0
	v_mov_b32_e32 v23, 0
	s_mov_b32 s28, 0
	s_mov_b64 s[24:25], s[34:35]
	v_mov_b32_e32 v21, 0
	v_mov_b32_e32 v1, v25
.LBB221_118:                            ; =>This Inner Loop Header: Depth=1
	s_load_dwordx8 s[16:23], s[24:25], 0x4
	s_load_dwordx4 s[0:3], s[24:25], 0x24
	s_load_dwordx8 s[8:15], s[6:7], 0x0
	s_add_u32 s24, s24, 48
	s_addc_u32 s25, s25, 0
	s_waitcnt lgkmcnt(0)
	v_mul_hi_u32 v4, s17, v1
	s_add_i32 s28, s28, 4
	s_add_u32 s6, s6, 32
	s_addc_u32 s7, s7, 0
	v_add_u32_e32 v4, v1, v4
	v_lshrrev_b32_e32 v4, s18, v4
	v_mul_lo_u32 v7, v4, s16
	v_mul_hi_u32 v10, s20, v4
	s_cmp_lg_u32 s26, s28
	v_sub_u32_e32 v1, v1, v7
	v_add_u32_e32 v7, v4, v10
	v_mul_lo_u32 v10, v1, s8
	v_mul_lo_u32 v13, v1, s9
	v_lshrrev_b32_e32 v1, s21, v7
	v_mul_lo_u32 v7, v1, s19
	v_mul_hi_u32 v16, s23, v1
	v_sub_u32_e32 v4, v4, v7
	v_add_u32_e32 v7, v1, v16
	v_lshrrev_b32_e32 v7, s0, v7
	v_mul_hi_u32 v19, s2, v7
	v_mul_lo_u32 v22, v7, s22
	v_mul_lo_u32 v16, v4, s10
	;; [unrolled: 1-line block ×3, first 2 shown]
	v_sub_u32_e32 v22, v1, v22
	v_add_u32_e32 v1, v7, v19
	v_lshrrev_b32_e32 v1, s3, v1
	v_mul_lo_u32 v19, v1, s1
	v_mul_lo_u32 v24, v22, s12
	;; [unrolled: 1-line block ×3, first 2 shown]
	v_add3_u32 v10, v10, v21, v16
	v_sub_u32_e32 v7, v7, v19
	v_mul_lo_u32 v19, v7, s14
	v_mul_lo_u32 v7, v7, s15
	v_add3_u32 v4, v13, v23, v4
	v_add3_u32 v21, v24, v10, v19
	;; [unrolled: 1-line block ×3, first 2 shown]
	s_cbranch_scc1 .LBB221_118
; %bb.119:
	s_and_b32 s6, s27, 3
	s_cmp_eq_u32 s6, 0
	s_cbranch_scc0 .LBB221_123
	s_branch .LBB221_125
.LBB221_120:
                                        ; implicit-def: $vgpr21
                                        ; implicit-def: $vgpr23
	s_branch .LBB221_126
.LBB221_121:
	v_mov_b32_e32 v21, 0
	v_mov_b32_e32 v23, 0
	s_branch .LBB221_125
.LBB221_122:
	v_mov_b32_e32 v21, 0
	v_mov_b32_e32 v23, 0
	;; [unrolled: 1-line block ×3, first 2 shown]
	s_and_b32 s6, s27, 3
	s_cmp_eq_u32 s6, 0
	s_cbranch_scc1 .LBB221_125
.LBB221_123:
	s_lshl_b32 s0, s26, 3
	s_add_u32 s0, s34, s0
	s_addc_u32 s1, s35, 0
	s_add_u32 s0, s0, 0xc4
	s_addc_u32 s1, s1, 0
	s_mul_i32 s2, s26, 12
	s_add_u32 s2, s34, s2
	s_addc_u32 s3, s35, 0
.LBB221_124:                            ; =>This Inner Loop Header: Depth=1
	s_load_dwordx2 s[8:9], s[2:3], 0x4
	s_load_dword s7, s[2:3], 0xc
	s_load_dwordx2 s[10:11], s[0:1], 0x0
	s_add_u32 s2, s2, 12
	s_addc_u32 s3, s3, 0
	s_waitcnt lgkmcnt(0)
	v_mul_hi_u32 v4, s9, v1
	s_add_u32 s0, s0, 8
	s_addc_u32 s1, s1, 0
	s_add_i32 s6, s6, -1
	v_add_u32_e32 v4, v1, v4
	v_lshrrev_b32_e32 v4, s7, v4
	v_mul_lo_u32 v7, v4, s8
	s_cmp_lg_u32 s6, 0
	v_sub_u32_e32 v1, v1, v7
	v_mad_u64_u32 v[21:22], s[8:9], v1, s10, v[21:22]
	v_mad_u64_u32 v[23:24], s[8:9], v1, s11, v[23:24]
	v_mov_b32_e32 v1, v4
	s_cbranch_scc1 .LBB221_124
.LBB221_125:
	s_cbranch_execnz .LBB221_128
.LBB221_126:
	s_load_dwordx4 s[0:3], s[34:35], 0x4
	s_load_dwordx2 s[6:7], s[34:35], 0xc4
	s_cmp_lt_u32 s33, 2
	s_waitcnt lgkmcnt(0)
	v_mul_hi_u32 v1, s1, v25
	v_add_u32_e32 v1, v25, v1
	v_lshrrev_b32_e32 v1, s2, v1
	v_mul_lo_u32 v4, v1, s0
	v_sub_u32_e32 v4, v25, v4
	v_mul_lo_u32 v21, v4, s6
	v_mul_lo_u32 v23, v4, s7
	s_cbranch_scc1 .LBB221_128
; %bb.127:
	s_load_dwordx4 s[0:3], s[34:35], 0x10
	s_load_dwordx2 s[6:7], s[34:35], 0xcc
	s_waitcnt lgkmcnt(0)
	v_mul_hi_u32 v4, s1, v1
	v_add_u32_e32 v4, v1, v4
	v_lshrrev_b32_e32 v4, s2, v4
	v_mul_lo_u32 v4, v4, s0
	v_sub_u32_e32 v1, v1, v4
	v_mad_u64_u32 v[21:22], s[0:1], v1, s6, v[21:22]
	v_mad_u64_u32 v[23:24], s[0:1], v1, s7, v[23:24]
.LBB221_128:
	s_load_dwordx4 s[16:19], s[34:35], 0x148
	s_load_dword s0, s[4:5], 0x160
	s_waitcnt lgkmcnt(0)
	global_load_ushort v1, v5, s[18:19]
	global_load_ushort v4, v2, s[18:19]
	;; [unrolled: 1-line block ×8, first 2 shown]
	s_ashr_i32 s12, s0, 16
	s_lshr_b32 s0, s12, 15
	v_mov_b32_e32 v2, s0
	s_waitcnt vmcnt(7)
	v_ashrrev_i32_e64 v5, v1, s12
	v_cmp_lt_u32_e32 vcc, 14, v1
	s_waitcnt vmcnt(5)
	v_ashrrev_i32_e64 v1, v7, s12
	v_cmp_lt_u32_e64 s[0:1], 14, v7
	s_waitcnt vmcnt(4)
	v_ashrrev_i32_e64 v7, v10, s12
	v_cmp_lt_u32_e64 s[2:3], 14, v10
	;; [unrolled: 3-line block ×3, first 2 shown]
	s_waitcnt vmcnt(2)
	v_ashrrev_i32_e64 v10, v16, s12
	s_waitcnt vmcnt(1)
	v_ashrrev_i32_e64 v11, v19, s12
	;; [unrolled: 2-line block ×3, first 2 shown]
	v_ashrrev_i32_e64 v14, v4, s12
	v_cmp_lt_u32_e64 s[12:13], 14, v4
	v_cmp_lt_u32_e64 s[6:7], 14, v16
	;; [unrolled: 1-line block ×4, first 2 shown]
	v_cndmask_b32_e64 v4, v14, v2, s[12:13]
	v_cndmask_b32_e32 v5, v5, v2, vcc
	v_cndmask_b32_e64 v1, v1, v2, s[0:1]
	v_cndmask_b32_e64 v7, v7, v2, s[2:3]
	;; [unrolled: 1-line block ×6, first 2 shown]
	global_store_short v0, v4, s[16:17]
	global_store_short v3, v5, s[16:17]
	;; [unrolled: 1-line block ×8, first 2 shown]
	s_endpgm
.LBB221_129:
	v_mov_b32_e32 v0, 0
	v_mov_b32_e32 v2, 0
	s_branch .LBB221_135
.LBB221_130:
	v_mov_b32_e32 v0, 0
	v_mov_b32_e32 v2, 0
	s_branch .LBB221_151
.LBB221_131:
	s_mov_b32 s61, 0
	v_mov_b32_e32 v0, 0
	v_mov_b32_e32 v2, 0
	;; [unrolled: 1-line block ×3, first 2 shown]
.LBB221_132:
	s_and_b32 s12, s62, 3
	s_cmp_eq_u32 s12, 0
	s_cbranch_scc1 .LBB221_135
; %bb.133:
	s_lshl_b32 s8, s61, 3
	s_add_u32 s8, s34, s8
	s_addc_u32 s9, s35, 0
	s_add_u32 s8, s8, 0xc4
	s_addc_u32 s9, s9, 0
	s_mul_i32 s10, s61, 12
	s_add_u32 s10, s34, s10
	s_addc_u32 s11, s35, 0
.LBB221_134:                            ; =>This Inner Loop Header: Depth=1
	s_load_dwordx2 s[14:15], s[10:11], 0x4
	s_load_dword s13, s[10:11], 0xc
	s_load_dwordx2 s[16:17], s[8:9], 0x0
	s_add_u32 s10, s10, 12
	s_addc_u32 s11, s11, 0
	s_waitcnt lgkmcnt(0)
	v_mul_hi_u32 v3, s15, v1
	s_add_u32 s8, s8, 8
	s_addc_u32 s9, s9, 0
	s_add_i32 s12, s12, -1
	v_add_u32_e32 v3, v1, v3
	v_lshrrev_b32_e32 v4, s13, v3
	v_mul_lo_u32 v3, v4, s14
	s_cmp_lg_u32 s12, 0
	v_sub_u32_e32 v3, v1, v3
	v_mad_u64_u32 v[0:1], s[14:15], v3, s16, v[0:1]
	v_mad_u64_u32 v[2:3], s[14:15], v3, s17, v[2:3]
	v_mov_b32_e32 v1, v4
	s_cbranch_scc1 .LBB221_134
.LBB221_135:
	s_cbranch_execnz .LBB221_138
.LBB221_136:
	v_mul_hi_u32 v0, s25, v19
	s_andn2_b64 vcc, exec, s[44:45]
	v_add_u32_e32 v0, v19, v0
	v_lshrrev_b32_e32 v1, s26, v0
	v_mul_lo_u32 v0, v1, s24
	v_sub_u32_e32 v2, v19, v0
	v_mul_lo_u32 v0, v2, s28
	v_mul_lo_u32 v2, v2, s29
	s_cbranch_vccnz .LBB221_138
; %bb.137:
	v_mul_hi_u32 v3, s42, v1
	v_add_u32_e32 v3, v1, v3
	v_lshrrev_b32_e32 v3, s43, v3
	v_mul_lo_u32 v3, v3, s27
	v_sub_u32_e32 v3, v1, v3
	v_mad_u64_u32 v[0:1], s[8:9], v3, s30, v[0:1]
	v_mad_u64_u32 v[2:3], s[8:9], v3, s31, v[2:3]
.LBB221_138:
	global_load_ushort v1, v2, s[2:3]
	v_mov_b32_e32 v2, s58
	v_add_u32_e32 v19, 0x80, v19
	s_waitcnt vmcnt(0)
	v_ashrrev_i32_e64 v3, v1, s57
	v_cmp_lt_u32_e32 vcc, 14, v1
	v_cndmask_b32_e32 v1, v3, v2, vcc
	global_store_short v0, v1, s[0:1]
	s_or_b64 exec, exec, s[50:51]
	v_cmp_gt_i32_e32 vcc, s59, v19
	s_and_saveexec_b64 s[50:51], vcc
	s_cbranch_execnz .LBB221_15
.LBB221_139:
	s_or_b64 exec, exec, s[50:51]
	v_cmp_gt_i32_e32 vcc, s59, v19
	s_and_saveexec_b64 s[50:51], vcc
	s_cbranch_execz .LBB221_155
.LBB221_140:
	s_andn2_b64 vcc, exec, s[6:7]
	s_cbranch_vccnz .LBB221_145
; %bb.141:
	s_andn2_b64 vcc, exec, s[48:49]
	s_cbranch_vccnz .LBB221_146
; %bb.142:
	s_add_i32 s62, s60, 1
	s_cmp_eq_u32 s56, 2
	s_cbranch_scc1 .LBB221_163
; %bb.143:
	s_and_b32 s61, s62, 28
	v_mov_b32_e32 v2, 0
	s_mov_b32 s63, 0
	s_mov_b64 s[52:53], s[34:35]
	s_mov_b64 s[54:55], s[46:47]
	v_mov_b32_e32 v0, 0
	v_mov_b32_e32 v1, v19
.LBB221_144:                            ; =>This Inner Loop Header: Depth=1
	s_load_dwordx8 s[16:23], s[52:53], 0x4
	s_load_dwordx4 s[36:39], s[52:53], 0x24
	s_load_dwordx8 s[8:15], s[54:55], 0x0
	s_add_u32 s52, s52, 48
	s_addc_u32 s53, s53, 0
	s_waitcnt lgkmcnt(0)
	v_mul_hi_u32 v3, s17, v1
	s_add_i32 s63, s63, 4
	s_add_u32 s54, s54, 32
	s_addc_u32 s55, s55, 0
	v_add_u32_e32 v3, v1, v3
	v_lshrrev_b32_e32 v3, s18, v3
	v_mul_lo_u32 v4, v3, s16
	v_mul_hi_u32 v5, s20, v3
	s_cmp_eq_u32 s61, s63
	v_sub_u32_e32 v1, v1, v4
	v_add_u32_e32 v4, v3, v5
	v_mul_lo_u32 v5, v1, s8
	v_mul_lo_u32 v6, v1, s9
	v_lshrrev_b32_e32 v1, s21, v4
	v_mul_lo_u32 v4, v1, s19
	v_mul_hi_u32 v7, s23, v1
	v_sub_u32_e32 v3, v3, v4
	v_add_u32_e32 v4, v1, v7
	v_lshrrev_b32_e32 v4, s36, v4
	v_mul_hi_u32 v8, s38, v4
	v_mul_lo_u32 v9, v4, s22
	v_mul_lo_u32 v7, v3, s10
	;; [unrolled: 1-line block ×3, first 2 shown]
	v_sub_u32_e32 v9, v1, v9
	v_add_u32_e32 v1, v4, v8
	v_lshrrev_b32_e32 v1, s39, v1
	v_mul_lo_u32 v8, v1, s37
	v_mul_lo_u32 v10, v9, s12
	v_mul_lo_u32 v9, v9, s13
	v_add3_u32 v0, v5, v0, v7
	v_sub_u32_e32 v4, v4, v8
	v_mul_lo_u32 v8, v4, s14
	v_mul_lo_u32 v4, v4, s15
	v_add3_u32 v2, v6, v2, v3
	v_add3_u32 v0, v10, v0, v8
	;; [unrolled: 1-line block ×3, first 2 shown]
	s_cbranch_scc0 .LBB221_144
	s_branch .LBB221_164
.LBB221_145:
                                        ; implicit-def: $vgpr0
                                        ; implicit-def: $vgpr2
	s_branch .LBB221_168
.LBB221_146:
	v_mov_b32_e32 v0, 0
	v_mov_b32_e32 v2, 0
	s_branch .LBB221_167
.LBB221_147:
	s_mov_b32 s61, 0
	v_mov_b32_e32 v0, 0
	v_mov_b32_e32 v2, 0
	;; [unrolled: 1-line block ×3, first 2 shown]
.LBB221_148:
	s_and_b32 s12, s62, 3
	s_cmp_eq_u32 s12, 0
	s_cbranch_scc1 .LBB221_151
; %bb.149:
	s_lshl_b32 s8, s61, 3
	s_add_u32 s8, s34, s8
	s_addc_u32 s9, s35, 0
	s_add_u32 s8, s8, 0xc4
	s_addc_u32 s9, s9, 0
	s_mul_i32 s10, s61, 12
	s_add_u32 s10, s34, s10
	s_addc_u32 s11, s35, 0
.LBB221_150:                            ; =>This Inner Loop Header: Depth=1
	s_load_dwordx2 s[14:15], s[10:11], 0x4
	s_load_dword s13, s[10:11], 0xc
	s_load_dwordx2 s[16:17], s[8:9], 0x0
	s_add_u32 s10, s10, 12
	s_addc_u32 s11, s11, 0
	s_waitcnt lgkmcnt(0)
	v_mul_hi_u32 v3, s15, v1
	s_add_u32 s8, s8, 8
	s_addc_u32 s9, s9, 0
	s_add_i32 s12, s12, -1
	v_add_u32_e32 v3, v1, v3
	v_lshrrev_b32_e32 v4, s13, v3
	v_mul_lo_u32 v3, v4, s14
	s_cmp_lg_u32 s12, 0
	v_sub_u32_e32 v3, v1, v3
	v_mad_u64_u32 v[0:1], s[14:15], v3, s16, v[0:1]
	v_mad_u64_u32 v[2:3], s[14:15], v3, s17, v[2:3]
	v_mov_b32_e32 v1, v4
	s_cbranch_scc1 .LBB221_150
.LBB221_151:
	s_cbranch_execnz .LBB221_154
.LBB221_152:
	v_mul_hi_u32 v0, s25, v19
	s_andn2_b64 vcc, exec, s[44:45]
	v_add_u32_e32 v0, v19, v0
	v_lshrrev_b32_e32 v1, s26, v0
	v_mul_lo_u32 v0, v1, s24
	v_sub_u32_e32 v2, v19, v0
	v_mul_lo_u32 v0, v2, s28
	v_mul_lo_u32 v2, v2, s29
	s_cbranch_vccnz .LBB221_154
; %bb.153:
	v_mul_hi_u32 v3, s42, v1
	v_add_u32_e32 v3, v1, v3
	v_lshrrev_b32_e32 v3, s43, v3
	v_mul_lo_u32 v3, v3, s27
	v_sub_u32_e32 v3, v1, v3
	v_mad_u64_u32 v[0:1], s[8:9], v3, s30, v[0:1]
	v_mad_u64_u32 v[2:3], s[8:9], v3, s31, v[2:3]
.LBB221_154:
	global_load_ushort v1, v2, s[2:3]
	v_mov_b32_e32 v2, s58
	v_add_u32_e32 v19, 0x80, v19
	s_waitcnt vmcnt(0)
	v_ashrrev_i32_e64 v3, v1, s57
	v_cmp_lt_u32_e32 vcc, 14, v1
	v_cndmask_b32_e32 v1, v3, v2, vcc
	global_store_short v0, v1, s[0:1]
	s_or_b64 exec, exec, s[50:51]
	v_cmp_gt_i32_e32 vcc, s59, v19
	s_and_saveexec_b64 s[50:51], vcc
	s_cbranch_execnz .LBB221_140
.LBB221_155:
	s_or_b64 exec, exec, s[50:51]
	v_cmp_gt_i32_e32 vcc, s59, v19
	s_and_saveexec_b64 s[50:51], vcc
	s_cbranch_execz .LBB221_171
.LBB221_156:
	s_andn2_b64 vcc, exec, s[6:7]
	s_cbranch_vccnz .LBB221_161
; %bb.157:
	s_andn2_b64 vcc, exec, s[48:49]
	s_cbranch_vccnz .LBB221_162
; %bb.158:
	s_add_i32 s62, s60, 1
	s_cmp_eq_u32 s56, 2
	s_cbranch_scc1 .LBB221_179
; %bb.159:
	s_and_b32 s61, s62, 28
	v_mov_b32_e32 v2, 0
	s_mov_b32 s63, 0
	s_mov_b64 s[52:53], s[34:35]
	s_mov_b64 s[54:55], s[46:47]
	v_mov_b32_e32 v0, 0
	v_mov_b32_e32 v1, v19
.LBB221_160:                            ; =>This Inner Loop Header: Depth=1
	s_load_dwordx8 s[16:23], s[52:53], 0x4
	s_load_dwordx4 s[36:39], s[52:53], 0x24
	s_load_dwordx8 s[8:15], s[54:55], 0x0
	s_add_u32 s52, s52, 48
	s_addc_u32 s53, s53, 0
	s_waitcnt lgkmcnt(0)
	v_mul_hi_u32 v3, s17, v1
	s_add_i32 s63, s63, 4
	s_add_u32 s54, s54, 32
	s_addc_u32 s55, s55, 0
	v_add_u32_e32 v3, v1, v3
	v_lshrrev_b32_e32 v3, s18, v3
	v_mul_lo_u32 v4, v3, s16
	v_mul_hi_u32 v5, s20, v3
	s_cmp_eq_u32 s61, s63
	v_sub_u32_e32 v1, v1, v4
	v_add_u32_e32 v4, v3, v5
	v_mul_lo_u32 v5, v1, s8
	v_mul_lo_u32 v6, v1, s9
	v_lshrrev_b32_e32 v1, s21, v4
	v_mul_lo_u32 v4, v1, s19
	v_mul_hi_u32 v7, s23, v1
	v_sub_u32_e32 v3, v3, v4
	v_add_u32_e32 v4, v1, v7
	v_lshrrev_b32_e32 v4, s36, v4
	v_mul_hi_u32 v8, s38, v4
	v_mul_lo_u32 v9, v4, s22
	v_mul_lo_u32 v7, v3, s10
	;; [unrolled: 1-line block ×3, first 2 shown]
	v_sub_u32_e32 v9, v1, v9
	v_add_u32_e32 v1, v4, v8
	v_lshrrev_b32_e32 v1, s39, v1
	v_mul_lo_u32 v8, v1, s37
	v_mul_lo_u32 v10, v9, s12
	;; [unrolled: 1-line block ×3, first 2 shown]
	v_add3_u32 v0, v5, v0, v7
	v_sub_u32_e32 v4, v4, v8
	v_mul_lo_u32 v8, v4, s14
	v_mul_lo_u32 v4, v4, s15
	v_add3_u32 v2, v6, v2, v3
	v_add3_u32 v0, v10, v0, v8
	;; [unrolled: 1-line block ×3, first 2 shown]
	s_cbranch_scc0 .LBB221_160
	s_branch .LBB221_180
.LBB221_161:
                                        ; implicit-def: $vgpr0
                                        ; implicit-def: $vgpr2
	s_branch .LBB221_184
.LBB221_162:
	v_mov_b32_e32 v0, 0
	v_mov_b32_e32 v2, 0
	s_branch .LBB221_183
.LBB221_163:
	s_mov_b32 s61, 0
	v_mov_b32_e32 v0, 0
	v_mov_b32_e32 v2, 0
	;; [unrolled: 1-line block ×3, first 2 shown]
.LBB221_164:
	s_and_b32 s12, s62, 3
	s_cmp_eq_u32 s12, 0
	s_cbranch_scc1 .LBB221_167
; %bb.165:
	s_lshl_b32 s8, s61, 3
	s_add_u32 s8, s34, s8
	s_addc_u32 s9, s35, 0
	s_add_u32 s8, s8, 0xc4
	s_addc_u32 s9, s9, 0
	s_mul_i32 s10, s61, 12
	s_add_u32 s10, s34, s10
	s_addc_u32 s11, s35, 0
.LBB221_166:                            ; =>This Inner Loop Header: Depth=1
	s_load_dwordx2 s[14:15], s[10:11], 0x4
	s_load_dword s13, s[10:11], 0xc
	s_load_dwordx2 s[16:17], s[8:9], 0x0
	s_add_u32 s10, s10, 12
	s_addc_u32 s11, s11, 0
	s_waitcnt lgkmcnt(0)
	v_mul_hi_u32 v3, s15, v1
	s_add_u32 s8, s8, 8
	s_addc_u32 s9, s9, 0
	s_add_i32 s12, s12, -1
	v_add_u32_e32 v3, v1, v3
	v_lshrrev_b32_e32 v4, s13, v3
	v_mul_lo_u32 v3, v4, s14
	s_cmp_lg_u32 s12, 0
	v_sub_u32_e32 v3, v1, v3
	v_mad_u64_u32 v[0:1], s[14:15], v3, s16, v[0:1]
	v_mad_u64_u32 v[2:3], s[14:15], v3, s17, v[2:3]
	v_mov_b32_e32 v1, v4
	s_cbranch_scc1 .LBB221_166
.LBB221_167:
	s_cbranch_execnz .LBB221_170
.LBB221_168:
	v_mul_hi_u32 v0, s25, v19
	s_andn2_b64 vcc, exec, s[44:45]
	v_add_u32_e32 v0, v19, v0
	v_lshrrev_b32_e32 v1, s26, v0
	v_mul_lo_u32 v0, v1, s24
	v_sub_u32_e32 v2, v19, v0
	v_mul_lo_u32 v0, v2, s28
	v_mul_lo_u32 v2, v2, s29
	s_cbranch_vccnz .LBB221_170
; %bb.169:
	v_mul_hi_u32 v3, s42, v1
	v_add_u32_e32 v3, v1, v3
	v_lshrrev_b32_e32 v3, s43, v3
	v_mul_lo_u32 v3, v3, s27
	v_sub_u32_e32 v3, v1, v3
	v_mad_u64_u32 v[0:1], s[8:9], v3, s30, v[0:1]
	v_mad_u64_u32 v[2:3], s[8:9], v3, s31, v[2:3]
.LBB221_170:
	global_load_ushort v1, v2, s[2:3]
	v_mov_b32_e32 v2, s58
	v_add_u32_e32 v19, 0x80, v19
	s_waitcnt vmcnt(0)
	v_ashrrev_i32_e64 v3, v1, s57
	v_cmp_lt_u32_e32 vcc, 14, v1
	v_cndmask_b32_e32 v1, v3, v2, vcc
	global_store_short v0, v1, s[0:1]
	s_or_b64 exec, exec, s[50:51]
	v_cmp_gt_i32_e32 vcc, s59, v19
	s_and_saveexec_b64 s[50:51], vcc
	s_cbranch_execnz .LBB221_156
.LBB221_171:
	s_or_b64 exec, exec, s[50:51]
	v_cmp_gt_i32_e32 vcc, s59, v19
	s_and_saveexec_b64 s[50:51], vcc
	s_cbranch_execz .LBB221_187
.LBB221_172:
	s_andn2_b64 vcc, exec, s[6:7]
	s_cbranch_vccnz .LBB221_177
; %bb.173:
	s_andn2_b64 vcc, exec, s[48:49]
	s_cbranch_vccnz .LBB221_178
; %bb.174:
	s_add_i32 s62, s60, 1
	s_cmp_eq_u32 s56, 2
	s_cbranch_scc1 .LBB221_195
; %bb.175:
	s_and_b32 s61, s62, 28
	v_mov_b32_e32 v2, 0
	s_mov_b32 s63, 0
	s_mov_b64 s[52:53], s[34:35]
	s_mov_b64 s[54:55], s[46:47]
	v_mov_b32_e32 v0, 0
	v_mov_b32_e32 v1, v19
.LBB221_176:                            ; =>This Inner Loop Header: Depth=1
	s_load_dwordx8 s[16:23], s[52:53], 0x4
	s_load_dwordx4 s[36:39], s[52:53], 0x24
	s_load_dwordx8 s[8:15], s[54:55], 0x0
	s_add_u32 s52, s52, 48
	s_addc_u32 s53, s53, 0
	s_waitcnt lgkmcnt(0)
	v_mul_hi_u32 v3, s17, v1
	s_add_i32 s63, s63, 4
	s_add_u32 s54, s54, 32
	s_addc_u32 s55, s55, 0
	v_add_u32_e32 v3, v1, v3
	v_lshrrev_b32_e32 v3, s18, v3
	v_mul_lo_u32 v4, v3, s16
	v_mul_hi_u32 v5, s20, v3
	s_cmp_eq_u32 s61, s63
	v_sub_u32_e32 v1, v1, v4
	v_add_u32_e32 v4, v3, v5
	v_mul_lo_u32 v5, v1, s8
	v_mul_lo_u32 v6, v1, s9
	v_lshrrev_b32_e32 v1, s21, v4
	v_mul_lo_u32 v4, v1, s19
	v_mul_hi_u32 v7, s23, v1
	v_sub_u32_e32 v3, v3, v4
	v_add_u32_e32 v4, v1, v7
	v_lshrrev_b32_e32 v4, s36, v4
	v_mul_hi_u32 v8, s38, v4
	v_mul_lo_u32 v9, v4, s22
	v_mul_lo_u32 v7, v3, s10
	;; [unrolled: 1-line block ×3, first 2 shown]
	v_sub_u32_e32 v9, v1, v9
	v_add_u32_e32 v1, v4, v8
	v_lshrrev_b32_e32 v1, s39, v1
	v_mul_lo_u32 v8, v1, s37
	v_mul_lo_u32 v10, v9, s12
	;; [unrolled: 1-line block ×3, first 2 shown]
	v_add3_u32 v0, v5, v0, v7
	v_sub_u32_e32 v4, v4, v8
	v_mul_lo_u32 v8, v4, s14
	v_mul_lo_u32 v4, v4, s15
	v_add3_u32 v2, v6, v2, v3
	v_add3_u32 v0, v10, v0, v8
	;; [unrolled: 1-line block ×3, first 2 shown]
	s_cbranch_scc0 .LBB221_176
	s_branch .LBB221_196
.LBB221_177:
                                        ; implicit-def: $vgpr0
                                        ; implicit-def: $vgpr2
	s_branch .LBB221_200
.LBB221_178:
	v_mov_b32_e32 v0, 0
	v_mov_b32_e32 v2, 0
	s_branch .LBB221_199
.LBB221_179:
	s_mov_b32 s61, 0
	v_mov_b32_e32 v0, 0
	v_mov_b32_e32 v2, 0
	;; [unrolled: 1-line block ×3, first 2 shown]
.LBB221_180:
	s_and_b32 s12, s62, 3
	s_cmp_eq_u32 s12, 0
	s_cbranch_scc1 .LBB221_183
; %bb.181:
	s_lshl_b32 s8, s61, 3
	s_add_u32 s8, s34, s8
	s_addc_u32 s9, s35, 0
	s_add_u32 s8, s8, 0xc4
	s_addc_u32 s9, s9, 0
	s_mul_i32 s10, s61, 12
	s_add_u32 s10, s34, s10
	s_addc_u32 s11, s35, 0
.LBB221_182:                            ; =>This Inner Loop Header: Depth=1
	s_load_dwordx2 s[14:15], s[10:11], 0x4
	s_load_dword s13, s[10:11], 0xc
	s_load_dwordx2 s[16:17], s[8:9], 0x0
	s_add_u32 s10, s10, 12
	s_addc_u32 s11, s11, 0
	s_waitcnt lgkmcnt(0)
	v_mul_hi_u32 v3, s15, v1
	s_add_u32 s8, s8, 8
	s_addc_u32 s9, s9, 0
	s_add_i32 s12, s12, -1
	v_add_u32_e32 v3, v1, v3
	v_lshrrev_b32_e32 v4, s13, v3
	v_mul_lo_u32 v3, v4, s14
	s_cmp_lg_u32 s12, 0
	v_sub_u32_e32 v3, v1, v3
	v_mad_u64_u32 v[0:1], s[14:15], v3, s16, v[0:1]
	v_mad_u64_u32 v[2:3], s[14:15], v3, s17, v[2:3]
	v_mov_b32_e32 v1, v4
	s_cbranch_scc1 .LBB221_182
.LBB221_183:
	s_cbranch_execnz .LBB221_186
.LBB221_184:
	v_mul_hi_u32 v0, s25, v19
	s_andn2_b64 vcc, exec, s[44:45]
	v_add_u32_e32 v0, v19, v0
	v_lshrrev_b32_e32 v1, s26, v0
	v_mul_lo_u32 v0, v1, s24
	v_sub_u32_e32 v2, v19, v0
	v_mul_lo_u32 v0, v2, s28
	v_mul_lo_u32 v2, v2, s29
	s_cbranch_vccnz .LBB221_186
; %bb.185:
	v_mul_hi_u32 v3, s42, v1
	v_add_u32_e32 v3, v1, v3
	v_lshrrev_b32_e32 v3, s43, v3
	v_mul_lo_u32 v3, v3, s27
	v_sub_u32_e32 v3, v1, v3
	v_mad_u64_u32 v[0:1], s[8:9], v3, s30, v[0:1]
	v_mad_u64_u32 v[2:3], s[8:9], v3, s31, v[2:3]
.LBB221_186:
	global_load_ushort v1, v2, s[2:3]
	v_mov_b32_e32 v2, s58
	v_add_u32_e32 v19, 0x80, v19
	s_waitcnt vmcnt(0)
	v_ashrrev_i32_e64 v3, v1, s57
	v_cmp_lt_u32_e32 vcc, 14, v1
	v_cndmask_b32_e32 v1, v3, v2, vcc
	global_store_short v0, v1, s[0:1]
	s_or_b64 exec, exec, s[50:51]
	v_cmp_gt_i32_e32 vcc, s59, v19
	s_and_saveexec_b64 s[50:51], vcc
	s_cbranch_execnz .LBB221_172
.LBB221_187:
	s_or_b64 exec, exec, s[50:51]
	v_cmp_gt_i32_e32 vcc, s59, v19
	s_and_saveexec_b64 s[50:51], vcc
	s_cbranch_execz .LBB221_203
.LBB221_188:
	s_andn2_b64 vcc, exec, s[6:7]
	s_cbranch_vccnz .LBB221_193
; %bb.189:
	s_andn2_b64 vcc, exec, s[48:49]
	s_cbranch_vccnz .LBB221_194
; %bb.190:
	s_add_i32 s62, s60, 1
	s_cmp_eq_u32 s56, 2
	s_cbranch_scc1 .LBB221_211
; %bb.191:
	s_and_b32 s61, s62, 28
	v_mov_b32_e32 v2, 0
	s_mov_b32 s63, 0
	s_mov_b64 s[52:53], s[34:35]
	s_mov_b64 s[54:55], s[46:47]
	v_mov_b32_e32 v0, 0
	v_mov_b32_e32 v1, v19
.LBB221_192:                            ; =>This Inner Loop Header: Depth=1
	s_load_dwordx8 s[16:23], s[52:53], 0x4
	s_load_dwordx4 s[36:39], s[52:53], 0x24
	s_load_dwordx8 s[8:15], s[54:55], 0x0
	s_add_u32 s52, s52, 48
	s_addc_u32 s53, s53, 0
	s_waitcnt lgkmcnt(0)
	v_mul_hi_u32 v3, s17, v1
	s_add_i32 s63, s63, 4
	s_add_u32 s54, s54, 32
	s_addc_u32 s55, s55, 0
	v_add_u32_e32 v3, v1, v3
	v_lshrrev_b32_e32 v3, s18, v3
	v_mul_lo_u32 v4, v3, s16
	v_mul_hi_u32 v5, s20, v3
	s_cmp_eq_u32 s61, s63
	v_sub_u32_e32 v1, v1, v4
	v_add_u32_e32 v4, v3, v5
	v_mul_lo_u32 v5, v1, s8
	v_mul_lo_u32 v6, v1, s9
	v_lshrrev_b32_e32 v1, s21, v4
	v_mul_lo_u32 v4, v1, s19
	v_mul_hi_u32 v7, s23, v1
	v_sub_u32_e32 v3, v3, v4
	v_add_u32_e32 v4, v1, v7
	v_lshrrev_b32_e32 v4, s36, v4
	v_mul_hi_u32 v8, s38, v4
	v_mul_lo_u32 v9, v4, s22
	v_mul_lo_u32 v7, v3, s10
	v_mul_lo_u32 v3, v3, s11
	v_sub_u32_e32 v9, v1, v9
	v_add_u32_e32 v1, v4, v8
	v_lshrrev_b32_e32 v1, s39, v1
	v_mul_lo_u32 v8, v1, s37
	v_mul_lo_u32 v10, v9, s12
	v_mul_lo_u32 v9, v9, s13
	v_add3_u32 v0, v5, v0, v7
	v_sub_u32_e32 v4, v4, v8
	v_mul_lo_u32 v8, v4, s14
	v_mul_lo_u32 v4, v4, s15
	v_add3_u32 v2, v6, v2, v3
	v_add3_u32 v0, v10, v0, v8
	;; [unrolled: 1-line block ×3, first 2 shown]
	s_cbranch_scc0 .LBB221_192
	s_branch .LBB221_212
.LBB221_193:
                                        ; implicit-def: $vgpr0
                                        ; implicit-def: $vgpr2
	s_branch .LBB221_216
.LBB221_194:
	v_mov_b32_e32 v0, 0
	v_mov_b32_e32 v2, 0
	s_branch .LBB221_215
.LBB221_195:
	s_mov_b32 s61, 0
	v_mov_b32_e32 v0, 0
	v_mov_b32_e32 v2, 0
	;; [unrolled: 1-line block ×3, first 2 shown]
.LBB221_196:
	s_and_b32 s12, s62, 3
	s_cmp_eq_u32 s12, 0
	s_cbranch_scc1 .LBB221_199
; %bb.197:
	s_lshl_b32 s8, s61, 3
	s_add_u32 s8, s34, s8
	s_addc_u32 s9, s35, 0
	s_add_u32 s8, s8, 0xc4
	s_addc_u32 s9, s9, 0
	s_mul_i32 s10, s61, 12
	s_add_u32 s10, s34, s10
	s_addc_u32 s11, s35, 0
.LBB221_198:                            ; =>This Inner Loop Header: Depth=1
	s_load_dwordx2 s[14:15], s[10:11], 0x4
	s_load_dword s13, s[10:11], 0xc
	s_load_dwordx2 s[16:17], s[8:9], 0x0
	s_add_u32 s10, s10, 12
	s_addc_u32 s11, s11, 0
	s_waitcnt lgkmcnt(0)
	v_mul_hi_u32 v3, s15, v1
	s_add_u32 s8, s8, 8
	s_addc_u32 s9, s9, 0
	s_add_i32 s12, s12, -1
	v_add_u32_e32 v3, v1, v3
	v_lshrrev_b32_e32 v4, s13, v3
	v_mul_lo_u32 v3, v4, s14
	s_cmp_lg_u32 s12, 0
	v_sub_u32_e32 v3, v1, v3
	v_mad_u64_u32 v[0:1], s[14:15], v3, s16, v[0:1]
	v_mad_u64_u32 v[2:3], s[14:15], v3, s17, v[2:3]
	v_mov_b32_e32 v1, v4
	s_cbranch_scc1 .LBB221_198
.LBB221_199:
	s_cbranch_execnz .LBB221_202
.LBB221_200:
	v_mul_hi_u32 v0, s25, v19
	s_andn2_b64 vcc, exec, s[44:45]
	v_add_u32_e32 v0, v19, v0
	v_lshrrev_b32_e32 v1, s26, v0
	v_mul_lo_u32 v0, v1, s24
	v_sub_u32_e32 v2, v19, v0
	v_mul_lo_u32 v0, v2, s28
	v_mul_lo_u32 v2, v2, s29
	s_cbranch_vccnz .LBB221_202
; %bb.201:
	v_mul_hi_u32 v3, s42, v1
	v_add_u32_e32 v3, v1, v3
	v_lshrrev_b32_e32 v3, s43, v3
	v_mul_lo_u32 v3, v3, s27
	v_sub_u32_e32 v3, v1, v3
	v_mad_u64_u32 v[0:1], s[8:9], v3, s30, v[0:1]
	v_mad_u64_u32 v[2:3], s[8:9], v3, s31, v[2:3]
.LBB221_202:
	global_load_ushort v1, v2, s[2:3]
	v_mov_b32_e32 v2, s58
	v_add_u32_e32 v19, 0x80, v19
	s_waitcnt vmcnt(0)
	v_ashrrev_i32_e64 v3, v1, s57
	v_cmp_lt_u32_e32 vcc, 14, v1
	v_cndmask_b32_e32 v1, v3, v2, vcc
	global_store_short v0, v1, s[0:1]
	s_or_b64 exec, exec, s[50:51]
	v_cmp_gt_i32_e32 vcc, s59, v19
	s_and_saveexec_b64 s[50:51], vcc
	s_cbranch_execnz .LBB221_188
.LBB221_203:
	s_or_b64 exec, exec, s[50:51]
	v_cmp_gt_i32_e32 vcc, s59, v19
	s_and_saveexec_b64 s[50:51], vcc
	s_cbranch_execz .LBB221_219
.LBB221_204:
	s_andn2_b64 vcc, exec, s[6:7]
	s_cbranch_vccnz .LBB221_209
; %bb.205:
	s_andn2_b64 vcc, exec, s[48:49]
	s_cbranch_vccnz .LBB221_210
; %bb.206:
	s_add_i32 s62, s60, 1
	s_cmp_eq_u32 s56, 2
	s_cbranch_scc1 .LBB221_222
; %bb.207:
	s_and_b32 s61, s62, 28
	v_mov_b32_e32 v2, 0
	s_mov_b32 s63, 0
	s_mov_b64 s[52:53], s[34:35]
	s_mov_b64 s[54:55], s[46:47]
	v_mov_b32_e32 v0, 0
	v_mov_b32_e32 v1, v19
.LBB221_208:                            ; =>This Inner Loop Header: Depth=1
	s_load_dwordx8 s[16:23], s[52:53], 0x4
	s_load_dwordx4 s[36:39], s[52:53], 0x24
	s_load_dwordx8 s[8:15], s[54:55], 0x0
	s_add_u32 s52, s52, 48
	s_addc_u32 s53, s53, 0
	s_waitcnt lgkmcnt(0)
	v_mul_hi_u32 v3, s17, v1
	s_add_i32 s63, s63, 4
	s_add_u32 s54, s54, 32
	s_addc_u32 s55, s55, 0
	v_add_u32_e32 v3, v1, v3
	v_lshrrev_b32_e32 v3, s18, v3
	v_mul_lo_u32 v4, v3, s16
	v_mul_hi_u32 v5, s20, v3
	s_cmp_eq_u32 s61, s63
	v_sub_u32_e32 v1, v1, v4
	v_add_u32_e32 v4, v3, v5
	v_mul_lo_u32 v5, v1, s8
	v_mul_lo_u32 v6, v1, s9
	v_lshrrev_b32_e32 v1, s21, v4
	v_mul_lo_u32 v4, v1, s19
	v_mul_hi_u32 v7, s23, v1
	v_sub_u32_e32 v3, v3, v4
	v_add_u32_e32 v4, v1, v7
	v_lshrrev_b32_e32 v4, s36, v4
	v_mul_hi_u32 v8, s38, v4
	v_mul_lo_u32 v9, v4, s22
	v_mul_lo_u32 v7, v3, s10
	;; [unrolled: 1-line block ×3, first 2 shown]
	v_sub_u32_e32 v9, v1, v9
	v_add_u32_e32 v1, v4, v8
	v_lshrrev_b32_e32 v1, s39, v1
	v_mul_lo_u32 v8, v1, s37
	v_mul_lo_u32 v10, v9, s12
	v_mul_lo_u32 v9, v9, s13
	v_add3_u32 v0, v5, v0, v7
	v_sub_u32_e32 v4, v4, v8
	v_mul_lo_u32 v8, v4, s14
	v_mul_lo_u32 v4, v4, s15
	v_add3_u32 v2, v6, v2, v3
	v_add3_u32 v0, v10, v0, v8
	;; [unrolled: 1-line block ×3, first 2 shown]
	s_cbranch_scc0 .LBB221_208
	s_branch .LBB221_223
.LBB221_209:
                                        ; implicit-def: $vgpr0
                                        ; implicit-def: $vgpr2
	s_branch .LBB221_227
.LBB221_210:
	v_mov_b32_e32 v0, 0
	v_mov_b32_e32 v2, 0
	s_branch .LBB221_226
.LBB221_211:
	s_mov_b32 s61, 0
	v_mov_b32_e32 v0, 0
	v_mov_b32_e32 v2, 0
	;; [unrolled: 1-line block ×3, first 2 shown]
.LBB221_212:
	s_and_b32 s12, s62, 3
	s_cmp_eq_u32 s12, 0
	s_cbranch_scc1 .LBB221_215
; %bb.213:
	s_lshl_b32 s8, s61, 3
	s_add_u32 s8, s34, s8
	s_addc_u32 s9, s35, 0
	s_add_u32 s8, s8, 0xc4
	s_addc_u32 s9, s9, 0
	s_mul_i32 s10, s61, 12
	s_add_u32 s10, s34, s10
	s_addc_u32 s11, s35, 0
.LBB221_214:                            ; =>This Inner Loop Header: Depth=1
	s_load_dwordx2 s[14:15], s[10:11], 0x4
	s_load_dword s13, s[10:11], 0xc
	s_load_dwordx2 s[16:17], s[8:9], 0x0
	s_add_u32 s10, s10, 12
	s_addc_u32 s11, s11, 0
	s_waitcnt lgkmcnt(0)
	v_mul_hi_u32 v3, s15, v1
	s_add_u32 s8, s8, 8
	s_addc_u32 s9, s9, 0
	s_add_i32 s12, s12, -1
	v_add_u32_e32 v3, v1, v3
	v_lshrrev_b32_e32 v4, s13, v3
	v_mul_lo_u32 v3, v4, s14
	s_cmp_lg_u32 s12, 0
	v_sub_u32_e32 v3, v1, v3
	v_mad_u64_u32 v[0:1], s[14:15], v3, s16, v[0:1]
	v_mad_u64_u32 v[2:3], s[14:15], v3, s17, v[2:3]
	v_mov_b32_e32 v1, v4
	s_cbranch_scc1 .LBB221_214
.LBB221_215:
	s_cbranch_execnz .LBB221_218
.LBB221_216:
	v_mul_hi_u32 v0, s25, v19
	s_andn2_b64 vcc, exec, s[44:45]
	v_add_u32_e32 v0, v19, v0
	v_lshrrev_b32_e32 v1, s26, v0
	v_mul_lo_u32 v0, v1, s24
	v_sub_u32_e32 v2, v19, v0
	v_mul_lo_u32 v0, v2, s28
	v_mul_lo_u32 v2, v2, s29
	s_cbranch_vccnz .LBB221_218
; %bb.217:
	v_mul_hi_u32 v3, s42, v1
	v_add_u32_e32 v3, v1, v3
	v_lshrrev_b32_e32 v3, s43, v3
	v_mul_lo_u32 v3, v3, s27
	v_sub_u32_e32 v3, v1, v3
	v_mad_u64_u32 v[0:1], s[8:9], v3, s30, v[0:1]
	v_mad_u64_u32 v[2:3], s[8:9], v3, s31, v[2:3]
.LBB221_218:
	global_load_ushort v1, v2, s[2:3]
	v_mov_b32_e32 v2, s58
	v_add_u32_e32 v19, 0x80, v19
	s_waitcnt vmcnt(0)
	v_ashrrev_i32_e64 v3, v1, s57
	v_cmp_lt_u32_e32 vcc, 14, v1
	v_cndmask_b32_e32 v1, v3, v2, vcc
	global_store_short v0, v1, s[0:1]
	s_or_b64 exec, exec, s[50:51]
	v_cmp_gt_i32_e32 vcc, s59, v19
	s_and_saveexec_b64 s[50:51], vcc
	s_cbranch_execnz .LBB221_204
.LBB221_219:
	s_or_b64 exec, exec, s[50:51]
	v_cmp_gt_i32_e32 vcc, s59, v19
	s_and_saveexec_b64 s[50:51], vcc
	s_cbranch_execnz .LBB221_230
.LBB221_220:
	s_or_b64 exec, exec, s[50:51]
                                        ; implicit-def: $vgpr25
                                        ; implicit-def: $vgpr19
	s_andn2_saveexec_b64 s[0:1], s[40:41]
	s_cbranch_execnz .LBB221_8
.LBB221_221:
	s_endpgm
.LBB221_222:
	s_mov_b32 s61, 0
	v_mov_b32_e32 v0, 0
	v_mov_b32_e32 v2, 0
	;; [unrolled: 1-line block ×3, first 2 shown]
.LBB221_223:
	s_and_b32 s12, s62, 3
	s_cmp_eq_u32 s12, 0
	s_cbranch_scc1 .LBB221_226
; %bb.224:
	s_lshl_b32 s8, s61, 3
	s_add_u32 s8, s34, s8
	s_addc_u32 s9, s35, 0
	s_add_u32 s8, s8, 0xc4
	s_addc_u32 s9, s9, 0
	s_mul_i32 s10, s61, 12
	s_add_u32 s10, s34, s10
	s_addc_u32 s11, s35, 0
.LBB221_225:                            ; =>This Inner Loop Header: Depth=1
	s_load_dwordx2 s[14:15], s[10:11], 0x4
	s_load_dword s13, s[10:11], 0xc
	s_load_dwordx2 s[16:17], s[8:9], 0x0
	s_add_u32 s10, s10, 12
	s_addc_u32 s11, s11, 0
	s_waitcnt lgkmcnt(0)
	v_mul_hi_u32 v3, s15, v1
	s_add_u32 s8, s8, 8
	s_addc_u32 s9, s9, 0
	s_add_i32 s12, s12, -1
	v_add_u32_e32 v3, v1, v3
	v_lshrrev_b32_e32 v4, s13, v3
	v_mul_lo_u32 v3, v4, s14
	s_cmp_lg_u32 s12, 0
	v_sub_u32_e32 v3, v1, v3
	v_mad_u64_u32 v[0:1], s[14:15], v3, s16, v[0:1]
	v_mad_u64_u32 v[2:3], s[14:15], v3, s17, v[2:3]
	v_mov_b32_e32 v1, v4
	s_cbranch_scc1 .LBB221_225
.LBB221_226:
	s_cbranch_execnz .LBB221_229
.LBB221_227:
	v_mul_hi_u32 v0, s25, v19
	s_andn2_b64 vcc, exec, s[44:45]
	v_add_u32_e32 v0, v19, v0
	v_lshrrev_b32_e32 v1, s26, v0
	v_mul_lo_u32 v0, v1, s24
	v_sub_u32_e32 v2, v19, v0
	v_mul_lo_u32 v0, v2, s28
	v_mul_lo_u32 v2, v2, s29
	s_cbranch_vccnz .LBB221_229
; %bb.228:
	v_mul_hi_u32 v3, s42, v1
	v_add_u32_e32 v3, v1, v3
	v_lshrrev_b32_e32 v3, s43, v3
	v_mul_lo_u32 v3, v3, s27
	v_sub_u32_e32 v3, v1, v3
	v_mad_u64_u32 v[0:1], s[8:9], v3, s30, v[0:1]
	v_mad_u64_u32 v[2:3], s[8:9], v3, s31, v[2:3]
.LBB221_229:
	global_load_ushort v1, v2, s[2:3]
	v_mov_b32_e32 v2, s58
	v_add_u32_e32 v19, 0x80, v19
	s_waitcnt vmcnt(0)
	v_ashrrev_i32_e64 v3, v1, s57
	v_cmp_lt_u32_e32 vcc, 14, v1
	v_cndmask_b32_e32 v1, v3, v2, vcc
	global_store_short v0, v1, s[0:1]
	s_or_b64 exec, exec, s[50:51]
	v_cmp_gt_i32_e32 vcc, s59, v19
	s_and_saveexec_b64 s[50:51], vcc
	s_cbranch_execz .LBB221_220
.LBB221_230:
	s_andn2_b64 vcc, exec, s[6:7]
	s_cbranch_vccnz .LBB221_235
; %bb.231:
	s_andn2_b64 vcc, exec, s[48:49]
	s_cbranch_vccnz .LBB221_236
; %bb.232:
	s_add_i32 s60, s60, 1
	s_cmp_eq_u32 s56, 2
	s_cbranch_scc1 .LBB221_237
; %bb.233:
	s_and_b32 s52, s60, 28
	v_mov_b32_e32 v2, 0
	s_mov_b32 s53, 0
	s_mov_b64 s[48:49], s[34:35]
	v_mov_b32_e32 v0, 0
	v_mov_b32_e32 v1, v19
.LBB221_234:                            ; =>This Inner Loop Header: Depth=1
	s_load_dwordx8 s[16:23], s[48:49], 0x4
	s_load_dwordx4 s[36:39], s[48:49], 0x24
	s_load_dwordx8 s[8:15], s[46:47], 0x0
	s_add_u32 s48, s48, 48
	s_addc_u32 s49, s49, 0
	s_waitcnt lgkmcnt(0)
	v_mul_hi_u32 v3, s17, v1
	s_add_i32 s53, s53, 4
	s_add_u32 s46, s46, 32
	s_addc_u32 s47, s47, 0
	v_add_u32_e32 v3, v1, v3
	v_lshrrev_b32_e32 v3, s18, v3
	v_mul_lo_u32 v4, v3, s16
	v_mul_hi_u32 v5, s20, v3
	s_cmp_eq_u32 s52, s53
	v_sub_u32_e32 v1, v1, v4
	v_add_u32_e32 v4, v3, v5
	v_mul_lo_u32 v5, v1, s8
	v_mul_lo_u32 v6, v1, s9
	v_lshrrev_b32_e32 v1, s21, v4
	v_mul_lo_u32 v4, v1, s19
	v_mul_hi_u32 v7, s23, v1
	v_sub_u32_e32 v3, v3, v4
	v_add_u32_e32 v4, v1, v7
	v_lshrrev_b32_e32 v4, s36, v4
	v_mul_hi_u32 v8, s38, v4
	v_mul_lo_u32 v9, v4, s22
	v_mul_lo_u32 v7, v3, s10
	;; [unrolled: 1-line block ×3, first 2 shown]
	v_sub_u32_e32 v9, v1, v9
	v_add_u32_e32 v1, v4, v8
	v_lshrrev_b32_e32 v1, s39, v1
	v_mul_lo_u32 v8, v1, s37
	v_mul_lo_u32 v10, v9, s12
	;; [unrolled: 1-line block ×3, first 2 shown]
	v_add3_u32 v0, v5, v0, v7
	v_sub_u32_e32 v4, v4, v8
	v_mul_lo_u32 v8, v4, s14
	v_mul_lo_u32 v4, v4, s15
	v_add3_u32 v2, v6, v2, v3
	v_add3_u32 v0, v10, v0, v8
	;; [unrolled: 1-line block ×3, first 2 shown]
	s_cbranch_scc0 .LBB221_234
	s_branch .LBB221_238
.LBB221_235:
                                        ; implicit-def: $vgpr0
                                        ; implicit-def: $vgpr2
	s_branch .LBB221_242
.LBB221_236:
	v_mov_b32_e32 v0, 0
	v_mov_b32_e32 v2, 0
	s_branch .LBB221_241
.LBB221_237:
	s_mov_b32 s52, 0
	v_mov_b32_e32 v0, 0
	v_mov_b32_e32 v2, 0
	;; [unrolled: 1-line block ×3, first 2 shown]
.LBB221_238:
	s_and_b32 s12, s60, 3
	s_cmp_eq_u32 s12, 0
	s_cbranch_scc1 .LBB221_241
; %bb.239:
	s_lshl_b32 s8, s52, 3
	s_add_u32 s8, s34, s8
	s_addc_u32 s9, s35, 0
	s_add_u32 s8, s8, 0xc4
	s_addc_u32 s9, s9, 0
	s_mul_i32 s10, s52, 12
	s_add_u32 s10, s34, s10
	s_addc_u32 s11, s35, 0
.LBB221_240:                            ; =>This Inner Loop Header: Depth=1
	s_load_dwordx2 s[14:15], s[10:11], 0x4
	s_load_dword s13, s[10:11], 0xc
	s_load_dwordx2 s[16:17], s[8:9], 0x0
	s_add_u32 s10, s10, 12
	s_addc_u32 s11, s11, 0
	s_waitcnt lgkmcnt(0)
	v_mul_hi_u32 v3, s15, v1
	s_add_u32 s8, s8, 8
	s_addc_u32 s9, s9, 0
	s_add_i32 s12, s12, -1
	v_add_u32_e32 v3, v1, v3
	v_lshrrev_b32_e32 v4, s13, v3
	v_mul_lo_u32 v3, v4, s14
	s_cmp_lg_u32 s12, 0
	v_sub_u32_e32 v3, v1, v3
	v_mad_u64_u32 v[0:1], s[14:15], v3, s16, v[0:1]
	v_mad_u64_u32 v[2:3], s[14:15], v3, s17, v[2:3]
	v_mov_b32_e32 v1, v4
	s_cbranch_scc1 .LBB221_240
.LBB221_241:
	s_cbranch_execnz .LBB221_244
.LBB221_242:
	v_mul_hi_u32 v0, s25, v19
	s_andn2_b64 vcc, exec, s[44:45]
	v_add_u32_e32 v0, v19, v0
	v_lshrrev_b32_e32 v1, s26, v0
	v_mul_lo_u32 v0, v1, s24
	v_sub_u32_e32 v2, v19, v0
	v_mul_lo_u32 v0, v2, s28
	v_mul_lo_u32 v2, v2, s29
	s_cbranch_vccnz .LBB221_244
; %bb.243:
	v_mul_hi_u32 v3, s42, v1
	v_add_u32_e32 v3, v1, v3
	v_lshrrev_b32_e32 v3, s43, v3
	v_mul_lo_u32 v3, v3, s27
	v_sub_u32_e32 v3, v1, v3
	v_mad_u64_u32 v[0:1], s[8:9], v3, s30, v[0:1]
	v_mad_u64_u32 v[2:3], s[8:9], v3, s31, v[2:3]
.LBB221_244:
	global_load_ushort v1, v2, s[2:3]
	v_mov_b32_e32 v2, s58
	s_waitcnt vmcnt(0)
	v_ashrrev_i32_e64 v3, v1, s57
	v_cmp_lt_u32_e32 vcc, 14, v1
	v_cndmask_b32_e32 v1, v3, v2, vcc
	global_store_short v0, v1, s[0:1]
	s_or_b64 exec, exec, s[50:51]
                                        ; implicit-def: $vgpr25
                                        ; implicit-def: $vgpr19
	s_andn2_saveexec_b64 s[0:1], s[40:41]
	s_cbranch_execz .LBB221_221
	s_branch .LBB221_8
	.section	.rodata,"a",@progbits
	.p2align	6, 0x0
	.amdhsa_kernel _ZN2at6native32elementwise_kernel_manual_unrollILi128ELi8EZNS0_22gpu_kernel_impl_nocastINS0_13AUnaryFunctorIsssZZZNS0_18rshift_kernel_cudaERNS_18TensorIteratorBaseEENKUlvE_clEvENKUlvE3_clEvEUlssE_EEEEvS5_RKT_EUlibE_EEviT1_
		.amdhsa_group_segment_fixed_size 0
		.amdhsa_private_segment_fixed_size 0
		.amdhsa_kernarg_size 360
		.amdhsa_user_sgpr_count 6
		.amdhsa_user_sgpr_private_segment_buffer 1
		.amdhsa_user_sgpr_dispatch_ptr 0
		.amdhsa_user_sgpr_queue_ptr 0
		.amdhsa_user_sgpr_kernarg_segment_ptr 1
		.amdhsa_user_sgpr_dispatch_id 0
		.amdhsa_user_sgpr_flat_scratch_init 0
		.amdhsa_user_sgpr_private_segment_size 0
		.amdhsa_uses_dynamic_stack 0
		.amdhsa_system_sgpr_private_segment_wavefront_offset 0
		.amdhsa_system_sgpr_workgroup_id_x 1
		.amdhsa_system_sgpr_workgroup_id_y 0
		.amdhsa_system_sgpr_workgroup_id_z 0
		.amdhsa_system_sgpr_workgroup_info 0
		.amdhsa_system_vgpr_workitem_id 0
		.amdhsa_next_free_vgpr 26
		.amdhsa_next_free_sgpr 64
		.amdhsa_reserve_vcc 1
		.amdhsa_reserve_flat_scratch 0
		.amdhsa_float_round_mode_32 0
		.amdhsa_float_round_mode_16_64 0
		.amdhsa_float_denorm_mode_32 3
		.amdhsa_float_denorm_mode_16_64 3
		.amdhsa_dx10_clamp 1
		.amdhsa_ieee_mode 1
		.amdhsa_fp16_overflow 0
		.amdhsa_exception_fp_ieee_invalid_op 0
		.amdhsa_exception_fp_denorm_src 0
		.amdhsa_exception_fp_ieee_div_zero 0
		.amdhsa_exception_fp_ieee_overflow 0
		.amdhsa_exception_fp_ieee_underflow 0
		.amdhsa_exception_fp_ieee_inexact 0
		.amdhsa_exception_int_div_zero 0
	.end_amdhsa_kernel
	.section	.text._ZN2at6native32elementwise_kernel_manual_unrollILi128ELi8EZNS0_22gpu_kernel_impl_nocastINS0_13AUnaryFunctorIsssZZZNS0_18rshift_kernel_cudaERNS_18TensorIteratorBaseEENKUlvE_clEvENKUlvE3_clEvEUlssE_EEEEvS5_RKT_EUlibE_EEviT1_,"axG",@progbits,_ZN2at6native32elementwise_kernel_manual_unrollILi128ELi8EZNS0_22gpu_kernel_impl_nocastINS0_13AUnaryFunctorIsssZZZNS0_18rshift_kernel_cudaERNS_18TensorIteratorBaseEENKUlvE_clEvENKUlvE3_clEvEUlssE_EEEEvS5_RKT_EUlibE_EEviT1_,comdat
.Lfunc_end221:
	.size	_ZN2at6native32elementwise_kernel_manual_unrollILi128ELi8EZNS0_22gpu_kernel_impl_nocastINS0_13AUnaryFunctorIsssZZZNS0_18rshift_kernel_cudaERNS_18TensorIteratorBaseEENKUlvE_clEvENKUlvE3_clEvEUlssE_EEEEvS5_RKT_EUlibE_EEviT1_, .Lfunc_end221-_ZN2at6native32elementwise_kernel_manual_unrollILi128ELi8EZNS0_22gpu_kernel_impl_nocastINS0_13AUnaryFunctorIsssZZZNS0_18rshift_kernel_cudaERNS_18TensorIteratorBaseEENKUlvE_clEvENKUlvE3_clEvEUlssE_EEEEvS5_RKT_EUlibE_EEviT1_
                                        ; -- End function
	.set _ZN2at6native32elementwise_kernel_manual_unrollILi128ELi8EZNS0_22gpu_kernel_impl_nocastINS0_13AUnaryFunctorIsssZZZNS0_18rshift_kernel_cudaERNS_18TensorIteratorBaseEENKUlvE_clEvENKUlvE3_clEvEUlssE_EEEEvS5_RKT_EUlibE_EEviT1_.num_vgpr, 26
	.set _ZN2at6native32elementwise_kernel_manual_unrollILi128ELi8EZNS0_22gpu_kernel_impl_nocastINS0_13AUnaryFunctorIsssZZZNS0_18rshift_kernel_cudaERNS_18TensorIteratorBaseEENKUlvE_clEvENKUlvE3_clEvEUlssE_EEEEvS5_RKT_EUlibE_EEviT1_.num_agpr, 0
	.set _ZN2at6native32elementwise_kernel_manual_unrollILi128ELi8EZNS0_22gpu_kernel_impl_nocastINS0_13AUnaryFunctorIsssZZZNS0_18rshift_kernel_cudaERNS_18TensorIteratorBaseEENKUlvE_clEvENKUlvE3_clEvEUlssE_EEEEvS5_RKT_EUlibE_EEviT1_.numbered_sgpr, 64
	.set _ZN2at6native32elementwise_kernel_manual_unrollILi128ELi8EZNS0_22gpu_kernel_impl_nocastINS0_13AUnaryFunctorIsssZZZNS0_18rshift_kernel_cudaERNS_18TensorIteratorBaseEENKUlvE_clEvENKUlvE3_clEvEUlssE_EEEEvS5_RKT_EUlibE_EEviT1_.num_named_barrier, 0
	.set _ZN2at6native32elementwise_kernel_manual_unrollILi128ELi8EZNS0_22gpu_kernel_impl_nocastINS0_13AUnaryFunctorIsssZZZNS0_18rshift_kernel_cudaERNS_18TensorIteratorBaseEENKUlvE_clEvENKUlvE3_clEvEUlssE_EEEEvS5_RKT_EUlibE_EEviT1_.private_seg_size, 0
	.set _ZN2at6native32elementwise_kernel_manual_unrollILi128ELi8EZNS0_22gpu_kernel_impl_nocastINS0_13AUnaryFunctorIsssZZZNS0_18rshift_kernel_cudaERNS_18TensorIteratorBaseEENKUlvE_clEvENKUlvE3_clEvEUlssE_EEEEvS5_RKT_EUlibE_EEviT1_.uses_vcc, 1
	.set _ZN2at6native32elementwise_kernel_manual_unrollILi128ELi8EZNS0_22gpu_kernel_impl_nocastINS0_13AUnaryFunctorIsssZZZNS0_18rshift_kernel_cudaERNS_18TensorIteratorBaseEENKUlvE_clEvENKUlvE3_clEvEUlssE_EEEEvS5_RKT_EUlibE_EEviT1_.uses_flat_scratch, 0
	.set _ZN2at6native32elementwise_kernel_manual_unrollILi128ELi8EZNS0_22gpu_kernel_impl_nocastINS0_13AUnaryFunctorIsssZZZNS0_18rshift_kernel_cudaERNS_18TensorIteratorBaseEENKUlvE_clEvENKUlvE3_clEvEUlssE_EEEEvS5_RKT_EUlibE_EEviT1_.has_dyn_sized_stack, 0
	.set _ZN2at6native32elementwise_kernel_manual_unrollILi128ELi8EZNS0_22gpu_kernel_impl_nocastINS0_13AUnaryFunctorIsssZZZNS0_18rshift_kernel_cudaERNS_18TensorIteratorBaseEENKUlvE_clEvENKUlvE3_clEvEUlssE_EEEEvS5_RKT_EUlibE_EEviT1_.has_recursion, 0
	.set _ZN2at6native32elementwise_kernel_manual_unrollILi128ELi8EZNS0_22gpu_kernel_impl_nocastINS0_13AUnaryFunctorIsssZZZNS0_18rshift_kernel_cudaERNS_18TensorIteratorBaseEENKUlvE_clEvENKUlvE3_clEvEUlssE_EEEEvS5_RKT_EUlibE_EEviT1_.has_indirect_call, 0
	.section	.AMDGPU.csdata,"",@progbits
; Kernel info:
; codeLenInByte = 11484
; TotalNumSgprs: 68
; NumVgprs: 26
; ScratchSize: 0
; MemoryBound: 0
; FloatMode: 240
; IeeeMode: 1
; LDSByteSize: 0 bytes/workgroup (compile time only)
; SGPRBlocks: 8
; VGPRBlocks: 6
; NumSGPRsForWavesPerEU: 68
; NumVGPRsForWavesPerEU: 26
; Occupancy: 9
; WaveLimiterHint : 1
; COMPUTE_PGM_RSRC2:SCRATCH_EN: 0
; COMPUTE_PGM_RSRC2:USER_SGPR: 6
; COMPUTE_PGM_RSRC2:TRAP_HANDLER: 0
; COMPUTE_PGM_RSRC2:TGID_X_EN: 1
; COMPUTE_PGM_RSRC2:TGID_Y_EN: 0
; COMPUTE_PGM_RSRC2:TGID_Z_EN: 0
; COMPUTE_PGM_RSRC2:TIDIG_COMP_CNT: 0
	.section	.text._ZN2at6native32elementwise_kernel_manual_unrollILi128ELi4EZNS0_15gpu_kernel_implINS0_13AUnaryFunctorIsssZZZNS0_18rshift_kernel_cudaERNS_18TensorIteratorBaseEENKUlvE_clEvENKUlvE3_clEvEUlssE_EEEEvS5_RKT_EUlibE_EEviT1_,"axG",@progbits,_ZN2at6native32elementwise_kernel_manual_unrollILi128ELi4EZNS0_15gpu_kernel_implINS0_13AUnaryFunctorIsssZZZNS0_18rshift_kernel_cudaERNS_18TensorIteratorBaseEENKUlvE_clEvENKUlvE3_clEvEUlssE_EEEEvS5_RKT_EUlibE_EEviT1_,comdat
	.globl	_ZN2at6native32elementwise_kernel_manual_unrollILi128ELi4EZNS0_15gpu_kernel_implINS0_13AUnaryFunctorIsssZZZNS0_18rshift_kernel_cudaERNS_18TensorIteratorBaseEENKUlvE_clEvENKUlvE3_clEvEUlssE_EEEEvS5_RKT_EUlibE_EEviT1_ ; -- Begin function _ZN2at6native32elementwise_kernel_manual_unrollILi128ELi4EZNS0_15gpu_kernel_implINS0_13AUnaryFunctorIsssZZZNS0_18rshift_kernel_cudaERNS_18TensorIteratorBaseEENKUlvE_clEvENKUlvE3_clEvEUlssE_EEEEvS5_RKT_EUlibE_EEviT1_
	.p2align	8
	.type	_ZN2at6native32elementwise_kernel_manual_unrollILi128ELi4EZNS0_15gpu_kernel_implINS0_13AUnaryFunctorIsssZZZNS0_18rshift_kernel_cudaERNS_18TensorIteratorBaseEENKUlvE_clEvENKUlvE3_clEvEUlssE_EEEEvS5_RKT_EUlibE_EEviT1_,@function
_ZN2at6native32elementwise_kernel_manual_unrollILi128ELi4EZNS0_15gpu_kernel_implINS0_13AUnaryFunctorIsssZZZNS0_18rshift_kernel_cudaERNS_18TensorIteratorBaseEENKUlvE_clEvENKUlvE3_clEvEUlssE_EEEEvS5_RKT_EUlibE_EEviT1_: ; @_ZN2at6native32elementwise_kernel_manual_unrollILi128ELi4EZNS0_15gpu_kernel_implINS0_13AUnaryFunctorIsssZZZNS0_18rshift_kernel_cudaERNS_18TensorIteratorBaseEENKUlvE_clEvENKUlvE3_clEvEUlssE_EEEEvS5_RKT_EUlibE_EEviT1_
; %bb.0:
	s_load_dwordx8 s[8:15], s[4:5], 0x8
	s_load_dword s40, s[4:5], 0x0
	v_lshl_or_b32 v9, s6, 9, v0
	v_or_b32_e32 v0, 0x180, v9
	s_mov_b64 s[2:3], 0
	s_waitcnt lgkmcnt(0)
	s_lshr_b32 s14, s14, 16
	s_bfe_u32 s33, s15, 0x80008
	v_cmp_le_i32_e32 vcc, s40, v0
	s_mov_b64 s[6:7], 0
	s_and_saveexec_b64 s[0:1], vcc
	s_xor_b64 s[4:5], exec, s[0:1]
	s_cbranch_execz .LBB222_1011
; %bb.1:
	s_sext_i32_i16 s45, s14
	s_lshr_b32 s44, s45, 15
	v_cmp_gt_i32_e32 vcc, s40, v9
	s_mov_b64 s[20:21], -1
	s_mov_b64 s[22:23], 0
	s_mov_b64 s[16:17], 0
	s_and_saveexec_b64 s[18:19], vcc
	s_cbranch_execz .LBB222_248
; %bb.2:
	v_mul_lo_u32 v0, v9, s13
	v_mov_b32_e32 v1, s11
	s_and_b32 s20, 0xffff, s33
	s_cmp_lt_i32 s20, 11
	v_ashrrev_i32_e32 v2, 31, v0
	v_add_co_u32_e32 v0, vcc, s10, v0
	v_addc_co_u32_e32 v1, vcc, v1, v2, vcc
	s_cbranch_scc1 .LBB222_9
; %bb.3:
	s_cmp_gt_i32 s20, 25
	s_cbranch_scc0 .LBB222_18
; %bb.4:
	s_cmp_gt_i32 s20, 28
	s_cbranch_scc0 .LBB222_22
	;; [unrolled: 3-line block ×4, first 2 shown]
; %bb.7:
	s_cmp_eq_u32 s20, 46
	s_cbranch_scc0 .LBB222_28
; %bb.8:
	global_load_dword v2, v[0:1], off
	s_mov_b64 s[0:1], -1
	s_waitcnt vmcnt(0)
	v_lshlrev_b32_e32 v2, 16, v2
	v_cvt_i32_f32_e32 v2, v2
	s_branch .LBB222_30
.LBB222_9:
                                        ; implicit-def: $vgpr2
	s_mov_b64 s[0:1], 0
	s_cbranch_execnz .LBB222_199
.LBB222_10:
	s_andn2_b64 vcc, exec, s[0:1]
	s_cbranch_vccnz .LBB222_246
.LBB222_11:
	v_mul_lo_u32 v1, v9, s12
	s_waitcnt vmcnt(0)
	v_ashrrev_i32_sdwa v0, v2, s45 dst_sel:DWORD dst_unused:UNUSED_PAD src0_sel:WORD_0 src1_sel:DWORD
	v_mov_b32_e32 v3, s44
	v_cmp_lt_u16_e32 vcc, 14, v2
	v_cndmask_b32_e32 v4, v0, v3, vcc
	v_ashrrev_i32_e32 v2, 31, v1
	v_mov_b32_e32 v3, s9
	s_and_b32 s26, s15, 0xff
	v_add_co_u32_e32 v0, vcc, s8, v1
	s_cmp_lt_i32 s26, 11
	v_addc_co_u32_e32 v1, vcc, v3, v2, vcc
	s_cbranch_scc1 .LBB222_19
; %bb.12:
	s_and_b32 s27, 0xffff, s26
	s_cmp_gt_i32 s27, 25
	s_cbranch_scc0 .LBB222_23
; %bb.13:
	s_cmp_gt_i32 s27, 28
	s_cbranch_scc0 .LBB222_25
; %bb.14:
	;; [unrolled: 3-line block ×4, first 2 shown]
	s_mov_b64 s[20:21], 0
	s_mov_b64 s[0:1], -1
	s_cmp_eq_u32 s27, 46
	s_mov_b64 s[6:7], 0
	s_cbranch_scc0 .LBB222_34
; %bb.17:
	v_cvt_f32_i32_sdwa v2, sext(v4) dst_sel:DWORD dst_unused:UNUSED_PAD src0_sel:WORD_0
	s_movk_i32 s0, 0x7fff
	s_mov_b64 s[6:7], -1
	v_bfe_u32 v3, v2, 16, 1
	v_add3_u32 v2, v2, v3, s0
	v_lshrrev_b32_e32 v2, 16, v2
	global_store_dword v[0:1], v2, off
	s_mov_b64 s[0:1], 0
	s_branch .LBB222_34
.LBB222_18:
	s_mov_b64 s[0:1], 0
                                        ; implicit-def: $vgpr2
	s_cbranch_execnz .LBB222_166
	s_branch .LBB222_198
.LBB222_19:
	s_mov_b64 s[0:1], 0
	s_mov_b64 s[6:7], 0
	s_cbranch_execnz .LBB222_103
.LBB222_20:
	s_andn2_b64 vcc, exec, s[6:7]
	s_cbranch_vccnz .LBB222_141
.LBB222_21:
	v_add_u32_e32 v9, 0x80, v9
	s_mov_b64 s[20:21], -1
	s_branch .LBB222_247
.LBB222_22:
	s_mov_b64 s[6:7], -1
	s_mov_b64 s[0:1], 0
                                        ; implicit-def: $vgpr2
	s_branch .LBB222_149
.LBB222_23:
	s_mov_b64 s[20:21], -1
	s_mov_b64 s[0:1], 0
	s_mov_b64 s[6:7], 0
	s_branch .LBB222_61
.LBB222_24:
	s_mov_b64 s[6:7], -1
	s_mov_b64 s[0:1], 0
                                        ; implicit-def: $vgpr2
	s_branch .LBB222_144
.LBB222_25:
	s_mov_b64 s[20:21], -1
	s_mov_b64 s[0:1], 0
	s_mov_b64 s[6:7], 0
	s_branch .LBB222_44
.LBB222_26:
	s_mov_b64 s[6:7], -1
	s_branch .LBB222_29
.LBB222_27:
	s_mov_b64 s[20:21], -1
	s_mov_b64 s[0:1], 0
	s_mov_b64 s[6:7], 0
	s_branch .LBB222_40
.LBB222_28:
	s_mov_b64 s[16:17], -1
.LBB222_29:
	s_mov_b64 s[0:1], 0
                                        ; implicit-def: $vgpr2
.LBB222_30:
	s_and_b64 vcc, exec, s[6:7]
	s_cbranch_vccz .LBB222_143
; %bb.31:
	s_cmp_eq_u32 s20, 44
	s_cbranch_scc0 .LBB222_142
; %bb.32:
	global_load_ubyte v2, v[0:1], off
	s_mov_b64 s[0:1], -1
	s_mov_b64 s[16:17], 0
	s_waitcnt vmcnt(0)
	v_lshlrev_b32_e32 v3, 23, v2
	v_cvt_i32_f32_e32 v3, v3
	v_cmp_ne_u32_e32 vcc, 0, v2
	v_cndmask_b32_e32 v2, 0, v3, vcc
	s_branch .LBB222_143
.LBB222_33:
	s_mov_b64 s[20:21], -1
	s_mov_b64 s[0:1], 0
	s_mov_b64 s[6:7], 0
.LBB222_34:
	s_and_b64 vcc, exec, s[20:21]
	s_cbranch_vccz .LBB222_39
; %bb.35:
	s_cmp_eq_u32 s27, 44
	s_mov_b64 s[0:1], -1
	s_cbranch_scc0 .LBB222_39
; %bb.36:
	v_cvt_f32_i32_sdwa v2, sext(v4) dst_sel:DWORD dst_unused:UNUSED_PAD src0_sel:WORD_0
	s_movk_i32 s0, 0xff
	v_mov_b32_e32 v5, 0xff
	v_bfe_u32 v3, v2, 23, 8
	v_cmp_ne_u32_e32 vcc, s0, v3
	s_and_saveexec_b64 s[6:7], vcc
; %bb.37:
	s_mov_b32 s0, 0x3fffff
	v_lshrrev_b32_e32 v5, 23, v2
	v_and_b32_e32 v6, 0x400000, v2
	v_and_or_b32 v2, v2, s0, v3
	v_cmp_ne_u32_e32 vcc, 0, v6
	v_cmp_ne_u32_e64 s[0:1], 0, v2
	s_and_b64 s[0:1], vcc, s[0:1]
	v_cndmask_b32_e64 v2, 0, 1, s[0:1]
	v_add_u32_e32 v5, v5, v2
; %bb.38:
	s_or_b64 exec, exec, s[6:7]
	s_mov_b64 s[6:7], -1
	s_mov_b64 s[0:1], 0
	global_store_byte v[0:1], v5, off
.LBB222_39:
	s_mov_b64 s[20:21], 0
.LBB222_40:
	s_and_b64 vcc, exec, s[20:21]
	s_cbranch_vccz .LBB222_43
; %bb.41:
	s_cmp_eq_u32 s27, 29
	s_mov_b64 s[0:1], -1
	s_cbranch_scc0 .LBB222_43
; %bb.42:
	v_bfe_i32 v2, v4, 0, 16
	v_ashrrev_i32_e32 v3, 31, v2
	global_store_dwordx2 v[0:1], v[2:3], off
	s_mov_b64 s[6:7], -1
	s_mov_b64 s[0:1], 0
.LBB222_43:
	s_mov_b64 s[20:21], 0
.LBB222_44:
	s_and_b64 vcc, exec, s[20:21]
	s_cbranch_vccz .LBB222_60
; %bb.45:
	s_cmp_lt_i32 s27, 27
	s_mov_b64 s[6:7], -1
	s_cbranch_scc1 .LBB222_51
; %bb.46:
	s_cmp_gt_i32 s27, 27
	s_cbranch_scc0 .LBB222_48
; %bb.47:
	v_bfe_i32 v2, v4, 0, 16
	s_mov_b64 s[6:7], 0
	global_store_dword v[0:1], v2, off
.LBB222_48:
	s_andn2_b64 vcc, exec, s[6:7]
	s_cbranch_vccnz .LBB222_50
; %bb.49:
	global_store_short v[0:1], v4, off
.LBB222_50:
	s_mov_b64 s[6:7], 0
.LBB222_51:
	s_andn2_b64 vcc, exec, s[6:7]
	s_cbranch_vccnz .LBB222_59
; %bb.52:
	v_cvt_f32_i32_sdwa v2, sext(v4) dst_sel:DWORD dst_unused:UNUSED_PAD src0_sel:WORD_0
	s_mov_b32 s6, 0x43800000
	v_mov_b32_e32 v5, 0x80
	v_and_b32_e32 v3, 0x7fffffff, v2
	v_cmp_gt_u32_e32 vcc, s6, v3
	s_and_saveexec_b64 s[6:7], vcc
	s_cbranch_execz .LBB222_58
; %bb.53:
	s_mov_b32 s20, 0x3bffffff
	v_cmp_lt_u32_e32 vcc, s20, v3
	s_mov_b64 s[20:21], 0
                                        ; implicit-def: $vgpr3
	s_and_saveexec_b64 s[24:25], vcc
	s_xor_b64 s[24:25], exec, s[24:25]
	s_cbranch_execz .LBB222_275
; %bb.54:
	v_bfe_u32 v3, v2, 20, 1
	s_mov_b32 s28, 0x487ffff
	v_add3_u32 v3, v2, v3, s28
	s_mov_b64 s[20:21], exec
	v_lshrrev_b32_e32 v3, 20, v3
	s_andn2_saveexec_b64 s[24:25], s[24:25]
	s_cbranch_execnz .LBB222_276
.LBB222_55:
	s_or_b64 exec, exec, s[24:25]
	v_mov_b32_e32 v5, 0
	s_and_saveexec_b64 s[24:25], s[20:21]
.LBB222_56:
	v_lshrrev_b32_e32 v2, 24, v2
	s_movk_i32 s20, 0x80
	v_and_or_b32 v5, v2, s20, v3
.LBB222_57:
	s_or_b64 exec, exec, s[24:25]
.LBB222_58:
	s_or_b64 exec, exec, s[6:7]
	global_store_byte v[0:1], v5, off
.LBB222_59:
	s_mov_b64 s[6:7], -1
.LBB222_60:
	s_mov_b64 s[20:21], 0
.LBB222_61:
	s_and_b64 vcc, exec, s[20:21]
	s_cbranch_vccz .LBB222_102
; %bb.62:
	s_cmp_gt_i32 s27, 22
	s_mov_b64 s[20:21], -1
	s_cbranch_scc0 .LBB222_94
; %bb.63:
	s_cmp_lt_i32 s27, 24
	s_mov_b64 s[6:7], -1
	s_cbranch_scc1 .LBB222_83
; %bb.64:
	s_cmp_gt_i32 s27, 24
	s_cbranch_scc0 .LBB222_72
; %bb.65:
	v_cvt_f32_i32_sdwa v2, sext(v4) dst_sel:DWORD dst_unused:UNUSED_PAD src0_sel:WORD_0
	s_mov_b32 s6, 0x47800000
	v_mov_b32_e32 v5, 0x80
	v_and_b32_e32 v3, 0x7fffffff, v2
	v_cmp_gt_u32_e32 vcc, s6, v3
	s_and_saveexec_b64 s[6:7], vcc
	s_cbranch_execz .LBB222_71
; %bb.66:
	s_mov_b32 s20, 0x37ffffff
	v_cmp_lt_u32_e32 vcc, s20, v3
	s_mov_b64 s[20:21], 0
                                        ; implicit-def: $vgpr3
	s_and_saveexec_b64 s[24:25], vcc
	s_xor_b64 s[24:25], exec, s[24:25]
	s_cbranch_execz .LBB222_279
; %bb.67:
	v_bfe_u32 v3, v2, 21, 1
	s_mov_b32 s28, 0x88fffff
	v_add3_u32 v3, v2, v3, s28
	s_mov_b64 s[20:21], exec
	v_lshrrev_b32_e32 v3, 21, v3
	s_andn2_saveexec_b64 s[24:25], s[24:25]
	s_cbranch_execnz .LBB222_280
.LBB222_68:
	s_or_b64 exec, exec, s[24:25]
	v_mov_b32_e32 v5, 0
	s_and_saveexec_b64 s[24:25], s[20:21]
.LBB222_69:
	v_lshrrev_b32_e32 v2, 24, v2
	s_movk_i32 s20, 0x80
	v_and_or_b32 v5, v2, s20, v3
.LBB222_70:
	s_or_b64 exec, exec, s[24:25]
.LBB222_71:
	s_or_b64 exec, exec, s[6:7]
	s_mov_b64 s[6:7], 0
	global_store_byte v[0:1], v5, off
.LBB222_72:
	s_and_b64 vcc, exec, s[6:7]
	s_cbranch_vccz .LBB222_82
; %bb.73:
	v_cvt_f32_i32_sdwa v2, sext(v4) dst_sel:DWORD dst_unused:UNUSED_PAD src0_sel:WORD_0
	s_mov_b32 s6, 0x43f00000
                                        ; implicit-def: $vgpr3
	v_and_b32_e32 v5, 0x7fffffff, v2
	v_cmp_gt_u32_e32 vcc, s6, v5
	s_and_saveexec_b64 s[6:7], vcc
	s_xor_b64 s[6:7], exec, s[6:7]
	s_cbranch_execz .LBB222_79
; %bb.74:
	s_mov_b32 s20, 0x3c7fffff
	v_cmp_lt_u32_e32 vcc, s20, v5
                                        ; implicit-def: $vgpr3
	s_and_saveexec_b64 s[20:21], vcc
	s_xor_b64 s[20:21], exec, s[20:21]
; %bb.75:
	v_bfe_u32 v3, v2, 20, 1
	s_mov_b32 s24, 0x407ffff
	v_add3_u32 v3, v2, v3, s24
	v_lshrrev_b32_e32 v5, 20, v3
	v_and_b32_e32 v3, 0xff00000, v3
	s_mov_b32 s24, 0x7f00000
	v_mov_b32_e32 v6, 0x7e
	v_cmp_ne_u32_e32 vcc, s24, v3
	v_cndmask_b32_e32 v3, v6, v5, vcc
; %bb.76:
	s_andn2_saveexec_b64 s[20:21], s[20:21]
; %bb.77:
	s_mov_b32 s24, 0x46800000
	v_add_f32_e64 v3, |v2|, s24
; %bb.78:
	s_or_b64 exec, exec, s[20:21]
                                        ; implicit-def: $vgpr5
.LBB222_79:
	s_andn2_saveexec_b64 s[6:7], s[6:7]
; %bb.80:
	s_mov_b32 s20, 0x7f800000
	v_mov_b32_e32 v3, 0x7e
	v_mov_b32_e32 v6, 0x7f
	v_cmp_lt_u32_e32 vcc, s20, v5
	v_cndmask_b32_e32 v3, v3, v6, vcc
; %bb.81:
	s_or_b64 exec, exec, s[6:7]
	v_lshrrev_b32_e32 v2, 24, v2
	s_movk_i32 s6, 0x80
	v_and_or_b32 v2, v2, s6, v3
	global_store_byte v[0:1], v2, off
.LBB222_82:
	s_mov_b64 s[6:7], 0
.LBB222_83:
	s_andn2_b64 vcc, exec, s[6:7]
	s_cbranch_vccnz .LBB222_93
; %bb.84:
	v_cvt_f32_i32_sdwa v2, sext(v4) dst_sel:DWORD dst_unused:UNUSED_PAD src0_sel:WORD_0
	s_mov_b32 s6, 0x47800000
                                        ; implicit-def: $vgpr3
	v_and_b32_e32 v5, 0x7fffffff, v2
	v_cmp_gt_u32_e32 vcc, s6, v5
	s_and_saveexec_b64 s[6:7], vcc
	s_xor_b64 s[6:7], exec, s[6:7]
	s_cbranch_execz .LBB222_90
; %bb.85:
	s_mov_b32 s20, 0x387fffff
	v_cmp_lt_u32_e32 vcc, s20, v5
                                        ; implicit-def: $vgpr3
	s_and_saveexec_b64 s[20:21], vcc
	s_xor_b64 s[20:21], exec, s[20:21]
; %bb.86:
	v_bfe_u32 v3, v2, 21, 1
	s_mov_b32 s24, 0x80fffff
	v_add3_u32 v3, v2, v3, s24
	v_lshrrev_b32_e32 v3, 21, v3
; %bb.87:
	s_andn2_saveexec_b64 s[20:21], s[20:21]
; %bb.88:
	s_mov_b32 s24, 0x43000000
	v_add_f32_e64 v3, |v2|, s24
; %bb.89:
	s_or_b64 exec, exec, s[20:21]
                                        ; implicit-def: $vgpr5
.LBB222_90:
	s_andn2_saveexec_b64 s[6:7], s[6:7]
; %bb.91:
	s_mov_b32 s20, 0x7f800000
	v_mov_b32_e32 v3, 0x7c
	v_mov_b32_e32 v6, 0x7f
	v_cmp_lt_u32_e32 vcc, s20, v5
	v_cndmask_b32_e32 v3, v3, v6, vcc
; %bb.92:
	s_or_b64 exec, exec, s[6:7]
	v_lshrrev_b32_e32 v2, 24, v2
	s_movk_i32 s6, 0x80
	v_and_or_b32 v2, v2, s6, v3
	global_store_byte v[0:1], v2, off
.LBB222_93:
	s_mov_b64 s[20:21], 0
	s_mov_b64 s[6:7], -1
.LBB222_94:
	s_andn2_b64 vcc, exec, s[20:21]
	s_cbranch_vccnz .LBB222_102
; %bb.95:
	s_cmp_gt_i32 s27, 14
	s_mov_b64 s[20:21], -1
	s_cbranch_scc0 .LBB222_99
; %bb.96:
	s_cmp_eq_u32 s27, 15
	s_mov_b64 s[0:1], -1
	s_cbranch_scc0 .LBB222_98
; %bb.97:
	v_cvt_f32_i32_sdwa v2, sext(v4) dst_sel:DWORD dst_unused:UNUSED_PAD src0_sel:WORD_0
	s_movk_i32 s0, 0x7fff
	s_mov_b64 s[6:7], -1
	v_bfe_u32 v3, v2, 16, 1
	v_add3_u32 v2, v2, v3, s0
	global_store_short_d16_hi v[0:1], v2, off
	s_mov_b64 s[0:1], 0
.LBB222_98:
	s_mov_b64 s[20:21], 0
.LBB222_99:
	s_and_b64 vcc, exec, s[20:21]
	s_cbranch_vccz .LBB222_102
; %bb.100:
	s_cmp_eq_u32 s27, 11
	s_mov_b64 s[0:1], -1
	s_cbranch_scc0 .LBB222_102
; %bb.101:
	v_cmp_ne_u16_e32 vcc, 0, v4
	v_cndmask_b32_e64 v2, 0, 1, vcc
	s_mov_b64 s[6:7], -1
	s_mov_b64 s[0:1], 0
	global_store_byte v[0:1], v2, off
.LBB222_102:
	s_branch .LBB222_20
.LBB222_103:
	s_and_b32 s20, 0xffff, s26
	s_cmp_lt_i32 s20, 5
	s_mov_b64 s[6:7], -1
	s_cbranch_scc1 .LBB222_124
; %bb.104:
	s_cmp_lt_i32 s20, 8
	s_cbranch_scc1 .LBB222_114
; %bb.105:
	s_cmp_lt_i32 s20, 9
	s_cbranch_scc1 .LBB222_111
; %bb.106:
	s_cmp_gt_i32 s20, 9
	s_cbranch_scc0 .LBB222_108
; %bb.107:
	v_bfe_i32 v2, v4, 0, 16
	v_cvt_f64_i32_e32 v[5:6], v2
	v_mov_b32_e32 v7, 0
	v_mov_b32_e32 v8, v7
	s_mov_b64 s[6:7], 0
	global_store_dwordx4 v[0:1], v[5:8], off
.LBB222_108:
	s_andn2_b64 vcc, exec, s[6:7]
	s_cbranch_vccnz .LBB222_110
; %bb.109:
	v_cvt_f32_i32_sdwa v2, sext(v4) dst_sel:DWORD dst_unused:UNUSED_PAD src0_sel:WORD_0
	v_mov_b32_e32 v3, 0
	global_store_dwordx2 v[0:1], v[2:3], off
.LBB222_110:
	s_mov_b64 s[6:7], 0
.LBB222_111:
	s_andn2_b64 vcc, exec, s[6:7]
	s_cbranch_vccnz .LBB222_113
; %bb.112:
	v_cvt_f16_i16_e32 v2, v4
	global_store_dword v[0:1], v2, off
.LBB222_113:
	s_mov_b64 s[6:7], 0
.LBB222_114:
	s_andn2_b64 vcc, exec, s[6:7]
	s_cbranch_vccnz .LBB222_123
; %bb.115:
	s_cmp_lt_i32 s20, 6
	s_mov_b64 s[6:7], -1
	s_cbranch_scc1 .LBB222_121
; %bb.116:
	s_cmp_gt_i32 s20, 6
	s_cbranch_scc0 .LBB222_118
; %bb.117:
	v_bfe_i32 v2, v4, 0, 16
	v_cvt_f64_i32_e32 v[2:3], v2
	s_mov_b64 s[6:7], 0
	global_store_dwordx2 v[0:1], v[2:3], off
.LBB222_118:
	s_andn2_b64 vcc, exec, s[6:7]
	s_cbranch_vccnz .LBB222_120
; %bb.119:
	v_cvt_f32_i32_sdwa v2, sext(v4) dst_sel:DWORD dst_unused:UNUSED_PAD src0_sel:WORD_0
	global_store_dword v[0:1], v2, off
.LBB222_120:
	s_mov_b64 s[6:7], 0
.LBB222_121:
	s_andn2_b64 vcc, exec, s[6:7]
	s_cbranch_vccnz .LBB222_123
; %bb.122:
	v_cvt_f16_i16_e32 v2, v4
	global_store_short v[0:1], v2, off
.LBB222_123:
	s_mov_b64 s[6:7], 0
.LBB222_124:
	s_andn2_b64 vcc, exec, s[6:7]
	s_cbranch_vccnz .LBB222_140
; %bb.125:
	s_cmp_lt_i32 s20, 2
	s_mov_b64 s[6:7], -1
	s_cbranch_scc1 .LBB222_135
; %bb.126:
	s_cmp_lt_i32 s20, 3
	s_cbranch_scc1 .LBB222_132
; %bb.127:
	s_cmp_gt_i32 s20, 3
	v_bfe_i32 v2, v4, 0, 16
	s_cbranch_scc0 .LBB222_129
; %bb.128:
	v_ashrrev_i32_e32 v3, 31, v2
	global_store_dwordx2 v[0:1], v[2:3], off
	s_mov_b64 s[6:7], 0
.LBB222_129:
	s_andn2_b64 vcc, exec, s[6:7]
	s_cbranch_vccnz .LBB222_131
; %bb.130:
	global_store_dword v[0:1], v2, off
.LBB222_131:
	s_mov_b64 s[6:7], 0
.LBB222_132:
	s_andn2_b64 vcc, exec, s[6:7]
	s_cbranch_vccnz .LBB222_134
; %bb.133:
	global_store_short v[0:1], v4, off
.LBB222_134:
	s_mov_b64 s[6:7], 0
.LBB222_135:
	s_andn2_b64 vcc, exec, s[6:7]
	s_cbranch_vccnz .LBB222_140
; %bb.136:
	s_cmp_gt_i32 s20, 0
	s_mov_b64 s[6:7], -1
	s_cbranch_scc0 .LBB222_138
; %bb.137:
	global_store_byte v[0:1], v4, off
	s_mov_b64 s[6:7], 0
.LBB222_138:
	s_andn2_b64 vcc, exec, s[6:7]
	s_cbranch_vccnz .LBB222_140
; %bb.139:
	global_store_byte v[0:1], v4, off
.LBB222_140:
	s_branch .LBB222_21
.LBB222_141:
	s_mov_b64 s[20:21], 0
                                        ; implicit-def: $vgpr9
	s_branch .LBB222_247
.LBB222_142:
	s_mov_b64 s[16:17], -1
                                        ; implicit-def: $vgpr2
.LBB222_143:
	s_mov_b64 s[6:7], 0
.LBB222_144:
	s_and_b64 vcc, exec, s[6:7]
	s_cbranch_vccz .LBB222_148
; %bb.145:
	s_cmp_eq_u32 s20, 29
	s_cbranch_scc0 .LBB222_147
; %bb.146:
	global_load_dwordx2 v[2:3], v[0:1], off
	s_mov_b64 s[0:1], -1
	s_mov_b64 s[16:17], 0
	s_branch .LBB222_148
.LBB222_147:
	s_mov_b64 s[16:17], -1
                                        ; implicit-def: $vgpr2
.LBB222_148:
	s_mov_b64 s[6:7], 0
.LBB222_149:
	s_and_b64 vcc, exec, s[6:7]
	s_cbranch_vccz .LBB222_165
; %bb.150:
	s_cmp_lt_i32 s20, 27
	s_cbranch_scc1 .LBB222_153
; %bb.151:
	s_cmp_gt_i32 s20, 27
	s_cbranch_scc0 .LBB222_154
; %bb.152:
	global_load_dword v2, v[0:1], off
	s_mov_b64 s[0:1], 0
	s_branch .LBB222_155
.LBB222_153:
	s_mov_b64 s[0:1], -1
                                        ; implicit-def: $vgpr2
	s_branch .LBB222_158
.LBB222_154:
	s_mov_b64 s[0:1], -1
                                        ; implicit-def: $vgpr2
.LBB222_155:
	s_andn2_b64 vcc, exec, s[0:1]
	s_cbranch_vccnz .LBB222_157
; %bb.156:
	global_load_ushort v2, v[0:1], off
.LBB222_157:
	s_mov_b64 s[0:1], 0
.LBB222_158:
	s_andn2_b64 vcc, exec, s[0:1]
	s_cbranch_vccnz .LBB222_164
; %bb.159:
	global_load_ubyte v3, v[0:1], off
	s_movk_i32 s0, 0x7f
	s_mov_b64 s[6:7], 0
	s_waitcnt vmcnt(0)
	v_cmp_lt_i16_e32 vcc, s0, v3
	s_and_saveexec_b64 s[0:1], vcc
	s_xor_b64 s[0:1], exec, s[0:1]
	s_cbranch_execz .LBB222_175
; %bb.160:
	s_movk_i32 s6, 0x80
	v_cmp_ne_u16_e32 vcc, s6, v3
	s_and_b64 s[6:7], vcc, exec
	s_andn2_saveexec_b64 s[0:1], s[0:1]
	s_cbranch_execnz .LBB222_176
.LBB222_161:
	s_or_b64 exec, exec, s[0:1]
	v_mov_b32_e32 v2, 0
	s_and_saveexec_b64 s[0:1], s[6:7]
	s_cbranch_execz .LBB222_163
.LBB222_162:
	v_lshlrev_b32_e32 v2, 24, v3
	v_and_b32_e32 v3, 0xffff, v3
	v_and_b32_e32 v4, 7, v3
	v_ffbh_u32_e32 v6, v4
	v_min_u32_e32 v6, 32, v6
	v_subrev_u32_e32 v7, 28, v6
	v_bfe_u32 v5, v3, 3, 4
	v_lshlrev_b32_e32 v3, v7, v3
	v_sub_u32_e32 v6, 29, v6
	v_and_b32_e32 v3, 7, v3
	v_cmp_eq_u32_e32 vcc, 0, v5
	v_cndmask_b32_e32 v5, v5, v6, vcc
	v_cndmask_b32_e32 v3, v4, v3, vcc
	v_mov_b32_e32 v4, 0x3b800000
	v_lshlrev_b32_e32 v3, 20, v3
	v_and_b32_e32 v2, 0x80000000, v2
	v_lshl_add_u32 v4, v5, 23, v4
	v_or3_b32 v2, v2, v4, v3
	v_cvt_i32_f32_e32 v2, v2
.LBB222_163:
	s_or_b64 exec, exec, s[0:1]
.LBB222_164:
	s_mov_b64 s[0:1], -1
.LBB222_165:
	s_branch .LBB222_198
.LBB222_166:
	s_cmp_gt_i32 s20, 22
	s_cbranch_scc0 .LBB222_174
; %bb.167:
	s_cmp_lt_i32 s20, 24
	s_cbranch_scc1 .LBB222_177
; %bb.168:
	s_cmp_gt_i32 s20, 24
	s_cbranch_scc0 .LBB222_178
; %bb.169:
	global_load_ubyte v3, v[0:1], off
	s_movk_i32 s0, 0x7f
	s_mov_b64 s[6:7], 0
	s_waitcnt vmcnt(0)
	v_cmp_lt_i16_e32 vcc, s0, v3
	s_and_saveexec_b64 s[0:1], vcc
	s_xor_b64 s[0:1], exec, s[0:1]
	s_cbranch_execz .LBB222_190
; %bb.170:
	s_movk_i32 s6, 0x80
	v_cmp_ne_u16_e32 vcc, s6, v3
	s_and_b64 s[6:7], vcc, exec
	s_andn2_saveexec_b64 s[0:1], s[0:1]
	s_cbranch_execnz .LBB222_191
.LBB222_171:
	s_or_b64 exec, exec, s[0:1]
	v_mov_b32_e32 v2, 0
	s_and_saveexec_b64 s[0:1], s[6:7]
	s_cbranch_execz .LBB222_173
.LBB222_172:
	v_lshlrev_b32_e32 v2, 24, v3
	v_and_b32_e32 v3, 0xffff, v3
	v_and_b32_e32 v4, 3, v3
	v_ffbh_u32_e32 v6, v4
	v_min_u32_e32 v6, 32, v6
	v_subrev_u32_e32 v7, 29, v6
	v_bfe_u32 v5, v3, 2, 5
	v_lshlrev_b32_e32 v3, v7, v3
	v_sub_u32_e32 v6, 30, v6
	v_and_b32_e32 v3, 3, v3
	v_cmp_eq_u32_e32 vcc, 0, v5
	v_cndmask_b32_e32 v5, v5, v6, vcc
	v_cndmask_b32_e32 v3, v4, v3, vcc
	v_mov_b32_e32 v4, 0x37800000
	v_lshlrev_b32_e32 v3, 21, v3
	v_and_b32_e32 v2, 0x80000000, v2
	v_lshl_add_u32 v4, v5, 23, v4
	v_or3_b32 v2, v2, v4, v3
	v_cvt_i32_f32_e32 v2, v2
.LBB222_173:
	s_or_b64 exec, exec, s[0:1]
	s_mov_b64 s[0:1], 0
	s_branch .LBB222_179
.LBB222_174:
	s_mov_b64 s[6:7], -1
                                        ; implicit-def: $vgpr2
	s_branch .LBB222_185
.LBB222_175:
	s_andn2_saveexec_b64 s[0:1], s[0:1]
	s_cbranch_execz .LBB222_161
.LBB222_176:
	v_cmp_ne_u16_e32 vcc, 0, v3
	s_andn2_b64 s[6:7], s[6:7], exec
	s_and_b64 s[24:25], vcc, exec
	s_or_b64 s[6:7], s[6:7], s[24:25]
	s_or_b64 exec, exec, s[0:1]
	v_mov_b32_e32 v2, 0
	s_and_saveexec_b64 s[0:1], s[6:7]
	s_cbranch_execnz .LBB222_162
	s_branch .LBB222_163
.LBB222_177:
	s_mov_b64 s[0:1], -1
                                        ; implicit-def: $vgpr2
	s_branch .LBB222_182
.LBB222_178:
	s_mov_b64 s[0:1], -1
                                        ; implicit-def: $vgpr2
.LBB222_179:
	s_and_b64 vcc, exec, s[0:1]
	s_cbranch_vccz .LBB222_181
; %bb.180:
	global_load_ubyte v2, v[0:1], off
	s_mov_b32 s0, 0x7f800000
	s_waitcnt vmcnt(0)
	v_lshlrev_b32_e32 v2, 24, v2
	v_and_b32_e32 v3, 0x7f000000, v2
	v_ffbh_u32_e32 v4, v3
	v_min_u32_e32 v4, 32, v4
	v_sub_u32_e64 v4, v4, 4 clamp
	v_lshlrev_b32_e32 v6, v4, v3
	v_lshlrev_b32_e32 v4, 23, v4
	v_lshrrev_b32_e32 v6, 4, v6
	v_add_u32_e32 v5, 0x1000000, v3
	v_sub_u32_e32 v4, v6, v4
	v_ashrrev_i32_e32 v5, 8, v5
	v_add_u32_e32 v4, 0x3c000000, v4
	v_and_or_b32 v4, v5, s0, v4
	v_cmp_ne_u32_e32 vcc, 0, v3
	v_cndmask_b32_e32 v3, 0, v4, vcc
	s_brev_b32 s0, 1
	v_and_or_b32 v2, v2, s0, v3
	v_cvt_i32_f32_e32 v2, v2
.LBB222_181:
	s_mov_b64 s[0:1], 0
.LBB222_182:
	s_andn2_b64 vcc, exec, s[0:1]
	s_cbranch_vccnz .LBB222_184
; %bb.183:
	global_load_ubyte v2, v[0:1], off
	s_movk_i32 s0, 0x7f00
	s_brev_b32 s1, 16
	s_waitcnt vmcnt(0)
	v_lshlrev_b16_e32 v3, 8, v2
	v_lshlrev_b32_e32 v2, 25, v2
	v_lshrrev_b32_e32 v4, 4, v2
	v_and_or_b32 v5, v3, s0, 0.5
	v_or_b32_e32 v4, 0x70000000, v4
	v_add_f32_e32 v5, -0.5, v5
	v_mul_f32_e32 v4, 0x7800000, v4
	v_cmp_gt_u32_e32 vcc, s1, v2
	v_bfe_i32 v3, v3, 0, 16
	v_cndmask_b32_e32 v2, v4, v5, vcc
	s_brev_b32 s0, 1
	v_and_or_b32 v2, v3, s0, v2
	v_cvt_i32_f32_e32 v2, v2
.LBB222_184:
	s_mov_b64 s[6:7], 0
	s_mov_b64 s[0:1], -1
.LBB222_185:
	s_andn2_b64 vcc, exec, s[6:7]
	s_cbranch_vccnz .LBB222_198
; %bb.186:
	s_cmp_gt_i32 s20, 14
	s_cbranch_scc0 .LBB222_189
; %bb.187:
	s_cmp_eq_u32 s20, 15
	s_cbranch_scc0 .LBB222_192
; %bb.188:
	global_load_ushort v2, v[0:1], off
	s_mov_b64 s[0:1], -1
	s_mov_b64 s[16:17], 0
	s_waitcnt vmcnt(0)
	v_lshlrev_b32_e32 v2, 16, v2
	v_cvt_i32_f32_e32 v2, v2
	s_branch .LBB222_193
.LBB222_189:
	s_mov_b64 s[6:7], -1
                                        ; implicit-def: $vgpr2
	s_branch .LBB222_194
.LBB222_190:
	s_andn2_saveexec_b64 s[0:1], s[0:1]
	s_cbranch_execz .LBB222_171
.LBB222_191:
	v_cmp_ne_u16_e32 vcc, 0, v3
	s_andn2_b64 s[6:7], s[6:7], exec
	s_and_b64 s[24:25], vcc, exec
	s_or_b64 s[6:7], s[6:7], s[24:25]
	s_or_b64 exec, exec, s[0:1]
	v_mov_b32_e32 v2, 0
	s_and_saveexec_b64 s[0:1], s[6:7]
	s_cbranch_execnz .LBB222_172
	s_branch .LBB222_173
.LBB222_192:
	s_mov_b64 s[16:17], -1
                                        ; implicit-def: $vgpr2
.LBB222_193:
	s_mov_b64 s[6:7], 0
.LBB222_194:
	s_and_b64 vcc, exec, s[6:7]
	s_cbranch_vccz .LBB222_198
; %bb.195:
	s_cmp_eq_u32 s20, 11
	s_cbranch_scc0 .LBB222_197
; %bb.196:
	global_load_ubyte v2, v[0:1], off
	s_mov_b64 s[0:1], -1
	s_mov_b64 s[16:17], 0
	s_waitcnt vmcnt(0)
	v_cmp_ne_u16_e32 vcc, 0, v2
	v_cndmask_b32_e64 v2, 0, 1, vcc
	s_branch .LBB222_198
.LBB222_197:
	s_mov_b64 s[16:17], -1
                                        ; implicit-def: $vgpr2
.LBB222_198:
	s_branch .LBB222_10
.LBB222_199:
	s_cmp_lt_i32 s20, 5
	s_cbranch_scc1 .LBB222_204
; %bb.200:
	s_cmp_lt_i32 s20, 8
	s_cbranch_scc1 .LBB222_205
; %bb.201:
	;; [unrolled: 3-line block ×3, first 2 shown]
	s_cmp_gt_i32 s20, 9
	s_cbranch_scc0 .LBB222_207
; %bb.203:
	global_load_dwordx2 v[2:3], v[0:1], off
	s_mov_b64 s[0:1], 0
	s_waitcnt vmcnt(0)
	v_cvt_i32_f64_e32 v2, v[2:3]
	s_branch .LBB222_208
.LBB222_204:
                                        ; implicit-def: $vgpr2
	s_branch .LBB222_226
.LBB222_205:
	s_mov_b64 s[0:1], -1
                                        ; implicit-def: $vgpr2
	s_branch .LBB222_214
.LBB222_206:
	s_mov_b64 s[0:1], -1
                                        ; implicit-def: $vgpr2
	s_branch .LBB222_211
.LBB222_207:
	s_mov_b64 s[0:1], -1
                                        ; implicit-def: $vgpr2
.LBB222_208:
	s_andn2_b64 vcc, exec, s[0:1]
	s_cbranch_vccnz .LBB222_210
; %bb.209:
	global_load_dword v2, v[0:1], off
	s_waitcnt vmcnt(0)
	v_cvt_i32_f32_e32 v2, v2
.LBB222_210:
	s_mov_b64 s[0:1], 0
.LBB222_211:
	s_andn2_b64 vcc, exec, s[0:1]
	s_cbranch_vccnz .LBB222_213
; %bb.212:
	global_load_dword v2, v[0:1], off
	s_waitcnt vmcnt(0)
	v_cvt_i16_f16_e32 v2, v2
.LBB222_213:
	s_mov_b64 s[0:1], 0
.LBB222_214:
	s_andn2_b64 vcc, exec, s[0:1]
	s_cbranch_vccnz .LBB222_225
; %bb.215:
	s_cmp_lt_i32 s20, 6
	s_cbranch_scc1 .LBB222_218
; %bb.216:
	s_cmp_gt_i32 s20, 6
	s_cbranch_scc0 .LBB222_219
; %bb.217:
	global_load_dwordx2 v[2:3], v[0:1], off
	s_mov_b64 s[0:1], 0
	s_waitcnt vmcnt(0)
	v_cvt_i32_f64_e32 v2, v[2:3]
	s_branch .LBB222_220
.LBB222_218:
	s_mov_b64 s[0:1], -1
                                        ; implicit-def: $vgpr2
	s_branch .LBB222_223
.LBB222_219:
	s_mov_b64 s[0:1], -1
                                        ; implicit-def: $vgpr2
.LBB222_220:
	s_andn2_b64 vcc, exec, s[0:1]
	s_cbranch_vccnz .LBB222_222
; %bb.221:
	global_load_dword v2, v[0:1], off
	s_waitcnt vmcnt(0)
	v_cvt_i32_f32_e32 v2, v2
.LBB222_222:
	s_mov_b64 s[0:1], 0
.LBB222_223:
	s_andn2_b64 vcc, exec, s[0:1]
	s_cbranch_vccnz .LBB222_225
; %bb.224:
	global_load_ushort v2, v[0:1], off
	s_waitcnt vmcnt(0)
	v_cvt_i16_f16_e32 v2, v2
.LBB222_225:
	s_cbranch_execnz .LBB222_245
.LBB222_226:
	s_cmp_lt_i32 s20, 2
	s_cbranch_scc1 .LBB222_230
; %bb.227:
	s_cmp_lt_i32 s20, 3
	s_cbranch_scc1 .LBB222_231
; %bb.228:
	s_cmp_gt_i32 s20, 3
	s_cbranch_scc0 .LBB222_232
; %bb.229:
	global_load_dwordx2 v[2:3], v[0:1], off
	s_mov_b64 s[0:1], 0
	s_branch .LBB222_233
.LBB222_230:
	s_mov_b64 s[0:1], -1
                                        ; implicit-def: $vgpr2
	s_branch .LBB222_239
.LBB222_231:
	s_mov_b64 s[0:1], -1
                                        ; implicit-def: $vgpr2
	s_branch .LBB222_236
.LBB222_232:
	s_mov_b64 s[0:1], -1
                                        ; implicit-def: $vgpr2
.LBB222_233:
	s_andn2_b64 vcc, exec, s[0:1]
	s_cbranch_vccnz .LBB222_235
; %bb.234:
	global_load_dword v2, v[0:1], off
.LBB222_235:
	s_mov_b64 s[0:1], 0
.LBB222_236:
	s_andn2_b64 vcc, exec, s[0:1]
	s_cbranch_vccnz .LBB222_238
; %bb.237:
	global_load_ushort v2, v[0:1], off
.LBB222_238:
	s_mov_b64 s[0:1], 0
.LBB222_239:
	s_andn2_b64 vcc, exec, s[0:1]
	s_cbranch_vccnz .LBB222_245
; %bb.240:
	s_cmp_gt_i32 s20, 0
	s_cbranch_scc0 .LBB222_242
; %bb.241:
	global_load_sbyte v2, v[0:1], off
	s_mov_b64 s[0:1], 0
	s_branch .LBB222_243
.LBB222_242:
	s_mov_b64 s[0:1], -1
                                        ; implicit-def: $vgpr2
.LBB222_243:
	s_andn2_b64 vcc, exec, s[0:1]
	s_cbranch_vccnz .LBB222_245
; %bb.244:
	global_load_ubyte v2, v[0:1], off
.LBB222_245:
	s_branch .LBB222_11
.LBB222_246:
	s_mov_b64 s[0:1], 0
                                        ; implicit-def: $vgpr9
	s_mov_b64 s[20:21], 0
.LBB222_247:
	s_and_b64 s[6:7], s[0:1], exec
	s_and_b64 s[16:17], s[16:17], exec
	s_orn2_b64 s[20:21], s[20:21], exec
.LBB222_248:
	s_or_b64 exec, exec, s[18:19]
	s_mov_b64 s[24:25], 0
	s_mov_b64 s[0:1], 0
                                        ; implicit-def: $vgpr0_vgpr1
                                        ; implicit-def: $vgpr2
	s_and_saveexec_b64 s[18:19], s[20:21]
	s_cbranch_execz .LBB222_257
; %bb.249:
	v_cmp_gt_i32_e32 vcc, s40, v9
	s_mov_b64 s[0:1], -1
	s_mov_b64 s[20:21], s[16:17]
	s_mov_b64 s[22:23], s[6:7]
	s_and_saveexec_b64 s[24:25], vcc
	s_cbranch_execz .LBB222_505
; %bb.250:
	v_mul_lo_u32 v0, v9, s13
	v_mov_b32_e32 v1, s11
	s_and_b32 s26, 0xffff, s33
	s_cmp_lt_i32 s26, 11
	s_waitcnt vmcnt(0)
	v_ashrrev_i32_e32 v2, 31, v0
	v_add_co_u32_e32 v0, vcc, s10, v0
	v_addc_co_u32_e32 v1, vcc, v1, v2, vcc
	s_cbranch_scc1 .LBB222_260
; %bb.251:
	s_cmp_gt_i32 s26, 25
	s_cbranch_scc0 .LBB222_269
; %bb.252:
	s_cmp_gt_i32 s26, 28
	s_cbranch_scc0 .LBB222_271
; %bb.253:
	s_cmp_gt_i32 s26, 43
	s_cbranch_scc0 .LBB222_273
; %bb.254:
	s_cmp_gt_i32 s26, 45
	s_cbranch_scc0 .LBB222_277
; %bb.255:
	s_cmp_eq_u32 s26, 46
	s_mov_b64 s[22:23], 0
	s_cbranch_scc0 .LBB222_281
; %bb.256:
	global_load_dword v2, v[0:1], off
	s_mov_b64 s[20:21], 0
	s_waitcnt vmcnt(0)
	v_lshlrev_b32_e32 v2, 16, v2
	v_cvt_i32_f32_e32 v2, v2
	s_branch .LBB222_282
.LBB222_257:
	s_or_b64 exec, exec, s[18:19]
	s_mov_b64 s[18:19], 0
	s_and_saveexec_b64 s[20:21], s[16:17]
	s_cbranch_execnz .LBB222_843
.LBB222_258:
	s_or_b64 exec, exec, s[20:21]
	s_and_saveexec_b64 s[16:17], s[22:23]
	s_xor_b64 s[16:17], exec, s[16:17]
	s_cbranch_execz .LBB222_844
.LBB222_259:
	global_load_ubyte v2, v[0:1], off
	s_or_b64 s[0:1], s[0:1], exec
	s_waitcnt vmcnt(0)
	v_cmp_ne_u16_e32 vcc, 0, v2
	v_cndmask_b32_e64 v2, 0, 1, vcc
	s_or_b64 exec, exec, s[16:17]
	s_and_saveexec_b64 s[16:17], s[24:25]
	s_cbranch_execz .LBB222_890
	s_branch .LBB222_845
.LBB222_260:
	s_mov_b64 s[0:1], 0
                                        ; implicit-def: $vgpr2
	s_mov_b64 s[20:21], s[16:17]
	s_cbranch_execnz .LBB222_455
.LBB222_261:
	s_andn2_b64 vcc, exec, s[0:1]
	s_cbranch_vccnz .LBB222_503
.LBB222_262:
	v_mul_lo_u32 v1, v9, s12
	s_waitcnt vmcnt(0)
	v_ashrrev_i32_sdwa v0, v2, s45 dst_sel:DWORD dst_unused:UNUSED_PAD src0_sel:WORD_0 src1_sel:DWORD
	v_mov_b32_e32 v3, s44
	v_cmp_lt_u16_e32 vcc, 14, v2
	v_cndmask_b32_e32 v4, v0, v3, vcc
	v_ashrrev_i32_e32 v2, 31, v1
	v_mov_b32_e32 v3, s9
	s_and_b32 s30, s15, 0xff
	v_add_co_u32_e32 v0, vcc, s8, v1
	s_cmp_lt_i32 s30, 11
	v_addc_co_u32_e32 v1, vcc, v3, v2, vcc
	s_cbranch_scc1 .LBB222_270
; %bb.263:
	s_and_b32 s31, 0xffff, s30
	s_cmp_gt_i32 s31, 25
	s_cbranch_scc0 .LBB222_272
; %bb.264:
	s_cmp_gt_i32 s31, 28
	s_cbranch_scc0 .LBB222_274
; %bb.265:
	;; [unrolled: 3-line block ×4, first 2 shown]
	s_mov_b64 s[26:27], 0
	s_mov_b64 s[0:1], -1
	s_cmp_eq_u32 s31, 46
	s_mov_b64 s[22:23], 0
	s_cbranch_scc0 .LBB222_286
; %bb.268:
	v_cvt_f32_i32_sdwa v2, sext(v4) dst_sel:DWORD dst_unused:UNUSED_PAD src0_sel:WORD_0
	s_movk_i32 s0, 0x7fff
	s_mov_b64 s[22:23], -1
	v_bfe_u32 v3, v2, 16, 1
	v_add3_u32 v2, v2, v3, s0
	v_lshrrev_b32_e32 v2, 16, v2
	global_store_dword v[0:1], v2, off
	s_mov_b64 s[0:1], 0
	s_branch .LBB222_286
.LBB222_269:
	s_mov_b64 s[22:23], -1
	s_mov_b64 s[0:1], 0
	s_mov_b64 s[20:21], s[16:17]
                                        ; implicit-def: $vgpr2
	s_branch .LBB222_421
.LBB222_270:
	s_mov_b64 s[26:27], -1
	s_mov_b64 s[22:23], 0
	s_mov_b64 s[0:1], s[6:7]
	s_branch .LBB222_355
.LBB222_271:
	s_mov_b64 s[22:23], -1
	s_mov_b64 s[0:1], 0
	s_mov_b64 s[20:21], s[16:17]
                                        ; implicit-def: $vgpr2
	s_branch .LBB222_404
.LBB222_272:
	s_mov_b64 s[26:27], -1
	s_mov_b64 s[22:23], 0
	s_mov_b64 s[0:1], s[6:7]
	s_branch .LBB222_313
.LBB222_273:
	s_mov_b64 s[22:23], -1
	s_mov_b64 s[0:1], 0
	s_mov_b64 s[20:21], s[16:17]
                                        ; implicit-def: $vgpr2
	s_branch .LBB222_399
.LBB222_274:
	s_mov_b64 s[26:27], -1
	s_mov_b64 s[22:23], 0
	s_mov_b64 s[0:1], s[6:7]
	s_branch .LBB222_296
.LBB222_275:
	s_andn2_saveexec_b64 s[24:25], s[24:25]
	s_cbranch_execz .LBB222_55
.LBB222_276:
	s_mov_b32 s28, 0x46000000
	v_add_f32_e64 v3, |v2|, s28
	v_and_b32_e32 v3, 0xff, v3
	v_cmp_ne_u32_e32 vcc, 0, v3
	s_andn2_b64 s[20:21], s[20:21], exec
	s_and_b64 s[28:29], vcc, exec
	s_or_b64 s[20:21], s[20:21], s[28:29]
	s_or_b64 exec, exec, s[24:25]
	v_mov_b32_e32 v5, 0
	s_and_saveexec_b64 s[24:25], s[20:21]
	s_cbranch_execnz .LBB222_56
	s_branch .LBB222_57
.LBB222_277:
	s_mov_b64 s[22:23], -1
	s_mov_b64 s[0:1], 0
	s_mov_b64 s[20:21], s[16:17]
                                        ; implicit-def: $vgpr2
	s_branch .LBB222_282
.LBB222_278:
	s_mov_b64 s[26:27], -1
	s_mov_b64 s[22:23], 0
	s_mov_b64 s[0:1], s[6:7]
	s_branch .LBB222_292
.LBB222_279:
	s_andn2_saveexec_b64 s[24:25], s[24:25]
	s_cbranch_execz .LBB222_68
.LBB222_280:
	s_mov_b32 s28, 0x42800000
	v_add_f32_e64 v3, |v2|, s28
	v_and_b32_e32 v3, 0xff, v3
	v_cmp_ne_u32_e32 vcc, 0, v3
	s_andn2_b64 s[20:21], s[20:21], exec
	s_and_b64 s[28:29], vcc, exec
	s_or_b64 s[20:21], s[20:21], s[28:29]
	s_or_b64 exec, exec, s[24:25]
	v_mov_b32_e32 v5, 0
	s_and_saveexec_b64 s[24:25], s[20:21]
	s_cbranch_execnz .LBB222_69
	s_branch .LBB222_70
.LBB222_281:
	s_mov_b64 s[20:21], -1
                                        ; implicit-def: $vgpr2
	s_mov_b64 s[0:1], 0
.LBB222_282:
	s_and_b64 vcc, exec, s[22:23]
	s_cbranch_vccz .LBB222_398
; %bb.283:
	s_cmp_eq_u32 s26, 44
	s_cbranch_scc0 .LBB222_397
; %bb.284:
	global_load_ubyte v2, v[0:1], off
	s_mov_b64 s[0:1], -1
	s_mov_b64 s[20:21], 0
	s_waitcnt vmcnt(0)
	v_lshlrev_b32_e32 v3, 23, v2
	v_cvt_i32_f32_e32 v3, v3
	v_cmp_ne_u32_e32 vcc, 0, v2
	v_cndmask_b32_e32 v2, 0, v3, vcc
	s_branch .LBB222_398
.LBB222_285:
	s_mov_b64 s[26:27], -1
	s_mov_b64 s[22:23], 0
	s_mov_b64 s[0:1], s[6:7]
.LBB222_286:
	s_and_b64 vcc, exec, s[26:27]
	s_cbranch_vccz .LBB222_291
; %bb.287:
	s_cmp_eq_u32 s31, 44
	s_mov_b64 s[0:1], -1
	s_cbranch_scc0 .LBB222_291
; %bb.288:
	v_cvt_f32_i32_sdwa v2, sext(v4) dst_sel:DWORD dst_unused:UNUSED_PAD src0_sel:WORD_0
	s_movk_i32 s0, 0xff
	v_mov_b32_e32 v5, 0xff
	v_bfe_u32 v3, v2, 23, 8
	v_cmp_ne_u32_e32 vcc, s0, v3
	s_and_saveexec_b64 s[22:23], vcc
; %bb.289:
	s_mov_b32 s0, 0x3fffff
	v_lshrrev_b32_e32 v5, 23, v2
	v_and_b32_e32 v6, 0x400000, v2
	v_and_or_b32 v2, v2, s0, v3
	v_cmp_ne_u32_e32 vcc, 0, v6
	v_cmp_ne_u32_e64 s[0:1], 0, v2
	s_and_b64 s[0:1], vcc, s[0:1]
	v_cndmask_b32_e64 v2, 0, 1, s[0:1]
	v_add_u32_e32 v5, v5, v2
; %bb.290:
	s_or_b64 exec, exec, s[22:23]
	s_mov_b64 s[22:23], -1
	s_mov_b64 s[0:1], 0
	global_store_byte v[0:1], v5, off
.LBB222_291:
	s_mov_b64 s[26:27], 0
.LBB222_292:
	s_and_b64 vcc, exec, s[26:27]
	s_cbranch_vccz .LBB222_295
; %bb.293:
	s_cmp_eq_u32 s31, 29
	s_mov_b64 s[0:1], -1
	s_cbranch_scc0 .LBB222_295
; %bb.294:
	v_bfe_i32 v2, v4, 0, 16
	v_ashrrev_i32_e32 v3, 31, v2
	global_store_dwordx2 v[0:1], v[2:3], off
	s_mov_b64 s[22:23], -1
	s_mov_b64 s[0:1], 0
.LBB222_295:
	s_mov_b64 s[26:27], 0
.LBB222_296:
	s_and_b64 vcc, exec, s[26:27]
	s_cbranch_vccz .LBB222_312
; %bb.297:
	s_cmp_lt_i32 s31, 27
	s_mov_b64 s[22:23], -1
	s_cbranch_scc1 .LBB222_303
; %bb.298:
	s_cmp_gt_i32 s31, 27
	s_cbranch_scc0 .LBB222_300
; %bb.299:
	v_bfe_i32 v2, v4, 0, 16
	s_mov_b64 s[22:23], 0
	global_store_dword v[0:1], v2, off
.LBB222_300:
	s_andn2_b64 vcc, exec, s[22:23]
	s_cbranch_vccnz .LBB222_302
; %bb.301:
	global_store_short v[0:1], v4, off
.LBB222_302:
	s_mov_b64 s[22:23], 0
.LBB222_303:
	s_andn2_b64 vcc, exec, s[22:23]
	s_cbranch_vccnz .LBB222_311
; %bb.304:
	v_cvt_f32_i32_sdwa v2, sext(v4) dst_sel:DWORD dst_unused:UNUSED_PAD src0_sel:WORD_0
	s_mov_b32 s22, 0x43800000
	v_mov_b32_e32 v5, 0x80
	v_and_b32_e32 v3, 0x7fffffff, v2
	v_cmp_gt_u32_e32 vcc, s22, v3
	s_and_saveexec_b64 s[22:23], vcc
	s_cbranch_execz .LBB222_310
; %bb.305:
	s_mov_b32 s26, 0x3bffffff
	v_cmp_lt_u32_e32 vcc, s26, v3
	s_mov_b64 s[26:27], 0
                                        ; implicit-def: $vgpr3
	s_and_saveexec_b64 s[28:29], vcc
	s_xor_b64 s[28:29], exec, s[28:29]
	s_cbranch_execz .LBB222_518
; %bb.306:
	v_bfe_u32 v3, v2, 20, 1
	s_mov_b32 s34, 0x487ffff
	v_add3_u32 v3, v2, v3, s34
	s_mov_b64 s[26:27], exec
	v_lshrrev_b32_e32 v3, 20, v3
	s_andn2_saveexec_b64 s[28:29], s[28:29]
	s_cbranch_execnz .LBB222_519
.LBB222_307:
	s_or_b64 exec, exec, s[28:29]
	v_mov_b32_e32 v5, 0
	s_and_saveexec_b64 s[28:29], s[26:27]
.LBB222_308:
	v_lshrrev_b32_e32 v2, 24, v2
	s_movk_i32 s26, 0x80
	v_and_or_b32 v5, v2, s26, v3
.LBB222_309:
	s_or_b64 exec, exec, s[28:29]
.LBB222_310:
	s_or_b64 exec, exec, s[22:23]
	global_store_byte v[0:1], v5, off
.LBB222_311:
	s_mov_b64 s[22:23], -1
.LBB222_312:
	s_mov_b64 s[26:27], 0
.LBB222_313:
	s_and_b64 vcc, exec, s[26:27]
	s_cbranch_vccz .LBB222_354
; %bb.314:
	s_cmp_gt_i32 s31, 22
	s_mov_b64 s[26:27], -1
	s_cbranch_scc0 .LBB222_346
; %bb.315:
	s_cmp_lt_i32 s31, 24
	s_mov_b64 s[22:23], -1
	s_cbranch_scc1 .LBB222_335
; %bb.316:
	s_cmp_gt_i32 s31, 24
	s_cbranch_scc0 .LBB222_324
; %bb.317:
	v_cvt_f32_i32_sdwa v2, sext(v4) dst_sel:DWORD dst_unused:UNUSED_PAD src0_sel:WORD_0
	s_mov_b32 s22, 0x47800000
	v_mov_b32_e32 v5, 0x80
	v_and_b32_e32 v3, 0x7fffffff, v2
	v_cmp_gt_u32_e32 vcc, s22, v3
	s_and_saveexec_b64 s[22:23], vcc
	s_cbranch_execz .LBB222_323
; %bb.318:
	s_mov_b32 s26, 0x37ffffff
	v_cmp_lt_u32_e32 vcc, s26, v3
	s_mov_b64 s[26:27], 0
                                        ; implicit-def: $vgpr3
	s_and_saveexec_b64 s[28:29], vcc
	s_xor_b64 s[28:29], exec, s[28:29]
	s_cbranch_execz .LBB222_521
; %bb.319:
	v_bfe_u32 v3, v2, 21, 1
	s_mov_b32 s34, 0x88fffff
	v_add3_u32 v3, v2, v3, s34
	s_mov_b64 s[26:27], exec
	v_lshrrev_b32_e32 v3, 21, v3
	s_andn2_saveexec_b64 s[28:29], s[28:29]
	s_cbranch_execnz .LBB222_522
.LBB222_320:
	s_or_b64 exec, exec, s[28:29]
	v_mov_b32_e32 v5, 0
	s_and_saveexec_b64 s[28:29], s[26:27]
.LBB222_321:
	v_lshrrev_b32_e32 v2, 24, v2
	s_movk_i32 s26, 0x80
	v_and_or_b32 v5, v2, s26, v3
.LBB222_322:
	s_or_b64 exec, exec, s[28:29]
.LBB222_323:
	s_or_b64 exec, exec, s[22:23]
	s_mov_b64 s[22:23], 0
	global_store_byte v[0:1], v5, off
.LBB222_324:
	s_and_b64 vcc, exec, s[22:23]
	s_cbranch_vccz .LBB222_334
; %bb.325:
	v_cvt_f32_i32_sdwa v2, sext(v4) dst_sel:DWORD dst_unused:UNUSED_PAD src0_sel:WORD_0
	s_mov_b32 s22, 0x43f00000
                                        ; implicit-def: $vgpr3
	v_and_b32_e32 v5, 0x7fffffff, v2
	v_cmp_gt_u32_e32 vcc, s22, v5
	s_and_saveexec_b64 s[22:23], vcc
	s_xor_b64 s[22:23], exec, s[22:23]
	s_cbranch_execz .LBB222_331
; %bb.326:
	s_mov_b32 s26, 0x3c7fffff
	v_cmp_lt_u32_e32 vcc, s26, v5
                                        ; implicit-def: $vgpr3
	s_and_saveexec_b64 s[26:27], vcc
	s_xor_b64 s[26:27], exec, s[26:27]
; %bb.327:
	v_bfe_u32 v3, v2, 20, 1
	s_mov_b32 s28, 0x407ffff
	v_add3_u32 v3, v2, v3, s28
	v_lshrrev_b32_e32 v5, 20, v3
	v_and_b32_e32 v3, 0xff00000, v3
	s_mov_b32 s28, 0x7f00000
	v_mov_b32_e32 v6, 0x7e
	v_cmp_ne_u32_e32 vcc, s28, v3
	v_cndmask_b32_e32 v3, v6, v5, vcc
; %bb.328:
	s_andn2_saveexec_b64 s[26:27], s[26:27]
; %bb.329:
	s_mov_b32 s28, 0x46800000
	v_add_f32_e64 v3, |v2|, s28
; %bb.330:
	s_or_b64 exec, exec, s[26:27]
                                        ; implicit-def: $vgpr5
.LBB222_331:
	s_andn2_saveexec_b64 s[22:23], s[22:23]
; %bb.332:
	s_mov_b32 s26, 0x7f800000
	v_mov_b32_e32 v3, 0x7e
	v_mov_b32_e32 v6, 0x7f
	v_cmp_lt_u32_e32 vcc, s26, v5
	v_cndmask_b32_e32 v3, v3, v6, vcc
; %bb.333:
	s_or_b64 exec, exec, s[22:23]
	v_lshrrev_b32_e32 v2, 24, v2
	s_movk_i32 s22, 0x80
	v_and_or_b32 v2, v2, s22, v3
	global_store_byte v[0:1], v2, off
.LBB222_334:
	s_mov_b64 s[22:23], 0
.LBB222_335:
	s_andn2_b64 vcc, exec, s[22:23]
	s_cbranch_vccnz .LBB222_345
; %bb.336:
	v_cvt_f32_i32_sdwa v2, sext(v4) dst_sel:DWORD dst_unused:UNUSED_PAD src0_sel:WORD_0
	s_mov_b32 s22, 0x47800000
                                        ; implicit-def: $vgpr3
	v_and_b32_e32 v5, 0x7fffffff, v2
	v_cmp_gt_u32_e32 vcc, s22, v5
	s_and_saveexec_b64 s[22:23], vcc
	s_xor_b64 s[22:23], exec, s[22:23]
	s_cbranch_execz .LBB222_342
; %bb.337:
	s_mov_b32 s26, 0x387fffff
	v_cmp_lt_u32_e32 vcc, s26, v5
                                        ; implicit-def: $vgpr3
	s_and_saveexec_b64 s[26:27], vcc
	s_xor_b64 s[26:27], exec, s[26:27]
; %bb.338:
	v_bfe_u32 v3, v2, 21, 1
	s_mov_b32 s28, 0x80fffff
	v_add3_u32 v3, v2, v3, s28
	v_lshrrev_b32_e32 v3, 21, v3
; %bb.339:
	s_andn2_saveexec_b64 s[26:27], s[26:27]
; %bb.340:
	s_mov_b32 s28, 0x43000000
	v_add_f32_e64 v3, |v2|, s28
; %bb.341:
	s_or_b64 exec, exec, s[26:27]
                                        ; implicit-def: $vgpr5
.LBB222_342:
	s_andn2_saveexec_b64 s[22:23], s[22:23]
; %bb.343:
	s_mov_b32 s26, 0x7f800000
	v_mov_b32_e32 v3, 0x7c
	v_mov_b32_e32 v6, 0x7f
	v_cmp_lt_u32_e32 vcc, s26, v5
	v_cndmask_b32_e32 v3, v3, v6, vcc
; %bb.344:
	s_or_b64 exec, exec, s[22:23]
	v_lshrrev_b32_e32 v2, 24, v2
	s_movk_i32 s22, 0x80
	v_and_or_b32 v2, v2, s22, v3
	global_store_byte v[0:1], v2, off
.LBB222_345:
	s_mov_b64 s[26:27], 0
	s_mov_b64 s[22:23], -1
.LBB222_346:
	s_andn2_b64 vcc, exec, s[26:27]
	s_cbranch_vccnz .LBB222_354
; %bb.347:
	s_cmp_gt_i32 s31, 14
	s_mov_b64 s[26:27], -1
	s_cbranch_scc0 .LBB222_351
; %bb.348:
	s_cmp_eq_u32 s31, 15
	s_mov_b64 s[0:1], -1
	s_cbranch_scc0 .LBB222_350
; %bb.349:
	v_cvt_f32_i32_sdwa v2, sext(v4) dst_sel:DWORD dst_unused:UNUSED_PAD src0_sel:WORD_0
	s_movk_i32 s0, 0x7fff
	s_mov_b64 s[22:23], -1
	v_bfe_u32 v3, v2, 16, 1
	v_add3_u32 v2, v2, v3, s0
	global_store_short_d16_hi v[0:1], v2, off
	s_mov_b64 s[0:1], 0
.LBB222_350:
	s_mov_b64 s[26:27], 0
.LBB222_351:
	s_and_b64 vcc, exec, s[26:27]
	s_cbranch_vccz .LBB222_354
; %bb.352:
	s_cmp_eq_u32 s31, 11
	s_mov_b64 s[0:1], -1
	s_cbranch_scc0 .LBB222_354
; %bb.353:
	v_cmp_ne_u16_e32 vcc, 0, v4
	v_cndmask_b32_e64 v2, 0, 1, vcc
	s_mov_b64 s[22:23], -1
	s_mov_b64 s[0:1], 0
	global_store_byte v[0:1], v2, off
.LBB222_354:
	s_mov_b64 s[26:27], 0
.LBB222_355:
	s_and_b64 vcc, exec, s[26:27]
	s_cbranch_vccz .LBB222_394
; %bb.356:
	s_and_b32 s26, 0xffff, s30
	s_cmp_lt_i32 s26, 5
	s_mov_b64 s[22:23], -1
	s_cbranch_scc1 .LBB222_377
; %bb.357:
	s_cmp_lt_i32 s26, 8
	s_cbranch_scc1 .LBB222_367
; %bb.358:
	s_cmp_lt_i32 s26, 9
	s_cbranch_scc1 .LBB222_364
; %bb.359:
	s_cmp_gt_i32 s26, 9
	s_cbranch_scc0 .LBB222_361
; %bb.360:
	v_bfe_i32 v2, v4, 0, 16
	v_cvt_f64_i32_e32 v[5:6], v2
	v_mov_b32_e32 v7, 0
	v_mov_b32_e32 v8, v7
	s_mov_b64 s[22:23], 0
	global_store_dwordx4 v[0:1], v[5:8], off
.LBB222_361:
	s_andn2_b64 vcc, exec, s[22:23]
	s_cbranch_vccnz .LBB222_363
; %bb.362:
	v_cvt_f32_i32_sdwa v2, sext(v4) dst_sel:DWORD dst_unused:UNUSED_PAD src0_sel:WORD_0
	v_mov_b32_e32 v3, 0
	global_store_dwordx2 v[0:1], v[2:3], off
.LBB222_363:
	s_mov_b64 s[22:23], 0
.LBB222_364:
	s_andn2_b64 vcc, exec, s[22:23]
	s_cbranch_vccnz .LBB222_366
; %bb.365:
	v_cvt_f16_i16_e32 v2, v4
	global_store_dword v[0:1], v2, off
.LBB222_366:
	s_mov_b64 s[22:23], 0
.LBB222_367:
	s_andn2_b64 vcc, exec, s[22:23]
	s_cbranch_vccnz .LBB222_376
; %bb.368:
	s_cmp_lt_i32 s26, 6
	s_mov_b64 s[22:23], -1
	s_cbranch_scc1 .LBB222_374
; %bb.369:
	s_cmp_gt_i32 s26, 6
	s_cbranch_scc0 .LBB222_371
; %bb.370:
	v_bfe_i32 v2, v4, 0, 16
	v_cvt_f64_i32_e32 v[2:3], v2
	s_mov_b64 s[22:23], 0
	global_store_dwordx2 v[0:1], v[2:3], off
.LBB222_371:
	s_andn2_b64 vcc, exec, s[22:23]
	s_cbranch_vccnz .LBB222_373
; %bb.372:
	v_cvt_f32_i32_sdwa v2, sext(v4) dst_sel:DWORD dst_unused:UNUSED_PAD src0_sel:WORD_0
	global_store_dword v[0:1], v2, off
.LBB222_373:
	s_mov_b64 s[22:23], 0
.LBB222_374:
	s_andn2_b64 vcc, exec, s[22:23]
	s_cbranch_vccnz .LBB222_376
; %bb.375:
	v_cvt_f16_i16_e32 v2, v4
	global_store_short v[0:1], v2, off
.LBB222_376:
	s_mov_b64 s[22:23], 0
.LBB222_377:
	s_andn2_b64 vcc, exec, s[22:23]
	s_cbranch_vccnz .LBB222_393
; %bb.378:
	s_cmp_lt_i32 s26, 2
	s_mov_b64 s[22:23], -1
	s_cbranch_scc1 .LBB222_388
; %bb.379:
	s_cmp_lt_i32 s26, 3
	s_cbranch_scc1 .LBB222_385
; %bb.380:
	s_cmp_gt_i32 s26, 3
	v_bfe_i32 v2, v4, 0, 16
	s_cbranch_scc0 .LBB222_382
; %bb.381:
	v_ashrrev_i32_e32 v3, 31, v2
	s_mov_b64 s[22:23], 0
	global_store_dwordx2 v[0:1], v[2:3], off
.LBB222_382:
	s_andn2_b64 vcc, exec, s[22:23]
	s_cbranch_vccnz .LBB222_384
; %bb.383:
	global_store_dword v[0:1], v2, off
.LBB222_384:
	s_mov_b64 s[22:23], 0
.LBB222_385:
	s_andn2_b64 vcc, exec, s[22:23]
	s_cbranch_vccnz .LBB222_387
; %bb.386:
	global_store_short v[0:1], v4, off
.LBB222_387:
	s_mov_b64 s[22:23], 0
.LBB222_388:
	s_andn2_b64 vcc, exec, s[22:23]
	s_cbranch_vccnz .LBB222_393
; %bb.389:
	s_cmp_gt_i32 s26, 0
	s_mov_b64 s[22:23], -1
	s_cbranch_scc0 .LBB222_391
; %bb.390:
	s_mov_b64 s[22:23], 0
	global_store_byte v[0:1], v4, off
.LBB222_391:
	s_andn2_b64 vcc, exec, s[22:23]
	s_cbranch_vccnz .LBB222_393
; %bb.392:
	global_store_byte v[0:1], v4, off
.LBB222_393:
	s_mov_b64 s[22:23], -1
.LBB222_394:
	s_andn2_b64 vcc, exec, s[22:23]
	s_cbranch_vccnz .LBB222_396
; %bb.395:
	v_add_u32_e32 v9, 0x80, v9
	s_mov_b64 s[26:27], -1
	s_branch .LBB222_504
.LBB222_396:
	s_mov_b64 s[26:27], 0
                                        ; implicit-def: $vgpr9
	s_branch .LBB222_504
.LBB222_397:
	s_mov_b64 s[20:21], -1
                                        ; implicit-def: $vgpr2
.LBB222_398:
	s_mov_b64 s[22:23], 0
.LBB222_399:
	s_and_b64 vcc, exec, s[22:23]
	s_cbranch_vccz .LBB222_403
; %bb.400:
	s_cmp_eq_u32 s26, 29
	s_cbranch_scc0 .LBB222_402
; %bb.401:
	global_load_dwordx2 v[2:3], v[0:1], off
	s_mov_b64 s[0:1], -1
	s_mov_b64 s[20:21], 0
	s_branch .LBB222_403
.LBB222_402:
	s_mov_b64 s[20:21], -1
                                        ; implicit-def: $vgpr2
.LBB222_403:
	s_mov_b64 s[22:23], 0
.LBB222_404:
	s_and_b64 vcc, exec, s[22:23]
	s_cbranch_vccz .LBB222_420
; %bb.405:
	s_cmp_lt_i32 s26, 27
	s_cbranch_scc1 .LBB222_408
; %bb.406:
	s_cmp_gt_i32 s26, 27
	s_cbranch_scc0 .LBB222_409
; %bb.407:
	global_load_dword v2, v[0:1], off
	s_mov_b64 s[0:1], 0
	s_branch .LBB222_410
.LBB222_408:
	s_mov_b64 s[0:1], -1
                                        ; implicit-def: $vgpr2
	s_branch .LBB222_413
.LBB222_409:
	s_mov_b64 s[0:1], -1
                                        ; implicit-def: $vgpr2
.LBB222_410:
	s_andn2_b64 vcc, exec, s[0:1]
	s_cbranch_vccnz .LBB222_412
; %bb.411:
	global_load_ushort v2, v[0:1], off
.LBB222_412:
	s_mov_b64 s[0:1], 0
.LBB222_413:
	s_andn2_b64 vcc, exec, s[0:1]
	s_cbranch_vccnz .LBB222_419
; %bb.414:
	global_load_ubyte v3, v[0:1], off
	s_movk_i32 s0, 0x7f
	s_mov_b64 s[22:23], 0
	s_waitcnt vmcnt(0)
	v_cmp_lt_i16_e32 vcc, s0, v3
	s_and_saveexec_b64 s[0:1], vcc
	s_xor_b64 s[0:1], exec, s[0:1]
	s_cbranch_execz .LBB222_431
; %bb.415:
	s_movk_i32 s22, 0x80
	v_cmp_ne_u16_e32 vcc, s22, v3
	s_and_b64 s[22:23], vcc, exec
	s_andn2_saveexec_b64 s[0:1], s[0:1]
	s_cbranch_execnz .LBB222_432
.LBB222_416:
	s_or_b64 exec, exec, s[0:1]
	v_mov_b32_e32 v2, 0
	s_and_saveexec_b64 s[0:1], s[22:23]
	s_cbranch_execz .LBB222_418
.LBB222_417:
	v_lshlrev_b32_e32 v2, 24, v3
	v_and_b32_e32 v3, 0xffff, v3
	v_and_b32_e32 v4, 7, v3
	v_ffbh_u32_e32 v6, v4
	v_min_u32_e32 v6, 32, v6
	v_subrev_u32_e32 v7, 28, v6
	v_bfe_u32 v5, v3, 3, 4
	v_lshlrev_b32_e32 v3, v7, v3
	v_sub_u32_e32 v6, 29, v6
	v_and_b32_e32 v3, 7, v3
	v_cmp_eq_u32_e32 vcc, 0, v5
	v_cndmask_b32_e32 v5, v5, v6, vcc
	v_cndmask_b32_e32 v3, v4, v3, vcc
	v_mov_b32_e32 v4, 0x3b800000
	v_lshlrev_b32_e32 v3, 20, v3
	v_and_b32_e32 v2, 0x80000000, v2
	v_lshl_add_u32 v4, v5, 23, v4
	v_or3_b32 v2, v2, v4, v3
	v_cvt_i32_f32_e32 v2, v2
.LBB222_418:
	s_or_b64 exec, exec, s[0:1]
.LBB222_419:
	s_mov_b64 s[0:1], -1
.LBB222_420:
	s_mov_b64 s[22:23], 0
.LBB222_421:
	s_and_b64 vcc, exec, s[22:23]
	s_cbranch_vccz .LBB222_454
; %bb.422:
	s_cmp_gt_i32 s26, 22
	s_cbranch_scc0 .LBB222_430
; %bb.423:
	s_cmp_lt_i32 s26, 24
	s_cbranch_scc1 .LBB222_433
; %bb.424:
	s_cmp_gt_i32 s26, 24
	s_cbranch_scc0 .LBB222_434
; %bb.425:
	global_load_ubyte v3, v[0:1], off
	s_movk_i32 s0, 0x7f
	s_mov_b64 s[22:23], 0
	s_waitcnt vmcnt(0)
	v_cmp_lt_i16_e32 vcc, s0, v3
	s_and_saveexec_b64 s[0:1], vcc
	s_xor_b64 s[0:1], exec, s[0:1]
	s_cbranch_execz .LBB222_446
; %bb.426:
	s_movk_i32 s22, 0x80
	v_cmp_ne_u16_e32 vcc, s22, v3
	s_and_b64 s[22:23], vcc, exec
	s_andn2_saveexec_b64 s[0:1], s[0:1]
	s_cbranch_execnz .LBB222_447
.LBB222_427:
	s_or_b64 exec, exec, s[0:1]
	v_mov_b32_e32 v2, 0
	s_and_saveexec_b64 s[0:1], s[22:23]
	s_cbranch_execz .LBB222_429
.LBB222_428:
	v_lshlrev_b32_e32 v2, 24, v3
	v_and_b32_e32 v3, 0xffff, v3
	v_and_b32_e32 v4, 3, v3
	v_ffbh_u32_e32 v6, v4
	v_min_u32_e32 v6, 32, v6
	v_subrev_u32_e32 v7, 29, v6
	v_bfe_u32 v5, v3, 2, 5
	v_lshlrev_b32_e32 v3, v7, v3
	v_sub_u32_e32 v6, 30, v6
	v_and_b32_e32 v3, 3, v3
	v_cmp_eq_u32_e32 vcc, 0, v5
	v_cndmask_b32_e32 v5, v5, v6, vcc
	v_cndmask_b32_e32 v3, v4, v3, vcc
	v_mov_b32_e32 v4, 0x37800000
	v_lshlrev_b32_e32 v3, 21, v3
	v_and_b32_e32 v2, 0x80000000, v2
	v_lshl_add_u32 v4, v5, 23, v4
	v_or3_b32 v2, v2, v4, v3
	v_cvt_i32_f32_e32 v2, v2
.LBB222_429:
	s_or_b64 exec, exec, s[0:1]
	s_mov_b64 s[0:1], 0
	s_branch .LBB222_435
.LBB222_430:
	s_mov_b64 s[22:23], -1
                                        ; implicit-def: $vgpr2
	s_branch .LBB222_441
.LBB222_431:
	s_andn2_saveexec_b64 s[0:1], s[0:1]
	s_cbranch_execz .LBB222_416
.LBB222_432:
	v_cmp_ne_u16_e32 vcc, 0, v3
	s_andn2_b64 s[22:23], s[22:23], exec
	s_and_b64 s[28:29], vcc, exec
	s_or_b64 s[22:23], s[22:23], s[28:29]
	s_or_b64 exec, exec, s[0:1]
	v_mov_b32_e32 v2, 0
	s_and_saveexec_b64 s[0:1], s[22:23]
	s_cbranch_execnz .LBB222_417
	s_branch .LBB222_418
.LBB222_433:
	s_mov_b64 s[0:1], -1
                                        ; implicit-def: $vgpr2
	s_branch .LBB222_438
.LBB222_434:
	s_mov_b64 s[0:1], -1
                                        ; implicit-def: $vgpr2
.LBB222_435:
	s_and_b64 vcc, exec, s[0:1]
	s_cbranch_vccz .LBB222_437
; %bb.436:
	global_load_ubyte v2, v[0:1], off
	s_mov_b32 s0, 0x7f800000
	s_waitcnt vmcnt(0)
	v_lshlrev_b32_e32 v2, 24, v2
	v_and_b32_e32 v3, 0x7f000000, v2
	v_ffbh_u32_e32 v4, v3
	v_min_u32_e32 v4, 32, v4
	v_sub_u32_e64 v4, v4, 4 clamp
	v_lshlrev_b32_e32 v6, v4, v3
	v_lshlrev_b32_e32 v4, 23, v4
	v_lshrrev_b32_e32 v6, 4, v6
	v_add_u32_e32 v5, 0x1000000, v3
	v_sub_u32_e32 v4, v6, v4
	v_ashrrev_i32_e32 v5, 8, v5
	v_add_u32_e32 v4, 0x3c000000, v4
	v_and_or_b32 v4, v5, s0, v4
	v_cmp_ne_u32_e32 vcc, 0, v3
	v_cndmask_b32_e32 v3, 0, v4, vcc
	s_brev_b32 s0, 1
	v_and_or_b32 v2, v2, s0, v3
	v_cvt_i32_f32_e32 v2, v2
.LBB222_437:
	s_mov_b64 s[0:1], 0
.LBB222_438:
	s_andn2_b64 vcc, exec, s[0:1]
	s_cbranch_vccnz .LBB222_440
; %bb.439:
	global_load_ubyte v2, v[0:1], off
	s_movk_i32 s0, 0x7f00
	s_brev_b32 s1, 16
	s_waitcnt vmcnt(0)
	v_lshlrev_b16_e32 v3, 8, v2
	v_lshlrev_b32_e32 v2, 25, v2
	v_lshrrev_b32_e32 v4, 4, v2
	v_and_or_b32 v5, v3, s0, 0.5
	v_or_b32_e32 v4, 0x70000000, v4
	v_add_f32_e32 v5, -0.5, v5
	v_mul_f32_e32 v4, 0x7800000, v4
	v_cmp_gt_u32_e32 vcc, s1, v2
	v_bfe_i32 v3, v3, 0, 16
	v_cndmask_b32_e32 v2, v4, v5, vcc
	s_brev_b32 s0, 1
	v_and_or_b32 v2, v3, s0, v2
	v_cvt_i32_f32_e32 v2, v2
.LBB222_440:
	s_mov_b64 s[22:23], 0
	s_mov_b64 s[0:1], -1
.LBB222_441:
	s_andn2_b64 vcc, exec, s[22:23]
	s_cbranch_vccnz .LBB222_454
; %bb.442:
	s_cmp_gt_i32 s26, 14
	s_cbranch_scc0 .LBB222_445
; %bb.443:
	s_cmp_eq_u32 s26, 15
	s_cbranch_scc0 .LBB222_448
; %bb.444:
	global_load_ushort v2, v[0:1], off
	s_mov_b64 s[0:1], -1
	s_mov_b64 s[20:21], 0
	s_waitcnt vmcnt(0)
	v_lshlrev_b32_e32 v2, 16, v2
	v_cvt_i32_f32_e32 v2, v2
	s_branch .LBB222_449
.LBB222_445:
	s_mov_b64 s[22:23], -1
                                        ; implicit-def: $vgpr2
	s_branch .LBB222_450
.LBB222_446:
	s_andn2_saveexec_b64 s[0:1], s[0:1]
	s_cbranch_execz .LBB222_427
.LBB222_447:
	v_cmp_ne_u16_e32 vcc, 0, v3
	s_andn2_b64 s[22:23], s[22:23], exec
	s_and_b64 s[28:29], vcc, exec
	s_or_b64 s[22:23], s[22:23], s[28:29]
	s_or_b64 exec, exec, s[0:1]
	v_mov_b32_e32 v2, 0
	s_and_saveexec_b64 s[0:1], s[22:23]
	s_cbranch_execnz .LBB222_428
	s_branch .LBB222_429
.LBB222_448:
	s_mov_b64 s[20:21], -1
                                        ; implicit-def: $vgpr2
.LBB222_449:
	s_mov_b64 s[22:23], 0
.LBB222_450:
	s_and_b64 vcc, exec, s[22:23]
	s_cbranch_vccz .LBB222_454
; %bb.451:
	s_cmp_eq_u32 s26, 11
	s_cbranch_scc0 .LBB222_453
; %bb.452:
	global_load_ubyte v2, v[0:1], off
	s_mov_b64 s[0:1], -1
	s_mov_b64 s[20:21], 0
	s_waitcnt vmcnt(0)
	v_cmp_ne_u16_e32 vcc, 0, v2
	v_cndmask_b32_e64 v2, 0, 1, vcc
	s_branch .LBB222_454
.LBB222_453:
	s_mov_b64 s[20:21], -1
                                        ; implicit-def: $vgpr2
.LBB222_454:
	s_branch .LBB222_261
.LBB222_455:
	s_cmp_lt_i32 s26, 5
	s_cbranch_scc1 .LBB222_460
; %bb.456:
	s_cmp_lt_i32 s26, 8
	s_cbranch_scc1 .LBB222_461
; %bb.457:
	;; [unrolled: 3-line block ×3, first 2 shown]
	s_cmp_gt_i32 s26, 9
	s_cbranch_scc0 .LBB222_463
; %bb.459:
	global_load_dwordx2 v[2:3], v[0:1], off
	s_mov_b64 s[0:1], 0
	s_waitcnt vmcnt(0)
	v_cvt_i32_f64_e32 v2, v[2:3]
	s_branch .LBB222_464
.LBB222_460:
	s_mov_b64 s[0:1], -1
                                        ; implicit-def: $vgpr2
	s_branch .LBB222_482
.LBB222_461:
	s_mov_b64 s[0:1], -1
                                        ; implicit-def: $vgpr2
	s_branch .LBB222_470
.LBB222_462:
	s_mov_b64 s[0:1], -1
                                        ; implicit-def: $vgpr2
	s_branch .LBB222_467
.LBB222_463:
	s_mov_b64 s[0:1], -1
                                        ; implicit-def: $vgpr2
.LBB222_464:
	s_andn2_b64 vcc, exec, s[0:1]
	s_cbranch_vccnz .LBB222_466
; %bb.465:
	global_load_dword v2, v[0:1], off
	s_waitcnt vmcnt(0)
	v_cvt_i32_f32_e32 v2, v2
.LBB222_466:
	s_mov_b64 s[0:1], 0
.LBB222_467:
	s_andn2_b64 vcc, exec, s[0:1]
	s_cbranch_vccnz .LBB222_469
; %bb.468:
	global_load_dword v2, v[0:1], off
	s_waitcnt vmcnt(0)
	v_cvt_i16_f16_e32 v2, v2
.LBB222_469:
	s_mov_b64 s[0:1], 0
.LBB222_470:
	s_andn2_b64 vcc, exec, s[0:1]
	s_cbranch_vccnz .LBB222_481
; %bb.471:
	s_cmp_lt_i32 s26, 6
	s_cbranch_scc1 .LBB222_474
; %bb.472:
	s_cmp_gt_i32 s26, 6
	s_cbranch_scc0 .LBB222_475
; %bb.473:
	global_load_dwordx2 v[2:3], v[0:1], off
	s_mov_b64 s[0:1], 0
	s_waitcnt vmcnt(0)
	v_cvt_i32_f64_e32 v2, v[2:3]
	s_branch .LBB222_476
.LBB222_474:
	s_mov_b64 s[0:1], -1
                                        ; implicit-def: $vgpr2
	s_branch .LBB222_479
.LBB222_475:
	s_mov_b64 s[0:1], -1
                                        ; implicit-def: $vgpr2
.LBB222_476:
	s_andn2_b64 vcc, exec, s[0:1]
	s_cbranch_vccnz .LBB222_478
; %bb.477:
	global_load_dword v2, v[0:1], off
	s_waitcnt vmcnt(0)
	v_cvt_i32_f32_e32 v2, v2
.LBB222_478:
	s_mov_b64 s[0:1], 0
.LBB222_479:
	s_andn2_b64 vcc, exec, s[0:1]
	s_cbranch_vccnz .LBB222_481
; %bb.480:
	global_load_ushort v2, v[0:1], off
	s_waitcnt vmcnt(0)
	v_cvt_i16_f16_e32 v2, v2
.LBB222_481:
	s_mov_b64 s[0:1], 0
.LBB222_482:
	s_andn2_b64 vcc, exec, s[0:1]
	s_cbranch_vccnz .LBB222_502
; %bb.483:
	s_cmp_lt_i32 s26, 2
	s_cbranch_scc1 .LBB222_487
; %bb.484:
	s_cmp_lt_i32 s26, 3
	s_cbranch_scc1 .LBB222_488
; %bb.485:
	s_cmp_gt_i32 s26, 3
	s_cbranch_scc0 .LBB222_489
; %bb.486:
	global_load_dwordx2 v[2:3], v[0:1], off
	s_mov_b64 s[0:1], 0
	s_branch .LBB222_490
.LBB222_487:
	s_mov_b64 s[0:1], -1
                                        ; implicit-def: $vgpr2
	s_branch .LBB222_496
.LBB222_488:
	s_mov_b64 s[0:1], -1
                                        ; implicit-def: $vgpr2
	s_branch .LBB222_493
.LBB222_489:
	s_mov_b64 s[0:1], -1
                                        ; implicit-def: $vgpr2
.LBB222_490:
	s_andn2_b64 vcc, exec, s[0:1]
	s_cbranch_vccnz .LBB222_492
; %bb.491:
	global_load_dword v2, v[0:1], off
.LBB222_492:
	s_mov_b64 s[0:1], 0
.LBB222_493:
	s_andn2_b64 vcc, exec, s[0:1]
	s_cbranch_vccnz .LBB222_495
; %bb.494:
	global_load_ushort v2, v[0:1], off
.LBB222_495:
	s_mov_b64 s[0:1], 0
.LBB222_496:
	s_andn2_b64 vcc, exec, s[0:1]
	s_cbranch_vccnz .LBB222_502
; %bb.497:
	s_cmp_gt_i32 s26, 0
	s_cbranch_scc0 .LBB222_499
; %bb.498:
	global_load_sbyte v2, v[0:1], off
	s_mov_b64 s[0:1], 0
	s_branch .LBB222_500
.LBB222_499:
	s_mov_b64 s[0:1], -1
                                        ; implicit-def: $vgpr2
.LBB222_500:
	s_andn2_b64 vcc, exec, s[0:1]
	s_cbranch_vccnz .LBB222_502
; %bb.501:
	global_load_ubyte v2, v[0:1], off
.LBB222_502:
	s_branch .LBB222_262
.LBB222_503:
	s_mov_b64 s[26:27], 0
                                        ; implicit-def: $vgpr9
	s_mov_b64 s[0:1], s[6:7]
.LBB222_504:
	s_andn2_b64 s[22:23], s[6:7], exec
	s_and_b64 s[0:1], s[0:1], exec
	s_or_b64 s[22:23], s[22:23], s[0:1]
	s_andn2_b64 s[0:1], s[16:17], exec
	s_and_b64 s[20:21], s[20:21], exec
	s_or_b64 s[20:21], s[0:1], s[20:21]
	s_orn2_b64 s[0:1], s[26:27], exec
.LBB222_505:
	s_or_b64 exec, exec, s[24:25]
	s_mov_b64 s[26:27], 0
	s_mov_b64 s[28:29], 0
	s_mov_b64 s[30:31], 0
                                        ; implicit-def: $vgpr0_vgpr1
                                        ; implicit-def: $vgpr2
	s_and_saveexec_b64 s[24:25], s[0:1]
	s_cbranch_execz .LBB222_842
; %bb.506:
	v_cmp_gt_i32_e32 vcc, s40, v9
	s_mov_b64 s[36:37], -1
	s_mov_b64 s[0:1], s[20:21]
	s_mov_b64 s[30:31], s[22:23]
	s_and_saveexec_b64 s[26:27], vcc
	s_cbranch_execz .LBB222_760
; %bb.507:
	v_mul_lo_u32 v0, v9, s13
	v_mov_b32_e32 v1, s11
	s_and_b32 s34, 0xffff, s33
	s_cmp_lt_i32 s34, 11
	s_waitcnt vmcnt(0)
	v_ashrrev_i32_e32 v2, 31, v0
	v_add_co_u32_e32 v0, vcc, s10, v0
	v_addc_co_u32_e32 v1, vcc, v1, v2, vcc
	s_cbranch_scc1 .LBB222_514
; %bb.508:
	s_cmp_gt_i32 s34, 25
	s_cbranch_scc0 .LBB222_515
; %bb.509:
	s_cmp_gt_i32 s34, 28
	s_cbranch_scc0 .LBB222_516
	;; [unrolled: 3-line block ×4, first 2 shown]
; %bb.512:
	s_cmp_eq_u32 s34, 46
	s_mov_b64 s[30:31], 0
	s_cbranch_scc0 .LBB222_523
; %bb.513:
	global_load_dword v2, v[0:1], off
	s_mov_b64 s[0:1], -1
	s_waitcnt vmcnt(0)
	v_lshlrev_b32_e32 v2, 16, v2
	v_cvt_i32_f32_e32 v2, v2
	s_branch .LBB222_524
.LBB222_514:
	s_mov_b64 s[30:31], -1
	s_mov_b64 s[0:1], 0
                                        ; implicit-def: $vgpr2
	s_mov_b64 s[28:29], s[20:21]
	s_branch .LBB222_585
.LBB222_515:
	s_mov_b64 s[30:31], -1
	s_mov_b64 s[0:1], 0
	s_mov_b64 s[28:29], s[20:21]
                                        ; implicit-def: $vgpr2
	s_branch .LBB222_551
.LBB222_516:
	s_mov_b64 s[30:31], -1
	s_mov_b64 s[0:1], 0
	s_mov_b64 s[28:29], s[20:21]
                                        ; implicit-def: $vgpr2
	s_branch .LBB222_534
.LBB222_517:
	s_mov_b64 s[30:31], -1
	s_mov_b64 s[0:1], 0
	s_mov_b64 s[28:29], s[20:21]
                                        ; implicit-def: $vgpr2
	s_branch .LBB222_529
.LBB222_518:
	s_andn2_saveexec_b64 s[28:29], s[28:29]
	s_cbranch_execz .LBB222_307
.LBB222_519:
	s_mov_b32 s34, 0x46000000
	v_add_f32_e64 v3, |v2|, s34
	v_and_b32_e32 v3, 0xff, v3
	v_cmp_ne_u32_e32 vcc, 0, v3
	s_andn2_b64 s[26:27], s[26:27], exec
	s_and_b64 s[34:35], vcc, exec
	s_or_b64 s[26:27], s[26:27], s[34:35]
	s_or_b64 exec, exec, s[28:29]
	v_mov_b32_e32 v5, 0
	s_and_saveexec_b64 s[28:29], s[26:27]
	s_cbranch_execnz .LBB222_308
	s_branch .LBB222_309
.LBB222_520:
	s_mov_b64 s[30:31], -1
	s_mov_b64 s[0:1], 0
	s_mov_b64 s[28:29], s[20:21]
                                        ; implicit-def: $vgpr2
	s_branch .LBB222_524
.LBB222_521:
	s_andn2_saveexec_b64 s[28:29], s[28:29]
	s_cbranch_execz .LBB222_320
.LBB222_522:
	s_mov_b32 s34, 0x42800000
	v_add_f32_e64 v3, |v2|, s34
	v_and_b32_e32 v3, 0xff, v3
	v_cmp_ne_u32_e32 vcc, 0, v3
	s_andn2_b64 s[26:27], s[26:27], exec
	s_and_b64 s[34:35], vcc, exec
	s_or_b64 s[26:27], s[26:27], s[34:35]
	s_or_b64 exec, exec, s[28:29]
	v_mov_b32_e32 v5, 0
	s_and_saveexec_b64 s[28:29], s[26:27]
	s_cbranch_execnz .LBB222_321
	s_branch .LBB222_322
.LBB222_523:
	s_mov_b64 s[28:29], -1
                                        ; implicit-def: $vgpr2
	s_mov_b64 s[0:1], 0
.LBB222_524:
	s_and_b64 vcc, exec, s[30:31]
	s_cbranch_vccz .LBB222_528
; %bb.525:
	s_cmp_eq_u32 s34, 44
	s_cbranch_scc0 .LBB222_527
; %bb.526:
	global_load_ubyte v2, v[0:1], off
	s_mov_b64 s[0:1], -1
	s_mov_b64 s[28:29], 0
	s_waitcnt vmcnt(0)
	v_lshlrev_b32_e32 v3, 23, v2
	v_cvt_i32_f32_e32 v3, v3
	v_cmp_ne_u32_e32 vcc, 0, v2
	v_cndmask_b32_e32 v2, 0, v3, vcc
	s_branch .LBB222_528
.LBB222_527:
	s_mov_b64 s[28:29], -1
                                        ; implicit-def: $vgpr2
.LBB222_528:
	s_mov_b64 s[30:31], 0
.LBB222_529:
	s_and_b64 vcc, exec, s[30:31]
	s_cbranch_vccz .LBB222_533
; %bb.530:
	s_cmp_eq_u32 s34, 29
	s_cbranch_scc0 .LBB222_532
; %bb.531:
	global_load_dwordx2 v[2:3], v[0:1], off
	s_mov_b64 s[0:1], -1
	s_mov_b64 s[28:29], 0
	s_branch .LBB222_533
.LBB222_532:
	s_mov_b64 s[28:29], -1
                                        ; implicit-def: $vgpr2
.LBB222_533:
	s_mov_b64 s[30:31], 0
.LBB222_534:
	s_and_b64 vcc, exec, s[30:31]
	s_cbranch_vccz .LBB222_550
; %bb.535:
	s_cmp_lt_i32 s34, 27
	s_cbranch_scc1 .LBB222_538
; %bb.536:
	s_cmp_gt_i32 s34, 27
	s_cbranch_scc0 .LBB222_539
; %bb.537:
	global_load_dword v2, v[0:1], off
	s_mov_b64 s[0:1], 0
	s_branch .LBB222_540
.LBB222_538:
	s_mov_b64 s[0:1], -1
                                        ; implicit-def: $vgpr2
	s_branch .LBB222_543
.LBB222_539:
	s_mov_b64 s[0:1], -1
                                        ; implicit-def: $vgpr2
.LBB222_540:
	s_andn2_b64 vcc, exec, s[0:1]
	s_cbranch_vccnz .LBB222_542
; %bb.541:
	global_load_ushort v2, v[0:1], off
.LBB222_542:
	s_mov_b64 s[0:1], 0
.LBB222_543:
	s_andn2_b64 vcc, exec, s[0:1]
	s_cbranch_vccnz .LBB222_549
; %bb.544:
	global_load_ubyte v3, v[0:1], off
	s_movk_i32 s0, 0x7f
	s_mov_b64 s[30:31], 0
	s_waitcnt vmcnt(0)
	v_cmp_lt_i16_e32 vcc, s0, v3
	s_and_saveexec_b64 s[0:1], vcc
	s_xor_b64 s[0:1], exec, s[0:1]
	s_cbranch_execz .LBB222_561
; %bb.545:
	s_movk_i32 s30, 0x80
	v_cmp_ne_u16_e32 vcc, s30, v3
	s_and_b64 s[30:31], vcc, exec
	s_andn2_saveexec_b64 s[0:1], s[0:1]
	s_cbranch_execnz .LBB222_562
.LBB222_546:
	s_or_b64 exec, exec, s[0:1]
	v_mov_b32_e32 v2, 0
	s_and_saveexec_b64 s[0:1], s[30:31]
	s_cbranch_execz .LBB222_548
.LBB222_547:
	v_lshlrev_b32_e32 v2, 24, v3
	v_and_b32_e32 v3, 0xffff, v3
	v_and_b32_e32 v4, 7, v3
	v_ffbh_u32_e32 v6, v4
	v_min_u32_e32 v6, 32, v6
	v_subrev_u32_e32 v7, 28, v6
	v_bfe_u32 v5, v3, 3, 4
	v_lshlrev_b32_e32 v3, v7, v3
	v_sub_u32_e32 v6, 29, v6
	v_and_b32_e32 v3, 7, v3
	v_cmp_eq_u32_e32 vcc, 0, v5
	v_cndmask_b32_e32 v5, v5, v6, vcc
	v_cndmask_b32_e32 v3, v4, v3, vcc
	v_mov_b32_e32 v4, 0x3b800000
	v_lshlrev_b32_e32 v3, 20, v3
	v_and_b32_e32 v2, 0x80000000, v2
	v_lshl_add_u32 v4, v5, 23, v4
	v_or3_b32 v2, v2, v4, v3
	v_cvt_i32_f32_e32 v2, v2
.LBB222_548:
	s_or_b64 exec, exec, s[0:1]
.LBB222_549:
	s_mov_b64 s[0:1], -1
.LBB222_550:
	s_mov_b64 s[30:31], 0
.LBB222_551:
	s_and_b64 vcc, exec, s[30:31]
	s_cbranch_vccz .LBB222_584
; %bb.552:
	s_cmp_gt_i32 s34, 22
	s_cbranch_scc0 .LBB222_560
; %bb.553:
	s_cmp_lt_i32 s34, 24
	s_cbranch_scc1 .LBB222_563
; %bb.554:
	s_cmp_gt_i32 s34, 24
	s_cbranch_scc0 .LBB222_564
; %bb.555:
	global_load_ubyte v3, v[0:1], off
	s_movk_i32 s0, 0x7f
	s_mov_b64 s[30:31], 0
	s_waitcnt vmcnt(0)
	v_cmp_lt_i16_e32 vcc, s0, v3
	s_and_saveexec_b64 s[0:1], vcc
	s_xor_b64 s[0:1], exec, s[0:1]
	s_cbranch_execz .LBB222_576
; %bb.556:
	s_movk_i32 s30, 0x80
	v_cmp_ne_u16_e32 vcc, s30, v3
	s_and_b64 s[30:31], vcc, exec
	s_andn2_saveexec_b64 s[0:1], s[0:1]
	s_cbranch_execnz .LBB222_577
.LBB222_557:
	s_or_b64 exec, exec, s[0:1]
	v_mov_b32_e32 v2, 0
	s_and_saveexec_b64 s[0:1], s[30:31]
	s_cbranch_execz .LBB222_559
.LBB222_558:
	v_lshlrev_b32_e32 v2, 24, v3
	v_and_b32_e32 v3, 0xffff, v3
	v_and_b32_e32 v4, 3, v3
	v_ffbh_u32_e32 v6, v4
	v_min_u32_e32 v6, 32, v6
	v_subrev_u32_e32 v7, 29, v6
	v_bfe_u32 v5, v3, 2, 5
	v_lshlrev_b32_e32 v3, v7, v3
	v_sub_u32_e32 v6, 30, v6
	v_and_b32_e32 v3, 3, v3
	v_cmp_eq_u32_e32 vcc, 0, v5
	v_cndmask_b32_e32 v5, v5, v6, vcc
	v_cndmask_b32_e32 v3, v4, v3, vcc
	v_mov_b32_e32 v4, 0x37800000
	v_lshlrev_b32_e32 v3, 21, v3
	v_and_b32_e32 v2, 0x80000000, v2
	v_lshl_add_u32 v4, v5, 23, v4
	v_or3_b32 v2, v2, v4, v3
	v_cvt_i32_f32_e32 v2, v2
.LBB222_559:
	s_or_b64 exec, exec, s[0:1]
	s_mov_b64 s[0:1], 0
	s_branch .LBB222_565
.LBB222_560:
	s_mov_b64 s[30:31], -1
                                        ; implicit-def: $vgpr2
	s_branch .LBB222_571
.LBB222_561:
	s_andn2_saveexec_b64 s[0:1], s[0:1]
	s_cbranch_execz .LBB222_546
.LBB222_562:
	v_cmp_ne_u16_e32 vcc, 0, v3
	s_andn2_b64 s[30:31], s[30:31], exec
	s_and_b64 s[36:37], vcc, exec
	s_or_b64 s[30:31], s[30:31], s[36:37]
	s_or_b64 exec, exec, s[0:1]
	v_mov_b32_e32 v2, 0
	s_and_saveexec_b64 s[0:1], s[30:31]
	s_cbranch_execnz .LBB222_547
	s_branch .LBB222_548
.LBB222_563:
	s_mov_b64 s[0:1], -1
                                        ; implicit-def: $vgpr2
	s_branch .LBB222_568
.LBB222_564:
	s_mov_b64 s[0:1], -1
                                        ; implicit-def: $vgpr2
.LBB222_565:
	s_and_b64 vcc, exec, s[0:1]
	s_cbranch_vccz .LBB222_567
; %bb.566:
	global_load_ubyte v2, v[0:1], off
	s_mov_b32 s0, 0x7f800000
	s_waitcnt vmcnt(0)
	v_lshlrev_b32_e32 v2, 24, v2
	v_and_b32_e32 v3, 0x7f000000, v2
	v_ffbh_u32_e32 v4, v3
	v_min_u32_e32 v4, 32, v4
	v_sub_u32_e64 v4, v4, 4 clamp
	v_lshlrev_b32_e32 v6, v4, v3
	v_lshlrev_b32_e32 v4, 23, v4
	v_lshrrev_b32_e32 v6, 4, v6
	v_add_u32_e32 v5, 0x1000000, v3
	v_sub_u32_e32 v4, v6, v4
	v_ashrrev_i32_e32 v5, 8, v5
	v_add_u32_e32 v4, 0x3c000000, v4
	v_and_or_b32 v4, v5, s0, v4
	v_cmp_ne_u32_e32 vcc, 0, v3
	v_cndmask_b32_e32 v3, 0, v4, vcc
	s_brev_b32 s0, 1
	v_and_or_b32 v2, v2, s0, v3
	v_cvt_i32_f32_e32 v2, v2
.LBB222_567:
	s_mov_b64 s[0:1], 0
.LBB222_568:
	s_andn2_b64 vcc, exec, s[0:1]
	s_cbranch_vccnz .LBB222_570
; %bb.569:
	global_load_ubyte v2, v[0:1], off
	s_movk_i32 s0, 0x7f00
	s_brev_b32 s1, 16
	s_waitcnt vmcnt(0)
	v_lshlrev_b16_e32 v3, 8, v2
	v_lshlrev_b32_e32 v2, 25, v2
	v_lshrrev_b32_e32 v4, 4, v2
	v_and_or_b32 v5, v3, s0, 0.5
	v_or_b32_e32 v4, 0x70000000, v4
	v_add_f32_e32 v5, -0.5, v5
	v_mul_f32_e32 v4, 0x7800000, v4
	v_cmp_gt_u32_e32 vcc, s1, v2
	v_bfe_i32 v3, v3, 0, 16
	v_cndmask_b32_e32 v2, v4, v5, vcc
	s_brev_b32 s0, 1
	v_and_or_b32 v2, v3, s0, v2
	v_cvt_i32_f32_e32 v2, v2
.LBB222_570:
	s_mov_b64 s[30:31], 0
	s_mov_b64 s[0:1], -1
.LBB222_571:
	s_andn2_b64 vcc, exec, s[30:31]
	s_cbranch_vccnz .LBB222_584
; %bb.572:
	s_cmp_gt_i32 s34, 14
	s_cbranch_scc0 .LBB222_575
; %bb.573:
	s_cmp_eq_u32 s34, 15
	s_cbranch_scc0 .LBB222_578
; %bb.574:
	global_load_ushort v2, v[0:1], off
	s_mov_b64 s[0:1], -1
	s_mov_b64 s[28:29], 0
	s_waitcnt vmcnt(0)
	v_lshlrev_b32_e32 v2, 16, v2
	v_cvt_i32_f32_e32 v2, v2
	s_branch .LBB222_579
.LBB222_575:
	s_mov_b64 s[30:31], -1
                                        ; implicit-def: $vgpr2
	s_branch .LBB222_580
.LBB222_576:
	s_andn2_saveexec_b64 s[0:1], s[0:1]
	s_cbranch_execz .LBB222_557
.LBB222_577:
	v_cmp_ne_u16_e32 vcc, 0, v3
	s_andn2_b64 s[30:31], s[30:31], exec
	s_and_b64 s[36:37], vcc, exec
	s_or_b64 s[30:31], s[30:31], s[36:37]
	s_or_b64 exec, exec, s[0:1]
	v_mov_b32_e32 v2, 0
	s_and_saveexec_b64 s[0:1], s[30:31]
	s_cbranch_execnz .LBB222_558
	s_branch .LBB222_559
.LBB222_578:
	s_mov_b64 s[28:29], -1
                                        ; implicit-def: $vgpr2
.LBB222_579:
	s_mov_b64 s[30:31], 0
.LBB222_580:
	s_and_b64 vcc, exec, s[30:31]
	s_cbranch_vccz .LBB222_584
; %bb.581:
	s_cmp_eq_u32 s34, 11
	s_cbranch_scc0 .LBB222_583
; %bb.582:
	global_load_ubyte v2, v[0:1], off
	s_mov_b64 s[0:1], -1
	s_mov_b64 s[28:29], 0
	s_waitcnt vmcnt(0)
	v_cmp_ne_u16_e32 vcc, 0, v2
	v_cndmask_b32_e64 v2, 0, 1, vcc
	s_branch .LBB222_584
.LBB222_583:
	s_mov_b64 s[28:29], -1
                                        ; implicit-def: $vgpr2
.LBB222_584:
	s_mov_b64 s[30:31], 0
.LBB222_585:
	s_and_b64 vcc, exec, s[30:31]
	s_cbranch_vccz .LBB222_634
; %bb.586:
	s_cmp_lt_i32 s34, 5
	s_cbranch_scc1 .LBB222_591
; %bb.587:
	s_cmp_lt_i32 s34, 8
	s_cbranch_scc1 .LBB222_592
	;; [unrolled: 3-line block ×3, first 2 shown]
; %bb.589:
	s_cmp_gt_i32 s34, 9
	s_cbranch_scc0 .LBB222_594
; %bb.590:
	global_load_dwordx2 v[2:3], v[0:1], off
	s_mov_b64 s[0:1], 0
	s_waitcnt vmcnt(0)
	v_cvt_i32_f64_e32 v2, v[2:3]
	s_branch .LBB222_595
.LBB222_591:
	s_mov_b64 s[0:1], -1
                                        ; implicit-def: $vgpr2
	s_branch .LBB222_613
.LBB222_592:
	s_mov_b64 s[0:1], -1
                                        ; implicit-def: $vgpr2
	s_branch .LBB222_601
.LBB222_593:
	s_mov_b64 s[0:1], -1
                                        ; implicit-def: $vgpr2
	s_branch .LBB222_598
.LBB222_594:
	s_mov_b64 s[0:1], -1
                                        ; implicit-def: $vgpr2
.LBB222_595:
	s_andn2_b64 vcc, exec, s[0:1]
	s_cbranch_vccnz .LBB222_597
; %bb.596:
	global_load_dword v2, v[0:1], off
	s_waitcnt vmcnt(0)
	v_cvt_i32_f32_e32 v2, v2
.LBB222_597:
	s_mov_b64 s[0:1], 0
.LBB222_598:
	s_andn2_b64 vcc, exec, s[0:1]
	s_cbranch_vccnz .LBB222_600
; %bb.599:
	global_load_dword v2, v[0:1], off
	s_waitcnt vmcnt(0)
	v_cvt_i16_f16_e32 v2, v2
.LBB222_600:
	s_mov_b64 s[0:1], 0
.LBB222_601:
	s_andn2_b64 vcc, exec, s[0:1]
	s_cbranch_vccnz .LBB222_612
; %bb.602:
	s_cmp_lt_i32 s34, 6
	s_cbranch_scc1 .LBB222_605
; %bb.603:
	s_cmp_gt_i32 s34, 6
	s_cbranch_scc0 .LBB222_606
; %bb.604:
	global_load_dwordx2 v[2:3], v[0:1], off
	s_mov_b64 s[0:1], 0
	s_waitcnt vmcnt(0)
	v_cvt_i32_f64_e32 v2, v[2:3]
	s_branch .LBB222_607
.LBB222_605:
	s_mov_b64 s[0:1], -1
                                        ; implicit-def: $vgpr2
	s_branch .LBB222_610
.LBB222_606:
	s_mov_b64 s[0:1], -1
                                        ; implicit-def: $vgpr2
.LBB222_607:
	s_andn2_b64 vcc, exec, s[0:1]
	s_cbranch_vccnz .LBB222_609
; %bb.608:
	global_load_dword v2, v[0:1], off
	s_waitcnt vmcnt(0)
	v_cvt_i32_f32_e32 v2, v2
.LBB222_609:
	s_mov_b64 s[0:1], 0
.LBB222_610:
	s_andn2_b64 vcc, exec, s[0:1]
	s_cbranch_vccnz .LBB222_612
; %bb.611:
	global_load_ushort v2, v[0:1], off
	s_waitcnt vmcnt(0)
	v_cvt_i16_f16_e32 v2, v2
.LBB222_612:
	s_mov_b64 s[0:1], 0
.LBB222_613:
	s_andn2_b64 vcc, exec, s[0:1]
	s_cbranch_vccnz .LBB222_633
; %bb.614:
	s_cmp_lt_i32 s34, 2
	s_cbranch_scc1 .LBB222_618
; %bb.615:
	s_cmp_lt_i32 s34, 3
	s_cbranch_scc1 .LBB222_619
; %bb.616:
	s_cmp_gt_i32 s34, 3
	s_cbranch_scc0 .LBB222_620
; %bb.617:
	global_load_dwordx2 v[2:3], v[0:1], off
	s_mov_b64 s[0:1], 0
	s_branch .LBB222_621
.LBB222_618:
	s_mov_b64 s[0:1], -1
                                        ; implicit-def: $vgpr2
	s_branch .LBB222_627
.LBB222_619:
	s_mov_b64 s[0:1], -1
                                        ; implicit-def: $vgpr2
	s_branch .LBB222_624
.LBB222_620:
	s_mov_b64 s[0:1], -1
                                        ; implicit-def: $vgpr2
.LBB222_621:
	s_andn2_b64 vcc, exec, s[0:1]
	s_cbranch_vccnz .LBB222_623
; %bb.622:
	global_load_dword v2, v[0:1], off
.LBB222_623:
	s_mov_b64 s[0:1], 0
.LBB222_624:
	s_andn2_b64 vcc, exec, s[0:1]
	s_cbranch_vccnz .LBB222_626
; %bb.625:
	global_load_ushort v2, v[0:1], off
.LBB222_626:
	s_mov_b64 s[0:1], 0
.LBB222_627:
	s_andn2_b64 vcc, exec, s[0:1]
	s_cbranch_vccnz .LBB222_633
; %bb.628:
	s_cmp_gt_i32 s34, 0
	s_cbranch_scc0 .LBB222_630
; %bb.629:
	global_load_sbyte v2, v[0:1], off
	s_mov_b64 s[0:1], 0
	s_branch .LBB222_631
.LBB222_630:
	s_mov_b64 s[0:1], -1
                                        ; implicit-def: $vgpr2
.LBB222_631:
	s_andn2_b64 vcc, exec, s[0:1]
	s_cbranch_vccnz .LBB222_633
; %bb.632:
	global_load_ubyte v2, v[0:1], off
.LBB222_633:
	s_mov_b64 s[0:1], -1
.LBB222_634:
	s_andn2_b64 vcc, exec, s[0:1]
	s_cbranch_vccnz .LBB222_642
; %bb.635:
	v_mul_lo_u32 v1, v9, s12
	s_waitcnt vmcnt(0)
	v_ashrrev_i32_sdwa v0, v2, s45 dst_sel:DWORD dst_unused:UNUSED_PAD src0_sel:WORD_0 src1_sel:DWORD
	v_mov_b32_e32 v3, s44
	v_cmp_lt_u16_e32 vcc, 14, v2
	v_cndmask_b32_e32 v4, v0, v3, vcc
	v_ashrrev_i32_e32 v2, 31, v1
	v_mov_b32_e32 v3, s9
	s_and_b32 s38, s15, 0xff
	v_add_co_u32_e32 v0, vcc, s8, v1
	s_cmp_lt_i32 s38, 11
	v_addc_co_u32_e32 v1, vcc, v3, v2, vcc
	s_cbranch_scc1 .LBB222_643
; %bb.636:
	s_and_b32 s39, 0xffff, s38
	s_cmp_gt_i32 s39, 25
	s_cbranch_scc0 .LBB222_644
; %bb.637:
	s_cmp_gt_i32 s39, 28
	s_cbranch_scc0 .LBB222_645
; %bb.638:
	;; [unrolled: 3-line block ×4, first 2 shown]
	s_mov_b64 s[34:35], 0
	s_mov_b64 s[0:1], -1
	s_cmp_eq_u32 s39, 46
	s_mov_b64 s[30:31], 0
	s_cbranch_scc0 .LBB222_648
; %bb.641:
	v_cvt_f32_i32_sdwa v2, sext(v4) dst_sel:DWORD dst_unused:UNUSED_PAD src0_sel:WORD_0
	s_movk_i32 s0, 0x7fff
	s_mov_b64 s[30:31], -1
	v_bfe_u32 v3, v2, 16, 1
	v_add3_u32 v2, v2, v3, s0
	v_lshrrev_b32_e32 v2, 16, v2
	global_store_dword v[0:1], v2, off
	s_mov_b64 s[0:1], 0
	s_branch .LBB222_648
.LBB222_642:
	s_mov_b64 s[34:35], 0
                                        ; implicit-def: $vgpr9
	s_mov_b64 s[0:1], s[22:23]
	s_branch .LBB222_759
.LBB222_643:
	s_mov_b64 s[34:35], -1
	s_mov_b64 s[30:31], 0
	s_mov_b64 s[0:1], s[22:23]
	s_branch .LBB222_717
.LBB222_644:
	s_mov_b64 s[34:35], -1
	s_mov_b64 s[30:31], 0
	s_mov_b64 s[0:1], s[22:23]
	s_branch .LBB222_675
.LBB222_645:
	s_mov_b64 s[34:35], -1
	s_mov_b64 s[30:31], 0
	s_mov_b64 s[0:1], s[22:23]
	s_branch .LBB222_658
.LBB222_646:
	s_mov_b64 s[34:35], -1
	s_mov_b64 s[30:31], 0
	s_mov_b64 s[0:1], s[22:23]
	s_branch .LBB222_654
.LBB222_647:
	s_mov_b64 s[34:35], -1
	s_mov_b64 s[30:31], 0
	s_mov_b64 s[0:1], s[22:23]
.LBB222_648:
	s_and_b64 vcc, exec, s[34:35]
	s_cbranch_vccz .LBB222_653
; %bb.649:
	s_cmp_eq_u32 s39, 44
	s_mov_b64 s[0:1], -1
	s_cbranch_scc0 .LBB222_653
; %bb.650:
	v_cvt_f32_i32_sdwa v2, sext(v4) dst_sel:DWORD dst_unused:UNUSED_PAD src0_sel:WORD_0
	s_movk_i32 s0, 0xff
	v_mov_b32_e32 v5, 0xff
	v_bfe_u32 v3, v2, 23, 8
	v_cmp_ne_u32_e32 vcc, s0, v3
	s_and_saveexec_b64 s[30:31], vcc
; %bb.651:
	s_mov_b32 s0, 0x3fffff
	v_lshrrev_b32_e32 v5, 23, v2
	v_and_b32_e32 v6, 0x400000, v2
	v_and_or_b32 v2, v2, s0, v3
	v_cmp_ne_u32_e32 vcc, 0, v6
	v_cmp_ne_u32_e64 s[0:1], 0, v2
	s_and_b64 s[0:1], vcc, s[0:1]
	v_cndmask_b32_e64 v2, 0, 1, s[0:1]
	v_add_u32_e32 v5, v5, v2
; %bb.652:
	s_or_b64 exec, exec, s[30:31]
	s_mov_b64 s[30:31], -1
	s_mov_b64 s[0:1], 0
	global_store_byte v[0:1], v5, off
.LBB222_653:
	s_mov_b64 s[34:35], 0
.LBB222_654:
	s_and_b64 vcc, exec, s[34:35]
	s_cbranch_vccz .LBB222_657
; %bb.655:
	s_cmp_eq_u32 s39, 29
	s_mov_b64 s[0:1], -1
	s_cbranch_scc0 .LBB222_657
; %bb.656:
	v_bfe_i32 v2, v4, 0, 16
	v_ashrrev_i32_e32 v3, 31, v2
	global_store_dwordx2 v[0:1], v[2:3], off
	s_mov_b64 s[30:31], -1
	s_mov_b64 s[0:1], 0
.LBB222_657:
	s_mov_b64 s[34:35], 0
.LBB222_658:
	s_and_b64 vcc, exec, s[34:35]
	s_cbranch_vccz .LBB222_674
; %bb.659:
	s_cmp_lt_i32 s39, 27
	s_mov_b64 s[30:31], -1
	s_cbranch_scc1 .LBB222_665
; %bb.660:
	s_cmp_gt_i32 s39, 27
	s_cbranch_scc0 .LBB222_662
; %bb.661:
	v_bfe_i32 v2, v4, 0, 16
	s_mov_b64 s[30:31], 0
	global_store_dword v[0:1], v2, off
.LBB222_662:
	s_andn2_b64 vcc, exec, s[30:31]
	s_cbranch_vccnz .LBB222_664
; %bb.663:
	global_store_short v[0:1], v4, off
.LBB222_664:
	s_mov_b64 s[30:31], 0
.LBB222_665:
	s_andn2_b64 vcc, exec, s[30:31]
	s_cbranch_vccnz .LBB222_673
; %bb.666:
	v_cvt_f32_i32_sdwa v2, sext(v4) dst_sel:DWORD dst_unused:UNUSED_PAD src0_sel:WORD_0
	s_mov_b32 s30, 0x43800000
	v_mov_b32_e32 v5, 0x80
	v_and_b32_e32 v3, 0x7fffffff, v2
	v_cmp_gt_u32_e32 vcc, s30, v3
	s_and_saveexec_b64 s[30:31], vcc
	s_cbranch_execz .LBB222_672
; %bb.667:
	s_mov_b32 s34, 0x3bffffff
	v_cmp_lt_u32_e32 vcc, s34, v3
	s_mov_b64 s[34:35], 0
                                        ; implicit-def: $vgpr3
	s_and_saveexec_b64 s[36:37], vcc
	s_xor_b64 s[36:37], exec, s[36:37]
	s_cbranch_execz .LBB222_773
; %bb.668:
	v_bfe_u32 v3, v2, 20, 1
	s_mov_b32 s41, 0x487ffff
	v_add3_u32 v3, v2, v3, s41
	s_mov_b64 s[34:35], exec
	v_lshrrev_b32_e32 v3, 20, v3
	s_andn2_saveexec_b64 s[36:37], s[36:37]
	s_cbranch_execnz .LBB222_774
.LBB222_669:
	s_or_b64 exec, exec, s[36:37]
	v_mov_b32_e32 v5, 0
	s_and_saveexec_b64 s[36:37], s[34:35]
.LBB222_670:
	v_lshrrev_b32_e32 v2, 24, v2
	s_movk_i32 s34, 0x80
	v_and_or_b32 v5, v2, s34, v3
.LBB222_671:
	s_or_b64 exec, exec, s[36:37]
.LBB222_672:
	s_or_b64 exec, exec, s[30:31]
	global_store_byte v[0:1], v5, off
.LBB222_673:
	s_mov_b64 s[30:31], -1
.LBB222_674:
	s_mov_b64 s[34:35], 0
.LBB222_675:
	s_and_b64 vcc, exec, s[34:35]
	s_cbranch_vccz .LBB222_716
; %bb.676:
	s_cmp_gt_i32 s39, 22
	s_mov_b64 s[34:35], -1
	s_cbranch_scc0 .LBB222_708
; %bb.677:
	s_cmp_lt_i32 s39, 24
	s_mov_b64 s[30:31], -1
	s_cbranch_scc1 .LBB222_697
; %bb.678:
	s_cmp_gt_i32 s39, 24
	s_cbranch_scc0 .LBB222_686
; %bb.679:
	v_cvt_f32_i32_sdwa v2, sext(v4) dst_sel:DWORD dst_unused:UNUSED_PAD src0_sel:WORD_0
	s_mov_b32 s30, 0x47800000
	v_mov_b32_e32 v5, 0x80
	v_and_b32_e32 v3, 0x7fffffff, v2
	v_cmp_gt_u32_e32 vcc, s30, v3
	s_and_saveexec_b64 s[30:31], vcc
	s_cbranch_execz .LBB222_685
; %bb.680:
	s_mov_b32 s34, 0x37ffffff
	v_cmp_lt_u32_e32 vcc, s34, v3
	s_mov_b64 s[34:35], 0
                                        ; implicit-def: $vgpr3
	s_and_saveexec_b64 s[36:37], vcc
	s_xor_b64 s[36:37], exec, s[36:37]
	s_cbranch_execz .LBB222_776
; %bb.681:
	v_bfe_u32 v3, v2, 21, 1
	s_mov_b32 s41, 0x88fffff
	v_add3_u32 v3, v2, v3, s41
	s_mov_b64 s[34:35], exec
	v_lshrrev_b32_e32 v3, 21, v3
	s_andn2_saveexec_b64 s[36:37], s[36:37]
	s_cbranch_execnz .LBB222_777
.LBB222_682:
	s_or_b64 exec, exec, s[36:37]
	v_mov_b32_e32 v5, 0
	s_and_saveexec_b64 s[36:37], s[34:35]
.LBB222_683:
	v_lshrrev_b32_e32 v2, 24, v2
	s_movk_i32 s34, 0x80
	v_and_or_b32 v5, v2, s34, v3
.LBB222_684:
	s_or_b64 exec, exec, s[36:37]
.LBB222_685:
	s_or_b64 exec, exec, s[30:31]
	s_mov_b64 s[30:31], 0
	global_store_byte v[0:1], v5, off
.LBB222_686:
	s_and_b64 vcc, exec, s[30:31]
	s_cbranch_vccz .LBB222_696
; %bb.687:
	v_cvt_f32_i32_sdwa v2, sext(v4) dst_sel:DWORD dst_unused:UNUSED_PAD src0_sel:WORD_0
	s_mov_b32 s30, 0x43f00000
                                        ; implicit-def: $vgpr3
	v_and_b32_e32 v5, 0x7fffffff, v2
	v_cmp_gt_u32_e32 vcc, s30, v5
	s_and_saveexec_b64 s[30:31], vcc
	s_xor_b64 s[30:31], exec, s[30:31]
	s_cbranch_execz .LBB222_693
; %bb.688:
	s_mov_b32 s34, 0x3c7fffff
	v_cmp_lt_u32_e32 vcc, s34, v5
                                        ; implicit-def: $vgpr3
	s_and_saveexec_b64 s[34:35], vcc
	s_xor_b64 s[34:35], exec, s[34:35]
; %bb.689:
	v_bfe_u32 v3, v2, 20, 1
	s_mov_b32 s36, 0x407ffff
	v_add3_u32 v3, v2, v3, s36
	v_lshrrev_b32_e32 v5, 20, v3
	v_and_b32_e32 v3, 0xff00000, v3
	s_mov_b32 s36, 0x7f00000
	v_mov_b32_e32 v6, 0x7e
	v_cmp_ne_u32_e32 vcc, s36, v3
	v_cndmask_b32_e32 v3, v6, v5, vcc
; %bb.690:
	s_andn2_saveexec_b64 s[34:35], s[34:35]
; %bb.691:
	s_mov_b32 s36, 0x46800000
	v_add_f32_e64 v3, |v2|, s36
; %bb.692:
	s_or_b64 exec, exec, s[34:35]
                                        ; implicit-def: $vgpr5
.LBB222_693:
	s_andn2_saveexec_b64 s[30:31], s[30:31]
; %bb.694:
	s_mov_b32 s34, 0x7f800000
	v_mov_b32_e32 v3, 0x7e
	v_mov_b32_e32 v6, 0x7f
	v_cmp_lt_u32_e32 vcc, s34, v5
	v_cndmask_b32_e32 v3, v3, v6, vcc
; %bb.695:
	s_or_b64 exec, exec, s[30:31]
	v_lshrrev_b32_e32 v2, 24, v2
	s_movk_i32 s30, 0x80
	v_and_or_b32 v2, v2, s30, v3
	global_store_byte v[0:1], v2, off
.LBB222_696:
	s_mov_b64 s[30:31], 0
.LBB222_697:
	s_andn2_b64 vcc, exec, s[30:31]
	s_cbranch_vccnz .LBB222_707
; %bb.698:
	v_cvt_f32_i32_sdwa v2, sext(v4) dst_sel:DWORD dst_unused:UNUSED_PAD src0_sel:WORD_0
	s_mov_b32 s30, 0x47800000
                                        ; implicit-def: $vgpr3
	v_and_b32_e32 v5, 0x7fffffff, v2
	v_cmp_gt_u32_e32 vcc, s30, v5
	s_and_saveexec_b64 s[30:31], vcc
	s_xor_b64 s[30:31], exec, s[30:31]
	s_cbranch_execz .LBB222_704
; %bb.699:
	s_mov_b32 s34, 0x387fffff
	v_cmp_lt_u32_e32 vcc, s34, v5
                                        ; implicit-def: $vgpr3
	s_and_saveexec_b64 s[34:35], vcc
	s_xor_b64 s[34:35], exec, s[34:35]
; %bb.700:
	v_bfe_u32 v3, v2, 21, 1
	s_mov_b32 s36, 0x80fffff
	v_add3_u32 v3, v2, v3, s36
	v_lshrrev_b32_e32 v3, 21, v3
; %bb.701:
	s_andn2_saveexec_b64 s[34:35], s[34:35]
; %bb.702:
	s_mov_b32 s36, 0x43000000
	v_add_f32_e64 v3, |v2|, s36
; %bb.703:
	s_or_b64 exec, exec, s[34:35]
                                        ; implicit-def: $vgpr5
.LBB222_704:
	s_andn2_saveexec_b64 s[30:31], s[30:31]
; %bb.705:
	s_mov_b32 s34, 0x7f800000
	v_mov_b32_e32 v3, 0x7c
	v_mov_b32_e32 v6, 0x7f
	v_cmp_lt_u32_e32 vcc, s34, v5
	v_cndmask_b32_e32 v3, v3, v6, vcc
; %bb.706:
	s_or_b64 exec, exec, s[30:31]
	v_lshrrev_b32_e32 v2, 24, v2
	s_movk_i32 s30, 0x80
	v_and_or_b32 v2, v2, s30, v3
	global_store_byte v[0:1], v2, off
.LBB222_707:
	s_mov_b64 s[34:35], 0
	s_mov_b64 s[30:31], -1
.LBB222_708:
	s_andn2_b64 vcc, exec, s[34:35]
	s_cbranch_vccnz .LBB222_716
; %bb.709:
	s_cmp_gt_i32 s39, 14
	s_mov_b64 s[34:35], -1
	s_cbranch_scc0 .LBB222_713
; %bb.710:
	s_cmp_eq_u32 s39, 15
	s_mov_b64 s[0:1], -1
	s_cbranch_scc0 .LBB222_712
; %bb.711:
	v_cvt_f32_i32_sdwa v2, sext(v4) dst_sel:DWORD dst_unused:UNUSED_PAD src0_sel:WORD_0
	s_movk_i32 s0, 0x7fff
	s_mov_b64 s[30:31], -1
	v_bfe_u32 v3, v2, 16, 1
	v_add3_u32 v2, v2, v3, s0
	global_store_short_d16_hi v[0:1], v2, off
	s_mov_b64 s[0:1], 0
.LBB222_712:
	s_mov_b64 s[34:35], 0
.LBB222_713:
	s_and_b64 vcc, exec, s[34:35]
	s_cbranch_vccz .LBB222_716
; %bb.714:
	s_cmp_eq_u32 s39, 11
	s_mov_b64 s[0:1], -1
	s_cbranch_scc0 .LBB222_716
; %bb.715:
	v_cmp_ne_u16_e32 vcc, 0, v4
	v_cndmask_b32_e64 v2, 0, 1, vcc
	s_mov_b64 s[30:31], -1
	s_mov_b64 s[0:1], 0
	global_store_byte v[0:1], v2, off
.LBB222_716:
	s_mov_b64 s[34:35], 0
.LBB222_717:
	s_and_b64 vcc, exec, s[34:35]
	s_cbranch_vccz .LBB222_756
; %bb.718:
	s_and_b32 s34, 0xffff, s38
	s_cmp_lt_i32 s34, 5
	s_mov_b64 s[30:31], -1
	s_cbranch_scc1 .LBB222_739
; %bb.719:
	s_cmp_lt_i32 s34, 8
	s_cbranch_scc1 .LBB222_729
; %bb.720:
	s_cmp_lt_i32 s34, 9
	s_cbranch_scc1 .LBB222_726
; %bb.721:
	s_cmp_gt_i32 s34, 9
	s_cbranch_scc0 .LBB222_723
; %bb.722:
	v_bfe_i32 v2, v4, 0, 16
	v_cvt_f64_i32_e32 v[5:6], v2
	v_mov_b32_e32 v7, 0
	v_mov_b32_e32 v8, v7
	s_mov_b64 s[30:31], 0
	global_store_dwordx4 v[0:1], v[5:8], off
.LBB222_723:
	s_andn2_b64 vcc, exec, s[30:31]
	s_cbranch_vccnz .LBB222_725
; %bb.724:
	v_cvt_f32_i32_sdwa v2, sext(v4) dst_sel:DWORD dst_unused:UNUSED_PAD src0_sel:WORD_0
	v_mov_b32_e32 v3, 0
	global_store_dwordx2 v[0:1], v[2:3], off
.LBB222_725:
	s_mov_b64 s[30:31], 0
.LBB222_726:
	s_andn2_b64 vcc, exec, s[30:31]
	s_cbranch_vccnz .LBB222_728
; %bb.727:
	v_cvt_f16_i16_e32 v2, v4
	global_store_dword v[0:1], v2, off
.LBB222_728:
	s_mov_b64 s[30:31], 0
.LBB222_729:
	s_andn2_b64 vcc, exec, s[30:31]
	s_cbranch_vccnz .LBB222_738
; %bb.730:
	s_cmp_lt_i32 s34, 6
	s_mov_b64 s[30:31], -1
	s_cbranch_scc1 .LBB222_736
; %bb.731:
	s_cmp_gt_i32 s34, 6
	s_cbranch_scc0 .LBB222_733
; %bb.732:
	v_bfe_i32 v2, v4, 0, 16
	v_cvt_f64_i32_e32 v[2:3], v2
	s_mov_b64 s[30:31], 0
	global_store_dwordx2 v[0:1], v[2:3], off
.LBB222_733:
	s_andn2_b64 vcc, exec, s[30:31]
	s_cbranch_vccnz .LBB222_735
; %bb.734:
	v_cvt_f32_i32_sdwa v2, sext(v4) dst_sel:DWORD dst_unused:UNUSED_PAD src0_sel:WORD_0
	global_store_dword v[0:1], v2, off
.LBB222_735:
	s_mov_b64 s[30:31], 0
.LBB222_736:
	s_andn2_b64 vcc, exec, s[30:31]
	s_cbranch_vccnz .LBB222_738
; %bb.737:
	v_cvt_f16_i16_e32 v2, v4
	global_store_short v[0:1], v2, off
.LBB222_738:
	s_mov_b64 s[30:31], 0
.LBB222_739:
	s_andn2_b64 vcc, exec, s[30:31]
	s_cbranch_vccnz .LBB222_755
; %bb.740:
	s_cmp_lt_i32 s34, 2
	s_mov_b64 s[30:31], -1
	s_cbranch_scc1 .LBB222_750
; %bb.741:
	s_cmp_lt_i32 s34, 3
	s_cbranch_scc1 .LBB222_747
; %bb.742:
	s_cmp_gt_i32 s34, 3
	v_bfe_i32 v2, v4, 0, 16
	s_cbranch_scc0 .LBB222_744
; %bb.743:
	v_ashrrev_i32_e32 v3, 31, v2
	s_mov_b64 s[30:31], 0
	global_store_dwordx2 v[0:1], v[2:3], off
.LBB222_744:
	s_andn2_b64 vcc, exec, s[30:31]
	s_cbranch_vccnz .LBB222_746
; %bb.745:
	global_store_dword v[0:1], v2, off
.LBB222_746:
	s_mov_b64 s[30:31], 0
.LBB222_747:
	s_andn2_b64 vcc, exec, s[30:31]
	s_cbranch_vccnz .LBB222_749
; %bb.748:
	global_store_short v[0:1], v4, off
.LBB222_749:
	s_mov_b64 s[30:31], 0
.LBB222_750:
	s_andn2_b64 vcc, exec, s[30:31]
	s_cbranch_vccnz .LBB222_755
; %bb.751:
	s_cmp_gt_i32 s34, 0
	s_mov_b64 s[30:31], -1
	s_cbranch_scc0 .LBB222_753
; %bb.752:
	s_mov_b64 s[30:31], 0
	global_store_byte v[0:1], v4, off
.LBB222_753:
	s_andn2_b64 vcc, exec, s[30:31]
	s_cbranch_vccnz .LBB222_755
; %bb.754:
	global_store_byte v[0:1], v4, off
.LBB222_755:
	s_mov_b64 s[30:31], -1
.LBB222_756:
	s_andn2_b64 vcc, exec, s[30:31]
	s_cbranch_vccnz .LBB222_758
; %bb.757:
	v_add_u32_e32 v9, 0x80, v9
	s_mov_b64 s[34:35], -1
	s_branch .LBB222_759
.LBB222_758:
	s_mov_b64 s[34:35], 0
                                        ; implicit-def: $vgpr9
.LBB222_759:
	s_andn2_b64 s[30:31], s[22:23], exec
	s_and_b64 s[0:1], s[0:1], exec
	s_or_b64 s[30:31], s[30:31], s[0:1]
	s_andn2_b64 s[0:1], s[20:21], exec
	s_and_b64 s[28:29], s[28:29], exec
	s_or_b64 s[0:1], s[0:1], s[28:29]
	s_orn2_b64 s[36:37], s[34:35], exec
.LBB222_760:
	s_or_b64 exec, exec, s[26:27]
	s_mov_b64 s[34:35], 0
	s_mov_b64 s[28:29], 0
	;; [unrolled: 1-line block ×3, first 2 shown]
                                        ; implicit-def: $vgpr0_vgpr1
                                        ; implicit-def: $vgpr2
	s_and_saveexec_b64 s[26:27], s[36:37]
	s_cbranch_execz .LBB222_841
; %bb.761:
	v_cmp_gt_i32_e32 vcc, s40, v9
	s_mov_b64 s[36:37], 0
	s_mov_b64 s[40:41], s[0:1]
	;; [unrolled: 1-line block ×3, first 2 shown]
                                        ; implicit-def: $vgpr0_vgpr1
                                        ; implicit-def: $vgpr2
	s_and_saveexec_b64 s[28:29], vcc
	s_cbranch_execz .LBB222_840
; %bb.762:
	v_mul_lo_u32 v0, v9, s13
	v_mov_b32_e32 v1, s11
	s_and_b32 s42, 0xffff, s33
	s_cmp_lt_i32 s42, 11
	s_waitcnt vmcnt(0)
	v_ashrrev_i32_e32 v2, 31, v0
	v_add_co_u32_e32 v0, vcc, s10, v0
	v_addc_co_u32_e32 v1, vcc, v1, v2, vcc
	s_cbranch_scc1 .LBB222_769
; %bb.763:
	s_cmp_gt_i32 s42, 25
	s_cbranch_scc0 .LBB222_770
; %bb.764:
	s_cmp_gt_i32 s42, 28
	s_cbranch_scc0 .LBB222_771
	;; [unrolled: 3-line block ×4, first 2 shown]
; %bb.767:
	s_cmp_eq_u32 s42, 46
	s_mov_b64 s[40:41], 0
	s_cbranch_scc0 .LBB222_778
; %bb.768:
	global_load_dword v2, v[0:1], off
	s_mov_b64 s[38:39], -1
	s_waitcnt vmcnt(0)
	v_lshlrev_b32_e32 v2, 16, v2
	v_cvt_i32_f32_e32 v2, v2
	s_branch .LBB222_780
.LBB222_769:
	s_mov_b64 s[40:41], -1
                                        ; implicit-def: $vgpr2
	s_mov_b64 s[34:35], s[0:1]
	s_branch .LBB222_839
.LBB222_770:
	s_mov_b64 s[40:41], -1
	s_mov_b64 s[34:35], s[0:1]
                                        ; implicit-def: $vgpr2
	s_branch .LBB222_807
.LBB222_771:
	s_mov_b64 s[40:41], -1
	s_mov_b64 s[34:35], s[0:1]
                                        ; implicit-def: $vgpr2
	s_branch .LBB222_790
.LBB222_772:
	s_mov_b64 s[40:41], -1
	s_mov_b64 s[34:35], s[0:1]
                                        ; implicit-def: $vgpr2
	s_branch .LBB222_785
.LBB222_773:
	s_andn2_saveexec_b64 s[36:37], s[36:37]
	s_cbranch_execz .LBB222_669
.LBB222_774:
	s_mov_b32 s41, 0x46000000
	v_add_f32_e64 v3, |v2|, s41
	v_and_b32_e32 v3, 0xff, v3
	v_cmp_ne_u32_e32 vcc, 0, v3
	s_andn2_b64 s[34:35], s[34:35], exec
	s_and_b64 s[42:43], vcc, exec
	s_or_b64 s[34:35], s[34:35], s[42:43]
	s_or_b64 exec, exec, s[36:37]
	v_mov_b32_e32 v5, 0
	s_and_saveexec_b64 s[36:37], s[34:35]
	s_cbranch_execnz .LBB222_670
	s_branch .LBB222_671
.LBB222_775:
	s_mov_b64 s[40:41], -1
	s_mov_b64 s[34:35], s[0:1]
	s_branch .LBB222_779
.LBB222_776:
	s_andn2_saveexec_b64 s[36:37], s[36:37]
	s_cbranch_execz .LBB222_682
.LBB222_777:
	s_mov_b32 s41, 0x42800000
	v_add_f32_e64 v3, |v2|, s41
	v_and_b32_e32 v3, 0xff, v3
	v_cmp_ne_u32_e32 vcc, 0, v3
	s_andn2_b64 s[34:35], s[34:35], exec
	s_and_b64 s[42:43], vcc, exec
	s_or_b64 s[34:35], s[34:35], s[42:43]
	s_or_b64 exec, exec, s[36:37]
	v_mov_b32_e32 v5, 0
	s_and_saveexec_b64 s[36:37], s[34:35]
	s_cbranch_execnz .LBB222_683
	s_branch .LBB222_684
.LBB222_778:
	s_mov_b64 s[34:35], -1
.LBB222_779:
                                        ; implicit-def: $vgpr2
.LBB222_780:
	s_and_b64 vcc, exec, s[40:41]
	s_cbranch_vccz .LBB222_784
; %bb.781:
	s_cmp_eq_u32 s42, 44
	s_cbranch_scc0 .LBB222_783
; %bb.782:
	global_load_ubyte v2, v[0:1], off
	s_mov_b64 s[34:35], 0
	s_mov_b64 s[38:39], -1
	s_waitcnt vmcnt(0)
	v_lshlrev_b32_e32 v3, 23, v2
	v_cvt_i32_f32_e32 v3, v3
	v_cmp_ne_u32_e32 vcc, 0, v2
	v_cndmask_b32_e32 v2, 0, v3, vcc
	s_branch .LBB222_784
.LBB222_783:
	s_mov_b64 s[34:35], -1
                                        ; implicit-def: $vgpr2
.LBB222_784:
	s_mov_b64 s[40:41], 0
.LBB222_785:
	s_and_b64 vcc, exec, s[40:41]
	s_cbranch_vccz .LBB222_789
; %bb.786:
	s_cmp_eq_u32 s42, 29
	s_cbranch_scc0 .LBB222_788
; %bb.787:
	global_load_dwordx2 v[2:3], v[0:1], off
	s_mov_b64 s[34:35], 0
	s_mov_b64 s[38:39], -1
	s_branch .LBB222_789
.LBB222_788:
	s_mov_b64 s[34:35], -1
                                        ; implicit-def: $vgpr2
.LBB222_789:
	s_mov_b64 s[40:41], 0
.LBB222_790:
	s_and_b64 vcc, exec, s[40:41]
	s_cbranch_vccz .LBB222_806
; %bb.791:
	s_cmp_lt_i32 s42, 27
	s_cbranch_scc1 .LBB222_794
; %bb.792:
	s_cmp_gt_i32 s42, 27
	s_cbranch_scc0 .LBB222_795
; %bb.793:
	global_load_dword v2, v[0:1], off
	s_mov_b64 s[38:39], 0
	s_branch .LBB222_796
.LBB222_794:
	s_mov_b64 s[38:39], -1
                                        ; implicit-def: $vgpr2
	s_branch .LBB222_799
.LBB222_795:
	s_mov_b64 s[38:39], -1
                                        ; implicit-def: $vgpr2
.LBB222_796:
	s_andn2_b64 vcc, exec, s[38:39]
	s_cbranch_vccnz .LBB222_798
; %bb.797:
	global_load_ushort v2, v[0:1], off
.LBB222_798:
	s_mov_b64 s[38:39], 0
.LBB222_799:
	s_andn2_b64 vcc, exec, s[38:39]
	s_cbranch_vccnz .LBB222_805
; %bb.800:
	global_load_ubyte v3, v[0:1], off
	s_movk_i32 s38, 0x7f
	s_mov_b64 s[40:41], 0
	s_waitcnt vmcnt(0)
	v_cmp_lt_i16_e32 vcc, s38, v3
	s_and_saveexec_b64 s[38:39], vcc
	s_xor_b64 s[38:39], exec, s[38:39]
	s_cbranch_execz .LBB222_817
; %bb.801:
	s_movk_i32 s40, 0x80
	v_cmp_ne_u16_e32 vcc, s40, v3
	s_and_b64 s[40:41], vcc, exec
	s_andn2_saveexec_b64 s[38:39], s[38:39]
	s_cbranch_execnz .LBB222_818
.LBB222_802:
	s_or_b64 exec, exec, s[38:39]
	v_mov_b32_e32 v2, 0
	s_and_saveexec_b64 s[38:39], s[40:41]
	s_cbranch_execz .LBB222_804
.LBB222_803:
	v_lshlrev_b32_e32 v2, 24, v3
	v_and_b32_e32 v3, 0xffff, v3
	v_and_b32_e32 v4, 7, v3
	v_ffbh_u32_e32 v6, v4
	v_min_u32_e32 v6, 32, v6
	v_subrev_u32_e32 v7, 28, v6
	v_bfe_u32 v5, v3, 3, 4
	v_lshlrev_b32_e32 v3, v7, v3
	v_sub_u32_e32 v6, 29, v6
	v_and_b32_e32 v3, 7, v3
	v_cmp_eq_u32_e32 vcc, 0, v5
	v_cndmask_b32_e32 v5, v5, v6, vcc
	v_cndmask_b32_e32 v3, v4, v3, vcc
	v_mov_b32_e32 v4, 0x3b800000
	v_lshlrev_b32_e32 v3, 20, v3
	v_and_b32_e32 v2, 0x80000000, v2
	v_lshl_add_u32 v4, v5, 23, v4
	v_or3_b32 v2, v2, v4, v3
	v_cvt_i32_f32_e32 v2, v2
.LBB222_804:
	s_or_b64 exec, exec, s[38:39]
.LBB222_805:
	s_mov_b64 s[38:39], -1
.LBB222_806:
	s_mov_b64 s[40:41], 0
.LBB222_807:
	s_and_b64 vcc, exec, s[40:41]
	s_cbranch_vccz .LBB222_838
; %bb.808:
	s_cmp_gt_i32 s42, 22
	s_cbranch_scc0 .LBB222_816
; %bb.809:
	s_cmp_lt_i32 s42, 24
	s_cbranch_scc1 .LBB222_819
; %bb.810:
	s_cmp_gt_i32 s42, 24
	s_cbranch_scc0 .LBB222_820
; %bb.811:
	global_load_ubyte v3, v[0:1], off
	s_movk_i32 s36, 0x7f
	s_mov_b64 s[38:39], 0
	s_waitcnt vmcnt(0)
	v_cmp_lt_i16_e32 vcc, s36, v3
	s_and_saveexec_b64 s[36:37], vcc
	s_xor_b64 s[36:37], exec, s[36:37]
	s_cbranch_execz .LBB222_832
; %bb.812:
	s_movk_i32 s38, 0x80
	v_cmp_ne_u16_e32 vcc, s38, v3
	s_and_b64 s[38:39], vcc, exec
	s_andn2_saveexec_b64 s[36:37], s[36:37]
	s_cbranch_execnz .LBB222_833
.LBB222_813:
	s_or_b64 exec, exec, s[36:37]
	v_mov_b32_e32 v2, 0
	s_and_saveexec_b64 s[36:37], s[38:39]
	s_cbranch_execz .LBB222_815
.LBB222_814:
	v_lshlrev_b32_e32 v2, 24, v3
	v_and_b32_e32 v3, 0xffff, v3
	v_and_b32_e32 v4, 3, v3
	v_ffbh_u32_e32 v6, v4
	v_min_u32_e32 v6, 32, v6
	v_subrev_u32_e32 v7, 29, v6
	v_bfe_u32 v5, v3, 2, 5
	v_lshlrev_b32_e32 v3, v7, v3
	v_sub_u32_e32 v6, 30, v6
	v_and_b32_e32 v3, 3, v3
	v_cmp_eq_u32_e32 vcc, 0, v5
	v_cndmask_b32_e32 v5, v5, v6, vcc
	v_cndmask_b32_e32 v3, v4, v3, vcc
	v_mov_b32_e32 v4, 0x37800000
	v_lshlrev_b32_e32 v3, 21, v3
	v_and_b32_e32 v2, 0x80000000, v2
	v_lshl_add_u32 v4, v5, 23, v4
	v_or3_b32 v2, v2, v4, v3
	v_cvt_i32_f32_e32 v2, v2
.LBB222_815:
	s_or_b64 exec, exec, s[36:37]
	s_mov_b64 s[36:37], 0
	s_branch .LBB222_821
.LBB222_816:
	s_mov_b64 s[36:37], -1
                                        ; implicit-def: $vgpr2
	s_branch .LBB222_827
.LBB222_817:
	s_andn2_saveexec_b64 s[38:39], s[38:39]
	s_cbranch_execz .LBB222_802
.LBB222_818:
	v_cmp_ne_u16_e32 vcc, 0, v3
	s_andn2_b64 s[40:41], s[40:41], exec
	s_and_b64 s[46:47], vcc, exec
	s_or_b64 s[40:41], s[40:41], s[46:47]
	s_or_b64 exec, exec, s[38:39]
	v_mov_b32_e32 v2, 0
	s_and_saveexec_b64 s[38:39], s[40:41]
	s_cbranch_execnz .LBB222_803
	s_branch .LBB222_804
.LBB222_819:
	s_mov_b64 s[36:37], -1
                                        ; implicit-def: $vgpr2
	s_branch .LBB222_824
.LBB222_820:
	s_mov_b64 s[36:37], -1
                                        ; implicit-def: $vgpr2
.LBB222_821:
	s_and_b64 vcc, exec, s[36:37]
	s_cbranch_vccz .LBB222_823
; %bb.822:
	global_load_ubyte v2, v[0:1], off
	s_mov_b32 s36, 0x7f800000
	s_waitcnt vmcnt(0)
	v_lshlrev_b32_e32 v2, 24, v2
	v_and_b32_e32 v3, 0x7f000000, v2
	v_ffbh_u32_e32 v4, v3
	v_min_u32_e32 v4, 32, v4
	v_sub_u32_e64 v4, v4, 4 clamp
	v_lshlrev_b32_e32 v6, v4, v3
	v_lshlrev_b32_e32 v4, 23, v4
	v_lshrrev_b32_e32 v6, 4, v6
	v_add_u32_e32 v5, 0x1000000, v3
	v_sub_u32_e32 v4, v6, v4
	v_ashrrev_i32_e32 v5, 8, v5
	v_add_u32_e32 v4, 0x3c000000, v4
	v_and_or_b32 v4, v5, s36, v4
	v_cmp_ne_u32_e32 vcc, 0, v3
	v_cndmask_b32_e32 v3, 0, v4, vcc
	s_brev_b32 s36, 1
	v_and_or_b32 v2, v2, s36, v3
	v_cvt_i32_f32_e32 v2, v2
.LBB222_823:
	s_mov_b64 s[36:37], 0
.LBB222_824:
	s_andn2_b64 vcc, exec, s[36:37]
	s_cbranch_vccnz .LBB222_826
; %bb.825:
	global_load_ubyte v2, v[0:1], off
	s_movk_i32 s36, 0x7f00
	s_brev_b32 s37, 16
	s_waitcnt vmcnt(0)
	v_lshlrev_b16_e32 v3, 8, v2
	v_lshlrev_b32_e32 v2, 25, v2
	v_lshrrev_b32_e32 v4, 4, v2
	v_and_or_b32 v5, v3, s36, 0.5
	v_or_b32_e32 v4, 0x70000000, v4
	v_add_f32_e32 v5, -0.5, v5
	v_mul_f32_e32 v4, 0x7800000, v4
	v_cmp_gt_u32_e32 vcc, s37, v2
	v_bfe_i32 v3, v3, 0, 16
	v_cndmask_b32_e32 v2, v4, v5, vcc
	s_brev_b32 s36, 1
	v_and_or_b32 v2, v3, s36, v2
	v_cvt_i32_f32_e32 v2, v2
.LBB222_826:
	s_mov_b64 s[36:37], 0
	s_mov_b64 s[38:39], -1
.LBB222_827:
	s_andn2_b64 vcc, exec, s[36:37]
	s_mov_b64 s[36:37], 0
	s_cbranch_vccnz .LBB222_838
; %bb.828:
	s_cmp_gt_i32 s42, 14
	s_cbranch_scc0 .LBB222_831
; %bb.829:
	s_cmp_eq_u32 s42, 15
	s_cbranch_scc0 .LBB222_834
; %bb.830:
	global_load_ushort v2, v[0:1], off
	s_mov_b64 s[34:35], 0
	s_mov_b64 s[38:39], -1
	s_waitcnt vmcnt(0)
	v_lshlrev_b32_e32 v2, 16, v2
	v_cvt_i32_f32_e32 v2, v2
	s_branch .LBB222_835
.LBB222_831:
	s_mov_b64 s[40:41], -1
                                        ; implicit-def: $vgpr2
	s_branch .LBB222_836
.LBB222_832:
	s_andn2_saveexec_b64 s[36:37], s[36:37]
	s_cbranch_execz .LBB222_813
.LBB222_833:
	v_cmp_ne_u16_e32 vcc, 0, v3
	s_andn2_b64 s[38:39], s[38:39], exec
	s_and_b64 s[40:41], vcc, exec
	s_or_b64 s[38:39], s[38:39], s[40:41]
	s_or_b64 exec, exec, s[36:37]
	v_mov_b32_e32 v2, 0
	s_and_saveexec_b64 s[36:37], s[38:39]
	s_cbranch_execnz .LBB222_814
	s_branch .LBB222_815
.LBB222_834:
	s_mov_b64 s[34:35], -1
                                        ; implicit-def: $vgpr2
.LBB222_835:
	s_mov_b64 s[40:41], 0
.LBB222_836:
	s_and_b64 vcc, exec, s[40:41]
	s_cbranch_vccz .LBB222_838
; %bb.837:
	s_cmp_lg_u32 s42, 11
	s_cselect_b64 s[40:41], -1, 0
	s_andn2_b64 s[34:35], s[34:35], exec
	s_and_b64 s[40:41], s[40:41], exec
	s_mov_b64 s[36:37], -1
	s_or_b64 s[34:35], s[34:35], s[40:41]
.LBB222_838:
	s_mov_b64 s[40:41], 0
.LBB222_839:
	s_and_b64 s[42:43], s[40:41], exec
	s_andn2_b64 s[40:41], s[0:1], exec
	s_and_b64 s[34:35], s[34:35], exec
	s_and_b64 s[38:39], s[38:39], exec
	;; [unrolled: 1-line block ×3, first 2 shown]
	s_or_b64 s[40:41], s[40:41], s[34:35]
.LBB222_840:
	s_or_b64 exec, exec, s[28:29]
	s_and_b64 s[34:35], s[36:37], exec
	s_andn2_b64 s[0:1], s[0:1], exec
	s_and_b64 s[36:37], s[40:41], exec
	s_and_b64 s[38:39], s[38:39], exec
	;; [unrolled: 1-line block ×3, first 2 shown]
	s_or_b64 s[0:1], s[0:1], s[36:37]
.LBB222_841:
	s_or_b64 exec, exec, s[26:27]
	s_andn2_b64 s[22:23], s[22:23], exec
	s_and_b64 s[26:27], s[30:31], exec
	s_andn2_b64 s[20:21], s[20:21], exec
	s_and_b64 s[0:1], s[0:1], exec
	s_or_b64 s[22:23], s[22:23], s[26:27]
	s_and_b64 s[30:31], s[38:39], exec
	s_and_b64 s[28:29], s[28:29], exec
	;; [unrolled: 1-line block ×3, first 2 shown]
	s_or_b64 s[20:21], s[20:21], s[0:1]
.LBB222_842:
	s_or_b64 exec, exec, s[24:25]
	s_andn2_b64 s[0:1], s[6:7], exec
	s_and_b64 s[6:7], s[22:23], exec
	s_andn2_b64 s[16:17], s[16:17], exec
	s_and_b64 s[20:21], s[20:21], exec
	s_or_b64 s[6:7], s[0:1], s[6:7]
	s_and_b64 s[0:1], s[30:31], exec
	s_and_b64 s[24:25], s[28:29], exec
	;; [unrolled: 1-line block ×3, first 2 shown]
	s_or_b64 s[16:17], s[16:17], s[20:21]
	s_or_b64 exec, exec, s[18:19]
	s_mov_b64 s[18:19], 0
	s_and_saveexec_b64 s[20:21], s[16:17]
	s_cbranch_execz .LBB222_258
.LBB222_843:
	s_mov_b64 s[18:19], exec
	s_andn2_b64 s[22:23], s[22:23], exec
	s_trap 2
	s_or_b64 exec, exec, s[20:21]
	s_and_saveexec_b64 s[16:17], s[22:23]
	s_xor_b64 s[16:17], exec, s[16:17]
	s_cbranch_execnz .LBB222_259
.LBB222_844:
	s_or_b64 exec, exec, s[16:17]
	s_and_saveexec_b64 s[16:17], s[24:25]
	s_cbranch_execz .LBB222_890
.LBB222_845:
	s_sext_i32_i16 s20, s33
	s_cmp_lt_i32 s20, 5
	s_cbranch_scc1 .LBB222_850
; %bb.846:
	s_cmp_lt_i32 s20, 8
	s_cbranch_scc1 .LBB222_851
; %bb.847:
	;; [unrolled: 3-line block ×3, first 2 shown]
	s_cmp_gt_i32 s20, 9
	s_cbranch_scc0 .LBB222_853
; %bb.849:
	global_load_dwordx2 v[2:3], v[0:1], off
	s_mov_b64 s[20:21], 0
	s_waitcnt vmcnt(0)
	v_cvt_i32_f64_e32 v2, v[2:3]
	s_branch .LBB222_854
.LBB222_850:
                                        ; implicit-def: $vgpr2
	s_branch .LBB222_871
.LBB222_851:
                                        ; implicit-def: $vgpr2
	s_branch .LBB222_860
.LBB222_852:
	s_mov_b64 s[20:21], -1
                                        ; implicit-def: $vgpr2
	s_branch .LBB222_857
.LBB222_853:
	s_mov_b64 s[20:21], -1
                                        ; implicit-def: $vgpr2
.LBB222_854:
	s_andn2_b64 vcc, exec, s[20:21]
	s_cbranch_vccnz .LBB222_856
; %bb.855:
	global_load_dword v2, v[0:1], off
	s_waitcnt vmcnt(0)
	v_cvt_i32_f32_e32 v2, v2
.LBB222_856:
	s_mov_b64 s[20:21], 0
.LBB222_857:
	s_andn2_b64 vcc, exec, s[20:21]
	s_cbranch_vccnz .LBB222_859
; %bb.858:
	global_load_dword v2, v[0:1], off
	s_waitcnt vmcnt(0)
	v_cvt_i16_f16_e32 v2, v2
.LBB222_859:
	s_cbranch_execnz .LBB222_870
.LBB222_860:
	s_sext_i32_i16 s20, s33
	s_cmp_lt_i32 s20, 6
	s_cbranch_scc1 .LBB222_863
; %bb.861:
	s_cmp_gt_i32 s20, 6
	s_cbranch_scc0 .LBB222_864
; %bb.862:
	global_load_dwordx2 v[2:3], v[0:1], off
	s_mov_b64 s[20:21], 0
	s_waitcnt vmcnt(0)
	v_cvt_i32_f64_e32 v2, v[2:3]
	s_branch .LBB222_865
.LBB222_863:
	s_mov_b64 s[20:21], -1
                                        ; implicit-def: $vgpr2
	s_branch .LBB222_868
.LBB222_864:
	s_mov_b64 s[20:21], -1
                                        ; implicit-def: $vgpr2
.LBB222_865:
	s_andn2_b64 vcc, exec, s[20:21]
	s_cbranch_vccnz .LBB222_867
; %bb.866:
	global_load_dword v2, v[0:1], off
	s_waitcnt vmcnt(0)
	v_cvt_i32_f32_e32 v2, v2
.LBB222_867:
	s_mov_b64 s[20:21], 0
.LBB222_868:
	s_andn2_b64 vcc, exec, s[20:21]
	s_cbranch_vccnz .LBB222_870
; %bb.869:
	global_load_ushort v2, v[0:1], off
	s_waitcnt vmcnt(0)
	v_cvt_i16_f16_e32 v2, v2
.LBB222_870:
	s_cbranch_execnz .LBB222_889
.LBB222_871:
	s_sext_i32_i16 s20, s33
	s_cmp_lt_i32 s20, 2
	s_cbranch_scc1 .LBB222_875
; %bb.872:
	s_cmp_lt_i32 s20, 3
	s_cbranch_scc1 .LBB222_876
; %bb.873:
	s_cmp_gt_i32 s20, 3
	s_cbranch_scc0 .LBB222_877
; %bb.874:
	global_load_dwordx2 v[2:3], v[0:1], off
	s_mov_b64 s[20:21], 0
	s_branch .LBB222_878
.LBB222_875:
                                        ; implicit-def: $vgpr2
	s_branch .LBB222_884
.LBB222_876:
	s_mov_b64 s[20:21], -1
                                        ; implicit-def: $vgpr2
	s_branch .LBB222_881
.LBB222_877:
	s_mov_b64 s[20:21], -1
                                        ; implicit-def: $vgpr2
.LBB222_878:
	s_andn2_b64 vcc, exec, s[20:21]
	s_cbranch_vccnz .LBB222_880
; %bb.879:
	global_load_dword v2, v[0:1], off
.LBB222_880:
	s_mov_b64 s[20:21], 0
.LBB222_881:
	s_andn2_b64 vcc, exec, s[20:21]
	s_cbranch_vccnz .LBB222_883
; %bb.882:
	global_load_ushort v2, v[0:1], off
.LBB222_883:
	s_cbranch_execnz .LBB222_889
.LBB222_884:
	s_sext_i32_i16 s20, s33
	s_cmp_gt_i32 s20, 0
	s_cbranch_scc0 .LBB222_886
; %bb.885:
	global_load_sbyte v2, v[0:1], off
	s_mov_b64 s[20:21], 0
	s_branch .LBB222_887
.LBB222_886:
	s_mov_b64 s[20:21], -1
                                        ; implicit-def: $vgpr2
.LBB222_887:
	s_andn2_b64 vcc, exec, s[20:21]
	s_cbranch_vccnz .LBB222_889
; %bb.888:
	global_load_ubyte v2, v[0:1], off
.LBB222_889:
	s_or_b64 s[0:1], s[0:1], exec
.LBB222_890:
	s_or_b64 exec, exec, s[16:17]
	s_mov_b64 s[22:23], 0
	s_mov_b64 s[20:21], 0
                                        ; implicit-def: $sgpr28
                                        ; implicit-def: $vgpr0_vgpr1
                                        ; implicit-def: $vgpr4
	s_and_saveexec_b64 s[16:17], s[0:1]
	s_cbranch_execz .LBB222_898
; %bb.891:
	v_mul_lo_u32 v1, v9, s12
	s_waitcnt vmcnt(0)
	v_ashrrev_i32_sdwa v0, v2, s45 dst_sel:DWORD dst_unused:UNUSED_PAD src0_sel:WORD_0 src1_sel:DWORD
	v_mov_b32_e32 v3, s44
	v_cmp_lt_u16_e32 vcc, 14, v2
	v_cndmask_b32_e32 v4, v0, v3, vcc
	v_ashrrev_i32_e32 v2, 31, v1
	v_mov_b32_e32 v3, s9
	s_and_b32 s28, s15, 0xff
	v_add_co_u32_e32 v0, vcc, s8, v1
	s_cmp_lt_i32 s28, 11
	v_addc_co_u32_e32 v1, vcc, v3, v2, vcc
	s_cbranch_scc1 .LBB222_901
; %bb.892:
	s_and_b32 s29, 0xffff, s28
	s_mov_b64 s[22:23], -1
	s_cmp_gt_i32 s29, 25
	s_mov_b64 s[0:1], s[6:7]
	s_cbranch_scc0 .LBB222_929
; %bb.893:
	s_mov_b64 s[20:21], -1
	s_cmp_gt_i32 s29, 28
	s_mov_b64 s[0:1], s[6:7]
	s_cbranch_scc0 .LBB222_913
; %bb.894:
	s_cmp_gt_i32 s29, 43
	s_mov_b64 s[0:1], s[6:7]
	s_cbranch_scc0 .LBB222_909
; %bb.895:
	;; [unrolled: 4-line block ×3, first 2 shown]
	s_cmp_eq_u32 s29, 46
	s_mov_b64 s[0:1], -1
	s_cbranch_scc0 .LBB222_902
; %bb.897:
	v_cvt_f32_i32_sdwa v2, sext(v4) dst_sel:DWORD dst_unused:UNUSED_PAD src0_sel:WORD_0
	s_movk_i32 s0, 0x7fff
	s_mov_b64 s[20:21], 0
	v_bfe_u32 v3, v2, 16, 1
	v_add3_u32 v2, v2, v3, s0
	v_lshrrev_b32_e32 v2, 16, v2
	global_store_dword v[0:1], v2, off
	s_mov_b64 s[0:1], 0
	s_branch .LBB222_903
.LBB222_898:
	s_or_b64 exec, exec, s[16:17]
	s_and_saveexec_b64 s[0:1], s[6:7]
	s_cbranch_execnz .LBB222_971
.LBB222_899:
	s_or_b64 exec, exec, s[0:1]
	s_and_saveexec_b64 s[0:1], s[22:23]
	s_xor_b64 s[0:1], exec, s[0:1]
	s_cbranch_execz .LBB222_972
.LBB222_900:
	v_cmp_ne_u16_e32 vcc, 0, v4
	s_waitcnt vmcnt(0)
	v_cndmask_b32_e64 v2, 0, 1, vcc
	global_store_byte v[0:1], v2, off
	s_or_b64 exec, exec, s[0:1]
	s_and_saveexec_b64 s[0:1], s[20:21]
	s_xor_b64 s[0:1], exec, s[0:1]
	s_cbranch_execz .LBB222_1010
	s_branch .LBB222_973
.LBB222_901:
	s_mov_b64 s[20:21], -1
	s_mov_b64 s[0:1], s[6:7]
	s_branch .LBB222_970
.LBB222_902:
	s_mov_b64 s[20:21], 0
.LBB222_903:
	s_and_b64 vcc, exec, s[20:21]
	s_cbranch_vccz .LBB222_908
; %bb.904:
	s_cmp_eq_u32 s29, 44
	s_mov_b64 s[0:1], -1
	s_cbranch_scc0 .LBB222_908
; %bb.905:
	v_cvt_f32_i32_sdwa v2, sext(v4) dst_sel:DWORD dst_unused:UNUSED_PAD src0_sel:WORD_0
	s_movk_i32 s0, 0xff
	v_mov_b32_e32 v5, 0xff
	v_bfe_u32 v3, v2, 23, 8
	v_cmp_ne_u32_e32 vcc, s0, v3
	s_and_saveexec_b64 s[20:21], vcc
; %bb.906:
	s_mov_b32 s0, 0x3fffff
	v_lshrrev_b32_e32 v5, 23, v2
	v_and_b32_e32 v6, 0x400000, v2
	v_and_or_b32 v2, v2, s0, v3
	v_cmp_ne_u32_e32 vcc, 0, v6
	v_cmp_ne_u32_e64 s[0:1], 0, v2
	s_and_b64 s[0:1], vcc, s[0:1]
	v_cndmask_b32_e64 v2, 0, 1, s[0:1]
	v_add_u32_e32 v5, v5, v2
; %bb.907:
	s_or_b64 exec, exec, s[20:21]
	s_mov_b64 s[0:1], 0
	global_store_byte v[0:1], v5, off
.LBB222_908:
	s_mov_b64 s[20:21], 0
.LBB222_909:
	s_and_b64 vcc, exec, s[20:21]
	s_cbranch_vccz .LBB222_912
; %bb.910:
	s_cmp_eq_u32 s29, 29
	s_mov_b64 s[0:1], -1
	s_cbranch_scc0 .LBB222_912
; %bb.911:
	v_bfe_i32 v2, v4, 0, 16
	v_ashrrev_i32_e32 v3, 31, v2
	global_store_dwordx2 v[0:1], v[2:3], off
	s_mov_b64 s[0:1], 0
.LBB222_912:
	s_mov_b64 s[20:21], 0
.LBB222_913:
	s_and_b64 vcc, exec, s[20:21]
	s_cbranch_vccz .LBB222_928
; %bb.914:
	s_cmp_lt_i32 s29, 27
	s_mov_b64 s[20:21], -1
	s_cbranch_scc1 .LBB222_920
; %bb.915:
	s_cmp_gt_i32 s29, 27
	s_cbranch_scc0 .LBB222_917
; %bb.916:
	v_bfe_i32 v2, v4, 0, 16
	s_mov_b64 s[20:21], 0
	global_store_dword v[0:1], v2, off
.LBB222_917:
	s_andn2_b64 vcc, exec, s[20:21]
	s_cbranch_vccnz .LBB222_919
; %bb.918:
	global_store_short v[0:1], v4, off
.LBB222_919:
	s_mov_b64 s[20:21], 0
.LBB222_920:
	s_andn2_b64 vcc, exec, s[20:21]
	s_cbranch_vccnz .LBB222_928
; %bb.921:
	v_cvt_f32_i32_sdwa v2, sext(v4) dst_sel:DWORD dst_unused:UNUSED_PAD src0_sel:WORD_0
	s_mov_b32 s20, 0x43800000
	v_mov_b32_e32 v5, 0x80
	v_and_b32_e32 v3, 0x7fffffff, v2
	v_cmp_gt_u32_e32 vcc, s20, v3
	s_and_saveexec_b64 s[20:21], vcc
	s_cbranch_execz .LBB222_927
; %bb.922:
	s_mov_b32 s22, 0x3bffffff
	v_cmp_lt_u32_e32 vcc, s22, v3
	s_mov_b64 s[22:23], 0
                                        ; implicit-def: $vgpr3
	s_and_saveexec_b64 s[24:25], vcc
	s_xor_b64 s[24:25], exec, s[24:25]
	s_cbranch_execz .LBB222_1025
; %bb.923:
	v_bfe_u32 v3, v2, 20, 1
	s_mov_b32 s26, 0x487ffff
	v_add3_u32 v3, v2, v3, s26
	s_mov_b64 s[22:23], exec
	v_lshrrev_b32_e32 v3, 20, v3
	s_andn2_saveexec_b64 s[24:25], s[24:25]
	s_cbranch_execnz .LBB222_1026
.LBB222_924:
	s_or_b64 exec, exec, s[24:25]
	v_mov_b32_e32 v5, 0
	s_and_saveexec_b64 s[24:25], s[22:23]
.LBB222_925:
	v_lshrrev_b32_e32 v2, 24, v2
	s_movk_i32 s22, 0x80
	v_and_or_b32 v5, v2, s22, v3
.LBB222_926:
	s_or_b64 exec, exec, s[24:25]
.LBB222_927:
	s_or_b64 exec, exec, s[20:21]
	global_store_byte v[0:1], v5, off
.LBB222_928:
	s_mov_b64 s[22:23], 0
.LBB222_929:
	s_mov_b64 s[20:21], 0
	s_and_b64 vcc, exec, s[22:23]
	s_cbranch_vccz .LBB222_969
; %bb.930:
	s_cmp_gt_i32 s29, 22
	s_mov_b64 s[22:23], -1
	s_cbranch_scc0 .LBB222_962
; %bb.931:
	s_cmp_lt_i32 s29, 24
	s_cbranch_scc1 .LBB222_951
; %bb.932:
	s_cmp_gt_i32 s29, 24
	s_cbranch_scc0 .LBB222_940
; %bb.933:
	v_cvt_f32_i32_sdwa v2, sext(v4) dst_sel:DWORD dst_unused:UNUSED_PAD src0_sel:WORD_0
	s_mov_b32 s22, 0x47800000
	v_mov_b32_e32 v5, 0x80
	v_and_b32_e32 v3, 0x7fffffff, v2
	v_cmp_gt_u32_e32 vcc, s22, v3
	s_and_saveexec_b64 s[22:23], vcc
	s_cbranch_execz .LBB222_939
; %bb.934:
	s_mov_b32 s24, 0x37ffffff
	v_cmp_lt_u32_e32 vcc, s24, v3
	s_mov_b64 s[24:25], 0
                                        ; implicit-def: $vgpr3
	s_and_saveexec_b64 s[26:27], vcc
	s_xor_b64 s[26:27], exec, s[26:27]
	s_cbranch_execz .LBB222_1145
; %bb.935:
	v_bfe_u32 v3, v2, 21, 1
	s_mov_b32 s30, 0x88fffff
	v_add3_u32 v3, v2, v3, s30
	s_mov_b64 s[24:25], exec
	v_lshrrev_b32_e32 v3, 21, v3
	s_andn2_saveexec_b64 s[26:27], s[26:27]
	s_cbranch_execnz .LBB222_1146
.LBB222_936:
	s_or_b64 exec, exec, s[26:27]
	v_mov_b32_e32 v5, 0
	s_and_saveexec_b64 s[26:27], s[24:25]
.LBB222_937:
	v_lshrrev_b32_e32 v2, 24, v2
	s_movk_i32 s24, 0x80
	v_and_or_b32 v5, v2, s24, v3
.LBB222_938:
	s_or_b64 exec, exec, s[26:27]
.LBB222_939:
	s_or_b64 exec, exec, s[22:23]
	s_mov_b64 s[22:23], 0
	global_store_byte v[0:1], v5, off
.LBB222_940:
	s_and_b64 vcc, exec, s[22:23]
	s_cbranch_vccz .LBB222_950
; %bb.941:
	v_cvt_f32_i32_sdwa v2, sext(v4) dst_sel:DWORD dst_unused:UNUSED_PAD src0_sel:WORD_0
	s_mov_b32 s22, 0x43f00000
                                        ; implicit-def: $vgpr3
	v_and_b32_e32 v5, 0x7fffffff, v2
	v_cmp_gt_u32_e32 vcc, s22, v5
	s_and_saveexec_b64 s[22:23], vcc
	s_xor_b64 s[22:23], exec, s[22:23]
	s_cbranch_execz .LBB222_947
; %bb.942:
	s_mov_b32 s24, 0x3c7fffff
	v_cmp_lt_u32_e32 vcc, s24, v5
                                        ; implicit-def: $vgpr3
	s_and_saveexec_b64 s[24:25], vcc
	s_xor_b64 s[24:25], exec, s[24:25]
; %bb.943:
	v_bfe_u32 v3, v2, 20, 1
	s_mov_b32 s26, 0x407ffff
	v_add3_u32 v3, v2, v3, s26
	v_lshrrev_b32_e32 v5, 20, v3
	v_and_b32_e32 v3, 0xff00000, v3
	s_mov_b32 s26, 0x7f00000
	v_mov_b32_e32 v6, 0x7e
	v_cmp_ne_u32_e32 vcc, s26, v3
	v_cndmask_b32_e32 v3, v6, v5, vcc
; %bb.944:
	s_andn2_saveexec_b64 s[24:25], s[24:25]
; %bb.945:
	s_mov_b32 s26, 0x46800000
	v_add_f32_e64 v3, |v2|, s26
; %bb.946:
	s_or_b64 exec, exec, s[24:25]
                                        ; implicit-def: $vgpr5
.LBB222_947:
	s_andn2_saveexec_b64 s[22:23], s[22:23]
; %bb.948:
	s_mov_b32 s24, 0x7f800000
	v_mov_b32_e32 v3, 0x7e
	v_mov_b32_e32 v6, 0x7f
	v_cmp_lt_u32_e32 vcc, s24, v5
	v_cndmask_b32_e32 v3, v3, v6, vcc
; %bb.949:
	s_or_b64 exec, exec, s[22:23]
	v_lshrrev_b32_e32 v2, 24, v2
	s_movk_i32 s22, 0x80
	v_and_or_b32 v2, v2, s22, v3
	global_store_byte v[0:1], v2, off
.LBB222_950:
	s_mov_b64 s[22:23], 0
.LBB222_951:
	s_andn2_b64 vcc, exec, s[22:23]
	s_cbranch_vccnz .LBB222_961
; %bb.952:
	v_cvt_f32_i32_sdwa v2, sext(v4) dst_sel:DWORD dst_unused:UNUSED_PAD src0_sel:WORD_0
	s_mov_b32 s22, 0x47800000
                                        ; implicit-def: $vgpr3
	v_and_b32_e32 v5, 0x7fffffff, v2
	v_cmp_gt_u32_e32 vcc, s22, v5
	s_and_saveexec_b64 s[22:23], vcc
	s_xor_b64 s[22:23], exec, s[22:23]
	s_cbranch_execz .LBB222_958
; %bb.953:
	s_mov_b32 s24, 0x387fffff
	v_cmp_lt_u32_e32 vcc, s24, v5
                                        ; implicit-def: $vgpr3
	s_and_saveexec_b64 s[24:25], vcc
	s_xor_b64 s[24:25], exec, s[24:25]
; %bb.954:
	v_bfe_u32 v3, v2, 21, 1
	s_mov_b32 s26, 0x80fffff
	v_add3_u32 v3, v2, v3, s26
	v_lshrrev_b32_e32 v3, 21, v3
; %bb.955:
	s_andn2_saveexec_b64 s[24:25], s[24:25]
; %bb.956:
	s_mov_b32 s26, 0x43000000
	v_add_f32_e64 v3, |v2|, s26
; %bb.957:
	s_or_b64 exec, exec, s[24:25]
                                        ; implicit-def: $vgpr5
.LBB222_958:
	s_andn2_saveexec_b64 s[22:23], s[22:23]
; %bb.959:
	s_mov_b32 s24, 0x7f800000
	v_mov_b32_e32 v3, 0x7c
	v_mov_b32_e32 v6, 0x7f
	v_cmp_lt_u32_e32 vcc, s24, v5
	v_cndmask_b32_e32 v3, v3, v6, vcc
; %bb.960:
	s_or_b64 exec, exec, s[22:23]
	v_lshrrev_b32_e32 v2, 24, v2
	s_movk_i32 s22, 0x80
	v_and_or_b32 v2, v2, s22, v3
	global_store_byte v[0:1], v2, off
.LBB222_961:
	s_mov_b64 s[22:23], 0
.LBB222_962:
	s_andn2_b64 vcc, exec, s[22:23]
	s_mov_b64 s[22:23], 0
	s_cbranch_vccnz .LBB222_970
; %bb.963:
	s_cmp_gt_i32 s29, 14
	s_mov_b64 s[24:25], -1
	s_cbranch_scc0 .LBB222_967
; %bb.964:
	s_cmp_eq_u32 s29, 15
	s_mov_b64 s[0:1], -1
	s_cbranch_scc0 .LBB222_966
; %bb.965:
	v_cvt_f32_i32_sdwa v2, sext(v4) dst_sel:DWORD dst_unused:UNUSED_PAD src0_sel:WORD_0
	s_movk_i32 s0, 0x7fff
	v_bfe_u32 v3, v2, 16, 1
	v_add3_u32 v2, v2, v3, s0
	global_store_short_d16_hi v[0:1], v2, off
	s_mov_b64 s[0:1], 0
.LBB222_966:
	s_mov_b64 s[24:25], 0
.LBB222_967:
	s_and_b64 vcc, exec, s[24:25]
	s_cbranch_vccz .LBB222_970
; %bb.968:
	s_cmp_lg_u32 s29, 11
	s_cselect_b64 s[24:25], -1, 0
	s_andn2_b64 s[0:1], s[0:1], exec
	s_and_b64 s[24:25], s[24:25], exec
	s_mov_b64 s[22:23], -1
	s_or_b64 s[0:1], s[0:1], s[24:25]
	s_branch .LBB222_970
.LBB222_969:
	s_mov_b64 s[22:23], 0
.LBB222_970:
	s_andn2_b64 s[6:7], s[6:7], exec
	s_and_b64 s[0:1], s[0:1], exec
	s_and_b64 s[20:21], s[20:21], exec
	;; [unrolled: 1-line block ×3, first 2 shown]
	s_or_b64 s[6:7], s[6:7], s[0:1]
	s_or_b64 exec, exec, s[16:17]
	s_and_saveexec_b64 s[0:1], s[6:7]
	s_cbranch_execz .LBB222_899
.LBB222_971:
	s_or_b64 s[18:19], s[18:19], exec
	s_andn2_b64 s[22:23], s[22:23], exec
	s_trap 2
	s_or_b64 exec, exec, s[0:1]
	s_and_saveexec_b64 s[0:1], s[22:23]
	s_xor_b64 s[0:1], exec, s[0:1]
	s_cbranch_execnz .LBB222_900
.LBB222_972:
	s_or_b64 exec, exec, s[0:1]
	s_and_saveexec_b64 s[0:1], s[20:21]
	s_xor_b64 s[0:1], exec, s[0:1]
	s_cbranch_execz .LBB222_1010
.LBB222_973:
	s_sext_i32_i16 s16, s28
	s_cmp_lt_i32 s16, 5
	s_mov_b64 s[6:7], -1
	s_cbranch_scc1 .LBB222_994
; %bb.974:
	s_cmp_lt_i32 s16, 8
	s_cbranch_scc1 .LBB222_984
; %bb.975:
	s_cmp_lt_i32 s16, 9
	s_cbranch_scc1 .LBB222_981
; %bb.976:
	s_cmp_gt_i32 s16, 9
	s_cbranch_scc0 .LBB222_978
; %bb.977:
	s_waitcnt vmcnt(0)
	v_bfe_i32 v2, v4, 0, 16
	v_cvt_f64_i32_e32 v[5:6], v2
	v_mov_b32_e32 v7, 0
	v_mov_b32_e32 v8, v7
	s_mov_b64 s[6:7], 0
	global_store_dwordx4 v[0:1], v[5:8], off
.LBB222_978:
	s_andn2_b64 vcc, exec, s[6:7]
	s_cbranch_vccnz .LBB222_980
; %bb.979:
	s_waitcnt vmcnt(0)
	v_cvt_f32_i32_sdwa v2, sext(v4) dst_sel:DWORD dst_unused:UNUSED_PAD src0_sel:WORD_0
	v_mov_b32_e32 v3, 0
	global_store_dwordx2 v[0:1], v[2:3], off
.LBB222_980:
	s_mov_b64 s[6:7], 0
.LBB222_981:
	s_andn2_b64 vcc, exec, s[6:7]
	s_cbranch_vccnz .LBB222_983
; %bb.982:
	s_waitcnt vmcnt(0)
	v_cvt_f16_i16_e32 v2, v4
	global_store_dword v[0:1], v2, off
.LBB222_983:
	s_mov_b64 s[6:7], 0
.LBB222_984:
	s_andn2_b64 vcc, exec, s[6:7]
	s_cbranch_vccnz .LBB222_993
; %bb.985:
	s_sext_i32_i16 s16, s28
	s_cmp_lt_i32 s16, 6
	s_mov_b64 s[6:7], -1
	s_cbranch_scc1 .LBB222_991
; %bb.986:
	s_cmp_gt_i32 s16, 6
	s_cbranch_scc0 .LBB222_988
; %bb.987:
	s_waitcnt vmcnt(0)
	v_bfe_i32 v2, v4, 0, 16
	v_cvt_f64_i32_e32 v[2:3], v2
	s_mov_b64 s[6:7], 0
	global_store_dwordx2 v[0:1], v[2:3], off
.LBB222_988:
	s_andn2_b64 vcc, exec, s[6:7]
	s_cbranch_vccnz .LBB222_990
; %bb.989:
	s_waitcnt vmcnt(0)
	v_cvt_f32_i32_sdwa v2, sext(v4) dst_sel:DWORD dst_unused:UNUSED_PAD src0_sel:WORD_0
	global_store_dword v[0:1], v2, off
.LBB222_990:
	s_mov_b64 s[6:7], 0
.LBB222_991:
	s_andn2_b64 vcc, exec, s[6:7]
	s_cbranch_vccnz .LBB222_993
; %bb.992:
	s_waitcnt vmcnt(0)
	v_cvt_f16_i16_e32 v2, v4
	global_store_short v[0:1], v2, off
.LBB222_993:
	s_mov_b64 s[6:7], 0
.LBB222_994:
	s_andn2_b64 vcc, exec, s[6:7]
	s_cbranch_vccnz .LBB222_1010
; %bb.995:
	s_sext_i32_i16 s16, s28
	s_cmp_lt_i32 s16, 2
	s_mov_b64 s[6:7], -1
	s_cbranch_scc1 .LBB222_1005
; %bb.996:
	s_cmp_lt_i32 s16, 3
	s_cbranch_scc1 .LBB222_1002
; %bb.997:
	s_cmp_gt_i32 s16, 3
	s_waitcnt vmcnt(0)
	v_bfe_i32 v2, v4, 0, 16
	s_cbranch_scc0 .LBB222_999
; %bb.998:
	v_ashrrev_i32_e32 v3, 31, v2
	s_mov_b64 s[6:7], 0
	global_store_dwordx2 v[0:1], v[2:3], off
.LBB222_999:
	s_andn2_b64 vcc, exec, s[6:7]
	s_cbranch_vccnz .LBB222_1001
; %bb.1000:
	global_store_dword v[0:1], v2, off
.LBB222_1001:
	s_mov_b64 s[6:7], 0
.LBB222_1002:
	s_andn2_b64 vcc, exec, s[6:7]
	s_cbranch_vccnz .LBB222_1004
; %bb.1003:
	global_store_short v[0:1], v4, off
.LBB222_1004:
	s_mov_b64 s[6:7], 0
.LBB222_1005:
	s_andn2_b64 vcc, exec, s[6:7]
	s_cbranch_vccnz .LBB222_1010
; %bb.1006:
	s_sext_i32_i16 s6, s28
	s_cmp_gt_i32 s6, 0
	s_mov_b64 s[6:7], -1
	s_cbranch_scc0 .LBB222_1008
; %bb.1007:
	s_mov_b64 s[6:7], 0
	global_store_byte v[0:1], v4, off
.LBB222_1008:
	s_andn2_b64 vcc, exec, s[6:7]
	s_cbranch_vccnz .LBB222_1010
; %bb.1009:
	global_store_byte v[0:1], v4, off
.LBB222_1010:
	s_or_b64 exec, exec, s[0:1]
	s_and_b64 s[6:7], s[18:19], exec
                                        ; implicit-def: $vgpr9
.LBB222_1011:
	s_or_saveexec_b64 s[4:5], s[4:5]
	s_mov_b64 s[0:1], 0
                                        ; implicit-def: $sgpr20
                                        ; implicit-def: $vgpr0_vgpr1
                                        ; implicit-def: $vgpr4
	s_xor_b64 exec, exec, s[4:5]
	s_cbranch_execz .LBB222_1942
; %bb.1012:
	s_waitcnt vmcnt(0)
	v_mul_lo_u32 v2, s13, v9
	v_mov_b32_e32 v1, s11
	s_and_b32 s22, 0xffff, s33
	s_cmp_lt_i32 s22, 11
	v_ashrrev_i32_e32 v3, 31, v2
	v_add_co_u32_e32 v0, vcc, s10, v2
	v_addc_co_u32_e32 v1, vcc, v1, v3, vcc
	s_cbranch_scc1 .LBB222_1019
; %bb.1013:
	s_cmp_gt_i32 s22, 25
	s_cbranch_scc0 .LBB222_1021
; %bb.1014:
	s_cmp_gt_i32 s22, 28
	s_cbranch_scc0 .LBB222_1022
	;; [unrolled: 3-line block ×4, first 2 shown]
; %bb.1017:
	s_cmp_eq_u32 s22, 46
	s_mov_b64 s[16:17], 0
	s_cbranch_scc0 .LBB222_1027
; %bb.1018:
	global_load_dword v3, v[0:1], off
	s_mov_b64 s[18:19], -1
	s_waitcnt vmcnt(0)
	v_lshlrev_b32_e32 v3, 16, v3
	v_cvt_i32_f32_e32 v6, v3
	s_branch .LBB222_1028
.LBB222_1019:
	s_mov_b64 s[18:19], 0
                                        ; implicit-def: $vgpr6
	s_mov_b64 s[16:17], s[6:7]
	s_cbranch_execnz .LBB222_1086
.LBB222_1020:
	s_andn2_b64 vcc, exec, s[18:19]
	s_cbranch_vccz .LBB222_1131
	s_branch .LBB222_1940
.LBB222_1021:
	s_mov_b64 s[18:19], 0
                                        ; implicit-def: $vgpr6
	s_cbranch_execnz .LBB222_1053
	s_branch .LBB222_1082
.LBB222_1022:
	s_mov_b64 s[18:19], 0
                                        ; implicit-def: $vgpr6
	s_cbranch_execz .LBB222_1052
	s_branch .LBB222_1037
.LBB222_1023:
	s_mov_b64 s[18:19], 0
                                        ; implicit-def: $vgpr6
	s_cbranch_execnz .LBB222_1033
	s_branch .LBB222_1036
.LBB222_1024:
	s_mov_b64 s[16:17], -1
	s_mov_b64 s[18:19], 0
                                        ; implicit-def: $vgpr6
	s_branch .LBB222_1028
.LBB222_1025:
	s_andn2_saveexec_b64 s[24:25], s[24:25]
	s_cbranch_execz .LBB222_924
.LBB222_1026:
	s_mov_b32 s26, 0x46000000
	v_add_f32_e64 v3, |v2|, s26
	v_and_b32_e32 v3, 0xff, v3
	v_cmp_ne_u32_e32 vcc, 0, v3
	s_andn2_b64 s[22:23], s[22:23], exec
	s_and_b64 s[26:27], vcc, exec
	s_or_b64 s[22:23], s[22:23], s[26:27]
	s_or_b64 exec, exec, s[24:25]
	v_mov_b32_e32 v5, 0
	s_and_saveexec_b64 s[24:25], s[22:23]
	s_cbranch_execnz .LBB222_925
	s_branch .LBB222_926
.LBB222_1027:
	s_mov_b64 s[0:1], -1
                                        ; implicit-def: $vgpr6
	s_mov_b64 s[18:19], 0
.LBB222_1028:
	s_and_b64 vcc, exec, s[16:17]
	s_cbranch_vccz .LBB222_1031
; %bb.1029:
	s_cmp_eq_u32 s22, 44
	s_cbranch_scc0 .LBB222_1032
; %bb.1030:
	global_load_ubyte v3, v[0:1], off
	s_mov_b64 s[0:1], 0
	s_mov_b64 s[18:19], -1
	s_waitcnt vmcnt(0)
	v_lshlrev_b32_e32 v4, 23, v3
	v_cvt_i32_f32_e32 v4, v4
	v_cmp_ne_u32_e32 vcc, 0, v3
	v_cndmask_b32_e32 v6, 0, v4, vcc
.LBB222_1031:
	s_branch .LBB222_1036
.LBB222_1032:
	s_mov_b64 s[0:1], -1
                                        ; implicit-def: $vgpr6
	s_branch .LBB222_1036
.LBB222_1033:
	s_cmp_eq_u32 s22, 29
	s_cbranch_scc0 .LBB222_1035
; %bb.1034:
	global_load_dwordx2 v[6:7], v[0:1], off
	s_mov_b64 s[0:1], 0
	s_mov_b64 s[18:19], -1
	s_branch .LBB222_1036
.LBB222_1035:
	s_mov_b64 s[0:1], -1
                                        ; implicit-def: $vgpr6
.LBB222_1036:
	s_branch .LBB222_1052
.LBB222_1037:
	s_cmp_lt_i32 s22, 27
	s_cbranch_scc1 .LBB222_1040
; %bb.1038:
	s_cmp_gt_i32 s22, 27
	s_cbranch_scc0 .LBB222_1041
; %bb.1039:
	global_load_dword v6, v[0:1], off
	s_mov_b64 s[16:17], 0
	s_branch .LBB222_1042
.LBB222_1040:
	s_mov_b64 s[16:17], -1
                                        ; implicit-def: $vgpr6
	s_branch .LBB222_1045
.LBB222_1041:
	s_mov_b64 s[16:17], -1
                                        ; implicit-def: $vgpr6
.LBB222_1042:
	s_andn2_b64 vcc, exec, s[16:17]
	s_cbranch_vccnz .LBB222_1044
; %bb.1043:
	global_load_ushort v6, v[0:1], off
.LBB222_1044:
	s_mov_b64 s[16:17], 0
.LBB222_1045:
	s_andn2_b64 vcc, exec, s[16:17]
	s_cbranch_vccnz .LBB222_1051
; %bb.1046:
	global_load_ubyte v3, v[0:1], off
	s_movk_i32 s16, 0x7f
	s_mov_b64 s[18:19], 0
	s_waitcnt vmcnt(0)
	v_cmp_lt_i16_e32 vcc, s16, v3
	s_and_saveexec_b64 s[16:17], vcc
	s_xor_b64 s[16:17], exec, s[16:17]
	s_cbranch_execz .LBB222_1062
; %bb.1047:
	s_movk_i32 s18, 0x80
	v_cmp_ne_u16_e32 vcc, s18, v3
	s_and_b64 s[18:19], vcc, exec
	s_andn2_saveexec_b64 s[16:17], s[16:17]
	s_cbranch_execnz .LBB222_1063
.LBB222_1048:
	s_or_b64 exec, exec, s[16:17]
	v_mov_b32_e32 v6, 0
	s_and_saveexec_b64 s[16:17], s[18:19]
	s_cbranch_execz .LBB222_1050
.LBB222_1049:
	v_lshlrev_b32_e32 v4, 24, v3
	v_and_b32_e32 v3, 0xffff, v3
	v_and_b32_e32 v5, 7, v3
	v_ffbh_u32_e32 v7, v5
	v_min_u32_e32 v7, 32, v7
	v_subrev_u32_e32 v8, 28, v7
	v_bfe_u32 v6, v3, 3, 4
	v_lshlrev_b32_e32 v3, v8, v3
	v_sub_u32_e32 v7, 29, v7
	v_and_b32_e32 v3, 7, v3
	v_cmp_eq_u32_e32 vcc, 0, v6
	v_cndmask_b32_e32 v6, v6, v7, vcc
	v_cndmask_b32_e32 v3, v5, v3, vcc
	v_mov_b32_e32 v5, 0x3b800000
	v_lshlrev_b32_e32 v3, 20, v3
	v_and_b32_e32 v4, 0x80000000, v4
	v_lshl_add_u32 v5, v6, 23, v5
	v_or3_b32 v3, v4, v5, v3
	v_cvt_i32_f32_e32 v6, v3
.LBB222_1050:
	s_or_b64 exec, exec, s[16:17]
.LBB222_1051:
	s_mov_b64 s[18:19], -1
.LBB222_1052:
	s_branch .LBB222_1082
.LBB222_1053:
	s_cmp_gt_i32 s22, 22
	s_cbranch_scc0 .LBB222_1061
; %bb.1054:
	s_cmp_lt_i32 s22, 24
	s_cbranch_scc1 .LBB222_1064
; %bb.1055:
	s_cmp_gt_i32 s22, 24
	s_cbranch_scc0 .LBB222_1065
; %bb.1056:
	global_load_ubyte v3, v[0:1], off
	s_movk_i32 s2, 0x7f
	s_mov_b64 s[16:17], 0
	s_waitcnt vmcnt(0)
	v_cmp_lt_i16_e32 vcc, s2, v3
	s_and_saveexec_b64 s[2:3], vcc
	s_xor_b64 s[2:3], exec, s[2:3]
	s_cbranch_execz .LBB222_1076
; %bb.1057:
	s_movk_i32 s16, 0x80
	v_cmp_ne_u16_e32 vcc, s16, v3
	s_and_b64 s[16:17], vcc, exec
	s_andn2_saveexec_b64 s[2:3], s[2:3]
	s_cbranch_execnz .LBB222_1077
.LBB222_1058:
	s_or_b64 exec, exec, s[2:3]
	v_mov_b32_e32 v6, 0
	s_and_saveexec_b64 s[2:3], s[16:17]
	s_cbranch_execz .LBB222_1060
.LBB222_1059:
	v_lshlrev_b32_e32 v4, 24, v3
	v_and_b32_e32 v3, 0xffff, v3
	v_and_b32_e32 v5, 3, v3
	v_ffbh_u32_e32 v7, v5
	v_min_u32_e32 v7, 32, v7
	v_subrev_u32_e32 v8, 29, v7
	v_bfe_u32 v6, v3, 2, 5
	v_lshlrev_b32_e32 v3, v8, v3
	v_sub_u32_e32 v7, 30, v7
	v_and_b32_e32 v3, 3, v3
	v_cmp_eq_u32_e32 vcc, 0, v6
	v_cndmask_b32_e32 v6, v6, v7, vcc
	v_cndmask_b32_e32 v3, v5, v3, vcc
	v_mov_b32_e32 v5, 0x37800000
	v_lshlrev_b32_e32 v3, 21, v3
	v_and_b32_e32 v4, 0x80000000, v4
	v_lshl_add_u32 v5, v6, 23, v5
	v_or3_b32 v3, v4, v5, v3
	v_cvt_i32_f32_e32 v6, v3
.LBB222_1060:
	s_or_b64 exec, exec, s[2:3]
	s_mov_b64 s[2:3], 0
	s_branch .LBB222_1066
.LBB222_1061:
                                        ; implicit-def: $vgpr6
	s_mov_b64 s[2:3], 0
	s_branch .LBB222_1072
.LBB222_1062:
	s_andn2_saveexec_b64 s[16:17], s[16:17]
	s_cbranch_execz .LBB222_1048
.LBB222_1063:
	v_cmp_ne_u16_e32 vcc, 0, v3
	s_andn2_b64 s[18:19], s[18:19], exec
	s_and_b64 s[20:21], vcc, exec
	s_or_b64 s[18:19], s[18:19], s[20:21]
	s_or_b64 exec, exec, s[16:17]
	v_mov_b32_e32 v6, 0
	s_and_saveexec_b64 s[16:17], s[18:19]
	s_cbranch_execnz .LBB222_1049
	s_branch .LBB222_1050
.LBB222_1064:
	s_mov_b64 s[2:3], -1
                                        ; implicit-def: $vgpr6
	s_branch .LBB222_1069
.LBB222_1065:
	s_mov_b64 s[2:3], -1
                                        ; implicit-def: $vgpr6
.LBB222_1066:
	s_and_b64 vcc, exec, s[2:3]
	s_cbranch_vccz .LBB222_1068
; %bb.1067:
	global_load_ubyte v3, v[0:1], off
	s_mov_b32 s2, 0x7f800000
	s_waitcnt vmcnt(0)
	v_lshlrev_b32_e32 v3, 24, v3
	v_and_b32_e32 v4, 0x7f000000, v3
	v_ffbh_u32_e32 v5, v4
	v_min_u32_e32 v5, 32, v5
	v_sub_u32_e64 v5, v5, 4 clamp
	v_lshlrev_b32_e32 v7, v5, v4
	v_lshlrev_b32_e32 v5, 23, v5
	v_lshrrev_b32_e32 v7, 4, v7
	v_add_u32_e32 v6, 0x1000000, v4
	v_sub_u32_e32 v5, v7, v5
	v_ashrrev_i32_e32 v6, 8, v6
	v_add_u32_e32 v5, 0x3c000000, v5
	v_and_or_b32 v5, v6, s2, v5
	v_cmp_ne_u32_e32 vcc, 0, v4
	v_cndmask_b32_e32 v4, 0, v5, vcc
	s_brev_b32 s2, 1
	v_and_or_b32 v3, v3, s2, v4
	v_cvt_i32_f32_e32 v6, v3
.LBB222_1068:
	s_mov_b64 s[2:3], 0
.LBB222_1069:
	s_andn2_b64 vcc, exec, s[2:3]
	s_cbranch_vccnz .LBB222_1071
; %bb.1070:
	global_load_ubyte v3, v[0:1], off
	s_movk_i32 s2, 0x7f00
	s_brev_b32 s3, 16
	s_waitcnt vmcnt(0)
	v_lshlrev_b16_e32 v4, 8, v3
	v_lshlrev_b32_e32 v3, 25, v3
	v_lshrrev_b32_e32 v5, 4, v3
	v_and_or_b32 v6, v4, s2, 0.5
	v_or_b32_e32 v5, 0x70000000, v5
	v_add_f32_e32 v6, -0.5, v6
	v_mul_f32_e32 v5, 0x7800000, v5
	v_cmp_gt_u32_e32 vcc, s3, v3
	v_bfe_i32 v4, v4, 0, 16
	v_cndmask_b32_e32 v3, v5, v6, vcc
	s_brev_b32 s2, 1
	v_and_or_b32 v3, v4, s2, v3
	v_cvt_i32_f32_e32 v6, v3
.LBB222_1071:
	s_mov_b64 s[18:19], -1
	s_mov_b64 s[2:3], 0
	s_cbranch_execnz .LBB222_1082
.LBB222_1072:
	s_cmp_gt_i32 s22, 14
	s_cbranch_scc0 .LBB222_1075
; %bb.1073:
	s_cmp_eq_u32 s22, 15
	s_cbranch_scc0 .LBB222_1078
; %bb.1074:
	global_load_ushort v3, v[0:1], off
	s_mov_b64 s[0:1], 0
	s_mov_b64 s[18:19], -1
	s_waitcnt vmcnt(0)
	v_lshlrev_b32_e32 v3, 16, v3
	v_cvt_i32_f32_e32 v6, v3
	s_branch .LBB222_1079
.LBB222_1075:
	s_mov_b64 s[16:17], -1
                                        ; implicit-def: $vgpr6
	s_branch .LBB222_1080
.LBB222_1076:
	s_andn2_saveexec_b64 s[2:3], s[2:3]
	s_cbranch_execz .LBB222_1058
.LBB222_1077:
	v_cmp_ne_u16_e32 vcc, 0, v3
	s_andn2_b64 s[16:17], s[16:17], exec
	s_and_b64 s[18:19], vcc, exec
	s_or_b64 s[16:17], s[16:17], s[18:19]
	s_or_b64 exec, exec, s[2:3]
	v_mov_b32_e32 v6, 0
	s_and_saveexec_b64 s[2:3], s[16:17]
	s_cbranch_execnz .LBB222_1059
	s_branch .LBB222_1060
.LBB222_1078:
	s_mov_b64 s[0:1], -1
                                        ; implicit-def: $vgpr6
.LBB222_1079:
	s_mov_b64 s[16:17], 0
.LBB222_1080:
	s_and_b64 vcc, exec, s[16:17]
	s_cbranch_vccz .LBB222_1082
; %bb.1081:
	s_cmp_lg_u32 s22, 11
	s_mov_b64 s[2:3], -1
	s_cselect_b64 s[0:1], -1, 0
.LBB222_1082:
	s_and_b64 vcc, exec, s[0:1]
	s_mov_b64 s[16:17], s[6:7]
	s_cbranch_vccnz .LBB222_1143
; %bb.1083:
	s_andn2_b64 vcc, exec, s[2:3]
	s_cbranch_vccnz .LBB222_1085
.LBB222_1084:
	global_load_ubyte v3, v[0:1], off
	s_mov_b64 s[18:19], -1
	s_waitcnt vmcnt(0)
	v_cmp_ne_u16_e32 vcc, 0, v3
	v_cndmask_b32_e64 v6, 0, 1, vcc
.LBB222_1085:
	s_branch .LBB222_1020
.LBB222_1086:
	s_cmp_lt_i32 s22, 5
	s_cbranch_scc1 .LBB222_1091
; %bb.1087:
	s_cmp_lt_i32 s22, 8
	s_cbranch_scc1 .LBB222_1092
; %bb.1088:
	;; [unrolled: 3-line block ×3, first 2 shown]
	s_cmp_gt_i32 s22, 9
	s_cbranch_scc0 .LBB222_1094
; %bb.1090:
	global_load_dwordx2 v[3:4], v[0:1], off
	s_mov_b64 s[0:1], 0
	s_waitcnt vmcnt(0)
	v_cvt_i32_f64_e32 v6, v[3:4]
	s_branch .LBB222_1095
.LBB222_1091:
                                        ; implicit-def: $vgpr6
	s_branch .LBB222_1112
.LBB222_1092:
                                        ; implicit-def: $vgpr6
	s_branch .LBB222_1101
.LBB222_1093:
	s_mov_b64 s[0:1], -1
                                        ; implicit-def: $vgpr6
	s_branch .LBB222_1098
.LBB222_1094:
	s_mov_b64 s[0:1], -1
                                        ; implicit-def: $vgpr6
.LBB222_1095:
	s_andn2_b64 vcc, exec, s[0:1]
	s_cbranch_vccnz .LBB222_1097
; %bb.1096:
	global_load_dword v3, v[0:1], off
	s_waitcnt vmcnt(0)
	v_cvt_i32_f32_e32 v6, v3
.LBB222_1097:
	s_mov_b64 s[0:1], 0
.LBB222_1098:
	s_andn2_b64 vcc, exec, s[0:1]
	s_cbranch_vccnz .LBB222_1100
; %bb.1099:
	global_load_dword v3, v[0:1], off
	s_waitcnt vmcnt(0)
	v_cvt_i16_f16_e32 v6, v3
.LBB222_1100:
	s_cbranch_execnz .LBB222_1111
.LBB222_1101:
	s_cmp_lt_i32 s22, 6
	s_cbranch_scc1 .LBB222_1104
; %bb.1102:
	s_cmp_gt_i32 s22, 6
	s_cbranch_scc0 .LBB222_1105
; %bb.1103:
	global_load_dwordx2 v[3:4], v[0:1], off
	s_mov_b64 s[0:1], 0
	s_waitcnt vmcnt(0)
	v_cvt_i32_f64_e32 v6, v[3:4]
	s_branch .LBB222_1106
.LBB222_1104:
	s_mov_b64 s[0:1], -1
                                        ; implicit-def: $vgpr6
	s_branch .LBB222_1109
.LBB222_1105:
	s_mov_b64 s[0:1], -1
                                        ; implicit-def: $vgpr6
.LBB222_1106:
	s_andn2_b64 vcc, exec, s[0:1]
	s_cbranch_vccnz .LBB222_1108
; %bb.1107:
	global_load_dword v3, v[0:1], off
	s_waitcnt vmcnt(0)
	v_cvt_i32_f32_e32 v6, v3
.LBB222_1108:
	s_mov_b64 s[0:1], 0
.LBB222_1109:
	s_andn2_b64 vcc, exec, s[0:1]
	s_cbranch_vccnz .LBB222_1111
; %bb.1110:
	global_load_ushort v3, v[0:1], off
	s_waitcnt vmcnt(0)
	v_cvt_i16_f16_e32 v6, v3
.LBB222_1111:
	s_cbranch_execnz .LBB222_1130
.LBB222_1112:
	s_cmp_lt_i32 s22, 2
	s_cbranch_scc1 .LBB222_1116
; %bb.1113:
	s_cmp_lt_i32 s22, 3
	s_cbranch_scc1 .LBB222_1117
; %bb.1114:
	s_cmp_gt_i32 s22, 3
	s_cbranch_scc0 .LBB222_1118
; %bb.1115:
	global_load_dwordx2 v[6:7], v[0:1], off
	s_mov_b64 s[0:1], 0
	s_branch .LBB222_1119
.LBB222_1116:
                                        ; implicit-def: $vgpr6
	s_branch .LBB222_1125
.LBB222_1117:
	s_mov_b64 s[0:1], -1
                                        ; implicit-def: $vgpr6
	s_branch .LBB222_1122
.LBB222_1118:
	s_mov_b64 s[0:1], -1
                                        ; implicit-def: $vgpr6
.LBB222_1119:
	s_andn2_b64 vcc, exec, s[0:1]
	s_cbranch_vccnz .LBB222_1121
; %bb.1120:
	global_load_dword v6, v[0:1], off
.LBB222_1121:
	s_mov_b64 s[0:1], 0
.LBB222_1122:
	s_andn2_b64 vcc, exec, s[0:1]
	s_cbranch_vccnz .LBB222_1124
; %bb.1123:
	global_load_ushort v6, v[0:1], off
.LBB222_1124:
	s_cbranch_execnz .LBB222_1130
.LBB222_1125:
	s_cmp_gt_i32 s22, 0
	s_cbranch_scc0 .LBB222_1127
; %bb.1126:
	global_load_sbyte v6, v[0:1], off
	s_mov_b64 s[0:1], 0
	s_branch .LBB222_1128
.LBB222_1127:
	s_mov_b64 s[0:1], -1
                                        ; implicit-def: $vgpr6
.LBB222_1128:
	s_andn2_b64 vcc, exec, s[0:1]
	s_cbranch_vccnz .LBB222_1130
; %bb.1129:
	global_load_ubyte v6, v[0:1], off
.LBB222_1130:
.LBB222_1131:
	s_lshl_b32 s13, s13, 7
	v_add_u32_e32 v2, s13, v2
	v_ashrrev_i32_e32 v1, 31, v2
	v_mov_b32_e32 v3, s11
	v_add_co_u32_e32 v0, vcc, s10, v2
	s_cmp_lt_i32 s22, 11
	v_addc_co_u32_e32 v1, vcc, v3, v1, vcc
	s_cbranch_scc1 .LBB222_1138
; %bb.1132:
	s_cmp_gt_i32 s22, 25
	s_mov_b64 s[2:3], 0
	s_cbranch_scc0 .LBB222_1140
; %bb.1133:
	s_cmp_gt_i32 s22, 28
	s_cbranch_scc0 .LBB222_1141
; %bb.1134:
	s_cmp_gt_i32 s22, 43
	;; [unrolled: 3-line block ×3, first 2 shown]
	s_cbranch_scc0 .LBB222_1144
; %bb.1136:
	s_cmp_eq_u32 s22, 46
	s_mov_b64 s[20:21], 0
	s_cbranch_scc0 .LBB222_1147
; %bb.1137:
	global_load_dword v3, v[0:1], off
	s_mov_b64 s[0:1], 0
	s_mov_b64 s[18:19], -1
	s_waitcnt vmcnt(0)
	v_lshlrev_b32_e32 v3, 16, v3
	v_cvt_i32_f32_e32 v4, v3
	s_branch .LBB222_1148
.LBB222_1138:
	s_mov_b64 s[18:19], 0
                                        ; implicit-def: $vgpr4
	s_cbranch_execnz .LBB222_1209
.LBB222_1139:
	s_andn2_b64 vcc, exec, s[18:19]
	s_cbranch_vccnz .LBB222_1940
	s_branch .LBB222_1256
.LBB222_1140:
	s_mov_b64 s[18:19], 0
	s_mov_b64 s[0:1], 0
                                        ; implicit-def: $vgpr4
	s_cbranch_execnz .LBB222_1175
	s_branch .LBB222_1205
.LBB222_1141:
	s_mov_b64 s[20:21], -1
	s_mov_b64 s[18:19], 0
	s_mov_b64 s[0:1], 0
                                        ; implicit-def: $vgpr4
	s_branch .LBB222_1158
.LBB222_1142:
	s_mov_b64 s[20:21], -1
	s_mov_b64 s[18:19], 0
	s_mov_b64 s[0:1], 0
                                        ; implicit-def: $vgpr4
	s_branch .LBB222_1153
.LBB222_1143:
	s_or_b64 s[16:17], s[6:7], exec
	s_trap 2
	s_cbranch_execz .LBB222_1084
	s_branch .LBB222_1085
.LBB222_1144:
	s_mov_b64 s[20:21], -1
	s_mov_b64 s[18:19], 0
	s_mov_b64 s[0:1], 0
                                        ; implicit-def: $vgpr4
	s_branch .LBB222_1148
.LBB222_1145:
	s_andn2_saveexec_b64 s[26:27], s[26:27]
	s_cbranch_execz .LBB222_936
.LBB222_1146:
	s_mov_b32 s30, 0x42800000
	v_add_f32_e64 v3, |v2|, s30
	v_and_b32_e32 v3, 0xff, v3
	v_cmp_ne_u32_e32 vcc, 0, v3
	s_andn2_b64 s[24:25], s[24:25], exec
	s_and_b64 s[30:31], vcc, exec
	s_or_b64 s[24:25], s[24:25], s[30:31]
	s_or_b64 exec, exec, s[26:27]
	v_mov_b32_e32 v5, 0
	s_and_saveexec_b64 s[26:27], s[24:25]
	s_cbranch_execnz .LBB222_937
	s_branch .LBB222_938
.LBB222_1147:
	s_mov_b64 s[0:1], -1
                                        ; implicit-def: $vgpr4
	s_mov_b64 s[18:19], 0
.LBB222_1148:
	s_and_b64 vcc, exec, s[20:21]
	s_cbranch_vccz .LBB222_1152
; %bb.1149:
	s_cmp_eq_u32 s22, 44
	s_cbranch_scc0 .LBB222_1151
; %bb.1150:
	global_load_ubyte v3, v[0:1], off
	s_mov_b64 s[0:1], 0
	s_mov_b64 s[18:19], -1
	s_waitcnt vmcnt(0)
	v_lshlrev_b32_e32 v4, 23, v3
	v_cvt_i32_f32_e32 v4, v4
	v_cmp_ne_u32_e32 vcc, 0, v3
	v_cndmask_b32_e32 v4, 0, v4, vcc
	s_branch .LBB222_1152
.LBB222_1151:
	s_mov_b64 s[0:1], -1
                                        ; implicit-def: $vgpr4
.LBB222_1152:
	s_mov_b64 s[20:21], 0
.LBB222_1153:
	s_and_b64 vcc, exec, s[20:21]
	s_cbranch_vccz .LBB222_1157
; %bb.1154:
	s_cmp_eq_u32 s22, 29
	s_cbranch_scc0 .LBB222_1156
; %bb.1155:
	global_load_dwordx2 v[4:5], v[0:1], off
	s_mov_b64 s[0:1], 0
	s_mov_b64 s[18:19], -1
	s_branch .LBB222_1157
.LBB222_1156:
	s_mov_b64 s[0:1], -1
                                        ; implicit-def: $vgpr4
.LBB222_1157:
	s_mov_b64 s[20:21], 0
.LBB222_1158:
	s_and_b64 vcc, exec, s[20:21]
	s_cbranch_vccz .LBB222_1174
; %bb.1159:
	s_cmp_lt_i32 s22, 27
	s_cbranch_scc1 .LBB222_1162
; %bb.1160:
	s_cmp_gt_i32 s22, 27
	s_cbranch_scc0 .LBB222_1163
; %bb.1161:
	global_load_dword v4, v[0:1], off
	s_mov_b64 s[18:19], 0
	s_branch .LBB222_1164
.LBB222_1162:
	s_mov_b64 s[18:19], -1
                                        ; implicit-def: $vgpr4
	s_branch .LBB222_1167
.LBB222_1163:
	s_mov_b64 s[18:19], -1
                                        ; implicit-def: $vgpr4
.LBB222_1164:
	s_andn2_b64 vcc, exec, s[18:19]
	s_cbranch_vccnz .LBB222_1166
; %bb.1165:
	global_load_ushort v4, v[0:1], off
.LBB222_1166:
	s_mov_b64 s[18:19], 0
.LBB222_1167:
	s_andn2_b64 vcc, exec, s[18:19]
	s_cbranch_vccnz .LBB222_1173
; %bb.1168:
	global_load_ubyte v3, v[0:1], off
	s_movk_i32 s18, 0x7f
	s_mov_b64 s[20:21], 0
	s_waitcnt vmcnt(0)
	v_cmp_lt_i16_e32 vcc, s18, v3
	s_and_saveexec_b64 s[18:19], vcc
	s_xor_b64 s[18:19], exec, s[18:19]
	s_cbranch_execz .LBB222_1184
; %bb.1169:
	s_movk_i32 s20, 0x80
	v_cmp_ne_u16_e32 vcc, s20, v3
	s_and_b64 s[20:21], vcc, exec
	s_andn2_saveexec_b64 s[18:19], s[18:19]
	s_cbranch_execnz .LBB222_1185
.LBB222_1170:
	s_or_b64 exec, exec, s[18:19]
	v_mov_b32_e32 v4, 0
	s_and_saveexec_b64 s[18:19], s[20:21]
	s_cbranch_execz .LBB222_1172
.LBB222_1171:
	v_lshlrev_b32_e32 v4, 24, v3
	v_and_b32_e32 v3, 0xffff, v3
	v_and_b32_e32 v5, 7, v3
	v_ffbh_u32_e32 v8, v5
	v_min_u32_e32 v8, 32, v8
	v_subrev_u32_e32 v10, 28, v8
	v_bfe_u32 v7, v3, 3, 4
	v_lshlrev_b32_e32 v3, v10, v3
	v_sub_u32_e32 v8, 29, v8
	v_and_b32_e32 v3, 7, v3
	v_cmp_eq_u32_e32 vcc, 0, v7
	v_cndmask_b32_e32 v7, v7, v8, vcc
	v_cndmask_b32_e32 v3, v5, v3, vcc
	v_mov_b32_e32 v5, 0x3b800000
	v_lshlrev_b32_e32 v3, 20, v3
	v_and_b32_e32 v4, 0x80000000, v4
	v_lshl_add_u32 v5, v7, 23, v5
	v_or3_b32 v3, v4, v5, v3
	v_cvt_i32_f32_e32 v4, v3
.LBB222_1172:
	s_or_b64 exec, exec, s[18:19]
.LBB222_1173:
	s_mov_b64 s[18:19], -1
.LBB222_1174:
	s_branch .LBB222_1205
.LBB222_1175:
	s_cmp_gt_i32 s22, 22
	s_cbranch_scc0 .LBB222_1183
; %bb.1176:
	s_cmp_lt_i32 s22, 24
	s_cbranch_scc1 .LBB222_1186
; %bb.1177:
	s_cmp_gt_i32 s22, 24
	s_cbranch_scc0 .LBB222_1187
; %bb.1178:
	global_load_ubyte v3, v[0:1], off
	s_movk_i32 s2, 0x7f
	s_mov_b64 s[18:19], 0
	s_waitcnt vmcnt(0)
	v_cmp_lt_i16_e32 vcc, s2, v3
	s_and_saveexec_b64 s[2:3], vcc
	s_xor_b64 s[2:3], exec, s[2:3]
	s_cbranch_execz .LBB222_1199
; %bb.1179:
	s_movk_i32 s18, 0x80
	v_cmp_ne_u16_e32 vcc, s18, v3
	s_and_b64 s[18:19], vcc, exec
	s_andn2_saveexec_b64 s[2:3], s[2:3]
	s_cbranch_execnz .LBB222_1200
.LBB222_1180:
	s_or_b64 exec, exec, s[2:3]
	v_mov_b32_e32 v4, 0
	s_and_saveexec_b64 s[2:3], s[18:19]
	s_cbranch_execz .LBB222_1182
.LBB222_1181:
	v_lshlrev_b32_e32 v4, 24, v3
	v_and_b32_e32 v3, 0xffff, v3
	v_and_b32_e32 v5, 3, v3
	v_ffbh_u32_e32 v8, v5
	v_min_u32_e32 v8, 32, v8
	v_subrev_u32_e32 v10, 29, v8
	v_bfe_u32 v7, v3, 2, 5
	v_lshlrev_b32_e32 v3, v10, v3
	v_sub_u32_e32 v8, 30, v8
	v_and_b32_e32 v3, 3, v3
	v_cmp_eq_u32_e32 vcc, 0, v7
	v_cndmask_b32_e32 v7, v7, v8, vcc
	v_cndmask_b32_e32 v3, v5, v3, vcc
	v_mov_b32_e32 v5, 0x37800000
	v_lshlrev_b32_e32 v3, 21, v3
	v_and_b32_e32 v4, 0x80000000, v4
	v_lshl_add_u32 v5, v7, 23, v5
	v_or3_b32 v3, v4, v5, v3
	v_cvt_i32_f32_e32 v4, v3
.LBB222_1182:
	s_or_b64 exec, exec, s[2:3]
	s_mov_b64 s[2:3], 0
	s_branch .LBB222_1188
.LBB222_1183:
	s_mov_b64 s[2:3], -1
                                        ; implicit-def: $vgpr4
	s_branch .LBB222_1194
.LBB222_1184:
	s_andn2_saveexec_b64 s[18:19], s[18:19]
	s_cbranch_execz .LBB222_1170
.LBB222_1185:
	v_cmp_ne_u16_e32 vcc, 0, v3
	s_andn2_b64 s[20:21], s[20:21], exec
	s_and_b64 s[24:25], vcc, exec
	s_or_b64 s[20:21], s[20:21], s[24:25]
	s_or_b64 exec, exec, s[18:19]
	v_mov_b32_e32 v4, 0
	s_and_saveexec_b64 s[18:19], s[20:21]
	s_cbranch_execnz .LBB222_1171
	s_branch .LBB222_1172
.LBB222_1186:
	s_mov_b64 s[2:3], -1
                                        ; implicit-def: $vgpr4
	s_branch .LBB222_1191
.LBB222_1187:
	s_mov_b64 s[2:3], -1
                                        ; implicit-def: $vgpr4
.LBB222_1188:
	s_and_b64 vcc, exec, s[2:3]
	s_cbranch_vccz .LBB222_1190
; %bb.1189:
	global_load_ubyte v3, v[0:1], off
	s_mov_b32 s2, 0x7f800000
	s_waitcnt vmcnt(0)
	v_lshlrev_b32_e32 v3, 24, v3
	v_and_b32_e32 v4, 0x7f000000, v3
	v_ffbh_u32_e32 v5, v4
	v_min_u32_e32 v5, 32, v5
	v_sub_u32_e64 v5, v5, 4 clamp
	v_lshlrev_b32_e32 v8, v5, v4
	v_lshlrev_b32_e32 v5, 23, v5
	v_lshrrev_b32_e32 v8, 4, v8
	v_add_u32_e32 v7, 0x1000000, v4
	v_sub_u32_e32 v5, v8, v5
	v_ashrrev_i32_e32 v7, 8, v7
	v_add_u32_e32 v5, 0x3c000000, v5
	v_and_or_b32 v5, v7, s2, v5
	v_cmp_ne_u32_e32 vcc, 0, v4
	v_cndmask_b32_e32 v4, 0, v5, vcc
	s_brev_b32 s2, 1
	v_and_or_b32 v3, v3, s2, v4
	v_cvt_i32_f32_e32 v4, v3
.LBB222_1190:
	s_mov_b64 s[2:3], 0
.LBB222_1191:
	s_andn2_b64 vcc, exec, s[2:3]
	s_cbranch_vccnz .LBB222_1193
; %bb.1192:
	global_load_ubyte v3, v[0:1], off
	s_movk_i32 s2, 0x7f00
	s_brev_b32 s3, 16
	s_waitcnt vmcnt(0)
	v_lshlrev_b16_e32 v4, 8, v3
	v_lshlrev_b32_e32 v3, 25, v3
	v_lshrrev_b32_e32 v5, 4, v3
	v_and_or_b32 v7, v4, s2, 0.5
	v_or_b32_e32 v5, 0x70000000, v5
	v_add_f32_e32 v7, -0.5, v7
	v_mul_f32_e32 v5, 0x7800000, v5
	v_cmp_gt_u32_e32 vcc, s3, v3
	v_bfe_i32 v4, v4, 0, 16
	v_cndmask_b32_e32 v3, v5, v7, vcc
	s_brev_b32 s2, 1
	v_and_or_b32 v3, v4, s2, v3
	v_cvt_i32_f32_e32 v4, v3
.LBB222_1193:
	s_mov_b64 s[2:3], 0
	s_mov_b64 s[18:19], -1
.LBB222_1194:
	s_andn2_b64 vcc, exec, s[2:3]
	s_mov_b64 s[2:3], 0
	s_cbranch_vccnz .LBB222_1205
; %bb.1195:
	s_cmp_gt_i32 s22, 14
	s_cbranch_scc0 .LBB222_1198
; %bb.1196:
	s_cmp_eq_u32 s22, 15
	s_cbranch_scc0 .LBB222_1201
; %bb.1197:
	global_load_ushort v3, v[0:1], off
	s_mov_b64 s[0:1], 0
	s_mov_b64 s[18:19], -1
	s_waitcnt vmcnt(0)
	v_lshlrev_b32_e32 v3, 16, v3
	v_cvt_i32_f32_e32 v4, v3
	s_branch .LBB222_1202
.LBB222_1198:
	s_mov_b64 s[20:21], -1
                                        ; implicit-def: $vgpr4
	s_branch .LBB222_1203
.LBB222_1199:
	s_andn2_saveexec_b64 s[2:3], s[2:3]
	s_cbranch_execz .LBB222_1180
.LBB222_1200:
	v_cmp_ne_u16_e32 vcc, 0, v3
	s_andn2_b64 s[18:19], s[18:19], exec
	s_and_b64 s[20:21], vcc, exec
	s_or_b64 s[18:19], s[18:19], s[20:21]
	s_or_b64 exec, exec, s[2:3]
	v_mov_b32_e32 v4, 0
	s_and_saveexec_b64 s[2:3], s[18:19]
	s_cbranch_execnz .LBB222_1181
	s_branch .LBB222_1182
.LBB222_1201:
	s_mov_b64 s[0:1], -1
                                        ; implicit-def: $vgpr4
.LBB222_1202:
	s_mov_b64 s[20:21], 0
.LBB222_1203:
	s_and_b64 vcc, exec, s[20:21]
	s_cbranch_vccz .LBB222_1205
; %bb.1204:
	s_cmp_lg_u32 s22, 11
	s_mov_b64 s[2:3], -1
	s_cselect_b64 s[0:1], -1, 0
.LBB222_1205:
	s_and_b64 vcc, exec, s[0:1]
	s_cbranch_vccnz .LBB222_1268
; %bb.1206:
	s_andn2_b64 vcc, exec, s[2:3]
	s_cbranch_vccnz .LBB222_1208
.LBB222_1207:
	global_load_ubyte v3, v[0:1], off
	s_mov_b64 s[18:19], -1
	s_waitcnt vmcnt(0)
	v_cmp_ne_u16_e32 vcc, 0, v3
	v_cndmask_b32_e64 v4, 0, 1, vcc
.LBB222_1208:
	s_branch .LBB222_1139
.LBB222_1209:
	s_cmp_lt_i32 s22, 5
	s_cbranch_scc1 .LBB222_1214
; %bb.1210:
	s_cmp_lt_i32 s22, 8
	s_cbranch_scc1 .LBB222_1215
; %bb.1211:
	;; [unrolled: 3-line block ×3, first 2 shown]
	s_cmp_gt_i32 s22, 9
	s_cbranch_scc0 .LBB222_1217
; %bb.1213:
	global_load_dwordx2 v[3:4], v[0:1], off
	s_mov_b64 s[0:1], 0
	s_waitcnt vmcnt(0)
	v_cvt_i32_f64_e32 v4, v[3:4]
	s_branch .LBB222_1218
.LBB222_1214:
                                        ; implicit-def: $vgpr4
	s_branch .LBB222_1236
.LBB222_1215:
	s_mov_b64 s[0:1], -1
                                        ; implicit-def: $vgpr4
	s_branch .LBB222_1224
.LBB222_1216:
	s_mov_b64 s[0:1], -1
                                        ; implicit-def: $vgpr4
	s_branch .LBB222_1221
.LBB222_1217:
	s_mov_b64 s[0:1], -1
                                        ; implicit-def: $vgpr4
.LBB222_1218:
	s_andn2_b64 vcc, exec, s[0:1]
	s_cbranch_vccnz .LBB222_1220
; %bb.1219:
	global_load_dword v3, v[0:1], off
	s_waitcnt vmcnt(0)
	v_cvt_i32_f32_e32 v4, v3
.LBB222_1220:
	s_mov_b64 s[0:1], 0
.LBB222_1221:
	s_andn2_b64 vcc, exec, s[0:1]
	s_cbranch_vccnz .LBB222_1223
; %bb.1222:
	global_load_dword v3, v[0:1], off
	s_waitcnt vmcnt(0)
	v_cvt_i16_f16_e32 v4, v3
.LBB222_1223:
	s_mov_b64 s[0:1], 0
.LBB222_1224:
	s_andn2_b64 vcc, exec, s[0:1]
	s_cbranch_vccnz .LBB222_1235
; %bb.1225:
	s_cmp_lt_i32 s22, 6
	s_cbranch_scc1 .LBB222_1228
; %bb.1226:
	s_cmp_gt_i32 s22, 6
	s_cbranch_scc0 .LBB222_1229
; %bb.1227:
	global_load_dwordx2 v[3:4], v[0:1], off
	s_mov_b64 s[0:1], 0
	s_waitcnt vmcnt(0)
	v_cvt_i32_f64_e32 v4, v[3:4]
	s_branch .LBB222_1230
.LBB222_1228:
	s_mov_b64 s[0:1], -1
                                        ; implicit-def: $vgpr4
	s_branch .LBB222_1233
.LBB222_1229:
	s_mov_b64 s[0:1], -1
                                        ; implicit-def: $vgpr4
.LBB222_1230:
	s_andn2_b64 vcc, exec, s[0:1]
	s_cbranch_vccnz .LBB222_1232
; %bb.1231:
	global_load_dword v3, v[0:1], off
	s_waitcnt vmcnt(0)
	v_cvt_i32_f32_e32 v4, v3
.LBB222_1232:
	s_mov_b64 s[0:1], 0
.LBB222_1233:
	s_andn2_b64 vcc, exec, s[0:1]
	s_cbranch_vccnz .LBB222_1235
; %bb.1234:
	global_load_ushort v3, v[0:1], off
	s_waitcnt vmcnt(0)
	v_cvt_i16_f16_e32 v4, v3
.LBB222_1235:
	s_cbranch_execnz .LBB222_1255
.LBB222_1236:
	s_cmp_lt_i32 s22, 2
	s_cbranch_scc1 .LBB222_1240
; %bb.1237:
	s_cmp_lt_i32 s22, 3
	s_cbranch_scc1 .LBB222_1241
; %bb.1238:
	s_cmp_gt_i32 s22, 3
	s_cbranch_scc0 .LBB222_1242
; %bb.1239:
	global_load_dwordx2 v[4:5], v[0:1], off
	s_mov_b64 s[0:1], 0
	s_branch .LBB222_1243
.LBB222_1240:
	s_mov_b64 s[0:1], -1
                                        ; implicit-def: $vgpr4
	s_branch .LBB222_1249
.LBB222_1241:
	s_mov_b64 s[0:1], -1
                                        ; implicit-def: $vgpr4
	s_branch .LBB222_1246
.LBB222_1242:
	s_mov_b64 s[0:1], -1
                                        ; implicit-def: $vgpr4
.LBB222_1243:
	s_andn2_b64 vcc, exec, s[0:1]
	s_cbranch_vccnz .LBB222_1245
; %bb.1244:
	global_load_dword v4, v[0:1], off
.LBB222_1245:
	s_mov_b64 s[0:1], 0
.LBB222_1246:
	s_andn2_b64 vcc, exec, s[0:1]
	s_cbranch_vccnz .LBB222_1248
; %bb.1247:
	global_load_ushort v4, v[0:1], off
.LBB222_1248:
	s_mov_b64 s[0:1], 0
.LBB222_1249:
	s_andn2_b64 vcc, exec, s[0:1]
	s_cbranch_vccnz .LBB222_1255
; %bb.1250:
	s_cmp_gt_i32 s22, 0
	s_cbranch_scc0 .LBB222_1252
; %bb.1251:
	global_load_sbyte v4, v[0:1], off
	s_mov_b64 s[0:1], 0
	s_branch .LBB222_1253
.LBB222_1252:
	s_mov_b64 s[0:1], -1
                                        ; implicit-def: $vgpr4
.LBB222_1253:
	s_andn2_b64 vcc, exec, s[0:1]
	s_cbranch_vccnz .LBB222_1255
; %bb.1254:
	global_load_ubyte v4, v[0:1], off
.LBB222_1255:
.LBB222_1256:
	s_waitcnt vmcnt(0)
	v_add_u32_e32 v5, s13, v2
	v_ashrrev_i32_e32 v1, 31, v5
	v_mov_b32_e32 v2, s11
	v_add_co_u32_e32 v0, vcc, s10, v5
	s_cmp_lt_i32 s22, 11
	v_addc_co_u32_e32 v1, vcc, v2, v1, vcc
	s_cbranch_scc1 .LBB222_1263
; %bb.1257:
	s_cmp_gt_i32 s22, 25
	s_mov_b64 s[2:3], 0
	s_cbranch_scc0 .LBB222_1265
; %bb.1258:
	s_cmp_gt_i32 s22, 28
	s_cbranch_scc0 .LBB222_1266
; %bb.1259:
	s_cmp_gt_i32 s22, 43
	;; [unrolled: 3-line block ×3, first 2 shown]
	s_cbranch_scc0 .LBB222_1269
; %bb.1261:
	s_cmp_eq_u32 s22, 46
	s_mov_b64 s[20:21], 0
	s_cbranch_scc0 .LBB222_1270
; %bb.1262:
	global_load_dword v2, v[0:1], off
	s_mov_b64 s[0:1], 0
	s_mov_b64 s[18:19], -1
	s_waitcnt vmcnt(0)
	v_lshlrev_b32_e32 v2, 16, v2
	v_cvt_i32_f32_e32 v2, v2
	s_branch .LBB222_1271
.LBB222_1263:
	s_mov_b64 s[18:19], 0
                                        ; implicit-def: $vgpr2
	s_cbranch_execnz .LBB222_1333
.LBB222_1264:
	s_andn2_b64 vcc, exec, s[18:19]
	s_cbranch_vccnz .LBB222_1940
	s_branch .LBB222_1381
.LBB222_1265:
	s_mov_b64 s[20:21], -1
	s_mov_b64 s[18:19], 0
	s_mov_b64 s[0:1], 0
                                        ; implicit-def: $vgpr2
	s_branch .LBB222_1298
.LBB222_1266:
	s_mov_b64 s[20:21], -1
	s_mov_b64 s[18:19], 0
	s_mov_b64 s[0:1], 0
                                        ; implicit-def: $vgpr2
	s_branch .LBB222_1281
.LBB222_1267:
	s_mov_b64 s[20:21], -1
	s_mov_b64 s[18:19], 0
	s_mov_b64 s[0:1], 0
                                        ; implicit-def: $vgpr2
	s_branch .LBB222_1276
.LBB222_1268:
	s_trap 2
	s_or_b64 s[16:17], s[16:17], exec
	s_cbranch_execz .LBB222_1207
	s_branch .LBB222_1208
.LBB222_1269:
	s_mov_b64 s[20:21], -1
	s_mov_b64 s[18:19], 0
	s_mov_b64 s[0:1], 0
                                        ; implicit-def: $vgpr2
	s_branch .LBB222_1271
.LBB222_1270:
	s_mov_b64 s[0:1], -1
                                        ; implicit-def: $vgpr2
	s_mov_b64 s[18:19], 0
.LBB222_1271:
	s_and_b64 vcc, exec, s[20:21]
	s_cbranch_vccz .LBB222_1275
; %bb.1272:
	s_cmp_eq_u32 s22, 44
	s_cbranch_scc0 .LBB222_1274
; %bb.1273:
	global_load_ubyte v2, v[0:1], off
	s_mov_b64 s[0:1], 0
	s_mov_b64 s[18:19], -1
	s_waitcnt vmcnt(0)
	v_lshlrev_b32_e32 v3, 23, v2
	v_cvt_i32_f32_e32 v3, v3
	v_cmp_ne_u32_e32 vcc, 0, v2
	v_cndmask_b32_e32 v2, 0, v3, vcc
	s_branch .LBB222_1275
.LBB222_1274:
	s_mov_b64 s[0:1], -1
                                        ; implicit-def: $vgpr2
.LBB222_1275:
	s_mov_b64 s[20:21], 0
.LBB222_1276:
	s_and_b64 vcc, exec, s[20:21]
	s_cbranch_vccz .LBB222_1280
; %bb.1277:
	s_cmp_eq_u32 s22, 29
	s_cbranch_scc0 .LBB222_1279
; %bb.1278:
	global_load_dwordx2 v[2:3], v[0:1], off
	s_mov_b64 s[0:1], 0
	s_mov_b64 s[18:19], -1
	s_branch .LBB222_1280
.LBB222_1279:
	s_mov_b64 s[0:1], -1
                                        ; implicit-def: $vgpr2
.LBB222_1280:
	s_mov_b64 s[20:21], 0
.LBB222_1281:
	s_and_b64 vcc, exec, s[20:21]
	s_cbranch_vccz .LBB222_1297
; %bb.1282:
	s_cmp_lt_i32 s22, 27
	s_cbranch_scc1 .LBB222_1285
; %bb.1283:
	s_cmp_gt_i32 s22, 27
	s_cbranch_scc0 .LBB222_1286
; %bb.1284:
	global_load_dword v2, v[0:1], off
	s_mov_b64 s[18:19], 0
	s_branch .LBB222_1287
.LBB222_1285:
	s_mov_b64 s[18:19], -1
                                        ; implicit-def: $vgpr2
	s_branch .LBB222_1290
.LBB222_1286:
	s_mov_b64 s[18:19], -1
                                        ; implicit-def: $vgpr2
.LBB222_1287:
	s_andn2_b64 vcc, exec, s[18:19]
	s_cbranch_vccnz .LBB222_1289
; %bb.1288:
	global_load_ushort v2, v[0:1], off
.LBB222_1289:
	s_mov_b64 s[18:19], 0
.LBB222_1290:
	s_andn2_b64 vcc, exec, s[18:19]
	s_cbranch_vccnz .LBB222_1296
; %bb.1291:
	global_load_ubyte v3, v[0:1], off
	s_movk_i32 s18, 0x7f
	s_mov_b64 s[20:21], 0
	s_waitcnt vmcnt(0)
	v_cmp_lt_i16_e32 vcc, s18, v3
	s_and_saveexec_b64 s[18:19], vcc
	s_xor_b64 s[18:19], exec, s[18:19]
	s_cbranch_execz .LBB222_1308
; %bb.1292:
	s_movk_i32 s20, 0x80
	v_cmp_ne_u16_e32 vcc, s20, v3
	s_and_b64 s[20:21], vcc, exec
	s_andn2_saveexec_b64 s[18:19], s[18:19]
	s_cbranch_execnz .LBB222_1309
.LBB222_1293:
	s_or_b64 exec, exec, s[18:19]
	v_mov_b32_e32 v2, 0
	s_and_saveexec_b64 s[18:19], s[20:21]
	s_cbranch_execz .LBB222_1295
.LBB222_1294:
	v_lshlrev_b32_e32 v2, 24, v3
	v_and_b32_e32 v3, 0xffff, v3
	v_and_b32_e32 v7, 7, v3
	v_ffbh_u32_e32 v10, v7
	v_min_u32_e32 v10, 32, v10
	v_subrev_u32_e32 v11, 28, v10
	v_bfe_u32 v8, v3, 3, 4
	v_lshlrev_b32_e32 v3, v11, v3
	v_sub_u32_e32 v10, 29, v10
	v_and_b32_e32 v3, 7, v3
	v_cmp_eq_u32_e32 vcc, 0, v8
	v_cndmask_b32_e32 v8, v8, v10, vcc
	v_cndmask_b32_e32 v3, v7, v3, vcc
	v_mov_b32_e32 v7, 0x3b800000
	v_lshlrev_b32_e32 v3, 20, v3
	v_and_b32_e32 v2, 0x80000000, v2
	v_lshl_add_u32 v7, v8, 23, v7
	v_or3_b32 v2, v2, v7, v3
	v_cvt_i32_f32_e32 v2, v2
.LBB222_1295:
	s_or_b64 exec, exec, s[18:19]
.LBB222_1296:
	s_mov_b64 s[18:19], -1
.LBB222_1297:
	s_mov_b64 s[20:21], 0
.LBB222_1298:
	s_and_b64 vcc, exec, s[20:21]
	s_cbranch_vccz .LBB222_1329
; %bb.1299:
	s_cmp_gt_i32 s22, 22
	s_cbranch_scc0 .LBB222_1307
; %bb.1300:
	s_cmp_lt_i32 s22, 24
	s_cbranch_scc1 .LBB222_1310
; %bb.1301:
	s_cmp_gt_i32 s22, 24
	s_cbranch_scc0 .LBB222_1311
; %bb.1302:
	global_load_ubyte v3, v[0:1], off
	s_movk_i32 s2, 0x7f
	s_mov_b64 s[18:19], 0
	s_waitcnt vmcnt(0)
	v_cmp_lt_i16_e32 vcc, s2, v3
	s_and_saveexec_b64 s[2:3], vcc
	s_xor_b64 s[2:3], exec, s[2:3]
	s_cbranch_execz .LBB222_1323
; %bb.1303:
	s_movk_i32 s18, 0x80
	v_cmp_ne_u16_e32 vcc, s18, v3
	s_and_b64 s[18:19], vcc, exec
	s_andn2_saveexec_b64 s[2:3], s[2:3]
	s_cbranch_execnz .LBB222_1324
.LBB222_1304:
	s_or_b64 exec, exec, s[2:3]
	v_mov_b32_e32 v2, 0
	s_and_saveexec_b64 s[2:3], s[18:19]
	s_cbranch_execz .LBB222_1306
.LBB222_1305:
	v_lshlrev_b32_e32 v2, 24, v3
	v_and_b32_e32 v3, 0xffff, v3
	v_and_b32_e32 v7, 3, v3
	v_ffbh_u32_e32 v10, v7
	v_min_u32_e32 v10, 32, v10
	v_subrev_u32_e32 v11, 29, v10
	v_bfe_u32 v8, v3, 2, 5
	v_lshlrev_b32_e32 v3, v11, v3
	v_sub_u32_e32 v10, 30, v10
	v_and_b32_e32 v3, 3, v3
	v_cmp_eq_u32_e32 vcc, 0, v8
	v_cndmask_b32_e32 v8, v8, v10, vcc
	v_cndmask_b32_e32 v3, v7, v3, vcc
	v_mov_b32_e32 v7, 0x37800000
	v_lshlrev_b32_e32 v3, 21, v3
	v_and_b32_e32 v2, 0x80000000, v2
	v_lshl_add_u32 v7, v8, 23, v7
	v_or3_b32 v2, v2, v7, v3
	v_cvt_i32_f32_e32 v2, v2
.LBB222_1306:
	s_or_b64 exec, exec, s[2:3]
	s_mov_b64 s[2:3], 0
	s_branch .LBB222_1312
.LBB222_1307:
	s_mov_b64 s[2:3], -1
                                        ; implicit-def: $vgpr2
	s_branch .LBB222_1318
.LBB222_1308:
	s_andn2_saveexec_b64 s[18:19], s[18:19]
	s_cbranch_execz .LBB222_1293
.LBB222_1309:
	v_cmp_ne_u16_e32 vcc, 0, v3
	s_andn2_b64 s[20:21], s[20:21], exec
	s_and_b64 s[24:25], vcc, exec
	s_or_b64 s[20:21], s[20:21], s[24:25]
	s_or_b64 exec, exec, s[18:19]
	v_mov_b32_e32 v2, 0
	s_and_saveexec_b64 s[18:19], s[20:21]
	s_cbranch_execnz .LBB222_1294
	s_branch .LBB222_1295
.LBB222_1310:
	s_mov_b64 s[2:3], -1
                                        ; implicit-def: $vgpr2
	s_branch .LBB222_1315
.LBB222_1311:
	s_mov_b64 s[2:3], -1
                                        ; implicit-def: $vgpr2
.LBB222_1312:
	s_and_b64 vcc, exec, s[2:3]
	s_cbranch_vccz .LBB222_1314
; %bb.1313:
	global_load_ubyte v2, v[0:1], off
	s_mov_b32 s2, 0x7f800000
	s_waitcnt vmcnt(0)
	v_lshlrev_b32_e32 v2, 24, v2
	v_and_b32_e32 v3, 0x7f000000, v2
	v_ffbh_u32_e32 v7, v3
	v_min_u32_e32 v7, 32, v7
	v_sub_u32_e64 v7, v7, 4 clamp
	v_lshlrev_b32_e32 v10, v7, v3
	v_lshlrev_b32_e32 v7, 23, v7
	v_lshrrev_b32_e32 v10, 4, v10
	v_add_u32_e32 v8, 0x1000000, v3
	v_sub_u32_e32 v7, v10, v7
	v_ashrrev_i32_e32 v8, 8, v8
	v_add_u32_e32 v7, 0x3c000000, v7
	v_and_or_b32 v7, v8, s2, v7
	v_cmp_ne_u32_e32 vcc, 0, v3
	v_cndmask_b32_e32 v3, 0, v7, vcc
	s_brev_b32 s2, 1
	v_and_or_b32 v2, v2, s2, v3
	v_cvt_i32_f32_e32 v2, v2
.LBB222_1314:
	s_mov_b64 s[2:3], 0
.LBB222_1315:
	s_andn2_b64 vcc, exec, s[2:3]
	s_cbranch_vccnz .LBB222_1317
; %bb.1316:
	global_load_ubyte v2, v[0:1], off
	s_movk_i32 s2, 0x7f00
	s_brev_b32 s3, 16
	s_waitcnt vmcnt(0)
	v_lshlrev_b16_e32 v3, 8, v2
	v_lshlrev_b32_e32 v2, 25, v2
	v_lshrrev_b32_e32 v7, 4, v2
	v_and_or_b32 v8, v3, s2, 0.5
	v_or_b32_e32 v7, 0x70000000, v7
	v_add_f32_e32 v8, -0.5, v8
	v_mul_f32_e32 v7, 0x7800000, v7
	v_cmp_gt_u32_e32 vcc, s3, v2
	v_bfe_i32 v3, v3, 0, 16
	v_cndmask_b32_e32 v2, v7, v8, vcc
	s_brev_b32 s2, 1
	v_and_or_b32 v2, v3, s2, v2
	v_cvt_i32_f32_e32 v2, v2
.LBB222_1317:
	s_mov_b64 s[2:3], 0
	s_mov_b64 s[18:19], -1
.LBB222_1318:
	s_andn2_b64 vcc, exec, s[2:3]
	s_mov_b64 s[2:3], 0
	s_cbranch_vccnz .LBB222_1329
; %bb.1319:
	s_cmp_gt_i32 s22, 14
	s_cbranch_scc0 .LBB222_1322
; %bb.1320:
	s_cmp_eq_u32 s22, 15
	s_cbranch_scc0 .LBB222_1325
; %bb.1321:
	global_load_ushort v2, v[0:1], off
	s_mov_b64 s[0:1], 0
	s_mov_b64 s[18:19], -1
	s_waitcnt vmcnt(0)
	v_lshlrev_b32_e32 v2, 16, v2
	v_cvt_i32_f32_e32 v2, v2
	s_branch .LBB222_1326
.LBB222_1322:
	s_mov_b64 s[20:21], -1
                                        ; implicit-def: $vgpr2
	s_branch .LBB222_1327
.LBB222_1323:
	s_andn2_saveexec_b64 s[2:3], s[2:3]
	s_cbranch_execz .LBB222_1304
.LBB222_1324:
	v_cmp_ne_u16_e32 vcc, 0, v3
	s_andn2_b64 s[18:19], s[18:19], exec
	s_and_b64 s[20:21], vcc, exec
	s_or_b64 s[18:19], s[18:19], s[20:21]
	s_or_b64 exec, exec, s[2:3]
	v_mov_b32_e32 v2, 0
	s_and_saveexec_b64 s[2:3], s[18:19]
	s_cbranch_execnz .LBB222_1305
	s_branch .LBB222_1306
.LBB222_1325:
	s_mov_b64 s[0:1], -1
                                        ; implicit-def: $vgpr2
.LBB222_1326:
	s_mov_b64 s[20:21], 0
.LBB222_1327:
	s_and_b64 vcc, exec, s[20:21]
	s_cbranch_vccz .LBB222_1329
; %bb.1328:
	s_cmp_lg_u32 s22, 11
	s_mov_b64 s[2:3], -1
	s_cselect_b64 s[0:1], -1, 0
.LBB222_1329:
	s_and_b64 vcc, exec, s[0:1]
	s_cbranch_vccnz .LBB222_1392
; %bb.1330:
	s_andn2_b64 vcc, exec, s[2:3]
	s_cbranch_vccnz .LBB222_1332
.LBB222_1331:
	global_load_ubyte v2, v[0:1], off
	s_mov_b64 s[18:19], -1
	s_waitcnt vmcnt(0)
	v_cmp_ne_u16_e32 vcc, 0, v2
	v_cndmask_b32_e64 v2, 0, 1, vcc
.LBB222_1332:
	s_branch .LBB222_1264
.LBB222_1333:
	s_cmp_lt_i32 s22, 5
	s_cbranch_scc1 .LBB222_1338
; %bb.1334:
	s_cmp_lt_i32 s22, 8
	s_cbranch_scc1 .LBB222_1339
; %bb.1335:
	;; [unrolled: 3-line block ×3, first 2 shown]
	s_cmp_gt_i32 s22, 9
	s_cbranch_scc0 .LBB222_1341
; %bb.1337:
	global_load_dwordx2 v[2:3], v[0:1], off
	s_mov_b64 s[0:1], 0
	s_waitcnt vmcnt(0)
	v_cvt_i32_f64_e32 v2, v[2:3]
	s_branch .LBB222_1342
.LBB222_1338:
	s_mov_b64 s[0:1], -1
                                        ; implicit-def: $vgpr2
	s_branch .LBB222_1360
.LBB222_1339:
	s_mov_b64 s[0:1], -1
                                        ; implicit-def: $vgpr2
	s_branch .LBB222_1348
.LBB222_1340:
	s_mov_b64 s[0:1], -1
                                        ; implicit-def: $vgpr2
	s_branch .LBB222_1345
.LBB222_1341:
	s_mov_b64 s[0:1], -1
                                        ; implicit-def: $vgpr2
.LBB222_1342:
	s_andn2_b64 vcc, exec, s[0:1]
	s_cbranch_vccnz .LBB222_1344
; %bb.1343:
	global_load_dword v2, v[0:1], off
	s_waitcnt vmcnt(0)
	v_cvt_i32_f32_e32 v2, v2
.LBB222_1344:
	s_mov_b64 s[0:1], 0
.LBB222_1345:
	s_andn2_b64 vcc, exec, s[0:1]
	s_cbranch_vccnz .LBB222_1347
; %bb.1346:
	global_load_dword v2, v[0:1], off
	s_waitcnt vmcnt(0)
	v_cvt_i16_f16_e32 v2, v2
.LBB222_1347:
	s_mov_b64 s[0:1], 0
.LBB222_1348:
	s_andn2_b64 vcc, exec, s[0:1]
	s_cbranch_vccnz .LBB222_1359
; %bb.1349:
	s_cmp_lt_i32 s22, 6
	s_cbranch_scc1 .LBB222_1352
; %bb.1350:
	s_cmp_gt_i32 s22, 6
	s_cbranch_scc0 .LBB222_1353
; %bb.1351:
	global_load_dwordx2 v[2:3], v[0:1], off
	s_mov_b64 s[0:1], 0
	s_waitcnt vmcnt(0)
	v_cvt_i32_f64_e32 v2, v[2:3]
	s_branch .LBB222_1354
.LBB222_1352:
	s_mov_b64 s[0:1], -1
                                        ; implicit-def: $vgpr2
	s_branch .LBB222_1357
.LBB222_1353:
	s_mov_b64 s[0:1], -1
                                        ; implicit-def: $vgpr2
.LBB222_1354:
	s_andn2_b64 vcc, exec, s[0:1]
	s_cbranch_vccnz .LBB222_1356
; %bb.1355:
	global_load_dword v2, v[0:1], off
	s_waitcnt vmcnt(0)
	v_cvt_i32_f32_e32 v2, v2
.LBB222_1356:
	s_mov_b64 s[0:1], 0
.LBB222_1357:
	s_andn2_b64 vcc, exec, s[0:1]
	s_cbranch_vccnz .LBB222_1359
; %bb.1358:
	global_load_ushort v2, v[0:1], off
	s_waitcnt vmcnt(0)
	v_cvt_i16_f16_e32 v2, v2
.LBB222_1359:
	s_mov_b64 s[0:1], 0
.LBB222_1360:
	s_andn2_b64 vcc, exec, s[0:1]
	s_cbranch_vccnz .LBB222_1380
; %bb.1361:
	s_cmp_lt_i32 s22, 2
	s_cbranch_scc1 .LBB222_1365
; %bb.1362:
	s_cmp_lt_i32 s22, 3
	s_cbranch_scc1 .LBB222_1366
; %bb.1363:
	s_cmp_gt_i32 s22, 3
	s_cbranch_scc0 .LBB222_1367
; %bb.1364:
	global_load_dwordx2 v[2:3], v[0:1], off
	s_mov_b64 s[0:1], 0
	s_branch .LBB222_1368
.LBB222_1365:
	s_mov_b64 s[0:1], -1
                                        ; implicit-def: $vgpr2
	s_branch .LBB222_1374
.LBB222_1366:
	s_mov_b64 s[0:1], -1
                                        ; implicit-def: $vgpr2
	s_branch .LBB222_1371
.LBB222_1367:
	s_mov_b64 s[0:1], -1
                                        ; implicit-def: $vgpr2
.LBB222_1368:
	s_andn2_b64 vcc, exec, s[0:1]
	s_cbranch_vccnz .LBB222_1370
; %bb.1369:
	global_load_dword v2, v[0:1], off
.LBB222_1370:
	s_mov_b64 s[0:1], 0
.LBB222_1371:
	s_andn2_b64 vcc, exec, s[0:1]
	s_cbranch_vccnz .LBB222_1373
; %bb.1372:
	global_load_ushort v2, v[0:1], off
.LBB222_1373:
	s_mov_b64 s[0:1], 0
.LBB222_1374:
	s_andn2_b64 vcc, exec, s[0:1]
	s_cbranch_vccnz .LBB222_1380
; %bb.1375:
	s_cmp_gt_i32 s22, 0
	s_cbranch_scc0 .LBB222_1377
; %bb.1376:
	global_load_sbyte v2, v[0:1], off
	s_mov_b64 s[0:1], 0
	s_branch .LBB222_1378
.LBB222_1377:
	s_mov_b64 s[0:1], -1
                                        ; implicit-def: $vgpr2
.LBB222_1378:
	s_andn2_b64 vcc, exec, s[0:1]
	s_cbranch_vccnz .LBB222_1380
; %bb.1379:
	global_load_ubyte v2, v[0:1], off
.LBB222_1380:
.LBB222_1381:
	v_add_u32_e32 v0, s13, v5
	v_ashrrev_i32_e32 v1, 31, v0
	s_waitcnt vmcnt(0)
	v_mov_b32_e32 v3, s11
	v_add_co_u32_e32 v7, vcc, s10, v0
	s_cmp_lt_i32 s22, 11
	v_addc_co_u32_e32 v8, vcc, v3, v1, vcc
	s_cbranch_scc1 .LBB222_1388
; %bb.1382:
	s_cmp_gt_i32 s22, 25
	s_mov_b64 s[2:3], 0
	s_cbranch_scc0 .LBB222_1389
; %bb.1383:
	s_cmp_gt_i32 s22, 28
	s_cbranch_scc0 .LBB222_1390
; %bb.1384:
	s_cmp_gt_i32 s22, 43
	;; [unrolled: 3-line block ×3, first 2 shown]
	s_cbranch_scc0 .LBB222_1393
; %bb.1386:
	s_cmp_eq_u32 s22, 46
	s_mov_b64 s[18:19], 0
	s_cbranch_scc0 .LBB222_1394
; %bb.1387:
	global_load_dword v0, v[7:8], off
	s_mov_b64 s[0:1], 0
	s_mov_b64 s[10:11], -1
	s_waitcnt vmcnt(0)
	v_lshlrev_b32_e32 v0, 16, v0
	v_cvt_i32_f32_e32 v0, v0
	s_branch .LBB222_1395
.LBB222_1388:
	s_mov_b64 s[0:1], -1
	s_mov_b64 s[10:11], 0
                                        ; implicit-def: $vgpr0
	s_branch .LBB222_1457
.LBB222_1389:
	s_mov_b64 s[18:19], -1
	s_mov_b64 s[10:11], 0
	s_mov_b64 s[0:1], 0
                                        ; implicit-def: $vgpr0
	s_branch .LBB222_1422
.LBB222_1390:
	s_mov_b64 s[18:19], -1
	s_mov_b64 s[10:11], 0
	s_mov_b64 s[0:1], 0
                                        ; implicit-def: $vgpr0
	s_branch .LBB222_1405
.LBB222_1391:
	s_mov_b64 s[18:19], -1
	s_mov_b64 s[10:11], 0
	s_mov_b64 s[0:1], 0
                                        ; implicit-def: $vgpr0
	s_branch .LBB222_1400
.LBB222_1392:
	s_trap 2
	s_or_b64 s[16:17], s[16:17], exec
	s_cbranch_execz .LBB222_1331
	s_branch .LBB222_1332
.LBB222_1393:
	s_mov_b64 s[18:19], -1
	s_mov_b64 s[10:11], 0
	s_mov_b64 s[0:1], 0
                                        ; implicit-def: $vgpr0
	s_branch .LBB222_1395
.LBB222_1394:
	s_mov_b64 s[0:1], -1
                                        ; implicit-def: $vgpr0
	s_mov_b64 s[10:11], 0
.LBB222_1395:
	s_and_b64 vcc, exec, s[18:19]
	s_cbranch_vccz .LBB222_1399
; %bb.1396:
	s_cmp_eq_u32 s22, 44
	s_cbranch_scc0 .LBB222_1398
; %bb.1397:
	global_load_ubyte v0, v[7:8], off
	s_mov_b64 s[0:1], 0
	s_mov_b64 s[10:11], -1
	s_waitcnt vmcnt(0)
	v_lshlrev_b32_e32 v1, 23, v0
	v_cvt_i32_f32_e32 v1, v1
	v_cmp_ne_u32_e32 vcc, 0, v0
	v_cndmask_b32_e32 v0, 0, v1, vcc
	s_branch .LBB222_1399
.LBB222_1398:
	s_mov_b64 s[0:1], -1
                                        ; implicit-def: $vgpr0
.LBB222_1399:
	s_mov_b64 s[18:19], 0
.LBB222_1400:
	s_and_b64 vcc, exec, s[18:19]
	s_cbranch_vccz .LBB222_1404
; %bb.1401:
	s_cmp_eq_u32 s22, 29
	s_cbranch_scc0 .LBB222_1403
; %bb.1402:
	global_load_dwordx2 v[0:1], v[7:8], off
	s_mov_b64 s[0:1], 0
	s_mov_b64 s[10:11], -1
	s_branch .LBB222_1404
.LBB222_1403:
	s_mov_b64 s[0:1], -1
                                        ; implicit-def: $vgpr0
.LBB222_1404:
	s_mov_b64 s[18:19], 0
.LBB222_1405:
	s_and_b64 vcc, exec, s[18:19]
	s_cbranch_vccz .LBB222_1421
; %bb.1406:
	s_cmp_lt_i32 s22, 27
	s_cbranch_scc1 .LBB222_1409
; %bb.1407:
	s_cmp_gt_i32 s22, 27
	s_cbranch_scc0 .LBB222_1410
; %bb.1408:
	global_load_dword v0, v[7:8], off
	s_mov_b64 s[10:11], 0
	s_branch .LBB222_1411
.LBB222_1409:
	s_mov_b64 s[10:11], -1
                                        ; implicit-def: $vgpr0
	s_branch .LBB222_1414
.LBB222_1410:
	s_mov_b64 s[10:11], -1
                                        ; implicit-def: $vgpr0
.LBB222_1411:
	s_andn2_b64 vcc, exec, s[10:11]
	s_cbranch_vccnz .LBB222_1413
; %bb.1412:
	global_load_ushort v0, v[7:8], off
.LBB222_1413:
	s_mov_b64 s[10:11], 0
.LBB222_1414:
	s_andn2_b64 vcc, exec, s[10:11]
	s_cbranch_vccnz .LBB222_1420
; %bb.1415:
	global_load_ubyte v1, v[7:8], off
	s_movk_i32 s10, 0x7f
	s_mov_b64 s[18:19], 0
	s_waitcnt vmcnt(0)
	v_cmp_lt_i16_e32 vcc, s10, v1
	s_and_saveexec_b64 s[10:11], vcc
	s_xor_b64 s[10:11], exec, s[10:11]
	s_cbranch_execz .LBB222_1432
; %bb.1416:
	s_movk_i32 s13, 0x80
	v_cmp_ne_u16_e32 vcc, s13, v1
	s_and_b64 s[18:19], vcc, exec
	s_andn2_saveexec_b64 s[10:11], s[10:11]
	s_cbranch_execnz .LBB222_1433
.LBB222_1417:
	s_or_b64 exec, exec, s[10:11]
	v_mov_b32_e32 v0, 0
	s_and_saveexec_b64 s[10:11], s[18:19]
	s_cbranch_execz .LBB222_1419
.LBB222_1418:
	v_lshlrev_b32_e32 v0, 24, v1
	v_and_b32_e32 v1, 0xffff, v1
	v_and_b32_e32 v3, 7, v1
	v_ffbh_u32_e32 v10, v3
	v_min_u32_e32 v10, 32, v10
	v_subrev_u32_e32 v11, 28, v10
	v_bfe_u32 v5, v1, 3, 4
	v_lshlrev_b32_e32 v1, v11, v1
	v_sub_u32_e32 v10, 29, v10
	v_and_b32_e32 v1, 7, v1
	v_cmp_eq_u32_e32 vcc, 0, v5
	v_cndmask_b32_e32 v5, v5, v10, vcc
	v_cndmask_b32_e32 v1, v3, v1, vcc
	v_mov_b32_e32 v3, 0x3b800000
	v_lshlrev_b32_e32 v1, 20, v1
	v_and_b32_e32 v0, 0x80000000, v0
	v_lshl_add_u32 v3, v5, 23, v3
	v_or3_b32 v0, v0, v3, v1
	v_cvt_i32_f32_e32 v0, v0
.LBB222_1419:
	s_or_b64 exec, exec, s[10:11]
.LBB222_1420:
	s_mov_b64 s[10:11], -1
.LBB222_1421:
	s_mov_b64 s[18:19], 0
.LBB222_1422:
	s_and_b64 vcc, exec, s[18:19]
	s_cbranch_vccz .LBB222_1453
; %bb.1423:
	s_cmp_gt_i32 s22, 22
	s_cbranch_scc0 .LBB222_1431
; %bb.1424:
	s_cmp_lt_i32 s22, 24
	s_cbranch_scc1 .LBB222_1434
; %bb.1425:
	s_cmp_gt_i32 s22, 24
	s_cbranch_scc0 .LBB222_1435
; %bb.1426:
	global_load_ubyte v1, v[7:8], off
	s_movk_i32 s2, 0x7f
	s_mov_b64 s[10:11], 0
	s_waitcnt vmcnt(0)
	v_cmp_lt_i16_e32 vcc, s2, v1
	s_and_saveexec_b64 s[2:3], vcc
	s_xor_b64 s[2:3], exec, s[2:3]
	s_cbranch_execz .LBB222_1447
; %bb.1427:
	s_movk_i32 s10, 0x80
	v_cmp_ne_u16_e32 vcc, s10, v1
	s_and_b64 s[10:11], vcc, exec
	s_andn2_saveexec_b64 s[2:3], s[2:3]
	s_cbranch_execnz .LBB222_1448
.LBB222_1428:
	s_or_b64 exec, exec, s[2:3]
	v_mov_b32_e32 v0, 0
	s_and_saveexec_b64 s[2:3], s[10:11]
	s_cbranch_execz .LBB222_1430
.LBB222_1429:
	v_lshlrev_b32_e32 v0, 24, v1
	v_and_b32_e32 v1, 0xffff, v1
	v_and_b32_e32 v3, 3, v1
	v_ffbh_u32_e32 v10, v3
	v_min_u32_e32 v10, 32, v10
	v_subrev_u32_e32 v11, 29, v10
	v_bfe_u32 v5, v1, 2, 5
	v_lshlrev_b32_e32 v1, v11, v1
	v_sub_u32_e32 v10, 30, v10
	v_and_b32_e32 v1, 3, v1
	v_cmp_eq_u32_e32 vcc, 0, v5
	v_cndmask_b32_e32 v5, v5, v10, vcc
	v_cndmask_b32_e32 v1, v3, v1, vcc
	v_mov_b32_e32 v3, 0x37800000
	v_lshlrev_b32_e32 v1, 21, v1
	v_and_b32_e32 v0, 0x80000000, v0
	v_lshl_add_u32 v3, v5, 23, v3
	v_or3_b32 v0, v0, v3, v1
	v_cvt_i32_f32_e32 v0, v0
.LBB222_1430:
	s_or_b64 exec, exec, s[2:3]
	s_mov_b64 s[2:3], 0
	s_branch .LBB222_1436
.LBB222_1431:
	s_mov_b64 s[2:3], -1
                                        ; implicit-def: $vgpr0
	s_branch .LBB222_1442
.LBB222_1432:
	s_andn2_saveexec_b64 s[10:11], s[10:11]
	s_cbranch_execz .LBB222_1417
.LBB222_1433:
	v_cmp_ne_u16_e32 vcc, 0, v1
	s_andn2_b64 s[18:19], s[18:19], exec
	s_and_b64 s[20:21], vcc, exec
	s_or_b64 s[18:19], s[18:19], s[20:21]
	s_or_b64 exec, exec, s[10:11]
	v_mov_b32_e32 v0, 0
	s_and_saveexec_b64 s[10:11], s[18:19]
	s_cbranch_execnz .LBB222_1418
	s_branch .LBB222_1419
.LBB222_1434:
	s_mov_b64 s[2:3], -1
                                        ; implicit-def: $vgpr0
	s_branch .LBB222_1439
.LBB222_1435:
	s_mov_b64 s[2:3], -1
                                        ; implicit-def: $vgpr0
.LBB222_1436:
	s_and_b64 vcc, exec, s[2:3]
	s_cbranch_vccz .LBB222_1438
; %bb.1437:
	global_load_ubyte v0, v[7:8], off
	s_mov_b32 s2, 0x7f800000
	s_waitcnt vmcnt(0)
	v_lshlrev_b32_e32 v0, 24, v0
	v_and_b32_e32 v1, 0x7f000000, v0
	v_ffbh_u32_e32 v3, v1
	v_min_u32_e32 v3, 32, v3
	v_sub_u32_e64 v3, v3, 4 clamp
	v_lshlrev_b32_e32 v10, v3, v1
	v_lshlrev_b32_e32 v3, 23, v3
	v_lshrrev_b32_e32 v10, 4, v10
	v_add_u32_e32 v5, 0x1000000, v1
	v_sub_u32_e32 v3, v10, v3
	v_ashrrev_i32_e32 v5, 8, v5
	v_add_u32_e32 v3, 0x3c000000, v3
	v_and_or_b32 v3, v5, s2, v3
	v_cmp_ne_u32_e32 vcc, 0, v1
	v_cndmask_b32_e32 v1, 0, v3, vcc
	s_brev_b32 s2, 1
	v_and_or_b32 v0, v0, s2, v1
	v_cvt_i32_f32_e32 v0, v0
.LBB222_1438:
	s_mov_b64 s[2:3], 0
.LBB222_1439:
	s_andn2_b64 vcc, exec, s[2:3]
	s_cbranch_vccnz .LBB222_1441
; %bb.1440:
	global_load_ubyte v0, v[7:8], off
	s_movk_i32 s2, 0x7f00
	s_brev_b32 s3, 16
	s_waitcnt vmcnt(0)
	v_lshlrev_b16_e32 v1, 8, v0
	v_lshlrev_b32_e32 v0, 25, v0
	v_lshrrev_b32_e32 v3, 4, v0
	v_and_or_b32 v5, v1, s2, 0.5
	v_or_b32_e32 v3, 0x70000000, v3
	v_add_f32_e32 v5, -0.5, v5
	v_mul_f32_e32 v3, 0x7800000, v3
	v_cmp_gt_u32_e32 vcc, s3, v0
	v_bfe_i32 v1, v1, 0, 16
	v_cndmask_b32_e32 v0, v3, v5, vcc
	s_brev_b32 s2, 1
	v_and_or_b32 v0, v1, s2, v0
	v_cvt_i32_f32_e32 v0, v0
.LBB222_1441:
	s_mov_b64 s[2:3], 0
	s_mov_b64 s[10:11], -1
.LBB222_1442:
	s_andn2_b64 vcc, exec, s[2:3]
	s_mov_b64 s[2:3], 0
	s_cbranch_vccnz .LBB222_1453
; %bb.1443:
	s_cmp_gt_i32 s22, 14
	s_cbranch_scc0 .LBB222_1446
; %bb.1444:
	s_cmp_eq_u32 s22, 15
	s_cbranch_scc0 .LBB222_1449
; %bb.1445:
	global_load_ushort v0, v[7:8], off
	s_mov_b64 s[0:1], 0
	s_mov_b64 s[10:11], -1
	s_waitcnt vmcnt(0)
	v_lshlrev_b32_e32 v0, 16, v0
	v_cvt_i32_f32_e32 v0, v0
	s_branch .LBB222_1450
.LBB222_1446:
	s_mov_b64 s[18:19], -1
                                        ; implicit-def: $vgpr0
	s_branch .LBB222_1451
.LBB222_1447:
	s_andn2_saveexec_b64 s[2:3], s[2:3]
	s_cbranch_execz .LBB222_1428
.LBB222_1448:
	v_cmp_ne_u16_e32 vcc, 0, v1
	s_andn2_b64 s[10:11], s[10:11], exec
	s_and_b64 s[18:19], vcc, exec
	s_or_b64 s[10:11], s[10:11], s[18:19]
	s_or_b64 exec, exec, s[2:3]
	v_mov_b32_e32 v0, 0
	s_and_saveexec_b64 s[2:3], s[10:11]
	s_cbranch_execnz .LBB222_1429
	s_branch .LBB222_1430
.LBB222_1449:
	s_mov_b64 s[0:1], -1
                                        ; implicit-def: $vgpr0
.LBB222_1450:
	s_mov_b64 s[18:19], 0
.LBB222_1451:
	s_and_b64 vcc, exec, s[18:19]
	s_cbranch_vccz .LBB222_1453
; %bb.1452:
	s_cmp_lg_u32 s22, 11
	s_mov_b64 s[2:3], -1
	s_cselect_b64 s[0:1], -1, 0
.LBB222_1453:
	s_and_b64 vcc, exec, s[0:1]
	s_cbranch_vccnz .LBB222_1986
; %bb.1454:
	s_andn2_b64 vcc, exec, s[2:3]
	s_cbranch_vccnz .LBB222_1456
.LBB222_1455:
	global_load_ubyte v0, v[7:8], off
	s_mov_b64 s[10:11], -1
	s_waitcnt vmcnt(0)
	v_cmp_ne_u16_e32 vcc, 0, v0
	v_cndmask_b32_e64 v0, 0, 1, vcc
.LBB222_1456:
	s_mov_b64 s[0:1], 0
.LBB222_1457:
	s_and_b64 vcc, exec, s[0:1]
	s_cbranch_vccz .LBB222_1506
; %bb.1458:
	s_cmp_lt_i32 s22, 5
	s_cbranch_scc1 .LBB222_1463
; %bb.1459:
	s_cmp_lt_i32 s22, 8
	s_cbranch_scc1 .LBB222_1464
	;; [unrolled: 3-line block ×3, first 2 shown]
; %bb.1461:
	s_cmp_gt_i32 s22, 9
	s_cbranch_scc0 .LBB222_1466
; %bb.1462:
	global_load_dwordx2 v[0:1], v[7:8], off
	s_mov_b64 s[0:1], 0
	s_waitcnt vmcnt(0)
	v_cvt_i32_f64_e32 v0, v[0:1]
	s_branch .LBB222_1467
.LBB222_1463:
	s_mov_b64 s[0:1], -1
                                        ; implicit-def: $vgpr0
	s_branch .LBB222_1485
.LBB222_1464:
	s_mov_b64 s[0:1], -1
                                        ; implicit-def: $vgpr0
	s_branch .LBB222_1473
.LBB222_1465:
	s_mov_b64 s[0:1], -1
                                        ; implicit-def: $vgpr0
	s_branch .LBB222_1470
.LBB222_1466:
	s_mov_b64 s[0:1], -1
                                        ; implicit-def: $vgpr0
.LBB222_1467:
	s_andn2_b64 vcc, exec, s[0:1]
	s_cbranch_vccnz .LBB222_1469
; %bb.1468:
	global_load_dword v0, v[7:8], off
	s_waitcnt vmcnt(0)
	v_cvt_i32_f32_e32 v0, v0
.LBB222_1469:
	s_mov_b64 s[0:1], 0
.LBB222_1470:
	s_andn2_b64 vcc, exec, s[0:1]
	s_cbranch_vccnz .LBB222_1472
; %bb.1471:
	global_load_dword v0, v[7:8], off
	s_waitcnt vmcnt(0)
	v_cvt_i16_f16_e32 v0, v0
.LBB222_1472:
	s_mov_b64 s[0:1], 0
.LBB222_1473:
	s_andn2_b64 vcc, exec, s[0:1]
	s_cbranch_vccnz .LBB222_1484
; %bb.1474:
	s_cmp_lt_i32 s22, 6
	s_cbranch_scc1 .LBB222_1477
; %bb.1475:
	s_cmp_gt_i32 s22, 6
	s_cbranch_scc0 .LBB222_1478
; %bb.1476:
	global_load_dwordx2 v[0:1], v[7:8], off
	s_mov_b64 s[0:1], 0
	s_waitcnt vmcnt(0)
	v_cvt_i32_f64_e32 v0, v[0:1]
	s_branch .LBB222_1479
.LBB222_1477:
	s_mov_b64 s[0:1], -1
                                        ; implicit-def: $vgpr0
	s_branch .LBB222_1482
.LBB222_1478:
	s_mov_b64 s[0:1], -1
                                        ; implicit-def: $vgpr0
.LBB222_1479:
	s_andn2_b64 vcc, exec, s[0:1]
	s_cbranch_vccnz .LBB222_1481
; %bb.1480:
	global_load_dword v0, v[7:8], off
	s_waitcnt vmcnt(0)
	v_cvt_i32_f32_e32 v0, v0
.LBB222_1481:
	s_mov_b64 s[0:1], 0
.LBB222_1482:
	s_andn2_b64 vcc, exec, s[0:1]
	s_cbranch_vccnz .LBB222_1484
; %bb.1483:
	global_load_ushort v0, v[7:8], off
	s_waitcnt vmcnt(0)
	v_cvt_i16_f16_e32 v0, v0
.LBB222_1484:
	s_mov_b64 s[0:1], 0
.LBB222_1485:
	s_andn2_b64 vcc, exec, s[0:1]
	s_cbranch_vccnz .LBB222_1505
; %bb.1486:
	s_cmp_lt_i32 s22, 2
	s_cbranch_scc1 .LBB222_1490
; %bb.1487:
	s_cmp_lt_i32 s22, 3
	s_cbranch_scc1 .LBB222_1491
; %bb.1488:
	s_cmp_gt_i32 s22, 3
	s_cbranch_scc0 .LBB222_1492
; %bb.1489:
	global_load_dwordx2 v[0:1], v[7:8], off
	s_mov_b64 s[0:1], 0
	s_branch .LBB222_1493
.LBB222_1490:
	s_mov_b64 s[0:1], -1
                                        ; implicit-def: $vgpr0
	s_branch .LBB222_1499
.LBB222_1491:
	s_mov_b64 s[0:1], -1
                                        ; implicit-def: $vgpr0
	s_branch .LBB222_1496
.LBB222_1492:
	s_mov_b64 s[0:1], -1
                                        ; implicit-def: $vgpr0
.LBB222_1493:
	s_andn2_b64 vcc, exec, s[0:1]
	s_cbranch_vccnz .LBB222_1495
; %bb.1494:
	global_load_dword v0, v[7:8], off
.LBB222_1495:
	s_mov_b64 s[0:1], 0
.LBB222_1496:
	s_andn2_b64 vcc, exec, s[0:1]
	s_cbranch_vccnz .LBB222_1498
; %bb.1497:
	global_load_ushort v0, v[7:8], off
.LBB222_1498:
	s_mov_b64 s[0:1], 0
.LBB222_1499:
	s_andn2_b64 vcc, exec, s[0:1]
	s_cbranch_vccnz .LBB222_1505
; %bb.1500:
	s_cmp_gt_i32 s22, 0
	s_cbranch_scc0 .LBB222_1502
; %bb.1501:
	global_load_sbyte v0, v[7:8], off
	s_mov_b64 s[0:1], 0
	s_branch .LBB222_1503
.LBB222_1502:
	s_mov_b64 s[0:1], -1
                                        ; implicit-def: $vgpr0
.LBB222_1503:
	s_andn2_b64 vcc, exec, s[0:1]
	s_cbranch_vccnz .LBB222_1505
; %bb.1504:
	global_load_ubyte v0, v[7:8], off
.LBB222_1505:
	s_mov_b64 s[10:11], -1
.LBB222_1506:
	s_andn2_b64 vcc, exec, s[10:11]
	s_cbranch_vccnz .LBB222_1940
; %bb.1507:
	s_waitcnt vmcnt(0)
	v_mul_lo_u32 v1, s12, v9
	s_sext_i32_i16 s21, s14
	s_lshr_b32 s22, s21, 15
	v_ashrrev_i32_sdwa v3, v6, s21 dst_sel:DWORD dst_unused:UNUSED_PAD src0_sel:WORD_0 src1_sel:DWORD
	v_mov_b32_e32 v5, s22
	v_cmp_lt_u16_e32 vcc, 14, v6
	v_cndmask_b32_e32 v3, v3, v5, vcc
	v_ashrrev_i32_e32 v6, 31, v1
	v_mov_b32_e32 v7, s9
	s_and_b32 s20, s15, 0xff
	v_add_co_u32_e32 v5, vcc, s8, v1
	s_cmp_lt_i32 s20, 11
	v_addc_co_u32_e32 v6, vcc, v7, v6, vcc
	s_cbranch_scc1 .LBB222_1585
; %bb.1508:
	s_and_b32 s13, 0xffff, s20
	s_mov_b64 s[14:15], -1
	s_mov_b64 s[2:3], 0
	s_cmp_gt_i32 s13, 25
	s_mov_b64 s[10:11], 0
	s_mov_b64 s[0:1], 0
	s_cbranch_scc0 .LBB222_1541
; %bb.1509:
	s_cmp_gt_i32 s13, 28
	s_cbranch_scc0 .LBB222_1524
; %bb.1510:
	s_cmp_gt_i32 s13, 43
	;; [unrolled: 3-line block ×3, first 2 shown]
	s_cbranch_scc0 .LBB222_1514
; %bb.1512:
	s_mov_b64 s[0:1], -1
	s_mov_b64 s[14:15], 0
	s_cmp_eq_u32 s13, 46
	s_cbranch_scc0 .LBB222_1514
; %bb.1513:
	v_cvt_f32_i32_sdwa v7, sext(v3) dst_sel:DWORD dst_unused:UNUSED_PAD src0_sel:WORD_0
	s_movk_i32 s10, 0x7fff
	s_mov_b64 s[0:1], 0
	v_bfe_u32 v8, v7, 16, 1
	v_add3_u32 v7, v7, v8, s10
	v_lshrrev_b32_e32 v7, 16, v7
	global_store_dword v[5:6], v7, off
	s_mov_b64 s[10:11], -1
.LBB222_1514:
	s_and_b64 vcc, exec, s[14:15]
	s_cbranch_vccz .LBB222_1519
; %bb.1515:
	s_cmp_eq_u32 s13, 44
	s_mov_b64 s[0:1], -1
	s_cbranch_scc0 .LBB222_1519
; %bb.1516:
	v_cvt_f32_i32_sdwa v7, sext(v3) dst_sel:DWORD dst_unused:UNUSED_PAD src0_sel:WORD_0
	s_movk_i32 s0, 0xff
	v_mov_b32_e32 v9, 0xff
	v_bfe_u32 v8, v7, 23, 8
	v_cmp_ne_u32_e32 vcc, s0, v8
	s_and_saveexec_b64 s[10:11], vcc
; %bb.1517:
	s_mov_b32 s0, 0x3fffff
	v_lshrrev_b32_e32 v9, 23, v7
	v_and_b32_e32 v10, 0x400000, v7
	v_and_or_b32 v7, v7, s0, v8
	v_cmp_ne_u32_e32 vcc, 0, v10
	v_cmp_ne_u32_e64 s[0:1], 0, v7
	s_and_b64 s[0:1], vcc, s[0:1]
	v_cndmask_b32_e64 v7, 0, 1, s[0:1]
	v_add_u32_e32 v9, v9, v7
; %bb.1518:
	s_or_b64 exec, exec, s[10:11]
	s_mov_b64 s[0:1], 0
	s_mov_b64 s[10:11], -1
	global_store_byte v[5:6], v9, off
.LBB222_1519:
	s_mov_b64 s[14:15], 0
.LBB222_1520:
	s_and_b64 vcc, exec, s[14:15]
	s_cbranch_vccz .LBB222_1523
; %bb.1521:
	s_cmp_eq_u32 s13, 29
	s_mov_b64 s[0:1], -1
	s_cbranch_scc0 .LBB222_1523
; %bb.1522:
	v_bfe_i32 v7, v3, 0, 16
	v_ashrrev_i32_e32 v8, 31, v7
	global_store_dwordx2 v[5:6], v[7:8], off
	s_mov_b64 s[0:1], 0
	s_mov_b64 s[10:11], -1
.LBB222_1523:
	s_mov_b64 s[14:15], 0
.LBB222_1524:
	s_and_b64 vcc, exec, s[14:15]
	s_cbranch_vccz .LBB222_1540
; %bb.1525:
	s_cmp_lt_i32 s13, 27
	s_mov_b64 s[10:11], -1
	s_cbranch_scc1 .LBB222_1531
; %bb.1526:
	s_cmp_gt_i32 s13, 27
	s_cbranch_scc0 .LBB222_1528
; %bb.1527:
	v_bfe_i32 v7, v3, 0, 16
	s_mov_b64 s[10:11], 0
	global_store_dword v[5:6], v7, off
.LBB222_1528:
	s_andn2_b64 vcc, exec, s[10:11]
	s_cbranch_vccnz .LBB222_1530
; %bb.1529:
	global_store_short v[5:6], v3, off
.LBB222_1530:
	s_mov_b64 s[10:11], 0
.LBB222_1531:
	s_andn2_b64 vcc, exec, s[10:11]
	s_cbranch_vccnz .LBB222_1539
; %bb.1532:
	v_cvt_f32_i32_sdwa v7, sext(v3) dst_sel:DWORD dst_unused:UNUSED_PAD src0_sel:WORD_0
	s_mov_b32 s10, 0x43800000
	v_mov_b32_e32 v9, 0x80
	v_and_b32_e32 v8, 0x7fffffff, v7
	v_cmp_gt_u32_e32 vcc, s10, v8
	s_and_saveexec_b64 s[10:11], vcc
	s_cbranch_execz .LBB222_1538
; %bb.1533:
	s_mov_b32 s14, 0x3bffffff
	v_cmp_lt_u32_e32 vcc, s14, v8
	s_mov_b64 s[14:15], 0
                                        ; implicit-def: $vgpr8
	s_and_saveexec_b64 s[18:19], vcc
	s_xor_b64 s[18:19], exec, s[18:19]
	s_cbranch_execz .LBB222_1987
; %bb.1534:
	v_bfe_u32 v8, v7, 20, 1
	s_mov_b32 s23, 0x487ffff
	v_add3_u32 v8, v7, v8, s23
	s_mov_b64 s[14:15], exec
	v_lshrrev_b32_e32 v8, 20, v8
	s_andn2_saveexec_b64 s[18:19], s[18:19]
	s_cbranch_execnz .LBB222_1988
.LBB222_1535:
	s_or_b64 exec, exec, s[18:19]
	v_mov_b32_e32 v9, 0
	s_and_saveexec_b64 s[18:19], s[14:15]
.LBB222_1536:
	v_lshrrev_b32_e32 v7, 24, v7
	s_movk_i32 s14, 0x80
	v_and_or_b32 v9, v7, s14, v8
.LBB222_1537:
	s_or_b64 exec, exec, s[18:19]
.LBB222_1538:
	s_or_b64 exec, exec, s[10:11]
	global_store_byte v[5:6], v9, off
.LBB222_1539:
	s_mov_b64 s[10:11], -1
.LBB222_1540:
	s_mov_b64 s[14:15], 0
.LBB222_1541:
	s_and_b64 vcc, exec, s[14:15]
	s_cbranch_vccz .LBB222_1581
; %bb.1542:
	s_cmp_gt_i32 s13, 22
	s_mov_b64 s[2:3], -1
	s_cbranch_scc0 .LBB222_1574
; %bb.1543:
	s_cmp_lt_i32 s13, 24
	s_cbranch_scc1 .LBB222_1563
; %bb.1544:
	s_cmp_gt_i32 s13, 24
	s_cbranch_scc0 .LBB222_1552
; %bb.1545:
	v_cvt_f32_i32_sdwa v7, sext(v3) dst_sel:DWORD dst_unused:UNUSED_PAD src0_sel:WORD_0
	s_mov_b32 s2, 0x47800000
	v_mov_b32_e32 v9, 0x80
	v_and_b32_e32 v8, 0x7fffffff, v7
	v_cmp_gt_u32_e32 vcc, s2, v8
	s_and_saveexec_b64 s[2:3], vcc
	s_cbranch_execz .LBB222_1551
; %bb.1546:
	s_mov_b32 s10, 0x37ffffff
	v_cmp_lt_u32_e32 vcc, s10, v8
	s_mov_b64 s[10:11], 0
                                        ; implicit-def: $vgpr8
	s_and_saveexec_b64 s[14:15], vcc
	s_xor_b64 s[14:15], exec, s[14:15]
	s_cbranch_execz .LBB222_1990
; %bb.1547:
	v_bfe_u32 v8, v7, 21, 1
	s_mov_b32 s18, 0x88fffff
	v_add3_u32 v8, v7, v8, s18
	s_mov_b64 s[10:11], exec
	v_lshrrev_b32_e32 v8, 21, v8
	s_andn2_saveexec_b64 s[14:15], s[14:15]
	s_cbranch_execnz .LBB222_1991
.LBB222_1548:
	s_or_b64 exec, exec, s[14:15]
	v_mov_b32_e32 v9, 0
	s_and_saveexec_b64 s[14:15], s[10:11]
.LBB222_1549:
	v_lshrrev_b32_e32 v7, 24, v7
	s_movk_i32 s10, 0x80
	v_and_or_b32 v9, v7, s10, v8
.LBB222_1550:
	s_or_b64 exec, exec, s[14:15]
.LBB222_1551:
	s_or_b64 exec, exec, s[2:3]
	s_mov_b64 s[2:3], 0
	global_store_byte v[5:6], v9, off
.LBB222_1552:
	s_and_b64 vcc, exec, s[2:3]
	s_cbranch_vccz .LBB222_1562
; %bb.1553:
	v_cvt_f32_i32_sdwa v7, sext(v3) dst_sel:DWORD dst_unused:UNUSED_PAD src0_sel:WORD_0
	s_mov_b32 s2, 0x43f00000
                                        ; implicit-def: $vgpr8
	v_and_b32_e32 v9, 0x7fffffff, v7
	v_cmp_gt_u32_e32 vcc, s2, v9
	s_and_saveexec_b64 s[2:3], vcc
	s_xor_b64 s[2:3], exec, s[2:3]
	s_cbranch_execz .LBB222_1559
; %bb.1554:
	s_mov_b32 s10, 0x3c7fffff
	v_cmp_lt_u32_e32 vcc, s10, v9
                                        ; implicit-def: $vgpr8
	s_and_saveexec_b64 s[10:11], vcc
	s_xor_b64 s[10:11], exec, s[10:11]
; %bb.1555:
	v_bfe_u32 v8, v7, 20, 1
	s_mov_b32 s14, 0x407ffff
	v_add3_u32 v8, v7, v8, s14
	v_lshrrev_b32_e32 v9, 20, v8
	v_and_b32_e32 v8, 0xff00000, v8
	s_mov_b32 s14, 0x7f00000
	v_mov_b32_e32 v10, 0x7e
	v_cmp_ne_u32_e32 vcc, s14, v8
	v_cndmask_b32_e32 v8, v10, v9, vcc
; %bb.1556:
	s_andn2_saveexec_b64 s[10:11], s[10:11]
; %bb.1557:
	s_mov_b32 s14, 0x46800000
	v_add_f32_e64 v8, |v7|, s14
; %bb.1558:
	s_or_b64 exec, exec, s[10:11]
                                        ; implicit-def: $vgpr9
.LBB222_1559:
	s_andn2_saveexec_b64 s[2:3], s[2:3]
; %bb.1560:
	s_mov_b32 s10, 0x7f800000
	v_mov_b32_e32 v8, 0x7e
	v_mov_b32_e32 v10, 0x7f
	v_cmp_lt_u32_e32 vcc, s10, v9
	v_cndmask_b32_e32 v8, v8, v10, vcc
; %bb.1561:
	s_or_b64 exec, exec, s[2:3]
	v_lshrrev_b32_e32 v7, 24, v7
	s_movk_i32 s2, 0x80
	v_and_or_b32 v7, v7, s2, v8
	global_store_byte v[5:6], v7, off
.LBB222_1562:
	s_mov_b64 s[2:3], 0
.LBB222_1563:
	s_andn2_b64 vcc, exec, s[2:3]
	s_cbranch_vccnz .LBB222_1573
; %bb.1564:
	v_cvt_f32_i32_sdwa v7, sext(v3) dst_sel:DWORD dst_unused:UNUSED_PAD src0_sel:WORD_0
	s_mov_b32 s2, 0x47800000
                                        ; implicit-def: $vgpr8
	v_and_b32_e32 v9, 0x7fffffff, v7
	v_cmp_gt_u32_e32 vcc, s2, v9
	s_and_saveexec_b64 s[2:3], vcc
	s_xor_b64 s[2:3], exec, s[2:3]
	s_cbranch_execz .LBB222_1570
; %bb.1565:
	s_mov_b32 s10, 0x387fffff
	v_cmp_lt_u32_e32 vcc, s10, v9
                                        ; implicit-def: $vgpr8
	s_and_saveexec_b64 s[10:11], vcc
	s_xor_b64 s[10:11], exec, s[10:11]
; %bb.1566:
	v_bfe_u32 v8, v7, 21, 1
	s_mov_b32 s14, 0x80fffff
	v_add3_u32 v8, v7, v8, s14
	v_lshrrev_b32_e32 v8, 21, v8
; %bb.1567:
	s_andn2_saveexec_b64 s[10:11], s[10:11]
; %bb.1568:
	s_mov_b32 s14, 0x43000000
	v_add_f32_e64 v8, |v7|, s14
; %bb.1569:
	s_or_b64 exec, exec, s[10:11]
                                        ; implicit-def: $vgpr9
.LBB222_1570:
	s_andn2_saveexec_b64 s[2:3], s[2:3]
; %bb.1571:
	s_mov_b32 s10, 0x7f800000
	v_mov_b32_e32 v8, 0x7c
	v_mov_b32_e32 v10, 0x7f
	v_cmp_lt_u32_e32 vcc, s10, v9
	v_cndmask_b32_e32 v8, v8, v10, vcc
; %bb.1572:
	s_or_b64 exec, exec, s[2:3]
	v_lshrrev_b32_e32 v7, 24, v7
	s_movk_i32 s2, 0x80
	v_and_or_b32 v7, v7, s2, v8
	global_store_byte v[5:6], v7, off
.LBB222_1573:
	s_mov_b64 s[2:3], 0
	s_mov_b64 s[10:11], -1
.LBB222_1574:
	s_andn2_b64 vcc, exec, s[2:3]
	s_mov_b64 s[2:3], 0
	s_cbranch_vccnz .LBB222_1581
; %bb.1575:
	s_cmp_gt_i32 s13, 14
	s_mov_b64 s[14:15], -1
	s_cbranch_scc0 .LBB222_1579
; %bb.1576:
	s_cmp_eq_u32 s13, 15
	s_mov_b64 s[0:1], -1
	s_cbranch_scc0 .LBB222_1578
; %bb.1577:
	v_cvt_f32_i32_sdwa v7, sext(v3) dst_sel:DWORD dst_unused:UNUSED_PAD src0_sel:WORD_0
	s_movk_i32 s2, 0x7fff
	s_mov_b64 s[0:1], 0
	s_mov_b64 s[10:11], -1
	v_bfe_u32 v8, v7, 16, 1
	v_add3_u32 v7, v7, v8, s2
	global_store_short_d16_hi v[5:6], v7, off
.LBB222_1578:
	s_mov_b64 s[14:15], 0
.LBB222_1579:
	s_mov_b64 s[2:3], 0
	s_and_b64 vcc, exec, s[14:15]
	s_cbranch_vccz .LBB222_1581
; %bb.1580:
	s_cmp_lg_u32 s13, 11
	s_mov_b64 s[2:3], -1
	s_cselect_b64 s[0:1], -1, 0
.LBB222_1581:
	s_and_b64 vcc, exec, s[0:1]
	s_cbranch_vccnz .LBB222_1989
; %bb.1582:
	s_andn2_b64 vcc, exec, s[2:3]
	s_cbranch_vccnz .LBB222_1584
.LBB222_1583:
	v_cmp_ne_u16_e32 vcc, 0, v3
	v_cndmask_b32_e64 v7, 0, 1, vcc
	s_mov_b64 s[10:11], -1
	global_store_byte v[5:6], v7, off
.LBB222_1584:
	s_mov_b64 s[0:1], 0
	s_branch .LBB222_1586
.LBB222_1585:
	s_mov_b64 s[0:1], -1
	s_mov_b64 s[10:11], 0
.LBB222_1586:
	s_and_b64 vcc, exec, s[0:1]
	s_cbranch_vccz .LBB222_1625
; %bb.1587:
	s_and_b32 s2, 0xffff, s20
	s_cmp_lt_i32 s2, 5
	s_mov_b64 s[0:1], -1
	s_cbranch_scc1 .LBB222_1608
; %bb.1588:
	s_cmp_lt_i32 s2, 8
	s_cbranch_scc1 .LBB222_1598
; %bb.1589:
	s_cmp_lt_i32 s2, 9
	s_cbranch_scc1 .LBB222_1595
; %bb.1590:
	s_cmp_gt_i32 s2, 9
	s_cbranch_scc0 .LBB222_1592
; %bb.1591:
	v_bfe_i32 v7, v3, 0, 16
	v_cvt_f64_i32_e32 v[7:8], v7
	v_mov_b32_e32 v9, 0
	v_mov_b32_e32 v10, v9
	s_mov_b64 s[0:1], 0
	global_store_dwordx4 v[5:6], v[7:10], off
.LBB222_1592:
	s_andn2_b64 vcc, exec, s[0:1]
	s_cbranch_vccnz .LBB222_1594
; %bb.1593:
	v_cvt_f32_i32_sdwa v7, sext(v3) dst_sel:DWORD dst_unused:UNUSED_PAD src0_sel:WORD_0
	v_mov_b32_e32 v8, 0
	global_store_dwordx2 v[5:6], v[7:8], off
.LBB222_1594:
	s_mov_b64 s[0:1], 0
.LBB222_1595:
	s_andn2_b64 vcc, exec, s[0:1]
	s_cbranch_vccnz .LBB222_1597
; %bb.1596:
	v_cvt_f16_i16_e32 v7, v3
	global_store_dword v[5:6], v7, off
.LBB222_1597:
	s_mov_b64 s[0:1], 0
.LBB222_1598:
	s_andn2_b64 vcc, exec, s[0:1]
	s_cbranch_vccnz .LBB222_1607
; %bb.1599:
	s_cmp_lt_i32 s2, 6
	s_mov_b64 s[0:1], -1
	s_cbranch_scc1 .LBB222_1605
; %bb.1600:
	s_cmp_gt_i32 s2, 6
	s_cbranch_scc0 .LBB222_1602
; %bb.1601:
	v_bfe_i32 v7, v3, 0, 16
	v_cvt_f64_i32_e32 v[7:8], v7
	s_mov_b64 s[0:1], 0
	global_store_dwordx2 v[5:6], v[7:8], off
.LBB222_1602:
	s_andn2_b64 vcc, exec, s[0:1]
	s_cbranch_vccnz .LBB222_1604
; %bb.1603:
	v_cvt_f32_i32_sdwa v7, sext(v3) dst_sel:DWORD dst_unused:UNUSED_PAD src0_sel:WORD_0
	global_store_dword v[5:6], v7, off
.LBB222_1604:
	s_mov_b64 s[0:1], 0
.LBB222_1605:
	s_andn2_b64 vcc, exec, s[0:1]
	s_cbranch_vccnz .LBB222_1607
; %bb.1606:
	v_cvt_f16_i16_e32 v7, v3
	global_store_short v[5:6], v7, off
.LBB222_1607:
	s_mov_b64 s[0:1], 0
.LBB222_1608:
	s_andn2_b64 vcc, exec, s[0:1]
	s_cbranch_vccnz .LBB222_1624
; %bb.1609:
	s_cmp_lt_i32 s2, 2
	s_mov_b64 s[0:1], -1
	s_cbranch_scc1 .LBB222_1619
; %bb.1610:
	s_cmp_lt_i32 s2, 3
	s_cbranch_scc1 .LBB222_1616
; %bb.1611:
	s_cmp_gt_i32 s2, 3
	v_bfe_i32 v7, v3, 0, 16
	s_cbranch_scc0 .LBB222_1613
; %bb.1612:
	v_ashrrev_i32_e32 v8, 31, v7
	global_store_dwordx2 v[5:6], v[7:8], off
	s_mov_b64 s[0:1], 0
.LBB222_1613:
	s_andn2_b64 vcc, exec, s[0:1]
	s_cbranch_vccnz .LBB222_1615
; %bb.1614:
	global_store_dword v[5:6], v7, off
.LBB222_1615:
	s_mov_b64 s[0:1], 0
.LBB222_1616:
	s_andn2_b64 vcc, exec, s[0:1]
	s_cbranch_vccnz .LBB222_1618
; %bb.1617:
	global_store_short v[5:6], v3, off
.LBB222_1618:
	s_mov_b64 s[0:1], 0
.LBB222_1619:
	s_andn2_b64 vcc, exec, s[0:1]
	s_cbranch_vccnz .LBB222_1624
; %bb.1620:
	s_cmp_gt_i32 s2, 0
	s_mov_b64 s[0:1], -1
	s_cbranch_scc0 .LBB222_1622
; %bb.1621:
	global_store_byte v[5:6], v3, off
	s_mov_b64 s[0:1], 0
.LBB222_1622:
	s_andn2_b64 vcc, exec, s[0:1]
	s_cbranch_vccnz .LBB222_1624
; %bb.1623:
	global_store_byte v[5:6], v3, off
.LBB222_1624:
	s_mov_b64 s[10:11], -1
.LBB222_1625:
	s_andn2_b64 vcc, exec, s[10:11]
	s_cbranch_vccnz .LBB222_1940
; %bb.1626:
	s_lshl_b32 s18, s12, 7
	v_ashrrev_i32_sdwa v3, v4, s21 dst_sel:DWORD dst_unused:UNUSED_PAD src0_sel:WORD_0 src1_sel:DWORD
	v_mov_b32_e32 v5, s22
	v_cmp_lt_u16_e32 vcc, 14, v4
	v_add_u32_e32 v1, s18, v1
	v_cndmask_b32_e32 v7, v3, v5, vcc
	v_ashrrev_i32_e32 v4, 31, v1
	v_mov_b32_e32 v5, s9
	v_add_co_u32_e32 v3, vcc, s8, v1
	s_cmp_lt_i32 s20, 11
	v_addc_co_u32_e32 v4, vcc, v5, v4, vcc
	s_cbranch_scc1 .LBB222_1704
; %bb.1627:
	s_and_b32 s19, 0xffff, s20
	s_mov_b64 s[12:13], -1
	s_mov_b64 s[2:3], 0
	s_cmp_gt_i32 s19, 25
	s_mov_b64 s[10:11], 0
	s_mov_b64 s[0:1], 0
	s_cbranch_scc0 .LBB222_1660
; %bb.1628:
	s_cmp_gt_i32 s19, 28
	s_cbranch_scc0 .LBB222_1643
; %bb.1629:
	s_cmp_gt_i32 s19, 43
	;; [unrolled: 3-line block ×3, first 2 shown]
	s_cbranch_scc0 .LBB222_1633
; %bb.1631:
	s_mov_b64 s[0:1], -1
	s_mov_b64 s[12:13], 0
	s_cmp_eq_u32 s19, 46
	s_cbranch_scc0 .LBB222_1633
; %bb.1632:
	v_cvt_f32_i32_sdwa v5, sext(v7) dst_sel:DWORD dst_unused:UNUSED_PAD src0_sel:WORD_0
	s_movk_i32 s10, 0x7fff
	s_mov_b64 s[0:1], 0
	v_bfe_u32 v6, v5, 16, 1
	v_add3_u32 v5, v5, v6, s10
	v_lshrrev_b32_e32 v5, 16, v5
	global_store_dword v[3:4], v5, off
	s_mov_b64 s[10:11], -1
.LBB222_1633:
	s_and_b64 vcc, exec, s[12:13]
	s_cbranch_vccz .LBB222_1638
; %bb.1634:
	s_cmp_eq_u32 s19, 44
	s_mov_b64 s[0:1], -1
	s_cbranch_scc0 .LBB222_1638
; %bb.1635:
	v_cvt_f32_i32_sdwa v5, sext(v7) dst_sel:DWORD dst_unused:UNUSED_PAD src0_sel:WORD_0
	s_movk_i32 s0, 0xff
	v_mov_b32_e32 v8, 0xff
	v_bfe_u32 v6, v5, 23, 8
	v_cmp_ne_u32_e32 vcc, s0, v6
	s_and_saveexec_b64 s[10:11], vcc
; %bb.1636:
	s_mov_b32 s0, 0x3fffff
	v_lshrrev_b32_e32 v8, 23, v5
	v_and_b32_e32 v9, 0x400000, v5
	v_and_or_b32 v5, v5, s0, v6
	v_cmp_ne_u32_e32 vcc, 0, v9
	v_cmp_ne_u32_e64 s[0:1], 0, v5
	s_and_b64 s[0:1], vcc, s[0:1]
	v_cndmask_b32_e64 v5, 0, 1, s[0:1]
	v_add_u32_e32 v8, v8, v5
; %bb.1637:
	s_or_b64 exec, exec, s[10:11]
	s_mov_b64 s[0:1], 0
	s_mov_b64 s[10:11], -1
	global_store_byte v[3:4], v8, off
.LBB222_1638:
	s_mov_b64 s[12:13], 0
.LBB222_1639:
	s_and_b64 vcc, exec, s[12:13]
	s_cbranch_vccz .LBB222_1642
; %bb.1640:
	s_cmp_eq_u32 s19, 29
	s_mov_b64 s[0:1], -1
	s_cbranch_scc0 .LBB222_1642
; %bb.1641:
	v_bfe_i32 v5, v7, 0, 16
	v_ashrrev_i32_e32 v6, 31, v5
	global_store_dwordx2 v[3:4], v[5:6], off
	s_mov_b64 s[0:1], 0
	s_mov_b64 s[10:11], -1
.LBB222_1642:
	s_mov_b64 s[12:13], 0
.LBB222_1643:
	s_and_b64 vcc, exec, s[12:13]
	s_cbranch_vccz .LBB222_1659
; %bb.1644:
	s_cmp_lt_i32 s19, 27
	s_mov_b64 s[10:11], -1
	s_cbranch_scc1 .LBB222_1650
; %bb.1645:
	s_cmp_gt_i32 s19, 27
	s_cbranch_scc0 .LBB222_1647
; %bb.1646:
	v_bfe_i32 v5, v7, 0, 16
	s_mov_b64 s[10:11], 0
	global_store_dword v[3:4], v5, off
.LBB222_1647:
	s_andn2_b64 vcc, exec, s[10:11]
	s_cbranch_vccnz .LBB222_1649
; %bb.1648:
	global_store_short v[3:4], v7, off
.LBB222_1649:
	s_mov_b64 s[10:11], 0
.LBB222_1650:
	s_andn2_b64 vcc, exec, s[10:11]
	s_cbranch_vccnz .LBB222_1658
; %bb.1651:
	v_cvt_f32_i32_sdwa v5, sext(v7) dst_sel:DWORD dst_unused:UNUSED_PAD src0_sel:WORD_0
	s_mov_b32 s10, 0x43800000
	v_mov_b32_e32 v8, 0x80
	v_and_b32_e32 v6, 0x7fffffff, v5
	v_cmp_gt_u32_e32 vcc, s10, v6
	s_and_saveexec_b64 s[10:11], vcc
	s_cbranch_execz .LBB222_1657
; %bb.1652:
	s_mov_b32 s12, 0x3bffffff
	v_cmp_lt_u32_e32 vcc, s12, v6
	s_mov_b64 s[12:13], 0
                                        ; implicit-def: $vgpr6
	s_and_saveexec_b64 s[14:15], vcc
	s_xor_b64 s[14:15], exec, s[14:15]
	s_cbranch_execz .LBB222_1992
; %bb.1653:
	v_bfe_u32 v6, v5, 20, 1
	s_mov_b32 s23, 0x487ffff
	v_add3_u32 v6, v5, v6, s23
	s_mov_b64 s[12:13], exec
	v_lshrrev_b32_e32 v6, 20, v6
	s_andn2_saveexec_b64 s[14:15], s[14:15]
	s_cbranch_execnz .LBB222_1993
.LBB222_1654:
	s_or_b64 exec, exec, s[14:15]
	v_mov_b32_e32 v8, 0
	s_and_saveexec_b64 s[14:15], s[12:13]
.LBB222_1655:
	v_lshrrev_b32_e32 v5, 24, v5
	s_movk_i32 s12, 0x80
	v_and_or_b32 v8, v5, s12, v6
.LBB222_1656:
	s_or_b64 exec, exec, s[14:15]
.LBB222_1657:
	s_or_b64 exec, exec, s[10:11]
	global_store_byte v[3:4], v8, off
.LBB222_1658:
	s_mov_b64 s[10:11], -1
.LBB222_1659:
	s_mov_b64 s[12:13], 0
.LBB222_1660:
	s_and_b64 vcc, exec, s[12:13]
	s_cbranch_vccz .LBB222_1700
; %bb.1661:
	s_cmp_gt_i32 s19, 22
	s_mov_b64 s[2:3], -1
	s_cbranch_scc0 .LBB222_1693
; %bb.1662:
	s_cmp_lt_i32 s19, 24
	s_cbranch_scc1 .LBB222_1682
; %bb.1663:
	s_cmp_gt_i32 s19, 24
	s_cbranch_scc0 .LBB222_1671
; %bb.1664:
	v_cvt_f32_i32_sdwa v5, sext(v7) dst_sel:DWORD dst_unused:UNUSED_PAD src0_sel:WORD_0
	s_mov_b32 s2, 0x47800000
	v_mov_b32_e32 v8, 0x80
	v_and_b32_e32 v6, 0x7fffffff, v5
	v_cmp_gt_u32_e32 vcc, s2, v6
	s_and_saveexec_b64 s[2:3], vcc
	s_cbranch_execz .LBB222_1670
; %bb.1665:
	s_mov_b32 s10, 0x37ffffff
	v_cmp_lt_u32_e32 vcc, s10, v6
	s_mov_b64 s[10:11], 0
                                        ; implicit-def: $vgpr6
	s_and_saveexec_b64 s[12:13], vcc
	s_xor_b64 s[12:13], exec, s[12:13]
	s_cbranch_execz .LBB222_1995
; %bb.1666:
	v_bfe_u32 v6, v5, 21, 1
	s_mov_b32 s14, 0x88fffff
	v_add3_u32 v6, v5, v6, s14
	s_mov_b64 s[10:11], exec
	v_lshrrev_b32_e32 v6, 21, v6
	s_andn2_saveexec_b64 s[12:13], s[12:13]
	s_cbranch_execnz .LBB222_1996
.LBB222_1667:
	s_or_b64 exec, exec, s[12:13]
	v_mov_b32_e32 v8, 0
	s_and_saveexec_b64 s[12:13], s[10:11]
.LBB222_1668:
	v_lshrrev_b32_e32 v5, 24, v5
	s_movk_i32 s10, 0x80
	v_and_or_b32 v8, v5, s10, v6
.LBB222_1669:
	s_or_b64 exec, exec, s[12:13]
.LBB222_1670:
	s_or_b64 exec, exec, s[2:3]
	s_mov_b64 s[2:3], 0
	global_store_byte v[3:4], v8, off
.LBB222_1671:
	s_and_b64 vcc, exec, s[2:3]
	s_cbranch_vccz .LBB222_1681
; %bb.1672:
	v_cvt_f32_i32_sdwa v5, sext(v7) dst_sel:DWORD dst_unused:UNUSED_PAD src0_sel:WORD_0
	s_mov_b32 s2, 0x43f00000
                                        ; implicit-def: $vgpr6
	v_and_b32_e32 v8, 0x7fffffff, v5
	v_cmp_gt_u32_e32 vcc, s2, v8
	s_and_saveexec_b64 s[2:3], vcc
	s_xor_b64 s[2:3], exec, s[2:3]
	s_cbranch_execz .LBB222_1678
; %bb.1673:
	s_mov_b32 s10, 0x3c7fffff
	v_cmp_lt_u32_e32 vcc, s10, v8
                                        ; implicit-def: $vgpr6
	s_and_saveexec_b64 s[10:11], vcc
	s_xor_b64 s[10:11], exec, s[10:11]
; %bb.1674:
	v_bfe_u32 v6, v5, 20, 1
	s_mov_b32 s12, 0x407ffff
	v_add3_u32 v6, v5, v6, s12
	v_lshrrev_b32_e32 v8, 20, v6
	v_and_b32_e32 v6, 0xff00000, v6
	s_mov_b32 s12, 0x7f00000
	v_mov_b32_e32 v9, 0x7e
	v_cmp_ne_u32_e32 vcc, s12, v6
	v_cndmask_b32_e32 v6, v9, v8, vcc
; %bb.1675:
	s_andn2_saveexec_b64 s[10:11], s[10:11]
; %bb.1676:
	s_mov_b32 s12, 0x46800000
	v_add_f32_e64 v6, |v5|, s12
; %bb.1677:
	s_or_b64 exec, exec, s[10:11]
                                        ; implicit-def: $vgpr8
.LBB222_1678:
	s_andn2_saveexec_b64 s[2:3], s[2:3]
; %bb.1679:
	s_mov_b32 s10, 0x7f800000
	v_mov_b32_e32 v6, 0x7e
	v_mov_b32_e32 v9, 0x7f
	v_cmp_lt_u32_e32 vcc, s10, v8
	v_cndmask_b32_e32 v6, v6, v9, vcc
; %bb.1680:
	s_or_b64 exec, exec, s[2:3]
	v_lshrrev_b32_e32 v5, 24, v5
	s_movk_i32 s2, 0x80
	v_and_or_b32 v5, v5, s2, v6
	global_store_byte v[3:4], v5, off
.LBB222_1681:
	s_mov_b64 s[2:3], 0
.LBB222_1682:
	s_andn2_b64 vcc, exec, s[2:3]
	s_cbranch_vccnz .LBB222_1692
; %bb.1683:
	v_cvt_f32_i32_sdwa v5, sext(v7) dst_sel:DWORD dst_unused:UNUSED_PAD src0_sel:WORD_0
	s_mov_b32 s2, 0x47800000
                                        ; implicit-def: $vgpr6
	v_and_b32_e32 v8, 0x7fffffff, v5
	v_cmp_gt_u32_e32 vcc, s2, v8
	s_and_saveexec_b64 s[2:3], vcc
	s_xor_b64 s[2:3], exec, s[2:3]
	s_cbranch_execz .LBB222_1689
; %bb.1684:
	s_mov_b32 s10, 0x387fffff
	v_cmp_lt_u32_e32 vcc, s10, v8
                                        ; implicit-def: $vgpr6
	s_and_saveexec_b64 s[10:11], vcc
	s_xor_b64 s[10:11], exec, s[10:11]
; %bb.1685:
	v_bfe_u32 v6, v5, 21, 1
	s_mov_b32 s12, 0x80fffff
	v_add3_u32 v6, v5, v6, s12
	v_lshrrev_b32_e32 v6, 21, v6
; %bb.1686:
	s_andn2_saveexec_b64 s[10:11], s[10:11]
; %bb.1687:
	s_mov_b32 s12, 0x43000000
	v_add_f32_e64 v6, |v5|, s12
; %bb.1688:
	s_or_b64 exec, exec, s[10:11]
                                        ; implicit-def: $vgpr8
.LBB222_1689:
	s_andn2_saveexec_b64 s[2:3], s[2:3]
; %bb.1690:
	s_mov_b32 s10, 0x7f800000
	v_mov_b32_e32 v6, 0x7c
	v_mov_b32_e32 v9, 0x7f
	v_cmp_lt_u32_e32 vcc, s10, v8
	v_cndmask_b32_e32 v6, v6, v9, vcc
; %bb.1691:
	s_or_b64 exec, exec, s[2:3]
	v_lshrrev_b32_e32 v5, 24, v5
	s_movk_i32 s2, 0x80
	v_and_or_b32 v5, v5, s2, v6
	global_store_byte v[3:4], v5, off
.LBB222_1692:
	s_mov_b64 s[2:3], 0
	s_mov_b64 s[10:11], -1
.LBB222_1693:
	s_andn2_b64 vcc, exec, s[2:3]
	s_mov_b64 s[2:3], 0
	s_cbranch_vccnz .LBB222_1700
; %bb.1694:
	s_cmp_gt_i32 s19, 14
	s_mov_b64 s[12:13], -1
	s_cbranch_scc0 .LBB222_1698
; %bb.1695:
	s_cmp_eq_u32 s19, 15
	s_mov_b64 s[0:1], -1
	s_cbranch_scc0 .LBB222_1697
; %bb.1696:
	v_cvt_f32_i32_sdwa v5, sext(v7) dst_sel:DWORD dst_unused:UNUSED_PAD src0_sel:WORD_0
	s_movk_i32 s2, 0x7fff
	s_mov_b64 s[0:1], 0
	s_mov_b64 s[10:11], -1
	v_bfe_u32 v6, v5, 16, 1
	v_add3_u32 v5, v5, v6, s2
	global_store_short_d16_hi v[3:4], v5, off
.LBB222_1697:
	s_mov_b64 s[12:13], 0
.LBB222_1698:
	s_mov_b64 s[2:3], 0
	s_and_b64 vcc, exec, s[12:13]
	s_cbranch_vccz .LBB222_1700
; %bb.1699:
	s_cmp_lg_u32 s19, 11
	s_mov_b64 s[2:3], -1
	s_cselect_b64 s[0:1], -1, 0
.LBB222_1700:
	s_and_b64 vcc, exec, s[0:1]
	s_cbranch_vccnz .LBB222_1994
; %bb.1701:
	s_andn2_b64 vcc, exec, s[2:3]
	s_cbranch_vccnz .LBB222_1703
.LBB222_1702:
	v_cmp_ne_u16_e32 vcc, 0, v7
	v_cndmask_b32_e64 v5, 0, 1, vcc
	s_mov_b64 s[10:11], -1
	global_store_byte v[3:4], v5, off
.LBB222_1703:
	s_mov_b64 s[0:1], 0
	s_branch .LBB222_1705
.LBB222_1704:
	s_mov_b64 s[0:1], -1
	s_mov_b64 s[10:11], 0
.LBB222_1705:
	s_and_b64 vcc, exec, s[0:1]
	s_cbranch_vccz .LBB222_1744
; %bb.1706:
	s_and_b32 s2, 0xffff, s20
	s_cmp_lt_i32 s2, 5
	s_mov_b64 s[0:1], -1
	s_cbranch_scc1 .LBB222_1727
; %bb.1707:
	s_cmp_lt_i32 s2, 8
	s_cbranch_scc1 .LBB222_1717
; %bb.1708:
	s_cmp_lt_i32 s2, 9
	s_cbranch_scc1 .LBB222_1714
; %bb.1709:
	s_cmp_gt_i32 s2, 9
	s_cbranch_scc0 .LBB222_1711
; %bb.1710:
	v_bfe_i32 v5, v7, 0, 16
	v_cvt_f64_i32_e32 v[8:9], v5
	v_mov_b32_e32 v10, 0
	v_mov_b32_e32 v11, v10
	s_mov_b64 s[0:1], 0
	global_store_dwordx4 v[3:4], v[8:11], off
.LBB222_1711:
	s_andn2_b64 vcc, exec, s[0:1]
	s_cbranch_vccnz .LBB222_1713
; %bb.1712:
	v_cvt_f32_i32_sdwa v5, sext(v7) dst_sel:DWORD dst_unused:UNUSED_PAD src0_sel:WORD_0
	v_mov_b32_e32 v6, 0
	global_store_dwordx2 v[3:4], v[5:6], off
.LBB222_1713:
	s_mov_b64 s[0:1], 0
.LBB222_1714:
	s_andn2_b64 vcc, exec, s[0:1]
	s_cbranch_vccnz .LBB222_1716
; %bb.1715:
	v_cvt_f16_i16_e32 v5, v7
	global_store_dword v[3:4], v5, off
.LBB222_1716:
	s_mov_b64 s[0:1], 0
.LBB222_1717:
	s_andn2_b64 vcc, exec, s[0:1]
	s_cbranch_vccnz .LBB222_1726
; %bb.1718:
	s_cmp_lt_i32 s2, 6
	s_mov_b64 s[0:1], -1
	s_cbranch_scc1 .LBB222_1724
; %bb.1719:
	s_cmp_gt_i32 s2, 6
	s_cbranch_scc0 .LBB222_1721
; %bb.1720:
	v_bfe_i32 v5, v7, 0, 16
	v_cvt_f64_i32_e32 v[5:6], v5
	s_mov_b64 s[0:1], 0
	global_store_dwordx2 v[3:4], v[5:6], off
.LBB222_1721:
	s_andn2_b64 vcc, exec, s[0:1]
	s_cbranch_vccnz .LBB222_1723
; %bb.1722:
	v_cvt_f32_i32_sdwa v5, sext(v7) dst_sel:DWORD dst_unused:UNUSED_PAD src0_sel:WORD_0
	global_store_dword v[3:4], v5, off
.LBB222_1723:
	s_mov_b64 s[0:1], 0
.LBB222_1724:
	s_andn2_b64 vcc, exec, s[0:1]
	s_cbranch_vccnz .LBB222_1726
; %bb.1725:
	v_cvt_f16_i16_e32 v5, v7
	global_store_short v[3:4], v5, off
.LBB222_1726:
	s_mov_b64 s[0:1], 0
.LBB222_1727:
	s_andn2_b64 vcc, exec, s[0:1]
	s_cbranch_vccnz .LBB222_1743
; %bb.1728:
	s_cmp_lt_i32 s2, 2
	s_mov_b64 s[0:1], -1
	s_cbranch_scc1 .LBB222_1738
; %bb.1729:
	s_cmp_lt_i32 s2, 3
	s_cbranch_scc1 .LBB222_1735
; %bb.1730:
	s_cmp_gt_i32 s2, 3
	v_bfe_i32 v5, v7, 0, 16
	s_cbranch_scc0 .LBB222_1732
; %bb.1731:
	v_ashrrev_i32_e32 v6, 31, v5
	global_store_dwordx2 v[3:4], v[5:6], off
	s_mov_b64 s[0:1], 0
.LBB222_1732:
	s_andn2_b64 vcc, exec, s[0:1]
	s_cbranch_vccnz .LBB222_1734
; %bb.1733:
	global_store_dword v[3:4], v5, off
.LBB222_1734:
	s_mov_b64 s[0:1], 0
.LBB222_1735:
	s_andn2_b64 vcc, exec, s[0:1]
	s_cbranch_vccnz .LBB222_1737
; %bb.1736:
	global_store_short v[3:4], v7, off
.LBB222_1737:
	s_mov_b64 s[0:1], 0
.LBB222_1738:
	s_andn2_b64 vcc, exec, s[0:1]
	s_cbranch_vccnz .LBB222_1743
; %bb.1739:
	s_cmp_gt_i32 s2, 0
	s_mov_b64 s[0:1], -1
	s_cbranch_scc0 .LBB222_1741
; %bb.1740:
	global_store_byte v[3:4], v7, off
	s_mov_b64 s[0:1], 0
.LBB222_1741:
	s_andn2_b64 vcc, exec, s[0:1]
	s_cbranch_vccnz .LBB222_1743
; %bb.1742:
	global_store_byte v[3:4], v7, off
.LBB222_1743:
	s_mov_b64 s[10:11], -1
.LBB222_1744:
	s_andn2_b64 vcc, exec, s[10:11]
	s_cbranch_vccnz .LBB222_1940
; %bb.1745:
	v_ashrrev_i32_sdwa v3, v2, s21 dst_sel:DWORD dst_unused:UNUSED_PAD src0_sel:WORD_0 src1_sel:DWORD
	v_mov_b32_e32 v4, s22
	v_cmp_lt_u16_e32 vcc, 14, v2
	v_add_u32_e32 v5, s18, v1
	v_cndmask_b32_e32 v6, v3, v4, vcc
	v_ashrrev_i32_e32 v2, 31, v5
	v_mov_b32_e32 v3, s9
	v_add_co_u32_e32 v1, vcc, s8, v5
	s_cmp_lt_i32 s20, 11
	v_addc_co_u32_e32 v2, vcc, v3, v2, vcc
	s_cbranch_scc1 .LBB222_1823
; %bb.1746:
	s_and_b32 s19, 0xffff, s20
	s_mov_b64 s[12:13], -1
	s_mov_b64 s[2:3], 0
	s_cmp_gt_i32 s19, 25
	s_mov_b64 s[10:11], 0
	s_mov_b64 s[0:1], 0
	s_cbranch_scc0 .LBB222_1779
; %bb.1747:
	s_cmp_gt_i32 s19, 28
	s_cbranch_scc0 .LBB222_1762
; %bb.1748:
	s_cmp_gt_i32 s19, 43
	;; [unrolled: 3-line block ×3, first 2 shown]
	s_cbranch_scc0 .LBB222_1752
; %bb.1750:
	s_mov_b64 s[0:1], -1
	s_mov_b64 s[12:13], 0
	s_cmp_eq_u32 s19, 46
	s_cbranch_scc0 .LBB222_1752
; %bb.1751:
	v_cvt_f32_i32_sdwa v3, sext(v6) dst_sel:DWORD dst_unused:UNUSED_PAD src0_sel:WORD_0
	s_movk_i32 s10, 0x7fff
	s_mov_b64 s[0:1], 0
	v_bfe_u32 v4, v3, 16, 1
	v_add3_u32 v3, v3, v4, s10
	v_lshrrev_b32_e32 v3, 16, v3
	global_store_dword v[1:2], v3, off
	s_mov_b64 s[10:11], -1
.LBB222_1752:
	s_and_b64 vcc, exec, s[12:13]
	s_cbranch_vccz .LBB222_1757
; %bb.1753:
	s_cmp_eq_u32 s19, 44
	s_mov_b64 s[0:1], -1
	s_cbranch_scc0 .LBB222_1757
; %bb.1754:
	v_cvt_f32_i32_sdwa v3, sext(v6) dst_sel:DWORD dst_unused:UNUSED_PAD src0_sel:WORD_0
	s_movk_i32 s0, 0xff
	v_mov_b32_e32 v7, 0xff
	v_bfe_u32 v4, v3, 23, 8
	v_cmp_ne_u32_e32 vcc, s0, v4
	s_and_saveexec_b64 s[10:11], vcc
; %bb.1755:
	s_mov_b32 s0, 0x3fffff
	v_lshrrev_b32_e32 v7, 23, v3
	v_and_b32_e32 v8, 0x400000, v3
	v_and_or_b32 v3, v3, s0, v4
	v_cmp_ne_u32_e32 vcc, 0, v8
	v_cmp_ne_u32_e64 s[0:1], 0, v3
	s_and_b64 s[0:1], vcc, s[0:1]
	v_cndmask_b32_e64 v3, 0, 1, s[0:1]
	v_add_u32_e32 v7, v7, v3
; %bb.1756:
	s_or_b64 exec, exec, s[10:11]
	s_mov_b64 s[0:1], 0
	s_mov_b64 s[10:11], -1
	global_store_byte v[1:2], v7, off
.LBB222_1757:
	s_mov_b64 s[12:13], 0
.LBB222_1758:
	s_and_b64 vcc, exec, s[12:13]
	s_cbranch_vccz .LBB222_1761
; %bb.1759:
	s_cmp_eq_u32 s19, 29
	s_mov_b64 s[0:1], -1
	s_cbranch_scc0 .LBB222_1761
; %bb.1760:
	v_bfe_i32 v3, v6, 0, 16
	v_ashrrev_i32_e32 v4, 31, v3
	global_store_dwordx2 v[1:2], v[3:4], off
	s_mov_b64 s[0:1], 0
	s_mov_b64 s[10:11], -1
.LBB222_1761:
	s_mov_b64 s[12:13], 0
.LBB222_1762:
	s_and_b64 vcc, exec, s[12:13]
	s_cbranch_vccz .LBB222_1778
; %bb.1763:
	s_cmp_lt_i32 s19, 27
	s_mov_b64 s[10:11], -1
	s_cbranch_scc1 .LBB222_1769
; %bb.1764:
	s_cmp_gt_i32 s19, 27
	s_cbranch_scc0 .LBB222_1766
; %bb.1765:
	v_bfe_i32 v3, v6, 0, 16
	s_mov_b64 s[10:11], 0
	global_store_dword v[1:2], v3, off
.LBB222_1766:
	s_andn2_b64 vcc, exec, s[10:11]
	s_cbranch_vccnz .LBB222_1768
; %bb.1767:
	global_store_short v[1:2], v6, off
.LBB222_1768:
	s_mov_b64 s[10:11], 0
.LBB222_1769:
	s_andn2_b64 vcc, exec, s[10:11]
	s_cbranch_vccnz .LBB222_1777
; %bb.1770:
	v_cvt_f32_i32_sdwa v3, sext(v6) dst_sel:DWORD dst_unused:UNUSED_PAD src0_sel:WORD_0
	s_mov_b32 s10, 0x43800000
	v_mov_b32_e32 v7, 0x80
	v_and_b32_e32 v4, 0x7fffffff, v3
	v_cmp_gt_u32_e32 vcc, s10, v4
	s_and_saveexec_b64 s[10:11], vcc
	s_cbranch_execz .LBB222_1776
; %bb.1771:
	s_mov_b32 s12, 0x3bffffff
	v_cmp_lt_u32_e32 vcc, s12, v4
	s_mov_b64 s[12:13], 0
                                        ; implicit-def: $vgpr4
	s_and_saveexec_b64 s[14:15], vcc
	s_xor_b64 s[14:15], exec, s[14:15]
	s_cbranch_execz .LBB222_1997
; %bb.1772:
	v_bfe_u32 v4, v3, 20, 1
	s_mov_b32 s23, 0x487ffff
	v_add3_u32 v4, v3, v4, s23
	s_mov_b64 s[12:13], exec
	v_lshrrev_b32_e32 v4, 20, v4
	s_andn2_saveexec_b64 s[14:15], s[14:15]
	s_cbranch_execnz .LBB222_1998
.LBB222_1773:
	s_or_b64 exec, exec, s[14:15]
	v_mov_b32_e32 v7, 0
	s_and_saveexec_b64 s[14:15], s[12:13]
.LBB222_1774:
	v_lshrrev_b32_e32 v3, 24, v3
	s_movk_i32 s12, 0x80
	v_and_or_b32 v7, v3, s12, v4
.LBB222_1775:
	s_or_b64 exec, exec, s[14:15]
.LBB222_1776:
	s_or_b64 exec, exec, s[10:11]
	global_store_byte v[1:2], v7, off
.LBB222_1777:
	s_mov_b64 s[10:11], -1
.LBB222_1778:
	s_mov_b64 s[12:13], 0
.LBB222_1779:
	s_and_b64 vcc, exec, s[12:13]
	s_cbranch_vccz .LBB222_1819
; %bb.1780:
	s_cmp_gt_i32 s19, 22
	s_mov_b64 s[2:3], -1
	s_cbranch_scc0 .LBB222_1812
; %bb.1781:
	s_cmp_lt_i32 s19, 24
	s_cbranch_scc1 .LBB222_1801
; %bb.1782:
	s_cmp_gt_i32 s19, 24
	s_cbranch_scc0 .LBB222_1790
; %bb.1783:
	v_cvt_f32_i32_sdwa v3, sext(v6) dst_sel:DWORD dst_unused:UNUSED_PAD src0_sel:WORD_0
	s_mov_b32 s2, 0x47800000
	v_mov_b32_e32 v7, 0x80
	v_and_b32_e32 v4, 0x7fffffff, v3
	v_cmp_gt_u32_e32 vcc, s2, v4
	s_and_saveexec_b64 s[2:3], vcc
	s_cbranch_execz .LBB222_1789
; %bb.1784:
	s_mov_b32 s10, 0x37ffffff
	v_cmp_lt_u32_e32 vcc, s10, v4
	s_mov_b64 s[10:11], 0
                                        ; implicit-def: $vgpr4
	s_and_saveexec_b64 s[12:13], vcc
	s_xor_b64 s[12:13], exec, s[12:13]
	s_cbranch_execz .LBB222_2000
; %bb.1785:
	v_bfe_u32 v4, v3, 21, 1
	s_mov_b32 s14, 0x88fffff
	v_add3_u32 v4, v3, v4, s14
	s_mov_b64 s[10:11], exec
	v_lshrrev_b32_e32 v4, 21, v4
	s_andn2_saveexec_b64 s[12:13], s[12:13]
	s_cbranch_execnz .LBB222_2001
.LBB222_1786:
	s_or_b64 exec, exec, s[12:13]
	v_mov_b32_e32 v7, 0
	s_and_saveexec_b64 s[12:13], s[10:11]
.LBB222_1787:
	v_lshrrev_b32_e32 v3, 24, v3
	s_movk_i32 s10, 0x80
	v_and_or_b32 v7, v3, s10, v4
.LBB222_1788:
	s_or_b64 exec, exec, s[12:13]
.LBB222_1789:
	s_or_b64 exec, exec, s[2:3]
	s_mov_b64 s[2:3], 0
	global_store_byte v[1:2], v7, off
.LBB222_1790:
	s_and_b64 vcc, exec, s[2:3]
	s_cbranch_vccz .LBB222_1800
; %bb.1791:
	v_cvt_f32_i32_sdwa v3, sext(v6) dst_sel:DWORD dst_unused:UNUSED_PAD src0_sel:WORD_0
	s_mov_b32 s2, 0x43f00000
                                        ; implicit-def: $vgpr4
	v_and_b32_e32 v7, 0x7fffffff, v3
	v_cmp_gt_u32_e32 vcc, s2, v7
	s_and_saveexec_b64 s[2:3], vcc
	s_xor_b64 s[2:3], exec, s[2:3]
	s_cbranch_execz .LBB222_1797
; %bb.1792:
	s_mov_b32 s10, 0x3c7fffff
	v_cmp_lt_u32_e32 vcc, s10, v7
                                        ; implicit-def: $vgpr4
	s_and_saveexec_b64 s[10:11], vcc
	s_xor_b64 s[10:11], exec, s[10:11]
; %bb.1793:
	v_bfe_u32 v4, v3, 20, 1
	s_mov_b32 s12, 0x407ffff
	v_add3_u32 v4, v3, v4, s12
	v_lshrrev_b32_e32 v7, 20, v4
	v_and_b32_e32 v4, 0xff00000, v4
	s_mov_b32 s12, 0x7f00000
	v_mov_b32_e32 v8, 0x7e
	v_cmp_ne_u32_e32 vcc, s12, v4
	v_cndmask_b32_e32 v4, v8, v7, vcc
; %bb.1794:
	s_andn2_saveexec_b64 s[10:11], s[10:11]
; %bb.1795:
	s_mov_b32 s12, 0x46800000
	v_add_f32_e64 v4, |v3|, s12
; %bb.1796:
	s_or_b64 exec, exec, s[10:11]
                                        ; implicit-def: $vgpr7
.LBB222_1797:
	s_andn2_saveexec_b64 s[2:3], s[2:3]
; %bb.1798:
	s_mov_b32 s10, 0x7f800000
	v_mov_b32_e32 v4, 0x7e
	v_mov_b32_e32 v8, 0x7f
	v_cmp_lt_u32_e32 vcc, s10, v7
	v_cndmask_b32_e32 v4, v4, v8, vcc
; %bb.1799:
	s_or_b64 exec, exec, s[2:3]
	v_lshrrev_b32_e32 v3, 24, v3
	s_movk_i32 s2, 0x80
	v_and_or_b32 v3, v3, s2, v4
	global_store_byte v[1:2], v3, off
.LBB222_1800:
	s_mov_b64 s[2:3], 0
.LBB222_1801:
	s_andn2_b64 vcc, exec, s[2:3]
	s_cbranch_vccnz .LBB222_1811
; %bb.1802:
	v_cvt_f32_i32_sdwa v3, sext(v6) dst_sel:DWORD dst_unused:UNUSED_PAD src0_sel:WORD_0
	s_mov_b32 s2, 0x47800000
                                        ; implicit-def: $vgpr4
	v_and_b32_e32 v7, 0x7fffffff, v3
	v_cmp_gt_u32_e32 vcc, s2, v7
	s_and_saveexec_b64 s[2:3], vcc
	s_xor_b64 s[2:3], exec, s[2:3]
	s_cbranch_execz .LBB222_1808
; %bb.1803:
	s_mov_b32 s10, 0x387fffff
	v_cmp_lt_u32_e32 vcc, s10, v7
                                        ; implicit-def: $vgpr4
	s_and_saveexec_b64 s[10:11], vcc
	s_xor_b64 s[10:11], exec, s[10:11]
; %bb.1804:
	v_bfe_u32 v4, v3, 21, 1
	s_mov_b32 s12, 0x80fffff
	v_add3_u32 v4, v3, v4, s12
	v_lshrrev_b32_e32 v4, 21, v4
; %bb.1805:
	s_andn2_saveexec_b64 s[10:11], s[10:11]
; %bb.1806:
	s_mov_b32 s12, 0x43000000
	v_add_f32_e64 v4, |v3|, s12
; %bb.1807:
	s_or_b64 exec, exec, s[10:11]
                                        ; implicit-def: $vgpr7
.LBB222_1808:
	s_andn2_saveexec_b64 s[2:3], s[2:3]
; %bb.1809:
	s_mov_b32 s10, 0x7f800000
	v_mov_b32_e32 v4, 0x7c
	v_mov_b32_e32 v8, 0x7f
	v_cmp_lt_u32_e32 vcc, s10, v7
	v_cndmask_b32_e32 v4, v4, v8, vcc
; %bb.1810:
	s_or_b64 exec, exec, s[2:3]
	v_lshrrev_b32_e32 v3, 24, v3
	s_movk_i32 s2, 0x80
	v_and_or_b32 v3, v3, s2, v4
	global_store_byte v[1:2], v3, off
.LBB222_1811:
	s_mov_b64 s[2:3], 0
	s_mov_b64 s[10:11], -1
.LBB222_1812:
	s_andn2_b64 vcc, exec, s[2:3]
	s_mov_b64 s[2:3], 0
	s_cbranch_vccnz .LBB222_1819
; %bb.1813:
	s_cmp_gt_i32 s19, 14
	s_mov_b64 s[12:13], -1
	s_cbranch_scc0 .LBB222_1817
; %bb.1814:
	s_cmp_eq_u32 s19, 15
	s_mov_b64 s[0:1], -1
	s_cbranch_scc0 .LBB222_1816
; %bb.1815:
	v_cvt_f32_i32_sdwa v3, sext(v6) dst_sel:DWORD dst_unused:UNUSED_PAD src0_sel:WORD_0
	s_movk_i32 s2, 0x7fff
	s_mov_b64 s[0:1], 0
	s_mov_b64 s[10:11], -1
	v_bfe_u32 v4, v3, 16, 1
	v_add3_u32 v3, v3, v4, s2
	global_store_short_d16_hi v[1:2], v3, off
.LBB222_1816:
	s_mov_b64 s[12:13], 0
.LBB222_1817:
	s_mov_b64 s[2:3], 0
	s_and_b64 vcc, exec, s[12:13]
	s_cbranch_vccz .LBB222_1819
; %bb.1818:
	s_cmp_lg_u32 s19, 11
	s_mov_b64 s[2:3], -1
	s_cselect_b64 s[0:1], -1, 0
.LBB222_1819:
	s_and_b64 vcc, exec, s[0:1]
	s_cbranch_vccnz .LBB222_1999
; %bb.1820:
	s_andn2_b64 vcc, exec, s[2:3]
	s_cbranch_vccnz .LBB222_1822
.LBB222_1821:
	v_cmp_ne_u16_e32 vcc, 0, v6
	v_cndmask_b32_e64 v3, 0, 1, vcc
	s_mov_b64 s[10:11], -1
	global_store_byte v[1:2], v3, off
.LBB222_1822:
	s_mov_b64 s[0:1], 0
	s_branch .LBB222_1824
.LBB222_1823:
	s_mov_b64 s[0:1], -1
	s_mov_b64 s[10:11], 0
.LBB222_1824:
	s_and_b64 vcc, exec, s[0:1]
	s_cbranch_vccz .LBB222_1863
; %bb.1825:
	s_and_b32 s2, 0xffff, s20
	s_cmp_lt_i32 s2, 5
	s_mov_b64 s[0:1], -1
	s_cbranch_scc1 .LBB222_1846
; %bb.1826:
	s_cmp_lt_i32 s2, 8
	s_cbranch_scc1 .LBB222_1836
; %bb.1827:
	s_cmp_lt_i32 s2, 9
	s_cbranch_scc1 .LBB222_1833
; %bb.1828:
	s_cmp_gt_i32 s2, 9
	s_cbranch_scc0 .LBB222_1830
; %bb.1829:
	v_bfe_i32 v3, v6, 0, 16
	v_cvt_f64_i32_e32 v[7:8], v3
	v_mov_b32_e32 v9, 0
	v_mov_b32_e32 v10, v9
	s_mov_b64 s[0:1], 0
	global_store_dwordx4 v[1:2], v[7:10], off
.LBB222_1830:
	s_andn2_b64 vcc, exec, s[0:1]
	s_cbranch_vccnz .LBB222_1832
; %bb.1831:
	v_cvt_f32_i32_sdwa v3, sext(v6) dst_sel:DWORD dst_unused:UNUSED_PAD src0_sel:WORD_0
	v_mov_b32_e32 v4, 0
	global_store_dwordx2 v[1:2], v[3:4], off
.LBB222_1832:
	s_mov_b64 s[0:1], 0
.LBB222_1833:
	s_andn2_b64 vcc, exec, s[0:1]
	s_cbranch_vccnz .LBB222_1835
; %bb.1834:
	v_cvt_f16_i16_e32 v3, v6
	global_store_dword v[1:2], v3, off
.LBB222_1835:
	s_mov_b64 s[0:1], 0
.LBB222_1836:
	s_andn2_b64 vcc, exec, s[0:1]
	s_cbranch_vccnz .LBB222_1845
; %bb.1837:
	s_cmp_lt_i32 s2, 6
	s_mov_b64 s[0:1], -1
	s_cbranch_scc1 .LBB222_1843
; %bb.1838:
	s_cmp_gt_i32 s2, 6
	s_cbranch_scc0 .LBB222_1840
; %bb.1839:
	v_bfe_i32 v3, v6, 0, 16
	v_cvt_f64_i32_e32 v[3:4], v3
	s_mov_b64 s[0:1], 0
	global_store_dwordx2 v[1:2], v[3:4], off
.LBB222_1840:
	s_andn2_b64 vcc, exec, s[0:1]
	s_cbranch_vccnz .LBB222_1842
; %bb.1841:
	v_cvt_f32_i32_sdwa v3, sext(v6) dst_sel:DWORD dst_unused:UNUSED_PAD src0_sel:WORD_0
	global_store_dword v[1:2], v3, off
.LBB222_1842:
	s_mov_b64 s[0:1], 0
.LBB222_1843:
	s_andn2_b64 vcc, exec, s[0:1]
	s_cbranch_vccnz .LBB222_1845
; %bb.1844:
	v_cvt_f16_i16_e32 v3, v6
	global_store_short v[1:2], v3, off
.LBB222_1845:
	s_mov_b64 s[0:1], 0
.LBB222_1846:
	s_andn2_b64 vcc, exec, s[0:1]
	s_cbranch_vccnz .LBB222_1862
; %bb.1847:
	s_cmp_lt_i32 s2, 2
	s_mov_b64 s[0:1], -1
	s_cbranch_scc1 .LBB222_1857
; %bb.1848:
	s_cmp_lt_i32 s2, 3
	s_cbranch_scc1 .LBB222_1854
; %bb.1849:
	s_cmp_gt_i32 s2, 3
	v_bfe_i32 v3, v6, 0, 16
	s_cbranch_scc0 .LBB222_1851
; %bb.1850:
	v_ashrrev_i32_e32 v4, 31, v3
	global_store_dwordx2 v[1:2], v[3:4], off
	s_mov_b64 s[0:1], 0
.LBB222_1851:
	s_andn2_b64 vcc, exec, s[0:1]
	s_cbranch_vccnz .LBB222_1853
; %bb.1852:
	global_store_dword v[1:2], v3, off
.LBB222_1853:
	s_mov_b64 s[0:1], 0
.LBB222_1854:
	s_andn2_b64 vcc, exec, s[0:1]
	s_cbranch_vccnz .LBB222_1856
; %bb.1855:
	global_store_short v[1:2], v6, off
.LBB222_1856:
	s_mov_b64 s[0:1], 0
.LBB222_1857:
	s_andn2_b64 vcc, exec, s[0:1]
	s_cbranch_vccnz .LBB222_1862
; %bb.1858:
	s_cmp_gt_i32 s2, 0
	s_mov_b64 s[0:1], -1
	s_cbranch_scc0 .LBB222_1860
; %bb.1859:
	global_store_byte v[1:2], v6, off
	s_mov_b64 s[0:1], 0
.LBB222_1860:
	s_andn2_b64 vcc, exec, s[0:1]
	s_cbranch_vccnz .LBB222_1862
; %bb.1861:
	global_store_byte v[1:2], v6, off
.LBB222_1862:
	s_mov_b64 s[10:11], -1
.LBB222_1863:
	s_andn2_b64 vcc, exec, s[10:11]
	s_cbranch_vccnz .LBB222_1940
; %bb.1864:
	v_ashrrev_i32_sdwa v1, v0, s21 dst_sel:DWORD dst_unused:UNUSED_PAD src0_sel:WORD_0 src1_sel:DWORD
	v_mov_b32_e32 v2, s22
	v_cmp_lt_u16_e32 vcc, 14, v0
	v_add_u32_e32 v0, s18, v5
	v_cndmask_b32_e32 v4, v1, v2, vcc
	v_ashrrev_i32_e32 v1, 31, v0
	v_mov_b32_e32 v2, s9
	v_add_co_u32_e32 v0, vcc, s8, v0
	s_cmp_lt_i32 s20, 11
	v_addc_co_u32_e32 v1, vcc, v2, v1, vcc
	s_cbranch_scc1 .LBB222_1985
; %bb.1865:
	s_and_b32 s14, 0xffff, s20
	s_mov_b64 s[8:9], -1
	s_mov_b64 s[2:3], 0
	s_cmp_gt_i32 s14, 25
	s_mov_b64 s[0:1], 0
	s_cbranch_scc0 .LBB222_1898
; %bb.1866:
	s_cmp_gt_i32 s14, 28
	s_cbranch_scc0 .LBB222_1882
; %bb.1867:
	s_cmp_gt_i32 s14, 43
	;; [unrolled: 3-line block ×3, first 2 shown]
	s_cbranch_scc0 .LBB222_1872
; %bb.1869:
	s_cmp_eq_u32 s14, 46
	s_mov_b64 s[0:1], -1
	s_cbranch_scc0 .LBB222_1871
; %bb.1870:
	v_cvt_f32_i32_sdwa v2, sext(v4) dst_sel:DWORD dst_unused:UNUSED_PAD src0_sel:WORD_0
	s_movk_i32 s0, 0x7fff
	v_bfe_u32 v3, v2, 16, 1
	v_add3_u32 v2, v2, v3, s0
	v_lshrrev_b32_e32 v2, 16, v2
	global_store_dword v[0:1], v2, off
	s_mov_b64 s[0:1], 0
.LBB222_1871:
	s_mov_b64 s[8:9], 0
.LBB222_1872:
	s_and_b64 vcc, exec, s[8:9]
	s_cbranch_vccz .LBB222_1877
; %bb.1873:
	s_cmp_eq_u32 s14, 44
	s_mov_b64 s[0:1], -1
	s_cbranch_scc0 .LBB222_1877
; %bb.1874:
	v_cvt_f32_i32_sdwa v2, sext(v4) dst_sel:DWORD dst_unused:UNUSED_PAD src0_sel:WORD_0
	s_movk_i32 s0, 0xff
	v_mov_b32_e32 v5, 0xff
	v_bfe_u32 v3, v2, 23, 8
	v_cmp_ne_u32_e32 vcc, s0, v3
	s_and_saveexec_b64 s[8:9], vcc
; %bb.1875:
	s_mov_b32 s0, 0x3fffff
	v_lshrrev_b32_e32 v5, 23, v2
	v_and_b32_e32 v6, 0x400000, v2
	v_and_or_b32 v2, v2, s0, v3
	v_cmp_ne_u32_e32 vcc, 0, v6
	v_cmp_ne_u32_e64 s[0:1], 0, v2
	s_and_b64 s[0:1], vcc, s[0:1]
	v_cndmask_b32_e64 v2, 0, 1, s[0:1]
	v_add_u32_e32 v5, v5, v2
; %bb.1876:
	s_or_b64 exec, exec, s[8:9]
	s_mov_b64 s[0:1], 0
	global_store_byte v[0:1], v5, off
.LBB222_1877:
	s_mov_b64 s[8:9], 0
.LBB222_1878:
	s_and_b64 vcc, exec, s[8:9]
	s_cbranch_vccz .LBB222_1881
; %bb.1879:
	s_cmp_eq_u32 s14, 29
	s_mov_b64 s[0:1], -1
	s_cbranch_scc0 .LBB222_1881
; %bb.1880:
	v_bfe_i32 v2, v4, 0, 16
	v_ashrrev_i32_e32 v3, 31, v2
	global_store_dwordx2 v[0:1], v[2:3], off
	s_mov_b64 s[0:1], 0
.LBB222_1881:
	s_mov_b64 s[8:9], 0
.LBB222_1882:
	s_and_b64 vcc, exec, s[8:9]
	s_cbranch_vccz .LBB222_1897
; %bb.1883:
	s_cmp_lt_i32 s14, 27
	s_mov_b64 s[8:9], -1
	s_cbranch_scc1 .LBB222_1889
; %bb.1884:
	s_cmp_gt_i32 s14, 27
	s_cbranch_scc0 .LBB222_1886
; %bb.1885:
	v_bfe_i32 v2, v4, 0, 16
	global_store_dword v[0:1], v2, off
	s_mov_b64 s[8:9], 0
.LBB222_1886:
	s_andn2_b64 vcc, exec, s[8:9]
	s_cbranch_vccnz .LBB222_1888
; %bb.1887:
	global_store_short v[0:1], v4, off
.LBB222_1888:
	s_mov_b64 s[8:9], 0
.LBB222_1889:
	s_andn2_b64 vcc, exec, s[8:9]
	s_cbranch_vccnz .LBB222_1897
; %bb.1890:
	v_cvt_f32_i32_sdwa v2, sext(v4) dst_sel:DWORD dst_unused:UNUSED_PAD src0_sel:WORD_0
	s_mov_b32 s8, 0x43800000
	v_mov_b32_e32 v5, 0x80
	v_and_b32_e32 v3, 0x7fffffff, v2
	v_cmp_gt_u32_e32 vcc, s8, v3
	s_and_saveexec_b64 s[8:9], vcc
	s_cbranch_execz .LBB222_1896
; %bb.1891:
	s_mov_b32 s10, 0x3bffffff
	v_cmp_lt_u32_e32 vcc, s10, v3
	s_mov_b64 s[10:11], 0
                                        ; implicit-def: $vgpr3
	s_and_saveexec_b64 s[12:13], vcc
	s_xor_b64 s[12:13], exec, s[12:13]
	s_cbranch_execz .LBB222_2002
; %bb.1892:
	v_bfe_u32 v3, v2, 20, 1
	s_mov_b32 s15, 0x487ffff
	v_add3_u32 v3, v2, v3, s15
	s_mov_b64 s[10:11], exec
	v_lshrrev_b32_e32 v3, 20, v3
	s_andn2_saveexec_b64 s[12:13], s[12:13]
	s_cbranch_execnz .LBB222_2003
.LBB222_1893:
	s_or_b64 exec, exec, s[12:13]
	v_mov_b32_e32 v5, 0
	s_and_saveexec_b64 s[12:13], s[10:11]
.LBB222_1894:
	v_lshrrev_b32_e32 v2, 24, v2
	s_movk_i32 s10, 0x80
	v_and_or_b32 v5, v2, s10, v3
.LBB222_1895:
	s_or_b64 exec, exec, s[12:13]
.LBB222_1896:
	s_or_b64 exec, exec, s[8:9]
	global_store_byte v[0:1], v5, off
.LBB222_1897:
	s_mov_b64 s[8:9], 0
.LBB222_1898:
	s_and_b64 vcc, exec, s[8:9]
	s_cbranch_vccz .LBB222_1938
; %bb.1899:
	s_cmp_gt_i32 s14, 22
	s_mov_b64 s[2:3], -1
	s_cbranch_scc0 .LBB222_1931
; %bb.1900:
	s_cmp_lt_i32 s14, 24
	s_cbranch_scc1 .LBB222_1920
; %bb.1901:
	s_cmp_gt_i32 s14, 24
	s_cbranch_scc0 .LBB222_1909
; %bb.1902:
	v_cvt_f32_i32_sdwa v2, sext(v4) dst_sel:DWORD dst_unused:UNUSED_PAD src0_sel:WORD_0
	s_mov_b32 s2, 0x47800000
	v_mov_b32_e32 v5, 0x80
	v_and_b32_e32 v3, 0x7fffffff, v2
	v_cmp_gt_u32_e32 vcc, s2, v3
	s_and_saveexec_b64 s[2:3], vcc
	s_cbranch_execz .LBB222_1908
; %bb.1903:
	s_mov_b32 s8, 0x37ffffff
	v_cmp_lt_u32_e32 vcc, s8, v3
	s_mov_b64 s[8:9], 0
                                        ; implicit-def: $vgpr3
	s_and_saveexec_b64 s[10:11], vcc
	s_xor_b64 s[10:11], exec, s[10:11]
	s_cbranch_execz .LBB222_2005
; %bb.1904:
	v_bfe_u32 v3, v2, 21, 1
	s_mov_b32 s12, 0x88fffff
	v_add3_u32 v3, v2, v3, s12
	s_mov_b64 s[8:9], exec
	v_lshrrev_b32_e32 v3, 21, v3
	s_andn2_saveexec_b64 s[10:11], s[10:11]
	s_cbranch_execnz .LBB222_2006
.LBB222_1905:
	s_or_b64 exec, exec, s[10:11]
	v_mov_b32_e32 v5, 0
	s_and_saveexec_b64 s[10:11], s[8:9]
.LBB222_1906:
	v_lshrrev_b32_e32 v2, 24, v2
	s_movk_i32 s8, 0x80
	v_and_or_b32 v5, v2, s8, v3
.LBB222_1907:
	s_or_b64 exec, exec, s[10:11]
.LBB222_1908:
	s_or_b64 exec, exec, s[2:3]
	s_mov_b64 s[2:3], 0
	global_store_byte v[0:1], v5, off
.LBB222_1909:
	s_and_b64 vcc, exec, s[2:3]
	s_cbranch_vccz .LBB222_1919
; %bb.1910:
	v_cvt_f32_i32_sdwa v2, sext(v4) dst_sel:DWORD dst_unused:UNUSED_PAD src0_sel:WORD_0
	s_mov_b32 s2, 0x43f00000
                                        ; implicit-def: $vgpr3
	v_and_b32_e32 v5, 0x7fffffff, v2
	v_cmp_gt_u32_e32 vcc, s2, v5
	s_and_saveexec_b64 s[2:3], vcc
	s_xor_b64 s[2:3], exec, s[2:3]
	s_cbranch_execz .LBB222_1916
; %bb.1911:
	s_mov_b32 s8, 0x3c7fffff
	v_cmp_lt_u32_e32 vcc, s8, v5
                                        ; implicit-def: $vgpr3
	s_and_saveexec_b64 s[8:9], vcc
	s_xor_b64 s[8:9], exec, s[8:9]
; %bb.1912:
	v_bfe_u32 v3, v2, 20, 1
	s_mov_b32 s10, 0x407ffff
	v_add3_u32 v3, v2, v3, s10
	v_lshrrev_b32_e32 v5, 20, v3
	v_and_b32_e32 v3, 0xff00000, v3
	s_mov_b32 s10, 0x7f00000
	v_mov_b32_e32 v6, 0x7e
	v_cmp_ne_u32_e32 vcc, s10, v3
	v_cndmask_b32_e32 v3, v6, v5, vcc
; %bb.1913:
	s_andn2_saveexec_b64 s[8:9], s[8:9]
; %bb.1914:
	s_mov_b32 s10, 0x46800000
	v_add_f32_e64 v3, |v2|, s10
; %bb.1915:
	s_or_b64 exec, exec, s[8:9]
                                        ; implicit-def: $vgpr5
.LBB222_1916:
	s_andn2_saveexec_b64 s[2:3], s[2:3]
; %bb.1917:
	s_mov_b32 s8, 0x7f800000
	v_mov_b32_e32 v3, 0x7e
	v_mov_b32_e32 v6, 0x7f
	v_cmp_lt_u32_e32 vcc, s8, v5
	v_cndmask_b32_e32 v3, v3, v6, vcc
; %bb.1918:
	s_or_b64 exec, exec, s[2:3]
	v_lshrrev_b32_e32 v2, 24, v2
	s_movk_i32 s2, 0x80
	v_and_or_b32 v2, v2, s2, v3
	global_store_byte v[0:1], v2, off
.LBB222_1919:
	s_mov_b64 s[2:3], 0
.LBB222_1920:
	s_andn2_b64 vcc, exec, s[2:3]
	s_cbranch_vccnz .LBB222_1930
; %bb.1921:
	v_cvt_f32_i32_sdwa v2, sext(v4) dst_sel:DWORD dst_unused:UNUSED_PAD src0_sel:WORD_0
	s_mov_b32 s2, 0x47800000
                                        ; implicit-def: $vgpr3
	v_and_b32_e32 v5, 0x7fffffff, v2
	v_cmp_gt_u32_e32 vcc, s2, v5
	s_and_saveexec_b64 s[2:3], vcc
	s_xor_b64 s[2:3], exec, s[2:3]
	s_cbranch_execz .LBB222_1927
; %bb.1922:
	s_mov_b32 s8, 0x387fffff
	v_cmp_lt_u32_e32 vcc, s8, v5
                                        ; implicit-def: $vgpr3
	s_and_saveexec_b64 s[8:9], vcc
	s_xor_b64 s[8:9], exec, s[8:9]
; %bb.1923:
	v_bfe_u32 v3, v2, 21, 1
	s_mov_b32 s10, 0x80fffff
	v_add3_u32 v3, v2, v3, s10
	v_lshrrev_b32_e32 v3, 21, v3
; %bb.1924:
	s_andn2_saveexec_b64 s[8:9], s[8:9]
; %bb.1925:
	s_mov_b32 s10, 0x43000000
	v_add_f32_e64 v3, |v2|, s10
; %bb.1926:
	s_or_b64 exec, exec, s[8:9]
                                        ; implicit-def: $vgpr5
.LBB222_1927:
	s_andn2_saveexec_b64 s[2:3], s[2:3]
; %bb.1928:
	s_mov_b32 s8, 0x7f800000
	v_mov_b32_e32 v3, 0x7c
	v_mov_b32_e32 v6, 0x7f
	v_cmp_lt_u32_e32 vcc, s8, v5
	v_cndmask_b32_e32 v3, v3, v6, vcc
; %bb.1929:
	s_or_b64 exec, exec, s[2:3]
	v_lshrrev_b32_e32 v2, 24, v2
	s_movk_i32 s2, 0x80
	v_and_or_b32 v2, v2, s2, v3
	global_store_byte v[0:1], v2, off
.LBB222_1930:
	s_mov_b64 s[2:3], 0
.LBB222_1931:
	s_andn2_b64 vcc, exec, s[2:3]
	s_mov_b64 s[2:3], 0
	s_cbranch_vccnz .LBB222_1938
; %bb.1932:
	s_cmp_gt_i32 s14, 14
	s_mov_b64 s[8:9], -1
	s_cbranch_scc0 .LBB222_1936
; %bb.1933:
	s_cmp_eq_u32 s14, 15
	s_mov_b64 s[0:1], -1
	s_cbranch_scc0 .LBB222_1935
; %bb.1934:
	v_cvt_f32_i32_sdwa v2, sext(v4) dst_sel:DWORD dst_unused:UNUSED_PAD src0_sel:WORD_0
	s_movk_i32 s0, 0x7fff
	v_bfe_u32 v3, v2, 16, 1
	v_add3_u32 v2, v2, v3, s0
	global_store_short_d16_hi v[0:1], v2, off
	s_mov_b64 s[0:1], 0
.LBB222_1935:
	s_mov_b64 s[8:9], 0
.LBB222_1936:
	s_and_b64 vcc, exec, s[8:9]
	s_cbranch_vccz .LBB222_1938
; %bb.1937:
	s_cmp_lg_u32 s14, 11
	s_mov_b64 s[2:3], -1
	s_cselect_b64 s[0:1], -1, 0
.LBB222_1938:
	s_and_b64 vcc, exec, s[0:1]
	s_cbranch_vccnz .LBB222_2004
.LBB222_1939:
	s_mov_b64 s[0:1], 0
	s_branch .LBB222_1941
.LBB222_1940:
	s_mov_b64 s[0:1], 0
	s_mov_b64 s[2:3], 0
                                        ; implicit-def: $sgpr20
                                        ; implicit-def: $vgpr0_vgpr1
                                        ; implicit-def: $vgpr4
.LBB222_1941:
	s_andn2_b64 s[6:7], s[6:7], exec
	s_and_b64 s[8:9], s[16:17], exec
	s_and_b64 s[0:1], s[0:1], exec
	;; [unrolled: 1-line block ×3, first 2 shown]
	s_or_b64 s[6:7], s[6:7], s[8:9]
.LBB222_1942:
	s_or_b64 exec, exec, s[4:5]
	s_and_saveexec_b64 s[4:5], s[6:7]
	s_cbranch_execz .LBB222_1945
; %bb.1943:
	; divergent unreachable
	s_or_b64 exec, exec, s[4:5]
	s_and_saveexec_b64 s[4:5], s[2:3]
	s_xor_b64 s[2:3], exec, s[4:5]
	s_cbranch_execnz .LBB222_1946
.LBB222_1944:
	s_or_b64 exec, exec, s[2:3]
	s_and_saveexec_b64 s[2:3], s[0:1]
	s_cbranch_execnz .LBB222_1947
	s_branch .LBB222_1984
.LBB222_1945:
	s_or_b64 exec, exec, s[4:5]
	s_and_saveexec_b64 s[4:5], s[2:3]
	s_xor_b64 s[2:3], exec, s[4:5]
	s_cbranch_execz .LBB222_1944
.LBB222_1946:
	s_waitcnt vmcnt(0)
	v_cmp_ne_u16_e32 vcc, 0, v4
	v_cndmask_b32_e64 v2, 0, 1, vcc
	global_store_byte v[0:1], v2, off
	s_or_b64 exec, exec, s[2:3]
	s_and_saveexec_b64 s[2:3], s[0:1]
	s_cbranch_execz .LBB222_1984
.LBB222_1947:
	s_sext_i32_i16 s2, s20
	s_cmp_lt_i32 s2, 5
	s_mov_b64 s[0:1], -1
	s_cbranch_scc1 .LBB222_1968
; %bb.1948:
	s_cmp_lt_i32 s2, 8
	s_cbranch_scc1 .LBB222_1958
; %bb.1949:
	s_cmp_lt_i32 s2, 9
	s_cbranch_scc1 .LBB222_1955
; %bb.1950:
	s_cmp_gt_i32 s2, 9
	s_cbranch_scc0 .LBB222_1952
; %bb.1951:
	s_waitcnt vmcnt(0)
	v_bfe_i32 v2, v4, 0, 16
	v_cvt_f64_i32_e32 v[5:6], v2
	v_mov_b32_e32 v7, 0
	v_mov_b32_e32 v8, v7
	s_mov_b64 s[0:1], 0
	global_store_dwordx4 v[0:1], v[5:8], off
.LBB222_1952:
	s_andn2_b64 vcc, exec, s[0:1]
	s_cbranch_vccnz .LBB222_1954
; %bb.1953:
	s_waitcnt vmcnt(0)
	v_cvt_f32_i32_sdwa v2, sext(v4) dst_sel:DWORD dst_unused:UNUSED_PAD src0_sel:WORD_0
	v_mov_b32_e32 v3, 0
	global_store_dwordx2 v[0:1], v[2:3], off
.LBB222_1954:
	s_mov_b64 s[0:1], 0
.LBB222_1955:
	s_andn2_b64 vcc, exec, s[0:1]
	s_cbranch_vccnz .LBB222_1957
; %bb.1956:
	s_waitcnt vmcnt(0)
	v_cvt_f16_i16_e32 v2, v4
	global_store_dword v[0:1], v2, off
.LBB222_1957:
	s_mov_b64 s[0:1], 0
.LBB222_1958:
	s_andn2_b64 vcc, exec, s[0:1]
	s_cbranch_vccnz .LBB222_1967
; %bb.1959:
	s_sext_i32_i16 s2, s20
	s_cmp_lt_i32 s2, 6
	s_mov_b64 s[0:1], -1
	s_cbranch_scc1 .LBB222_1965
; %bb.1960:
	s_cmp_gt_i32 s2, 6
	s_cbranch_scc0 .LBB222_1962
; %bb.1961:
	s_waitcnt vmcnt(0)
	v_bfe_i32 v2, v4, 0, 16
	v_cvt_f64_i32_e32 v[2:3], v2
	s_mov_b64 s[0:1], 0
	global_store_dwordx2 v[0:1], v[2:3], off
.LBB222_1962:
	s_andn2_b64 vcc, exec, s[0:1]
	s_cbranch_vccnz .LBB222_1964
; %bb.1963:
	s_waitcnt vmcnt(0)
	v_cvt_f32_i32_sdwa v2, sext(v4) dst_sel:DWORD dst_unused:UNUSED_PAD src0_sel:WORD_0
	global_store_dword v[0:1], v2, off
.LBB222_1964:
	s_mov_b64 s[0:1], 0
.LBB222_1965:
	s_andn2_b64 vcc, exec, s[0:1]
	s_cbranch_vccnz .LBB222_1967
; %bb.1966:
	s_waitcnt vmcnt(0)
	v_cvt_f16_i16_e32 v2, v4
	global_store_short v[0:1], v2, off
.LBB222_1967:
	s_mov_b64 s[0:1], 0
.LBB222_1968:
	s_andn2_b64 vcc, exec, s[0:1]
	s_cbranch_vccnz .LBB222_1984
; %bb.1969:
	s_sext_i32_i16 s2, s20
	s_cmp_lt_i32 s2, 2
	s_mov_b64 s[0:1], -1
	s_cbranch_scc1 .LBB222_1979
; %bb.1970:
	s_cmp_lt_i32 s2, 3
	s_cbranch_scc1 .LBB222_1976
; %bb.1971:
	s_cmp_gt_i32 s2, 3
	s_waitcnt vmcnt(0)
	v_bfe_i32 v2, v4, 0, 16
	s_cbranch_scc0 .LBB222_1973
; %bb.1972:
	v_ashrrev_i32_e32 v3, 31, v2
	global_store_dwordx2 v[0:1], v[2:3], off
	s_mov_b64 s[0:1], 0
.LBB222_1973:
	s_andn2_b64 vcc, exec, s[0:1]
	s_cbranch_vccnz .LBB222_1975
; %bb.1974:
	global_store_dword v[0:1], v2, off
.LBB222_1975:
	s_mov_b64 s[0:1], 0
.LBB222_1976:
	s_andn2_b64 vcc, exec, s[0:1]
	s_cbranch_vccnz .LBB222_1978
; %bb.1977:
	s_waitcnt vmcnt(0)
	global_store_short v[0:1], v4, off
.LBB222_1978:
	s_mov_b64 s[0:1], 0
.LBB222_1979:
	s_andn2_b64 vcc, exec, s[0:1]
	s_cbranch_vccnz .LBB222_1984
; %bb.1980:
	s_sext_i32_i16 s0, s20
	s_cmp_gt_i32 s0, 0
	s_mov_b64 s[0:1], -1
	s_cbranch_scc0 .LBB222_1982
; %bb.1981:
	s_waitcnt vmcnt(0)
	global_store_byte v[0:1], v4, off
	s_mov_b64 s[0:1], 0
.LBB222_1982:
	s_andn2_b64 vcc, exec, s[0:1]
	s_cbranch_vccnz .LBB222_1984
; %bb.1983:
	s_waitcnt vmcnt(0)
	global_store_byte v[0:1], v4, off
	s_endpgm
.LBB222_1984:
	s_endpgm
.LBB222_1985:
	s_mov_b64 s[2:3], 0
	s_mov_b64 s[0:1], -1
	s_branch .LBB222_1941
.LBB222_1986:
	s_trap 2
	s_or_b64 s[16:17], s[16:17], exec
	s_cbranch_execz .LBB222_1455
	s_branch .LBB222_1456
.LBB222_1987:
	s_andn2_saveexec_b64 s[18:19], s[18:19]
	s_cbranch_execz .LBB222_1535
.LBB222_1988:
	s_mov_b32 s23, 0x46000000
	v_add_f32_e64 v8, |v7|, s23
	v_and_b32_e32 v8, 0xff, v8
	v_cmp_ne_u32_e32 vcc, 0, v8
	s_andn2_b64 s[14:15], s[14:15], exec
	s_and_b64 s[24:25], vcc, exec
	s_or_b64 s[14:15], s[14:15], s[24:25]
	s_or_b64 exec, exec, s[18:19]
	v_mov_b32_e32 v9, 0
	s_and_saveexec_b64 s[18:19], s[14:15]
	s_cbranch_execnz .LBB222_1536
	s_branch .LBB222_1537
.LBB222_1989:
	s_trap 2
	s_or_b64 s[16:17], s[16:17], exec
	s_cbranch_execz .LBB222_1583
	s_branch .LBB222_1584
.LBB222_1990:
	s_andn2_saveexec_b64 s[14:15], s[14:15]
	s_cbranch_execz .LBB222_1548
.LBB222_1991:
	s_mov_b32 s18, 0x42800000
	v_add_f32_e64 v8, |v7|, s18
	v_and_b32_e32 v8, 0xff, v8
	v_cmp_ne_u32_e32 vcc, 0, v8
	s_andn2_b64 s[10:11], s[10:11], exec
	s_and_b64 s[18:19], vcc, exec
	s_or_b64 s[10:11], s[10:11], s[18:19]
	s_or_b64 exec, exec, s[14:15]
	v_mov_b32_e32 v9, 0
	s_and_saveexec_b64 s[14:15], s[10:11]
	s_cbranch_execnz .LBB222_1549
	s_branch .LBB222_1550
.LBB222_1992:
	s_andn2_saveexec_b64 s[14:15], s[14:15]
	s_cbranch_execz .LBB222_1654
.LBB222_1993:
	s_mov_b32 s23, 0x46000000
	v_add_f32_e64 v6, |v5|, s23
	v_and_b32_e32 v6, 0xff, v6
	v_cmp_ne_u32_e32 vcc, 0, v6
	s_andn2_b64 s[12:13], s[12:13], exec
	s_and_b64 s[24:25], vcc, exec
	s_or_b64 s[12:13], s[12:13], s[24:25]
	s_or_b64 exec, exec, s[14:15]
	v_mov_b32_e32 v8, 0
	s_and_saveexec_b64 s[14:15], s[12:13]
	s_cbranch_execnz .LBB222_1655
	s_branch .LBB222_1656
.LBB222_1994:
	s_trap 2
	s_or_b64 s[16:17], s[16:17], exec
	s_cbranch_execz .LBB222_1702
	s_branch .LBB222_1703
.LBB222_1995:
	s_andn2_saveexec_b64 s[12:13], s[12:13]
	s_cbranch_execz .LBB222_1667
.LBB222_1996:
	s_mov_b32 s14, 0x42800000
	v_add_f32_e64 v6, |v5|, s14
	v_and_b32_e32 v6, 0xff, v6
	v_cmp_ne_u32_e32 vcc, 0, v6
	s_andn2_b64 s[10:11], s[10:11], exec
	s_and_b64 s[14:15], vcc, exec
	s_or_b64 s[10:11], s[10:11], s[14:15]
	s_or_b64 exec, exec, s[12:13]
	v_mov_b32_e32 v8, 0
	s_and_saveexec_b64 s[12:13], s[10:11]
	s_cbranch_execnz .LBB222_1668
	s_branch .LBB222_1669
.LBB222_1997:
	s_andn2_saveexec_b64 s[14:15], s[14:15]
	s_cbranch_execz .LBB222_1773
.LBB222_1998:
	s_mov_b32 s23, 0x46000000
	v_add_f32_e64 v4, |v3|, s23
	v_and_b32_e32 v4, 0xff, v4
	v_cmp_ne_u32_e32 vcc, 0, v4
	s_andn2_b64 s[12:13], s[12:13], exec
	s_and_b64 s[24:25], vcc, exec
	s_or_b64 s[12:13], s[12:13], s[24:25]
	s_or_b64 exec, exec, s[14:15]
	v_mov_b32_e32 v7, 0
	s_and_saveexec_b64 s[14:15], s[12:13]
	s_cbranch_execnz .LBB222_1774
	s_branch .LBB222_1775
.LBB222_1999:
	s_trap 2
	s_or_b64 s[16:17], s[16:17], exec
	s_cbranch_execz .LBB222_1821
	s_branch .LBB222_1822
.LBB222_2000:
	s_andn2_saveexec_b64 s[12:13], s[12:13]
	s_cbranch_execz .LBB222_1786
.LBB222_2001:
	s_mov_b32 s14, 0x42800000
	v_add_f32_e64 v4, |v3|, s14
	v_and_b32_e32 v4, 0xff, v4
	v_cmp_ne_u32_e32 vcc, 0, v4
	s_andn2_b64 s[10:11], s[10:11], exec
	s_and_b64 s[14:15], vcc, exec
	s_or_b64 s[10:11], s[10:11], s[14:15]
	s_or_b64 exec, exec, s[12:13]
	v_mov_b32_e32 v7, 0
	s_and_saveexec_b64 s[12:13], s[10:11]
	s_cbranch_execnz .LBB222_1787
	s_branch .LBB222_1788
.LBB222_2002:
	s_andn2_saveexec_b64 s[12:13], s[12:13]
	s_cbranch_execz .LBB222_1893
.LBB222_2003:
	s_mov_b32 s15, 0x46000000
	v_add_f32_e64 v3, |v2|, s15
	v_and_b32_e32 v3, 0xff, v3
	v_cmp_ne_u32_e32 vcc, 0, v3
	s_andn2_b64 s[10:11], s[10:11], exec
	s_and_b64 s[18:19], vcc, exec
	s_or_b64 s[10:11], s[10:11], s[18:19]
	s_or_b64 exec, exec, s[12:13]
	v_mov_b32_e32 v5, 0
	s_and_saveexec_b64 s[12:13], s[10:11]
	s_cbranch_execnz .LBB222_1894
	s_branch .LBB222_1895
.LBB222_2004:
	s_mov_b64 s[2:3], 0
	s_or_b64 s[16:17], s[16:17], exec
	s_trap 2
	s_branch .LBB222_1939
.LBB222_2005:
	s_andn2_saveexec_b64 s[10:11], s[10:11]
	s_cbranch_execz .LBB222_1905
.LBB222_2006:
	s_mov_b32 s12, 0x42800000
	v_add_f32_e64 v3, |v2|, s12
	v_and_b32_e32 v3, 0xff, v3
	v_cmp_ne_u32_e32 vcc, 0, v3
	s_andn2_b64 s[8:9], s[8:9], exec
	s_and_b64 s[12:13], vcc, exec
	s_or_b64 s[8:9], s[8:9], s[12:13]
	s_or_b64 exec, exec, s[10:11]
	v_mov_b32_e32 v5, 0
	s_and_saveexec_b64 s[10:11], s[8:9]
	s_cbranch_execnz .LBB222_1906
	s_branch .LBB222_1907
	.section	.rodata,"a",@progbits
	.p2align	6, 0x0
	.amdhsa_kernel _ZN2at6native32elementwise_kernel_manual_unrollILi128ELi4EZNS0_15gpu_kernel_implINS0_13AUnaryFunctorIsssZZZNS0_18rshift_kernel_cudaERNS_18TensorIteratorBaseEENKUlvE_clEvENKUlvE3_clEvEUlssE_EEEEvS5_RKT_EUlibE_EEviT1_
		.amdhsa_group_segment_fixed_size 0
		.amdhsa_private_segment_fixed_size 0
		.amdhsa_kernarg_size 40
		.amdhsa_user_sgpr_count 6
		.amdhsa_user_sgpr_private_segment_buffer 1
		.amdhsa_user_sgpr_dispatch_ptr 0
		.amdhsa_user_sgpr_queue_ptr 0
		.amdhsa_user_sgpr_kernarg_segment_ptr 1
		.amdhsa_user_sgpr_dispatch_id 0
		.amdhsa_user_sgpr_flat_scratch_init 0
		.amdhsa_user_sgpr_private_segment_size 0
		.amdhsa_uses_dynamic_stack 0
		.amdhsa_system_sgpr_private_segment_wavefront_offset 0
		.amdhsa_system_sgpr_workgroup_id_x 1
		.amdhsa_system_sgpr_workgroup_id_y 0
		.amdhsa_system_sgpr_workgroup_id_z 0
		.amdhsa_system_sgpr_workgroup_info 0
		.amdhsa_system_vgpr_workitem_id 0
		.amdhsa_next_free_vgpr 12
		.amdhsa_next_free_sgpr 48
		.amdhsa_reserve_vcc 1
		.amdhsa_reserve_flat_scratch 0
		.amdhsa_float_round_mode_32 0
		.amdhsa_float_round_mode_16_64 0
		.amdhsa_float_denorm_mode_32 3
		.amdhsa_float_denorm_mode_16_64 3
		.amdhsa_dx10_clamp 1
		.amdhsa_ieee_mode 1
		.amdhsa_fp16_overflow 0
		.amdhsa_exception_fp_ieee_invalid_op 0
		.amdhsa_exception_fp_denorm_src 0
		.amdhsa_exception_fp_ieee_div_zero 0
		.amdhsa_exception_fp_ieee_overflow 0
		.amdhsa_exception_fp_ieee_underflow 0
		.amdhsa_exception_fp_ieee_inexact 0
		.amdhsa_exception_int_div_zero 0
	.end_amdhsa_kernel
	.section	.text._ZN2at6native32elementwise_kernel_manual_unrollILi128ELi4EZNS0_15gpu_kernel_implINS0_13AUnaryFunctorIsssZZZNS0_18rshift_kernel_cudaERNS_18TensorIteratorBaseEENKUlvE_clEvENKUlvE3_clEvEUlssE_EEEEvS5_RKT_EUlibE_EEviT1_,"axG",@progbits,_ZN2at6native32elementwise_kernel_manual_unrollILi128ELi4EZNS0_15gpu_kernel_implINS0_13AUnaryFunctorIsssZZZNS0_18rshift_kernel_cudaERNS_18TensorIteratorBaseEENKUlvE_clEvENKUlvE3_clEvEUlssE_EEEEvS5_RKT_EUlibE_EEviT1_,comdat
.Lfunc_end222:
	.size	_ZN2at6native32elementwise_kernel_manual_unrollILi128ELi4EZNS0_15gpu_kernel_implINS0_13AUnaryFunctorIsssZZZNS0_18rshift_kernel_cudaERNS_18TensorIteratorBaseEENKUlvE_clEvENKUlvE3_clEvEUlssE_EEEEvS5_RKT_EUlibE_EEviT1_, .Lfunc_end222-_ZN2at6native32elementwise_kernel_manual_unrollILi128ELi4EZNS0_15gpu_kernel_implINS0_13AUnaryFunctorIsssZZZNS0_18rshift_kernel_cudaERNS_18TensorIteratorBaseEENKUlvE_clEvENKUlvE3_clEvEUlssE_EEEEvS5_RKT_EUlibE_EEviT1_
                                        ; -- End function
	.set _ZN2at6native32elementwise_kernel_manual_unrollILi128ELi4EZNS0_15gpu_kernel_implINS0_13AUnaryFunctorIsssZZZNS0_18rshift_kernel_cudaERNS_18TensorIteratorBaseEENKUlvE_clEvENKUlvE3_clEvEUlssE_EEEEvS5_RKT_EUlibE_EEviT1_.num_vgpr, 12
	.set _ZN2at6native32elementwise_kernel_manual_unrollILi128ELi4EZNS0_15gpu_kernel_implINS0_13AUnaryFunctorIsssZZZNS0_18rshift_kernel_cudaERNS_18TensorIteratorBaseEENKUlvE_clEvENKUlvE3_clEvEUlssE_EEEEvS5_RKT_EUlibE_EEviT1_.num_agpr, 0
	.set _ZN2at6native32elementwise_kernel_manual_unrollILi128ELi4EZNS0_15gpu_kernel_implINS0_13AUnaryFunctorIsssZZZNS0_18rshift_kernel_cudaERNS_18TensorIteratorBaseEENKUlvE_clEvENKUlvE3_clEvEUlssE_EEEEvS5_RKT_EUlibE_EEviT1_.numbered_sgpr, 48
	.set _ZN2at6native32elementwise_kernel_manual_unrollILi128ELi4EZNS0_15gpu_kernel_implINS0_13AUnaryFunctorIsssZZZNS0_18rshift_kernel_cudaERNS_18TensorIteratorBaseEENKUlvE_clEvENKUlvE3_clEvEUlssE_EEEEvS5_RKT_EUlibE_EEviT1_.num_named_barrier, 0
	.set _ZN2at6native32elementwise_kernel_manual_unrollILi128ELi4EZNS0_15gpu_kernel_implINS0_13AUnaryFunctorIsssZZZNS0_18rshift_kernel_cudaERNS_18TensorIteratorBaseEENKUlvE_clEvENKUlvE3_clEvEUlssE_EEEEvS5_RKT_EUlibE_EEviT1_.private_seg_size, 0
	.set _ZN2at6native32elementwise_kernel_manual_unrollILi128ELi4EZNS0_15gpu_kernel_implINS0_13AUnaryFunctorIsssZZZNS0_18rshift_kernel_cudaERNS_18TensorIteratorBaseEENKUlvE_clEvENKUlvE3_clEvEUlssE_EEEEvS5_RKT_EUlibE_EEviT1_.uses_vcc, 1
	.set _ZN2at6native32elementwise_kernel_manual_unrollILi128ELi4EZNS0_15gpu_kernel_implINS0_13AUnaryFunctorIsssZZZNS0_18rshift_kernel_cudaERNS_18TensorIteratorBaseEENKUlvE_clEvENKUlvE3_clEvEUlssE_EEEEvS5_RKT_EUlibE_EEviT1_.uses_flat_scratch, 0
	.set _ZN2at6native32elementwise_kernel_manual_unrollILi128ELi4EZNS0_15gpu_kernel_implINS0_13AUnaryFunctorIsssZZZNS0_18rshift_kernel_cudaERNS_18TensorIteratorBaseEENKUlvE_clEvENKUlvE3_clEvEUlssE_EEEEvS5_RKT_EUlibE_EEviT1_.has_dyn_sized_stack, 0
	.set _ZN2at6native32elementwise_kernel_manual_unrollILi128ELi4EZNS0_15gpu_kernel_implINS0_13AUnaryFunctorIsssZZZNS0_18rshift_kernel_cudaERNS_18TensorIteratorBaseEENKUlvE_clEvENKUlvE3_clEvEUlssE_EEEEvS5_RKT_EUlibE_EEviT1_.has_recursion, 0
	.set _ZN2at6native32elementwise_kernel_manual_unrollILi128ELi4EZNS0_15gpu_kernel_implINS0_13AUnaryFunctorIsssZZZNS0_18rshift_kernel_cudaERNS_18TensorIteratorBaseEENKUlvE_clEvENKUlvE3_clEvEUlssE_EEEEvS5_RKT_EUlibE_EEviT1_.has_indirect_call, 0
	.section	.AMDGPU.csdata,"",@progbits
; Kernel info:
; codeLenInByte = 29904
; TotalNumSgprs: 52
; NumVgprs: 12
; ScratchSize: 0
; MemoryBound: 1
; FloatMode: 240
; IeeeMode: 1
; LDSByteSize: 0 bytes/workgroup (compile time only)
; SGPRBlocks: 6
; VGPRBlocks: 2
; NumSGPRsForWavesPerEU: 52
; NumVGPRsForWavesPerEU: 12
; Occupancy: 10
; WaveLimiterHint : 0
; COMPUTE_PGM_RSRC2:SCRATCH_EN: 0
; COMPUTE_PGM_RSRC2:USER_SGPR: 6
; COMPUTE_PGM_RSRC2:TRAP_HANDLER: 0
; COMPUTE_PGM_RSRC2:TGID_X_EN: 1
; COMPUTE_PGM_RSRC2:TGID_Y_EN: 0
; COMPUTE_PGM_RSRC2:TGID_Z_EN: 0
; COMPUTE_PGM_RSRC2:TIDIG_COMP_CNT: 0
	.section	.text._ZN2at6native32elementwise_kernel_manual_unrollILi128ELi4EZNS0_15gpu_kernel_implINS0_13AUnaryFunctorIsssZZZNS0_18rshift_kernel_cudaERNS_18TensorIteratorBaseEENKUlvE_clEvENKUlvE3_clEvEUlssE_EEEEvS5_RKT_EUlibE0_EEviT1_,"axG",@progbits,_ZN2at6native32elementwise_kernel_manual_unrollILi128ELi4EZNS0_15gpu_kernel_implINS0_13AUnaryFunctorIsssZZZNS0_18rshift_kernel_cudaERNS_18TensorIteratorBaseEENKUlvE_clEvENKUlvE3_clEvEUlssE_EEEEvS5_RKT_EUlibE0_EEviT1_,comdat
	.globl	_ZN2at6native32elementwise_kernel_manual_unrollILi128ELi4EZNS0_15gpu_kernel_implINS0_13AUnaryFunctorIsssZZZNS0_18rshift_kernel_cudaERNS_18TensorIteratorBaseEENKUlvE_clEvENKUlvE3_clEvEUlssE_EEEEvS5_RKT_EUlibE0_EEviT1_ ; -- Begin function _ZN2at6native32elementwise_kernel_manual_unrollILi128ELi4EZNS0_15gpu_kernel_implINS0_13AUnaryFunctorIsssZZZNS0_18rshift_kernel_cudaERNS_18TensorIteratorBaseEENKUlvE_clEvENKUlvE3_clEvEUlssE_EEEEvS5_RKT_EUlibE0_EEviT1_
	.p2align	8
	.type	_ZN2at6native32elementwise_kernel_manual_unrollILi128ELi4EZNS0_15gpu_kernel_implINS0_13AUnaryFunctorIsssZZZNS0_18rshift_kernel_cudaERNS_18TensorIteratorBaseEENKUlvE_clEvENKUlvE3_clEvEUlssE_EEEEvS5_RKT_EUlibE0_EEviT1_,@function
_ZN2at6native32elementwise_kernel_manual_unrollILi128ELi4EZNS0_15gpu_kernel_implINS0_13AUnaryFunctorIsssZZZNS0_18rshift_kernel_cudaERNS_18TensorIteratorBaseEENKUlvE_clEvENKUlvE3_clEvEUlssE_EEEEvS5_RKT_EUlibE0_EEviT1_: ; @_ZN2at6native32elementwise_kernel_manual_unrollILi128ELi4EZNS0_15gpu_kernel_implINS0_13AUnaryFunctorIsssZZZNS0_18rshift_kernel_cudaERNS_18TensorIteratorBaseEENKUlvE_clEvENKUlvE3_clEvEUlssE_EEEEvS5_RKT_EUlibE0_EEviT1_
; %bb.0:
	s_load_dword s70, s[4:5], 0x0
	s_load_dword s33, s[4:5], 0x8
	s_add_u32 s34, s4, 8
	s_addc_u32 s35, s5, 0
	v_lshl_or_b32 v8, s6, 9, v0
	v_or_b32_e32 v15, 0x180, v8
	s_waitcnt lgkmcnt(0)
	s_add_i32 s72, s33, -1
	s_cmp_gt_u32 s72, 1
	v_cmp_le_i32_e32 vcc, s70, v15
	s_cselect_b64 s[40:41], -1, 0
	s_mov_b64 s[6:7], 0
	s_mov_b64 s[28:29], 0
	s_and_saveexec_b64 s[0:1], vcc
	s_xor_b64 s[42:43], exec, s[0:1]
	s_cbranch_execz .LBB223_1070
; %bb.1:
	s_cmp_lg_u32 s33, 0
	s_load_dwordx4 s[28:31], s[34:35], 0x4
	s_load_dwordx2 s[44:45], s[34:35], 0x14
	s_load_dword s0, s[4:5], 0x160
	s_load_dword s73, s[34:35], 0x15c
	s_cselect_b64 s[50:51], -1, 0
	s_add_u32 s48, s34, 0xc4
	s_load_dwordx4 s[36:39], s[34:35], 0xc4
	s_load_dwordx4 s[24:27], s[34:35], 0x148
	s_addc_u32 s49, s35, 0
	s_min_u32 s77, s72, 15
	s_cmp_gt_u32 s33, 1
	s_cselect_b64 s[46:47], -1, 0
	s_waitcnt lgkmcnt(0)
	s_ashr_i32 s74, s0, 16
	s_bfe_u32 s76, s73, 0x80008
	s_lshr_b32 s75, s74, 15
	v_cmp_gt_i32_e32 vcc, s70, v8
	s_mov_b64 s[2:3], -1
	s_mov_b64 s[60:61], 0
	s_mov_b64 s[54:55], 0
	;; [unrolled: 1-line block ×3, first 2 shown]
	s_and_saveexec_b64 s[56:57], vcc
	s_cbranch_execz .LBB223_262
; %bb.2:
	s_andn2_b64 vcc, exec, s[40:41]
	s_cbranch_vccnz .LBB223_7
; %bb.3:
	s_andn2_b64 vcc, exec, s[50:51]
	s_cbranch_vccnz .LBB223_8
; %bb.4:
	s_add_i32 s59, s77, 1
	s_cmp_eq_u32 s72, 2
	s_cbranch_scc1 .LBB223_9
; %bb.5:
	s_and_b32 s58, s59, 28
	v_mov_b32_e32 v2, 0
	s_mov_b32 s62, 0
	s_mov_b64 s[52:53], s[34:35]
	s_mov_b64 s[54:55], s[48:49]
	v_mov_b32_e32 v0, 0
	v_mov_b32_e32 v1, v8
.LBB223_6:                              ; =>This Inner Loop Header: Depth=1
	s_load_dwordx8 s[16:23], s[52:53], 0x4
	s_load_dwordx4 s[0:3], s[52:53], 0x24
	s_load_dwordx8 s[8:15], s[54:55], 0x0
	s_add_u32 s52, s52, 48
	s_addc_u32 s53, s53, 0
	s_waitcnt lgkmcnt(0)
	v_mul_hi_u32 v3, s17, v1
	s_add_i32 s62, s62, 4
	s_add_u32 s54, s54, 32
	s_addc_u32 s55, s55, 0
	v_add_u32_e32 v3, v1, v3
	v_lshrrev_b32_e32 v3, s18, v3
	v_mul_lo_u32 v4, v3, s16
	v_mul_hi_u32 v5, s20, v3
	s_cmp_lg_u32 s58, s62
	v_sub_u32_e32 v1, v1, v4
	v_add_u32_e32 v4, v3, v5
	v_mul_lo_u32 v5, v1, s8
	v_mul_lo_u32 v6, v1, s9
	v_lshrrev_b32_e32 v1, s21, v4
	v_mul_lo_u32 v4, v1, s19
	v_mul_hi_u32 v7, s23, v1
	v_sub_u32_e32 v3, v3, v4
	v_add_u32_e32 v4, v1, v7
	v_lshrrev_b32_e32 v4, s0, v4
	v_mul_hi_u32 v9, s2, v4
	v_mul_lo_u32 v10, v4, s22
	v_mul_lo_u32 v7, v3, s10
	;; [unrolled: 1-line block ×3, first 2 shown]
	v_sub_u32_e32 v10, v1, v10
	v_add_u32_e32 v1, v4, v9
	v_lshrrev_b32_e32 v1, s3, v1
	v_mul_lo_u32 v9, v1, s1
	v_mul_lo_u32 v11, v10, s12
	;; [unrolled: 1-line block ×3, first 2 shown]
	v_add3_u32 v0, v5, v0, v7
	v_sub_u32_e32 v4, v4, v9
	v_mul_lo_u32 v9, v4, s14
	v_mul_lo_u32 v4, v4, s15
	v_add3_u32 v2, v6, v2, v3
	v_add3_u32 v0, v11, v0, v9
	;; [unrolled: 1-line block ×3, first 2 shown]
	s_cbranch_scc1 .LBB223_6
	s_branch .LBB223_10
.LBB223_7:
                                        ; implicit-def: $vgpr0
                                        ; implicit-def: $vgpr2
	s_branch .LBB223_14
.LBB223_8:
	v_mov_b32_e32 v0, 0
	v_mov_b32_e32 v2, 0
	s_branch .LBB223_13
.LBB223_9:
	s_mov_b32 s58, 0
	v_mov_b32_e32 v0, 0
	v_mov_b32_e32 v2, 0
	;; [unrolled: 1-line block ×3, first 2 shown]
.LBB223_10:
	s_and_b32 s8, s59, 3
	s_cmp_eq_u32 s8, 0
	s_cbranch_scc1 .LBB223_13
; %bb.11:
	s_lshl_b32 s0, s58, 3
	s_add_u32 s0, s34, s0
	s_addc_u32 s1, s35, 0
	s_add_u32 s0, s0, 0xc4
	s_addc_u32 s1, s1, 0
	s_mul_i32 s2, s58, 12
	s_add_u32 s2, s34, s2
	s_addc_u32 s3, s35, 0
.LBB223_12:                             ; =>This Inner Loop Header: Depth=1
	s_load_dwordx2 s[10:11], s[2:3], 0x4
	s_load_dword s9, s[2:3], 0xc
	s_load_dwordx2 s[12:13], s[0:1], 0x0
	s_add_u32 s2, s2, 12
	s_addc_u32 s3, s3, 0
	s_waitcnt lgkmcnt(0)
	v_mul_hi_u32 v3, s11, v1
	s_add_u32 s0, s0, 8
	s_addc_u32 s1, s1, 0
	s_add_i32 s8, s8, -1
	v_add_u32_e32 v3, v1, v3
	v_lshrrev_b32_e32 v4, s9, v3
	v_mul_lo_u32 v3, v4, s10
	s_cmp_lg_u32 s8, 0
	v_sub_u32_e32 v3, v1, v3
	v_mad_u64_u32 v[0:1], s[10:11], v3, s12, v[0:1]
	v_mad_u64_u32 v[2:3], s[10:11], v3, s13, v[2:3]
	v_mov_b32_e32 v1, v4
	s_cbranch_scc1 .LBB223_12
.LBB223_13:
	s_cbranch_execnz .LBB223_16
.LBB223_14:
	v_mul_hi_u32 v0, s29, v8
	s_andn2_b64 vcc, exec, s[46:47]
	v_add_u32_e32 v0, v8, v0
	v_lshrrev_b32_e32 v1, s30, v0
	v_mul_lo_u32 v0, v1, s28
	v_sub_u32_e32 v2, v8, v0
	v_mul_lo_u32 v0, v2, s36
	v_mul_lo_u32 v2, v2, s37
	s_cbranch_vccnz .LBB223_16
; %bb.15:
	v_mul_hi_u32 v3, s44, v1
	v_add_u32_e32 v3, v1, v3
	v_lshrrev_b32_e32 v3, s45, v3
	v_mul_lo_u32 v3, v3, s31
	v_sub_u32_e32 v3, v1, v3
	v_mad_u64_u32 v[0:1], s[0:1], v3, s38, v[0:1]
	v_mad_u64_u32 v[2:3], s[0:1], v3, s39, v[2:3]
.LBB223_16:
	v_mov_b32_e32 v3, s27
	s_and_b32 s10, 0xffff, s76
	v_add_co_u32_e32 v1, vcc, s26, v2
	s_cmp_lt_i32 s10, 11
	v_addc_co_u32_e32 v2, vcc, 0, v3, vcc
	s_cbranch_scc1 .LBB223_23
; %bb.17:
	s_cmp_gt_i32 s10, 25
	s_cbranch_scc0 .LBB223_32
; %bb.18:
	s_cmp_gt_i32 s10, 28
	s_cbranch_scc0 .LBB223_35
	;; [unrolled: 3-line block ×4, first 2 shown]
; %bb.21:
	s_cmp_eq_u32 s10, 46
	s_mov_b64 s[8:9], 0
	s_cbranch_scc0 .LBB223_41
; %bb.22:
	global_load_dword v3, v[1:2], off
	s_mov_b64 s[0:1], -1
	s_mov_b64 s[2:3], 0
	s_waitcnt vmcnt(0)
	v_lshlrev_b32_e32 v3, 16, v3
	v_cvt_i32_f32_e32 v3, v3
	s_branch .LBB223_43
.LBB223_23:
	s_mov_b64 s[2:3], 0
                                        ; implicit-def: $vgpr3
	s_mov_b64 s[0:1], 0
	s_cbranch_execnz .LBB223_212
.LBB223_24:
	s_andn2_b64 vcc, exec, s[0:1]
	s_cbranch_vccnz .LBB223_259
.LBB223_25:
	s_waitcnt vmcnt(0)
	v_ashrrev_i32_sdwa v1, v3, s74 dst_sel:DWORD dst_unused:UNUSED_PAD src0_sel:WORD_0 src1_sel:DWORD
	v_mov_b32_e32 v2, s75
	v_cmp_lt_u16_e32 vcc, 14, v3
	v_cndmask_b32_e32 v4, v1, v2, vcc
	v_mov_b32_e32 v1, s25
	s_and_b32 s14, s73, 0xff
	v_add_co_u32_e32 v0, vcc, s24, v0
	s_cmp_lt_i32 s14, 11
	v_addc_co_u32_e32 v1, vcc, 0, v1, vcc
	s_cbranch_scc1 .LBB223_33
; %bb.26:
	s_and_b32 s15, 0xffff, s14
	s_cmp_gt_i32 s15, 25
	s_cbranch_scc0 .LBB223_36
; %bb.27:
	s_cmp_gt_i32 s15, 28
	s_cbranch_scc0 .LBB223_38
; %bb.28:
	s_cmp_gt_i32 s15, 43
	s_cbranch_scc0 .LBB223_40
; %bb.29:
	s_cmp_gt_i32 s15, 45
	s_cbranch_scc0 .LBB223_46
; %bb.30:
	s_mov_b64 s[10:11], 0
	s_mov_b64 s[0:1], -1
	s_cmp_eq_u32 s15, 46
	s_mov_b64 s[8:9], 0
	s_cbranch_scc0 .LBB223_47
; %bb.31:
	v_cvt_f32_i32_sdwa v2, sext(v4) dst_sel:DWORD dst_unused:UNUSED_PAD src0_sel:WORD_0
	s_movk_i32 s0, 0x7fff
	s_mov_b64 s[8:9], -1
	v_bfe_u32 v3, v2, 16, 1
	v_add3_u32 v2, v2, v3, s0
	v_lshrrev_b32_e32 v2, 16, v2
	global_store_dword v[0:1], v2, off
	s_mov_b64 s[0:1], 0
	s_branch .LBB223_47
.LBB223_32:
	s_mov_b64 s[2:3], 0
	s_mov_b64 s[0:1], 0
                                        ; implicit-def: $vgpr3
	s_cbranch_execnz .LBB223_179
	s_branch .LBB223_211
.LBB223_33:
	s_mov_b64 s[0:1], 0
	s_mov_b64 s[8:9], 0
	s_cbranch_execnz .LBB223_116
.LBB223_34:
	s_andn2_b64 vcc, exec, s[8:9]
	s_cbranch_vccnz .LBB223_260
	s_branch .LBB223_154
.LBB223_35:
	s_mov_b64 s[8:9], -1
	s_mov_b64 s[2:3], 0
	s_mov_b64 s[0:1], 0
                                        ; implicit-def: $vgpr3
	s_branch .LBB223_162
.LBB223_36:
	s_mov_b64 s[10:11], -1
	s_mov_b64 s[0:1], 0
	s_mov_b64 s[8:9], 0
	s_branch .LBB223_74
.LBB223_37:
	s_mov_b64 s[8:9], -1
	s_mov_b64 s[2:3], 0
	s_mov_b64 s[0:1], 0
                                        ; implicit-def: $vgpr3
	s_branch .LBB223_157
.LBB223_38:
	s_mov_b64 s[10:11], -1
	s_mov_b64 s[0:1], 0
	s_mov_b64 s[8:9], 0
	s_branch .LBB223_57
.LBB223_39:
	s_mov_b64 s[8:9], -1
	s_mov_b64 s[2:3], 0
	s_branch .LBB223_42
.LBB223_40:
	s_mov_b64 s[10:11], -1
	s_mov_b64 s[0:1], 0
	s_mov_b64 s[8:9], 0
	s_branch .LBB223_53
.LBB223_41:
	s_mov_b64 s[2:3], -1
.LBB223_42:
	s_mov_b64 s[0:1], 0
                                        ; implicit-def: $vgpr3
.LBB223_43:
	s_and_b64 vcc, exec, s[8:9]
	s_cbranch_vccz .LBB223_156
; %bb.44:
	s_cmp_eq_u32 s10, 44
	s_cbranch_scc0 .LBB223_155
; %bb.45:
	global_load_ubyte v3, v[1:2], off
	s_mov_b64 s[0:1], -1
	s_mov_b64 s[2:3], 0
	s_waitcnt vmcnt(0)
	v_lshlrev_b32_e32 v4, 23, v3
	v_cvt_i32_f32_e32 v4, v4
	v_cmp_ne_u32_e32 vcc, 0, v3
	v_cndmask_b32_e32 v3, 0, v4, vcc
	s_branch .LBB223_156
.LBB223_46:
	s_mov_b64 s[10:11], -1
	s_mov_b64 s[0:1], 0
	s_mov_b64 s[8:9], 0
.LBB223_47:
	s_and_b64 vcc, exec, s[10:11]
	s_cbranch_vccz .LBB223_52
; %bb.48:
	s_cmp_eq_u32 s15, 44
	s_mov_b64 s[0:1], -1
	s_cbranch_scc0 .LBB223_52
; %bb.49:
	v_cvt_f32_i32_sdwa v2, sext(v4) dst_sel:DWORD dst_unused:UNUSED_PAD src0_sel:WORD_0
	s_movk_i32 s0, 0xff
	v_mov_b32_e32 v5, 0xff
	v_bfe_u32 v3, v2, 23, 8
	v_cmp_ne_u32_e32 vcc, s0, v3
	s_and_saveexec_b64 s[8:9], vcc
; %bb.50:
	s_mov_b32 s0, 0x3fffff
	v_lshrrev_b32_e32 v5, 23, v2
	v_and_b32_e32 v6, 0x400000, v2
	v_and_or_b32 v2, v2, s0, v3
	v_cmp_ne_u32_e32 vcc, 0, v6
	v_cmp_ne_u32_e64 s[0:1], 0, v2
	s_and_b64 s[0:1], vcc, s[0:1]
	v_cndmask_b32_e64 v2, 0, 1, s[0:1]
	v_add_u32_e32 v5, v5, v2
; %bb.51:
	s_or_b64 exec, exec, s[8:9]
	s_mov_b64 s[8:9], -1
	s_mov_b64 s[0:1], 0
	global_store_byte v[0:1], v5, off
.LBB223_52:
	s_mov_b64 s[10:11], 0
.LBB223_53:
	s_and_b64 vcc, exec, s[10:11]
	s_cbranch_vccz .LBB223_56
; %bb.54:
	s_cmp_eq_u32 s15, 29
	s_mov_b64 s[0:1], -1
	s_cbranch_scc0 .LBB223_56
; %bb.55:
	v_bfe_i32 v2, v4, 0, 16
	v_ashrrev_i32_e32 v3, 31, v2
	global_store_dwordx2 v[0:1], v[2:3], off
	s_mov_b64 s[8:9], -1
	s_mov_b64 s[0:1], 0
.LBB223_56:
	s_mov_b64 s[10:11], 0
.LBB223_57:
	s_and_b64 vcc, exec, s[10:11]
	s_cbranch_vccz .LBB223_73
; %bb.58:
	s_cmp_lt_i32 s15, 27
	s_mov_b64 s[8:9], -1
	s_cbranch_scc1 .LBB223_64
; %bb.59:
	s_cmp_gt_i32 s15, 27
	s_cbranch_scc0 .LBB223_61
; %bb.60:
	v_bfe_i32 v2, v4, 0, 16
	s_mov_b64 s[8:9], 0
	global_store_dword v[0:1], v2, off
.LBB223_61:
	s_andn2_b64 vcc, exec, s[8:9]
	s_cbranch_vccnz .LBB223_63
; %bb.62:
	global_store_short v[0:1], v4, off
.LBB223_63:
	s_mov_b64 s[8:9], 0
.LBB223_64:
	s_andn2_b64 vcc, exec, s[8:9]
	s_cbranch_vccnz .LBB223_72
; %bb.65:
	v_cvt_f32_i32_sdwa v2, sext(v4) dst_sel:DWORD dst_unused:UNUSED_PAD src0_sel:WORD_0
	s_mov_b32 s8, 0x43800000
	v_mov_b32_e32 v5, 0x80
	v_and_b32_e32 v3, 0x7fffffff, v2
	v_cmp_gt_u32_e32 vcc, s8, v3
	s_and_saveexec_b64 s[8:9], vcc
	s_cbranch_execz .LBB223_71
; %bb.66:
	s_mov_b32 s10, 0x3bffffff
	v_cmp_lt_u32_e32 vcc, s10, v3
	s_mov_b64 s[10:11], 0
                                        ; implicit-def: $vgpr3
	s_and_saveexec_b64 s[12:13], vcc
	s_xor_b64 s[12:13], exec, s[12:13]
	s_cbranch_execz .LBB223_303
; %bb.67:
	v_bfe_u32 v3, v2, 20, 1
	s_mov_b32 s16, 0x487ffff
	v_add3_u32 v3, v2, v3, s16
	s_mov_b64 s[10:11], exec
	v_lshrrev_b32_e32 v3, 20, v3
	s_andn2_saveexec_b64 s[12:13], s[12:13]
	s_cbranch_execnz .LBB223_304
.LBB223_68:
	s_or_b64 exec, exec, s[12:13]
	v_mov_b32_e32 v5, 0
	s_and_saveexec_b64 s[12:13], s[10:11]
.LBB223_69:
	v_lshrrev_b32_e32 v2, 24, v2
	s_movk_i32 s10, 0x80
	v_and_or_b32 v5, v2, s10, v3
.LBB223_70:
	s_or_b64 exec, exec, s[12:13]
.LBB223_71:
	s_or_b64 exec, exec, s[8:9]
	global_store_byte v[0:1], v5, off
.LBB223_72:
	s_mov_b64 s[8:9], -1
.LBB223_73:
	s_mov_b64 s[10:11], 0
.LBB223_74:
	s_and_b64 vcc, exec, s[10:11]
	s_cbranch_vccz .LBB223_115
; %bb.75:
	s_cmp_gt_i32 s15, 22
	s_mov_b64 s[10:11], -1
	s_cbranch_scc0 .LBB223_107
; %bb.76:
	s_cmp_lt_i32 s15, 24
	s_mov_b64 s[8:9], -1
	s_cbranch_scc1 .LBB223_96
; %bb.77:
	s_cmp_gt_i32 s15, 24
	s_cbranch_scc0 .LBB223_85
; %bb.78:
	v_cvt_f32_i32_sdwa v2, sext(v4) dst_sel:DWORD dst_unused:UNUSED_PAD src0_sel:WORD_0
	s_mov_b32 s8, 0x47800000
	v_mov_b32_e32 v5, 0x80
	v_and_b32_e32 v3, 0x7fffffff, v2
	v_cmp_gt_u32_e32 vcc, s8, v3
	s_and_saveexec_b64 s[8:9], vcc
	s_cbranch_execz .LBB223_84
; %bb.79:
	s_mov_b32 s10, 0x37ffffff
	v_cmp_lt_u32_e32 vcc, s10, v3
	s_mov_b64 s[10:11], 0
                                        ; implicit-def: $vgpr3
	s_and_saveexec_b64 s[12:13], vcc
	s_xor_b64 s[12:13], exec, s[12:13]
	s_cbranch_execz .LBB223_307
; %bb.80:
	v_bfe_u32 v3, v2, 21, 1
	s_mov_b32 s16, 0x88fffff
	v_add3_u32 v3, v2, v3, s16
	s_mov_b64 s[10:11], exec
	v_lshrrev_b32_e32 v3, 21, v3
	s_andn2_saveexec_b64 s[12:13], s[12:13]
	s_cbranch_execnz .LBB223_308
.LBB223_81:
	s_or_b64 exec, exec, s[12:13]
	v_mov_b32_e32 v5, 0
	s_and_saveexec_b64 s[12:13], s[10:11]
.LBB223_82:
	v_lshrrev_b32_e32 v2, 24, v2
	s_movk_i32 s10, 0x80
	v_and_or_b32 v5, v2, s10, v3
.LBB223_83:
	s_or_b64 exec, exec, s[12:13]
.LBB223_84:
	s_or_b64 exec, exec, s[8:9]
	s_mov_b64 s[8:9], 0
	global_store_byte v[0:1], v5, off
.LBB223_85:
	s_and_b64 vcc, exec, s[8:9]
	s_cbranch_vccz .LBB223_95
; %bb.86:
	v_cvt_f32_i32_sdwa v2, sext(v4) dst_sel:DWORD dst_unused:UNUSED_PAD src0_sel:WORD_0
	s_mov_b32 s8, 0x43f00000
                                        ; implicit-def: $vgpr3
	v_and_b32_e32 v5, 0x7fffffff, v2
	v_cmp_gt_u32_e32 vcc, s8, v5
	s_and_saveexec_b64 s[8:9], vcc
	s_xor_b64 s[8:9], exec, s[8:9]
	s_cbranch_execz .LBB223_92
; %bb.87:
	s_mov_b32 s10, 0x3c7fffff
	v_cmp_lt_u32_e32 vcc, s10, v5
                                        ; implicit-def: $vgpr3
	s_and_saveexec_b64 s[10:11], vcc
	s_xor_b64 s[10:11], exec, s[10:11]
; %bb.88:
	v_bfe_u32 v3, v2, 20, 1
	s_mov_b32 s12, 0x407ffff
	v_add3_u32 v3, v2, v3, s12
	v_lshrrev_b32_e32 v5, 20, v3
	v_and_b32_e32 v3, 0xff00000, v3
	s_mov_b32 s12, 0x7f00000
	v_mov_b32_e32 v6, 0x7e
	v_cmp_ne_u32_e32 vcc, s12, v3
	v_cndmask_b32_e32 v3, v6, v5, vcc
; %bb.89:
	s_andn2_saveexec_b64 s[10:11], s[10:11]
; %bb.90:
	s_mov_b32 s12, 0x46800000
	v_add_f32_e64 v3, |v2|, s12
; %bb.91:
	s_or_b64 exec, exec, s[10:11]
                                        ; implicit-def: $vgpr5
.LBB223_92:
	s_andn2_saveexec_b64 s[8:9], s[8:9]
; %bb.93:
	s_mov_b32 s10, 0x7f800000
	v_mov_b32_e32 v3, 0x7e
	v_mov_b32_e32 v6, 0x7f
	v_cmp_lt_u32_e32 vcc, s10, v5
	v_cndmask_b32_e32 v3, v3, v6, vcc
; %bb.94:
	s_or_b64 exec, exec, s[8:9]
	v_lshrrev_b32_e32 v2, 24, v2
	s_movk_i32 s8, 0x80
	v_and_or_b32 v2, v2, s8, v3
	global_store_byte v[0:1], v2, off
.LBB223_95:
	s_mov_b64 s[8:9], 0
.LBB223_96:
	s_andn2_b64 vcc, exec, s[8:9]
	s_cbranch_vccnz .LBB223_106
; %bb.97:
	v_cvt_f32_i32_sdwa v2, sext(v4) dst_sel:DWORD dst_unused:UNUSED_PAD src0_sel:WORD_0
	s_mov_b32 s8, 0x47800000
                                        ; implicit-def: $vgpr3
	v_and_b32_e32 v5, 0x7fffffff, v2
	v_cmp_gt_u32_e32 vcc, s8, v5
	s_and_saveexec_b64 s[8:9], vcc
	s_xor_b64 s[8:9], exec, s[8:9]
	s_cbranch_execz .LBB223_103
; %bb.98:
	s_mov_b32 s10, 0x387fffff
	v_cmp_lt_u32_e32 vcc, s10, v5
                                        ; implicit-def: $vgpr3
	s_and_saveexec_b64 s[10:11], vcc
	s_xor_b64 s[10:11], exec, s[10:11]
; %bb.99:
	v_bfe_u32 v3, v2, 21, 1
	s_mov_b32 s12, 0x80fffff
	v_add3_u32 v3, v2, v3, s12
	v_lshrrev_b32_e32 v3, 21, v3
; %bb.100:
	s_andn2_saveexec_b64 s[10:11], s[10:11]
; %bb.101:
	s_mov_b32 s12, 0x43000000
	v_add_f32_e64 v3, |v2|, s12
; %bb.102:
	s_or_b64 exec, exec, s[10:11]
                                        ; implicit-def: $vgpr5
.LBB223_103:
	s_andn2_saveexec_b64 s[8:9], s[8:9]
; %bb.104:
	s_mov_b32 s10, 0x7f800000
	v_mov_b32_e32 v3, 0x7c
	v_mov_b32_e32 v6, 0x7f
	v_cmp_lt_u32_e32 vcc, s10, v5
	v_cndmask_b32_e32 v3, v3, v6, vcc
; %bb.105:
	s_or_b64 exec, exec, s[8:9]
	v_lshrrev_b32_e32 v2, 24, v2
	s_movk_i32 s8, 0x80
	v_and_or_b32 v2, v2, s8, v3
	global_store_byte v[0:1], v2, off
.LBB223_106:
	s_mov_b64 s[10:11], 0
	s_mov_b64 s[8:9], -1
.LBB223_107:
	s_andn2_b64 vcc, exec, s[10:11]
	s_cbranch_vccnz .LBB223_115
; %bb.108:
	s_cmp_gt_i32 s15, 14
	s_mov_b64 s[10:11], -1
	s_cbranch_scc0 .LBB223_112
; %bb.109:
	s_cmp_eq_u32 s15, 15
	s_mov_b64 s[0:1], -1
	s_cbranch_scc0 .LBB223_111
; %bb.110:
	v_cvt_f32_i32_sdwa v2, sext(v4) dst_sel:DWORD dst_unused:UNUSED_PAD src0_sel:WORD_0
	s_movk_i32 s0, 0x7fff
	s_mov_b64 s[8:9], -1
	v_bfe_u32 v3, v2, 16, 1
	v_add3_u32 v2, v2, v3, s0
	global_store_short_d16_hi v[0:1], v2, off
	s_mov_b64 s[0:1], 0
.LBB223_111:
	s_mov_b64 s[10:11], 0
.LBB223_112:
	s_and_b64 vcc, exec, s[10:11]
	s_cbranch_vccz .LBB223_115
; %bb.113:
	s_cmp_eq_u32 s15, 11
	s_mov_b64 s[0:1], -1
	s_cbranch_scc0 .LBB223_115
; %bb.114:
	v_cmp_ne_u16_e32 vcc, 0, v4
	v_cndmask_b32_e64 v2, 0, 1, vcc
	s_mov_b64 s[8:9], -1
	s_mov_b64 s[0:1], 0
	global_store_byte v[0:1], v2, off
.LBB223_115:
	s_branch .LBB223_34
.LBB223_116:
	s_and_b32 s10, 0xffff, s14
	s_cmp_lt_i32 s10, 5
	s_mov_b64 s[8:9], -1
	s_cbranch_scc1 .LBB223_137
; %bb.117:
	s_cmp_lt_i32 s10, 8
	s_cbranch_scc1 .LBB223_127
; %bb.118:
	s_cmp_lt_i32 s10, 9
	s_cbranch_scc1 .LBB223_124
; %bb.119:
	s_cmp_gt_i32 s10, 9
	s_cbranch_scc0 .LBB223_121
; %bb.120:
	v_bfe_i32 v2, v4, 0, 16
	v_cvt_f64_i32_e32 v[9:10], v2
	v_mov_b32_e32 v11, 0
	v_mov_b32_e32 v12, v11
	s_mov_b64 s[8:9], 0
	global_store_dwordx4 v[0:1], v[9:12], off
.LBB223_121:
	s_andn2_b64 vcc, exec, s[8:9]
	s_cbranch_vccnz .LBB223_123
; %bb.122:
	v_cvt_f32_i32_sdwa v2, sext(v4) dst_sel:DWORD dst_unused:UNUSED_PAD src0_sel:WORD_0
	v_mov_b32_e32 v3, 0
	global_store_dwordx2 v[0:1], v[2:3], off
.LBB223_123:
	s_mov_b64 s[8:9], 0
.LBB223_124:
	s_andn2_b64 vcc, exec, s[8:9]
	s_cbranch_vccnz .LBB223_126
; %bb.125:
	v_cvt_f16_i16_e32 v2, v4
	global_store_dword v[0:1], v2, off
.LBB223_126:
	s_mov_b64 s[8:9], 0
.LBB223_127:
	s_andn2_b64 vcc, exec, s[8:9]
	s_cbranch_vccnz .LBB223_136
; %bb.128:
	s_cmp_lt_i32 s10, 6
	s_mov_b64 s[8:9], -1
	s_cbranch_scc1 .LBB223_134
; %bb.129:
	s_cmp_gt_i32 s10, 6
	s_cbranch_scc0 .LBB223_131
; %bb.130:
	v_bfe_i32 v2, v4, 0, 16
	v_cvt_f64_i32_e32 v[2:3], v2
	s_mov_b64 s[8:9], 0
	global_store_dwordx2 v[0:1], v[2:3], off
.LBB223_131:
	s_andn2_b64 vcc, exec, s[8:9]
	s_cbranch_vccnz .LBB223_133
; %bb.132:
	v_cvt_f32_i32_sdwa v2, sext(v4) dst_sel:DWORD dst_unused:UNUSED_PAD src0_sel:WORD_0
	global_store_dword v[0:1], v2, off
.LBB223_133:
	s_mov_b64 s[8:9], 0
.LBB223_134:
	s_andn2_b64 vcc, exec, s[8:9]
	s_cbranch_vccnz .LBB223_136
; %bb.135:
	v_cvt_f16_i16_e32 v2, v4
	global_store_short v[0:1], v2, off
.LBB223_136:
	s_mov_b64 s[8:9], 0
.LBB223_137:
	s_andn2_b64 vcc, exec, s[8:9]
	s_cbranch_vccnz .LBB223_153
; %bb.138:
	s_cmp_lt_i32 s10, 2
	s_mov_b64 s[8:9], -1
	s_cbranch_scc1 .LBB223_148
; %bb.139:
	s_cmp_lt_i32 s10, 3
	s_cbranch_scc1 .LBB223_145
; %bb.140:
	s_cmp_gt_i32 s10, 3
	v_bfe_i32 v2, v4, 0, 16
	s_cbranch_scc0 .LBB223_142
; %bb.141:
	v_ashrrev_i32_e32 v3, 31, v2
	global_store_dwordx2 v[0:1], v[2:3], off
	s_mov_b64 s[8:9], 0
.LBB223_142:
	s_andn2_b64 vcc, exec, s[8:9]
	s_cbranch_vccnz .LBB223_144
; %bb.143:
	global_store_dword v[0:1], v2, off
.LBB223_144:
	s_mov_b64 s[8:9], 0
.LBB223_145:
	s_andn2_b64 vcc, exec, s[8:9]
	s_cbranch_vccnz .LBB223_147
; %bb.146:
	global_store_short v[0:1], v4, off
.LBB223_147:
	s_mov_b64 s[8:9], 0
.LBB223_148:
	s_andn2_b64 vcc, exec, s[8:9]
	s_cbranch_vccnz .LBB223_153
; %bb.149:
	s_cmp_gt_i32 s10, 0
	s_mov_b64 s[8:9], -1
	s_cbranch_scc0 .LBB223_151
; %bb.150:
	global_store_byte v[0:1], v4, off
	s_mov_b64 s[8:9], 0
.LBB223_151:
	s_andn2_b64 vcc, exec, s[8:9]
	s_cbranch_vccnz .LBB223_153
; %bb.152:
	global_store_byte v[0:1], v4, off
.LBB223_153:
.LBB223_154:
	v_add_u32_e32 v8, 0x80, v8
	s_mov_b64 s[8:9], -1
	s_branch .LBB223_261
.LBB223_155:
	s_mov_b64 s[2:3], -1
                                        ; implicit-def: $vgpr3
.LBB223_156:
	s_mov_b64 s[8:9], 0
.LBB223_157:
	s_and_b64 vcc, exec, s[8:9]
	s_cbranch_vccz .LBB223_161
; %bb.158:
	s_cmp_eq_u32 s10, 29
	s_cbranch_scc0 .LBB223_160
; %bb.159:
	global_load_dwordx2 v[3:4], v[1:2], off
	s_mov_b64 s[0:1], -1
	s_mov_b64 s[2:3], 0
	s_branch .LBB223_161
.LBB223_160:
	s_mov_b64 s[2:3], -1
                                        ; implicit-def: $vgpr3
.LBB223_161:
	s_mov_b64 s[8:9], 0
.LBB223_162:
	s_and_b64 vcc, exec, s[8:9]
	s_cbranch_vccz .LBB223_178
; %bb.163:
	s_cmp_lt_i32 s10, 27
	s_cbranch_scc1 .LBB223_166
; %bb.164:
	s_cmp_gt_i32 s10, 27
	s_cbranch_scc0 .LBB223_167
; %bb.165:
	global_load_dword v3, v[1:2], off
	s_mov_b64 s[0:1], 0
	s_branch .LBB223_168
.LBB223_166:
	s_mov_b64 s[0:1], -1
                                        ; implicit-def: $vgpr3
	s_branch .LBB223_171
.LBB223_167:
	s_mov_b64 s[0:1], -1
                                        ; implicit-def: $vgpr3
.LBB223_168:
	s_andn2_b64 vcc, exec, s[0:1]
	s_cbranch_vccnz .LBB223_170
; %bb.169:
	global_load_ushort v3, v[1:2], off
.LBB223_170:
	s_mov_b64 s[0:1], 0
.LBB223_171:
	s_andn2_b64 vcc, exec, s[0:1]
	s_cbranch_vccnz .LBB223_177
; %bb.172:
	global_load_ubyte v4, v[1:2], off
	s_movk_i32 s0, 0x7f
	s_mov_b64 s[8:9], 0
	s_waitcnt vmcnt(0)
	v_cmp_lt_i16_e32 vcc, s0, v4
	s_and_saveexec_b64 s[0:1], vcc
	s_xor_b64 s[0:1], exec, s[0:1]
	s_cbranch_execz .LBB223_188
; %bb.173:
	s_movk_i32 s8, 0x80
	v_cmp_ne_u16_e32 vcc, s8, v4
	s_and_b64 s[8:9], vcc, exec
	s_andn2_saveexec_b64 s[0:1], s[0:1]
	s_cbranch_execnz .LBB223_189
.LBB223_174:
	s_or_b64 exec, exec, s[0:1]
	v_mov_b32_e32 v3, 0
	s_and_saveexec_b64 s[0:1], s[8:9]
	s_cbranch_execz .LBB223_176
.LBB223_175:
	v_lshlrev_b32_e32 v3, 24, v4
	v_and_b32_e32 v4, 0xffff, v4
	v_and_b32_e32 v5, 7, v4
	v_ffbh_u32_e32 v7, v5
	v_min_u32_e32 v7, 32, v7
	v_subrev_u32_e32 v9, 28, v7
	v_bfe_u32 v6, v4, 3, 4
	v_lshlrev_b32_e32 v4, v9, v4
	v_sub_u32_e32 v7, 29, v7
	v_and_b32_e32 v4, 7, v4
	v_cmp_eq_u32_e32 vcc, 0, v6
	v_cndmask_b32_e32 v6, v6, v7, vcc
	v_cndmask_b32_e32 v4, v5, v4, vcc
	v_mov_b32_e32 v5, 0x3b800000
	v_lshlrev_b32_e32 v4, 20, v4
	v_and_b32_e32 v3, 0x80000000, v3
	v_lshl_add_u32 v5, v6, 23, v5
	v_or3_b32 v3, v3, v5, v4
	v_cvt_i32_f32_e32 v3, v3
.LBB223_176:
	s_or_b64 exec, exec, s[0:1]
.LBB223_177:
	s_mov_b64 s[0:1], -1
.LBB223_178:
	s_branch .LBB223_211
.LBB223_179:
	s_cmp_gt_i32 s10, 22
	s_cbranch_scc0 .LBB223_187
; %bb.180:
	s_cmp_lt_i32 s10, 24
	s_cbranch_scc1 .LBB223_190
; %bb.181:
	s_cmp_gt_i32 s10, 24
	s_cbranch_scc0 .LBB223_191
; %bb.182:
	global_load_ubyte v4, v[1:2], off
	s_movk_i32 s0, 0x7f
	s_mov_b64 s[8:9], 0
	s_waitcnt vmcnt(0)
	v_cmp_lt_i16_e32 vcc, s0, v4
	s_and_saveexec_b64 s[0:1], vcc
	s_xor_b64 s[0:1], exec, s[0:1]
	s_cbranch_execz .LBB223_203
; %bb.183:
	s_movk_i32 s8, 0x80
	v_cmp_ne_u16_e32 vcc, s8, v4
	s_and_b64 s[8:9], vcc, exec
	s_andn2_saveexec_b64 s[0:1], s[0:1]
	s_cbranch_execnz .LBB223_204
.LBB223_184:
	s_or_b64 exec, exec, s[0:1]
	v_mov_b32_e32 v3, 0
	s_and_saveexec_b64 s[0:1], s[8:9]
	s_cbranch_execz .LBB223_186
.LBB223_185:
	v_lshlrev_b32_e32 v3, 24, v4
	v_and_b32_e32 v4, 0xffff, v4
	v_and_b32_e32 v5, 3, v4
	v_ffbh_u32_e32 v7, v5
	v_min_u32_e32 v7, 32, v7
	v_subrev_u32_e32 v9, 29, v7
	v_bfe_u32 v6, v4, 2, 5
	v_lshlrev_b32_e32 v4, v9, v4
	v_sub_u32_e32 v7, 30, v7
	v_and_b32_e32 v4, 3, v4
	v_cmp_eq_u32_e32 vcc, 0, v6
	v_cndmask_b32_e32 v6, v6, v7, vcc
	v_cndmask_b32_e32 v4, v5, v4, vcc
	v_mov_b32_e32 v5, 0x37800000
	v_lshlrev_b32_e32 v4, 21, v4
	v_and_b32_e32 v3, 0x80000000, v3
	v_lshl_add_u32 v5, v6, 23, v5
	v_or3_b32 v3, v3, v5, v4
	v_cvt_i32_f32_e32 v3, v3
.LBB223_186:
	s_or_b64 exec, exec, s[0:1]
	s_mov_b64 s[0:1], 0
	s_branch .LBB223_192
.LBB223_187:
	s_mov_b64 s[8:9], -1
                                        ; implicit-def: $vgpr3
	s_branch .LBB223_198
.LBB223_188:
	s_andn2_saveexec_b64 s[0:1], s[0:1]
	s_cbranch_execz .LBB223_174
.LBB223_189:
	v_cmp_ne_u16_e32 vcc, 0, v4
	s_andn2_b64 s[8:9], s[8:9], exec
	s_and_b64 s[12:13], vcc, exec
	s_or_b64 s[8:9], s[8:9], s[12:13]
	s_or_b64 exec, exec, s[0:1]
	v_mov_b32_e32 v3, 0
	s_and_saveexec_b64 s[0:1], s[8:9]
	s_cbranch_execnz .LBB223_175
	s_branch .LBB223_176
.LBB223_190:
	s_mov_b64 s[0:1], -1
                                        ; implicit-def: $vgpr3
	s_branch .LBB223_195
.LBB223_191:
	s_mov_b64 s[0:1], -1
                                        ; implicit-def: $vgpr3
.LBB223_192:
	s_and_b64 vcc, exec, s[0:1]
	s_cbranch_vccz .LBB223_194
; %bb.193:
	global_load_ubyte v3, v[1:2], off
	s_mov_b32 s0, 0x7f800000
	s_waitcnt vmcnt(0)
	v_lshlrev_b32_e32 v3, 24, v3
	v_and_b32_e32 v4, 0x7f000000, v3
	v_ffbh_u32_e32 v5, v4
	v_min_u32_e32 v5, 32, v5
	v_sub_u32_e64 v5, v5, 4 clamp
	v_lshlrev_b32_e32 v7, v5, v4
	v_lshlrev_b32_e32 v5, 23, v5
	v_lshrrev_b32_e32 v7, 4, v7
	v_add_u32_e32 v6, 0x1000000, v4
	v_sub_u32_e32 v5, v7, v5
	v_ashrrev_i32_e32 v6, 8, v6
	v_add_u32_e32 v5, 0x3c000000, v5
	v_and_or_b32 v5, v6, s0, v5
	v_cmp_ne_u32_e32 vcc, 0, v4
	v_cndmask_b32_e32 v4, 0, v5, vcc
	s_brev_b32 s0, 1
	v_and_or_b32 v3, v3, s0, v4
	v_cvt_i32_f32_e32 v3, v3
.LBB223_194:
	s_mov_b64 s[0:1], 0
.LBB223_195:
	s_andn2_b64 vcc, exec, s[0:1]
	s_cbranch_vccnz .LBB223_197
; %bb.196:
	global_load_ubyte v3, v[1:2], off
	s_movk_i32 s0, 0x7f00
	s_brev_b32 s1, 16
	s_waitcnt vmcnt(0)
	v_lshlrev_b16_e32 v4, 8, v3
	v_lshlrev_b32_e32 v3, 25, v3
	v_lshrrev_b32_e32 v5, 4, v3
	v_and_or_b32 v6, v4, s0, 0.5
	v_or_b32_e32 v5, 0x70000000, v5
	v_add_f32_e32 v6, -0.5, v6
	v_mul_f32_e32 v5, 0x7800000, v5
	v_cmp_gt_u32_e32 vcc, s1, v3
	v_bfe_i32 v4, v4, 0, 16
	v_cndmask_b32_e32 v3, v5, v6, vcc
	s_brev_b32 s0, 1
	v_and_or_b32 v3, v4, s0, v3
	v_cvt_i32_f32_e32 v3, v3
.LBB223_197:
	s_mov_b64 s[8:9], 0
	s_mov_b64 s[0:1], -1
.LBB223_198:
	s_andn2_b64 vcc, exec, s[8:9]
	s_cbranch_vccnz .LBB223_211
; %bb.199:
	s_cmp_gt_i32 s10, 14
	s_cbranch_scc0 .LBB223_202
; %bb.200:
	s_cmp_eq_u32 s10, 15
	s_cbranch_scc0 .LBB223_205
; %bb.201:
	global_load_ushort v3, v[1:2], off
	s_mov_b64 s[0:1], -1
	s_mov_b64 s[2:3], 0
	s_waitcnt vmcnt(0)
	v_lshlrev_b32_e32 v3, 16, v3
	v_cvt_i32_f32_e32 v3, v3
	s_branch .LBB223_206
.LBB223_202:
	s_mov_b64 s[8:9], -1
                                        ; implicit-def: $vgpr3
	s_branch .LBB223_207
.LBB223_203:
	s_andn2_saveexec_b64 s[0:1], s[0:1]
	s_cbranch_execz .LBB223_184
.LBB223_204:
	v_cmp_ne_u16_e32 vcc, 0, v4
	s_andn2_b64 s[8:9], s[8:9], exec
	s_and_b64 s[12:13], vcc, exec
	s_or_b64 s[8:9], s[8:9], s[12:13]
	s_or_b64 exec, exec, s[0:1]
	v_mov_b32_e32 v3, 0
	s_and_saveexec_b64 s[0:1], s[8:9]
	s_cbranch_execnz .LBB223_185
	s_branch .LBB223_186
.LBB223_205:
	s_mov_b64 s[2:3], -1
                                        ; implicit-def: $vgpr3
.LBB223_206:
	s_mov_b64 s[8:9], 0
.LBB223_207:
	s_and_b64 vcc, exec, s[8:9]
	s_cbranch_vccz .LBB223_211
; %bb.208:
	s_cmp_eq_u32 s10, 11
	s_cbranch_scc0 .LBB223_210
; %bb.209:
	global_load_ubyte v3, v[1:2], off
	s_mov_b64 s[0:1], -1
	s_mov_b64 s[2:3], 0
	s_waitcnt vmcnt(0)
	v_cmp_ne_u16_e32 vcc, 0, v3
	v_cndmask_b32_e64 v3, 0, 1, vcc
	s_branch .LBB223_211
.LBB223_210:
	s_mov_b64 s[2:3], -1
                                        ; implicit-def: $vgpr3
.LBB223_211:
	s_branch .LBB223_24
.LBB223_212:
	s_cmp_lt_i32 s10, 5
	s_cbranch_scc1 .LBB223_217
; %bb.213:
	s_cmp_lt_i32 s10, 8
	s_cbranch_scc1 .LBB223_218
; %bb.214:
	;; [unrolled: 3-line block ×3, first 2 shown]
	s_cmp_gt_i32 s10, 9
	s_cbranch_scc0 .LBB223_220
; %bb.216:
	global_load_dwordx2 v[3:4], v[1:2], off
	s_mov_b64 s[0:1], 0
	s_waitcnt vmcnt(0)
	v_cvt_i32_f64_e32 v3, v[3:4]
	s_branch .LBB223_221
.LBB223_217:
                                        ; implicit-def: $vgpr3
	s_branch .LBB223_239
.LBB223_218:
	s_mov_b64 s[0:1], -1
                                        ; implicit-def: $vgpr3
	s_branch .LBB223_227
.LBB223_219:
	s_mov_b64 s[0:1], -1
                                        ; implicit-def: $vgpr3
	s_branch .LBB223_224
.LBB223_220:
	s_mov_b64 s[0:1], -1
                                        ; implicit-def: $vgpr3
.LBB223_221:
	s_andn2_b64 vcc, exec, s[0:1]
	s_cbranch_vccnz .LBB223_223
; %bb.222:
	global_load_dword v3, v[1:2], off
	s_waitcnt vmcnt(0)
	v_cvt_i32_f32_e32 v3, v3
.LBB223_223:
	s_mov_b64 s[0:1], 0
.LBB223_224:
	s_andn2_b64 vcc, exec, s[0:1]
	s_cbranch_vccnz .LBB223_226
; %bb.225:
	global_load_dword v3, v[1:2], off
	s_waitcnt vmcnt(0)
	v_cvt_i16_f16_e32 v3, v3
.LBB223_226:
	s_mov_b64 s[0:1], 0
.LBB223_227:
	s_andn2_b64 vcc, exec, s[0:1]
	s_cbranch_vccnz .LBB223_238
; %bb.228:
	s_cmp_lt_i32 s10, 6
	s_cbranch_scc1 .LBB223_231
; %bb.229:
	s_cmp_gt_i32 s10, 6
	s_cbranch_scc0 .LBB223_232
; %bb.230:
	global_load_dwordx2 v[3:4], v[1:2], off
	s_mov_b64 s[0:1], 0
	s_waitcnt vmcnt(0)
	v_cvt_i32_f64_e32 v3, v[3:4]
	s_branch .LBB223_233
.LBB223_231:
	s_mov_b64 s[0:1], -1
                                        ; implicit-def: $vgpr3
	s_branch .LBB223_236
.LBB223_232:
	s_mov_b64 s[0:1], -1
                                        ; implicit-def: $vgpr3
.LBB223_233:
	s_andn2_b64 vcc, exec, s[0:1]
	s_cbranch_vccnz .LBB223_235
; %bb.234:
	global_load_dword v3, v[1:2], off
	s_waitcnt vmcnt(0)
	v_cvt_i32_f32_e32 v3, v3
.LBB223_235:
	s_mov_b64 s[0:1], 0
.LBB223_236:
	s_andn2_b64 vcc, exec, s[0:1]
	s_cbranch_vccnz .LBB223_238
; %bb.237:
	global_load_ushort v3, v[1:2], off
	s_waitcnt vmcnt(0)
	v_cvt_i16_f16_e32 v3, v3
.LBB223_238:
	s_cbranch_execnz .LBB223_258
.LBB223_239:
	s_cmp_lt_i32 s10, 2
	s_cbranch_scc1 .LBB223_243
; %bb.240:
	s_cmp_lt_i32 s10, 3
	s_cbranch_scc1 .LBB223_244
; %bb.241:
	s_cmp_gt_i32 s10, 3
	s_cbranch_scc0 .LBB223_245
; %bb.242:
	global_load_dwordx2 v[3:4], v[1:2], off
	s_mov_b64 s[0:1], 0
	s_branch .LBB223_246
.LBB223_243:
	s_mov_b64 s[0:1], -1
                                        ; implicit-def: $vgpr3
	s_branch .LBB223_252
.LBB223_244:
	s_mov_b64 s[0:1], -1
                                        ; implicit-def: $vgpr3
	s_branch .LBB223_249
.LBB223_245:
	s_mov_b64 s[0:1], -1
                                        ; implicit-def: $vgpr3
.LBB223_246:
	s_andn2_b64 vcc, exec, s[0:1]
	s_cbranch_vccnz .LBB223_248
; %bb.247:
	global_load_dword v3, v[1:2], off
.LBB223_248:
	s_mov_b64 s[0:1], 0
.LBB223_249:
	s_andn2_b64 vcc, exec, s[0:1]
	s_cbranch_vccnz .LBB223_251
; %bb.250:
	global_load_ushort v3, v[1:2], off
.LBB223_251:
	s_mov_b64 s[0:1], 0
.LBB223_252:
	s_andn2_b64 vcc, exec, s[0:1]
	s_cbranch_vccnz .LBB223_258
; %bb.253:
	s_cmp_gt_i32 s10, 0
	s_cbranch_scc0 .LBB223_255
; %bb.254:
	global_load_sbyte v3, v[1:2], off
	s_mov_b64 s[0:1], 0
	s_branch .LBB223_256
.LBB223_255:
	s_mov_b64 s[0:1], -1
                                        ; implicit-def: $vgpr3
.LBB223_256:
	s_andn2_b64 vcc, exec, s[0:1]
	s_cbranch_vccnz .LBB223_258
; %bb.257:
	global_load_ubyte v3, v[1:2], off
.LBB223_258:
	s_branch .LBB223_25
.LBB223_259:
	s_mov_b64 s[0:1], 0
.LBB223_260:
	s_mov_b64 s[8:9], 0
                                        ; implicit-def: $vgpr8
.LBB223_261:
	s_and_b64 s[52:53], s[0:1], exec
	s_and_b64 s[54:55], s[2:3], exec
	s_orn2_b64 s[2:3], s[8:9], exec
.LBB223_262:
	s_or_b64 exec, exec, s[56:57]
	s_mov_b64 s[10:11], 0
	s_mov_b64 s[0:1], 0
                                        ; implicit-def: $vgpr1_vgpr2
                                        ; implicit-def: $vgpr0
                                        ; implicit-def: $vgpr3
	s_and_saveexec_b64 s[56:57], s[2:3]
	s_cbranch_execz .LBB223_269
; %bb.263:
	v_cmp_gt_i32_e32 vcc, s70, v8
	s_mov_b64 s[0:1], -1
	s_mov_b64 s[58:59], s[54:55]
	s_mov_b64 s[60:61], s[52:53]
	s_and_saveexec_b64 s[62:63], vcc
	s_cbranch_execz .LBB223_534
; %bb.264:
	s_andn2_b64 vcc, exec, s[40:41]
	s_cbranch_vccnz .LBB223_272
; %bb.265:
	s_andn2_b64 vcc, exec, s[50:51]
	s_cbranch_vccnz .LBB223_273
; %bb.266:
	s_add_i32 s65, s77, 1
	s_cmp_eq_u32 s72, 2
	s_cbranch_scc1 .LBB223_274
; %bb.267:
	s_and_b32 s64, s65, 28
	v_mov_b32_e32 v2, 0
	s_mov_b32 s66, 0
	s_mov_b64 s[58:59], s[34:35]
	s_mov_b64 s[60:61], s[48:49]
	v_mov_b32_e32 v0, 0
	v_mov_b32_e32 v1, v8
.LBB223_268:                            ; =>This Inner Loop Header: Depth=1
	s_load_dwordx8 s[16:23], s[58:59], 0x4
	s_load_dwordx4 s[0:3], s[58:59], 0x24
	s_load_dwordx8 s[8:15], s[60:61], 0x0
	s_add_u32 s58, s58, 48
	s_addc_u32 s59, s59, 0
	s_waitcnt vmcnt(0) lgkmcnt(0)
	v_mul_hi_u32 v3, s17, v1
	s_add_i32 s66, s66, 4
	s_add_u32 s60, s60, 32
	s_addc_u32 s61, s61, 0
	v_add_u32_e32 v3, v1, v3
	v_lshrrev_b32_e32 v3, s18, v3
	v_mul_lo_u32 v4, v3, s16
	v_mul_hi_u32 v5, s20, v3
	s_cmp_eq_u32 s64, s66
	v_sub_u32_e32 v1, v1, v4
	v_add_u32_e32 v4, v3, v5
	v_mul_lo_u32 v5, v1, s8
	v_mul_lo_u32 v6, v1, s9
	v_lshrrev_b32_e32 v1, s21, v4
	v_mul_lo_u32 v4, v1, s19
	v_mul_hi_u32 v7, s23, v1
	v_sub_u32_e32 v3, v3, v4
	v_add_u32_e32 v4, v1, v7
	v_lshrrev_b32_e32 v4, s0, v4
	v_mul_hi_u32 v9, s2, v4
	v_mul_lo_u32 v10, v4, s22
	v_mul_lo_u32 v7, v3, s10
	;; [unrolled: 1-line block ×3, first 2 shown]
	v_sub_u32_e32 v10, v1, v10
	v_add_u32_e32 v1, v4, v9
	v_lshrrev_b32_e32 v1, s3, v1
	v_mul_lo_u32 v9, v1, s1
	v_mul_lo_u32 v11, v10, s12
	v_mul_lo_u32 v10, v10, s13
	v_add3_u32 v0, v5, v0, v7
	v_sub_u32_e32 v4, v4, v9
	v_mul_lo_u32 v9, v4, s14
	v_mul_lo_u32 v4, v4, s15
	v_add3_u32 v2, v6, v2, v3
	v_add3_u32 v0, v11, v0, v9
	;; [unrolled: 1-line block ×3, first 2 shown]
	s_cbranch_scc0 .LBB223_268
	s_branch .LBB223_275
.LBB223_269:
	s_or_b64 exec, exec, s[56:57]
	s_mov_b64 s[2:3], 0
	s_and_saveexec_b64 s[8:9], s[54:55]
	s_cbranch_execnz .LBB223_902
.LBB223_270:
	s_or_b64 exec, exec, s[8:9]
	s_and_saveexec_b64 s[8:9], s[60:61]
	s_xor_b64 s[8:9], exec, s[8:9]
	s_cbranch_execz .LBB223_903
.LBB223_271:
	global_load_ubyte v3, v[1:2], off
	s_or_b64 s[0:1], s[0:1], exec
	s_waitcnt vmcnt(0)
	v_cmp_ne_u16_e32 vcc, 0, v3
	v_cndmask_b32_e64 v3, 0, 1, vcc
	s_or_b64 exec, exec, s[8:9]
	s_and_saveexec_b64 s[8:9], s[10:11]
	s_cbranch_execz .LBB223_949
	s_branch .LBB223_904
.LBB223_272:
                                        ; implicit-def: $vgpr0
                                        ; implicit-def: $vgpr2
	s_andn2_b64 vcc, exec, s[0:1]
	s_cbranch_vccz .LBB223_279
	s_branch .LBB223_281
.LBB223_273:
	v_mov_b32_e32 v0, 0
	v_mov_b32_e32 v2, 0
	s_branch .LBB223_278
.LBB223_274:
	s_mov_b32 s64, 0
	v_mov_b32_e32 v0, 0
	v_mov_b32_e32 v2, 0
	;; [unrolled: 1-line block ×3, first 2 shown]
.LBB223_275:
	s_and_b32 s8, s65, 3
	s_cmp_eq_u32 s8, 0
	s_cbranch_scc1 .LBB223_278
; %bb.276:
	s_lshl_b32 s0, s64, 3
	s_add_u32 s0, s34, s0
	s_addc_u32 s1, s35, 0
	s_add_u32 s0, s0, 0xc4
	s_addc_u32 s1, s1, 0
	s_mul_i32 s2, s64, 12
	s_add_u32 s2, s34, s2
	s_addc_u32 s3, s35, 0
.LBB223_277:                            ; =>This Inner Loop Header: Depth=1
	s_load_dwordx2 s[10:11], s[2:3], 0x4
	s_load_dword s9, s[2:3], 0xc
	s_load_dwordx2 s[12:13], s[0:1], 0x0
	s_add_u32 s2, s2, 12
	s_addc_u32 s3, s3, 0
	s_waitcnt vmcnt(0) lgkmcnt(0)
	v_mul_hi_u32 v3, s11, v1
	s_add_u32 s0, s0, 8
	s_addc_u32 s1, s1, 0
	s_add_i32 s8, s8, -1
	v_add_u32_e32 v3, v1, v3
	v_lshrrev_b32_e32 v4, s9, v3
	v_mul_lo_u32 v3, v4, s10
	s_cmp_lg_u32 s8, 0
	v_sub_u32_e32 v3, v1, v3
	v_mad_u64_u32 v[0:1], s[10:11], v3, s12, v[0:1]
	v_mad_u64_u32 v[2:3], s[10:11], v3, s13, v[2:3]
	v_mov_b32_e32 v1, v4
	s_cbranch_scc1 .LBB223_277
.LBB223_278:
	s_cbranch_execnz .LBB223_281
.LBB223_279:
	v_mul_hi_u32 v0, s29, v8
	s_andn2_b64 vcc, exec, s[46:47]
	v_add_u32_e32 v0, v8, v0
	v_lshrrev_b32_e32 v1, s30, v0
	v_mul_lo_u32 v0, v1, s28
	v_sub_u32_e32 v2, v8, v0
	v_mul_lo_u32 v0, v2, s36
	v_mul_lo_u32 v2, v2, s37
	s_cbranch_vccnz .LBB223_281
; %bb.280:
	s_waitcnt vmcnt(0)
	v_mul_hi_u32 v3, s44, v1
	v_add_u32_e32 v3, v1, v3
	v_lshrrev_b32_e32 v3, s45, v3
	v_mul_lo_u32 v3, v3, s31
	v_sub_u32_e32 v3, v1, v3
	v_mad_u64_u32 v[0:1], s[0:1], v3, s38, v[0:1]
	v_mad_u64_u32 v[2:3], s[0:1], v3, s39, v[2:3]
.LBB223_281:
	s_waitcnt vmcnt(0)
	v_mov_b32_e32 v3, s27
	s_and_b32 s10, 0xffff, s76
	v_add_co_u32_e32 v1, vcc, s26, v2
	s_cmp_lt_i32 s10, 11
	v_addc_co_u32_e32 v2, vcc, 0, v3, vcc
	s_cbranch_scc1 .LBB223_288
; %bb.282:
	s_cmp_gt_i32 s10, 25
	s_cbranch_scc0 .LBB223_297
; %bb.283:
	s_cmp_gt_i32 s10, 28
	s_cbranch_scc0 .LBB223_299
	;; [unrolled: 3-line block ×4, first 2 shown]
; %bb.286:
	s_cmp_eq_u32 s10, 46
	s_mov_b64 s[8:9], 0
	s_cbranch_scc0 .LBB223_309
; %bb.287:
	global_load_dword v3, v[1:2], off
	s_mov_b64 s[0:1], -1
	s_mov_b64 s[2:3], 0
	s_waitcnt vmcnt(0)
	v_lshlrev_b32_e32 v3, 16, v3
	v_cvt_i32_f32_e32 v3, v3
	s_branch .LBB223_310
.LBB223_288:
	s_mov_b64 s[0:1], 0
                                        ; implicit-def: $vgpr3
	s_mov_b64 s[2:3], s[54:55]
	s_cbranch_execnz .LBB223_483
.LBB223_289:
	s_andn2_b64 vcc, exec, s[0:1]
	s_cbranch_vccnz .LBB223_531
.LBB223_290:
	s_waitcnt vmcnt(0)
	v_ashrrev_i32_sdwa v1, v3, s74 dst_sel:DWORD dst_unused:UNUSED_PAD src0_sel:WORD_0 src1_sel:DWORD
	v_mov_b32_e32 v2, s75
	v_cmp_lt_u16_e32 vcc, 14, v3
	v_cndmask_b32_e32 v4, v1, v2, vcc
	v_mov_b32_e32 v1, s25
	s_and_b32 s14, s73, 0xff
	v_add_co_u32_e32 v0, vcc, s24, v0
	s_cmp_lt_i32 s14, 11
	v_addc_co_u32_e32 v1, vcc, 0, v1, vcc
	s_cbranch_scc1 .LBB223_298
; %bb.291:
	s_and_b32 s15, 0xffff, s14
	s_cmp_gt_i32 s15, 25
	s_cbranch_scc0 .LBB223_300
; %bb.292:
	s_cmp_gt_i32 s15, 28
	s_cbranch_scc0 .LBB223_302
; %bb.293:
	;; [unrolled: 3-line block ×4, first 2 shown]
	s_mov_b64 s[10:11], 0
	s_mov_b64 s[0:1], -1
	s_cmp_eq_u32 s15, 46
	s_mov_b64 s[8:9], 0
	s_cbranch_scc0 .LBB223_314
; %bb.296:
	v_cvt_f32_i32_sdwa v2, sext(v4) dst_sel:DWORD dst_unused:UNUSED_PAD src0_sel:WORD_0
	s_movk_i32 s0, 0x7fff
	s_mov_b64 s[8:9], -1
	v_bfe_u32 v3, v2, 16, 1
	v_add3_u32 v2, v2, v3, s0
	v_lshrrev_b32_e32 v2, 16, v2
	global_store_dword v[0:1], v2, off
	s_mov_b64 s[0:1], 0
	s_branch .LBB223_314
.LBB223_297:
	s_mov_b64 s[8:9], -1
	s_mov_b64 s[0:1], 0
	s_mov_b64 s[2:3], s[54:55]
                                        ; implicit-def: $vgpr3
	s_branch .LBB223_449
.LBB223_298:
	s_mov_b64 s[10:11], -1
	s_mov_b64 s[8:9], 0
	s_mov_b64 s[0:1], s[52:53]
	s_branch .LBB223_383
.LBB223_299:
	s_mov_b64 s[8:9], -1
	s_mov_b64 s[0:1], 0
	s_mov_b64 s[2:3], s[54:55]
                                        ; implicit-def: $vgpr3
	s_branch .LBB223_432
.LBB223_300:
	s_mov_b64 s[10:11], -1
	s_mov_b64 s[8:9], 0
	s_mov_b64 s[0:1], s[52:53]
	s_branch .LBB223_341
.LBB223_301:
	s_mov_b64 s[8:9], -1
	s_mov_b64 s[0:1], 0
	s_mov_b64 s[2:3], s[54:55]
                                        ; implicit-def: $vgpr3
	s_branch .LBB223_427
.LBB223_302:
	s_mov_b64 s[10:11], -1
	s_mov_b64 s[8:9], 0
	s_mov_b64 s[0:1], s[52:53]
	s_branch .LBB223_324
.LBB223_303:
	s_andn2_saveexec_b64 s[12:13], s[12:13]
	s_cbranch_execz .LBB223_68
.LBB223_304:
	s_mov_b32 s16, 0x46000000
	v_add_f32_e64 v3, |v2|, s16
	v_and_b32_e32 v3, 0xff, v3
	v_cmp_ne_u32_e32 vcc, 0, v3
	s_andn2_b64 s[10:11], s[10:11], exec
	s_and_b64 s[16:17], vcc, exec
	s_or_b64 s[10:11], s[10:11], s[16:17]
	s_or_b64 exec, exec, s[12:13]
	v_mov_b32_e32 v5, 0
	s_and_saveexec_b64 s[12:13], s[10:11]
	s_cbranch_execnz .LBB223_69
	s_branch .LBB223_70
.LBB223_305:
	s_mov_b64 s[8:9], -1
	s_mov_b64 s[0:1], 0
	s_mov_b64 s[2:3], s[54:55]
                                        ; implicit-def: $vgpr3
	s_branch .LBB223_310
.LBB223_306:
	s_mov_b64 s[10:11], -1
	s_mov_b64 s[8:9], 0
	s_mov_b64 s[0:1], s[52:53]
	s_branch .LBB223_320
.LBB223_307:
	s_andn2_saveexec_b64 s[12:13], s[12:13]
	s_cbranch_execz .LBB223_81
.LBB223_308:
	s_mov_b32 s16, 0x42800000
	v_add_f32_e64 v3, |v2|, s16
	v_and_b32_e32 v3, 0xff, v3
	v_cmp_ne_u32_e32 vcc, 0, v3
	s_andn2_b64 s[10:11], s[10:11], exec
	s_and_b64 s[16:17], vcc, exec
	s_or_b64 s[10:11], s[10:11], s[16:17]
	s_or_b64 exec, exec, s[12:13]
	v_mov_b32_e32 v5, 0
	s_and_saveexec_b64 s[12:13], s[10:11]
	s_cbranch_execnz .LBB223_82
	s_branch .LBB223_83
.LBB223_309:
	s_mov_b64 s[2:3], -1
                                        ; implicit-def: $vgpr3
	s_mov_b64 s[0:1], 0
.LBB223_310:
	s_and_b64 vcc, exec, s[8:9]
	s_cbranch_vccz .LBB223_426
; %bb.311:
	s_cmp_eq_u32 s10, 44
	s_cbranch_scc0 .LBB223_425
; %bb.312:
	global_load_ubyte v3, v[1:2], off
	s_mov_b64 s[0:1], -1
	s_mov_b64 s[2:3], 0
	s_waitcnt vmcnt(0)
	v_lshlrev_b32_e32 v4, 23, v3
	v_cvt_i32_f32_e32 v4, v4
	v_cmp_ne_u32_e32 vcc, 0, v3
	v_cndmask_b32_e32 v3, 0, v4, vcc
	s_branch .LBB223_426
.LBB223_313:
	s_mov_b64 s[10:11], -1
	s_mov_b64 s[8:9], 0
	s_mov_b64 s[0:1], s[52:53]
.LBB223_314:
	s_and_b64 vcc, exec, s[10:11]
	s_cbranch_vccz .LBB223_319
; %bb.315:
	s_cmp_eq_u32 s15, 44
	s_mov_b64 s[0:1], -1
	s_cbranch_scc0 .LBB223_319
; %bb.316:
	v_cvt_f32_i32_sdwa v2, sext(v4) dst_sel:DWORD dst_unused:UNUSED_PAD src0_sel:WORD_0
	s_movk_i32 s0, 0xff
	v_mov_b32_e32 v5, 0xff
	v_bfe_u32 v3, v2, 23, 8
	v_cmp_ne_u32_e32 vcc, s0, v3
	s_and_saveexec_b64 s[8:9], vcc
; %bb.317:
	s_mov_b32 s0, 0x3fffff
	v_lshrrev_b32_e32 v5, 23, v2
	v_and_b32_e32 v6, 0x400000, v2
	v_and_or_b32 v2, v2, s0, v3
	v_cmp_ne_u32_e32 vcc, 0, v6
	v_cmp_ne_u32_e64 s[0:1], 0, v2
	s_and_b64 s[0:1], vcc, s[0:1]
	v_cndmask_b32_e64 v2, 0, 1, s[0:1]
	v_add_u32_e32 v5, v5, v2
; %bb.318:
	s_or_b64 exec, exec, s[8:9]
	s_mov_b64 s[8:9], -1
	s_mov_b64 s[0:1], 0
	global_store_byte v[0:1], v5, off
.LBB223_319:
	s_mov_b64 s[10:11], 0
.LBB223_320:
	s_and_b64 vcc, exec, s[10:11]
	s_cbranch_vccz .LBB223_323
; %bb.321:
	s_cmp_eq_u32 s15, 29
	s_mov_b64 s[0:1], -1
	s_cbranch_scc0 .LBB223_323
; %bb.322:
	v_bfe_i32 v2, v4, 0, 16
	v_ashrrev_i32_e32 v3, 31, v2
	global_store_dwordx2 v[0:1], v[2:3], off
	s_mov_b64 s[8:9], -1
	s_mov_b64 s[0:1], 0
.LBB223_323:
	s_mov_b64 s[10:11], 0
.LBB223_324:
	s_and_b64 vcc, exec, s[10:11]
	s_cbranch_vccz .LBB223_340
; %bb.325:
	s_cmp_lt_i32 s15, 27
	s_mov_b64 s[8:9], -1
	s_cbranch_scc1 .LBB223_331
; %bb.326:
	s_cmp_gt_i32 s15, 27
	s_cbranch_scc0 .LBB223_328
; %bb.327:
	v_bfe_i32 v2, v4, 0, 16
	s_mov_b64 s[8:9], 0
	global_store_dword v[0:1], v2, off
.LBB223_328:
	s_andn2_b64 vcc, exec, s[8:9]
	s_cbranch_vccnz .LBB223_330
; %bb.329:
	global_store_short v[0:1], v4, off
.LBB223_330:
	s_mov_b64 s[8:9], 0
.LBB223_331:
	s_andn2_b64 vcc, exec, s[8:9]
	s_cbranch_vccnz .LBB223_339
; %bb.332:
	v_cvt_f32_i32_sdwa v2, sext(v4) dst_sel:DWORD dst_unused:UNUSED_PAD src0_sel:WORD_0
	s_mov_b32 s8, 0x43800000
	v_mov_b32_e32 v5, 0x80
	v_and_b32_e32 v3, 0x7fffffff, v2
	v_cmp_gt_u32_e32 vcc, s8, v3
	s_and_saveexec_b64 s[8:9], vcc
	s_cbranch_execz .LBB223_338
; %bb.333:
	s_mov_b32 s10, 0x3bffffff
	v_cmp_lt_u32_e32 vcc, s10, v3
	s_mov_b64 s[10:11], 0
                                        ; implicit-def: $vgpr3
	s_and_saveexec_b64 s[12:13], vcc
	s_xor_b64 s[12:13], exec, s[12:13]
	s_cbranch_execz .LBB223_562
; %bb.334:
	v_bfe_u32 v3, v2, 20, 1
	s_mov_b32 s16, 0x487ffff
	v_add3_u32 v3, v2, v3, s16
	s_mov_b64 s[10:11], exec
	v_lshrrev_b32_e32 v3, 20, v3
	s_andn2_saveexec_b64 s[12:13], s[12:13]
	s_cbranch_execnz .LBB223_563
.LBB223_335:
	s_or_b64 exec, exec, s[12:13]
	v_mov_b32_e32 v5, 0
	s_and_saveexec_b64 s[12:13], s[10:11]
.LBB223_336:
	v_lshrrev_b32_e32 v2, 24, v2
	s_movk_i32 s10, 0x80
	v_and_or_b32 v5, v2, s10, v3
.LBB223_337:
	s_or_b64 exec, exec, s[12:13]
.LBB223_338:
	s_or_b64 exec, exec, s[8:9]
	global_store_byte v[0:1], v5, off
.LBB223_339:
	s_mov_b64 s[8:9], -1
.LBB223_340:
	s_mov_b64 s[10:11], 0
.LBB223_341:
	s_and_b64 vcc, exec, s[10:11]
	s_cbranch_vccz .LBB223_382
; %bb.342:
	s_cmp_gt_i32 s15, 22
	s_mov_b64 s[10:11], -1
	s_cbranch_scc0 .LBB223_374
; %bb.343:
	s_cmp_lt_i32 s15, 24
	s_mov_b64 s[8:9], -1
	s_cbranch_scc1 .LBB223_363
; %bb.344:
	s_cmp_gt_i32 s15, 24
	s_cbranch_scc0 .LBB223_352
; %bb.345:
	v_cvt_f32_i32_sdwa v2, sext(v4) dst_sel:DWORD dst_unused:UNUSED_PAD src0_sel:WORD_0
	s_mov_b32 s8, 0x47800000
	v_mov_b32_e32 v5, 0x80
	v_and_b32_e32 v3, 0x7fffffff, v2
	v_cmp_gt_u32_e32 vcc, s8, v3
	s_and_saveexec_b64 s[8:9], vcc
	s_cbranch_execz .LBB223_351
; %bb.346:
	s_mov_b32 s10, 0x37ffffff
	v_cmp_lt_u32_e32 vcc, s10, v3
	s_mov_b64 s[10:11], 0
                                        ; implicit-def: $vgpr3
	s_and_saveexec_b64 s[12:13], vcc
	s_xor_b64 s[12:13], exec, s[12:13]
	s_cbranch_execz .LBB223_565
; %bb.347:
	v_bfe_u32 v3, v2, 21, 1
	s_mov_b32 s16, 0x88fffff
	v_add3_u32 v3, v2, v3, s16
	s_mov_b64 s[10:11], exec
	v_lshrrev_b32_e32 v3, 21, v3
	s_andn2_saveexec_b64 s[12:13], s[12:13]
	s_cbranch_execnz .LBB223_566
.LBB223_348:
	s_or_b64 exec, exec, s[12:13]
	v_mov_b32_e32 v5, 0
	s_and_saveexec_b64 s[12:13], s[10:11]
.LBB223_349:
	v_lshrrev_b32_e32 v2, 24, v2
	s_movk_i32 s10, 0x80
	v_and_or_b32 v5, v2, s10, v3
.LBB223_350:
	s_or_b64 exec, exec, s[12:13]
.LBB223_351:
	s_or_b64 exec, exec, s[8:9]
	s_mov_b64 s[8:9], 0
	global_store_byte v[0:1], v5, off
.LBB223_352:
	s_and_b64 vcc, exec, s[8:9]
	s_cbranch_vccz .LBB223_362
; %bb.353:
	v_cvt_f32_i32_sdwa v2, sext(v4) dst_sel:DWORD dst_unused:UNUSED_PAD src0_sel:WORD_0
	s_mov_b32 s8, 0x43f00000
                                        ; implicit-def: $vgpr3
	v_and_b32_e32 v5, 0x7fffffff, v2
	v_cmp_gt_u32_e32 vcc, s8, v5
	s_and_saveexec_b64 s[8:9], vcc
	s_xor_b64 s[8:9], exec, s[8:9]
	s_cbranch_execz .LBB223_359
; %bb.354:
	s_mov_b32 s10, 0x3c7fffff
	v_cmp_lt_u32_e32 vcc, s10, v5
                                        ; implicit-def: $vgpr3
	s_and_saveexec_b64 s[10:11], vcc
	s_xor_b64 s[10:11], exec, s[10:11]
; %bb.355:
	v_bfe_u32 v3, v2, 20, 1
	s_mov_b32 s12, 0x407ffff
	v_add3_u32 v3, v2, v3, s12
	v_lshrrev_b32_e32 v5, 20, v3
	v_and_b32_e32 v3, 0xff00000, v3
	s_mov_b32 s12, 0x7f00000
	v_mov_b32_e32 v6, 0x7e
	v_cmp_ne_u32_e32 vcc, s12, v3
	v_cndmask_b32_e32 v3, v6, v5, vcc
; %bb.356:
	s_andn2_saveexec_b64 s[10:11], s[10:11]
; %bb.357:
	s_mov_b32 s12, 0x46800000
	v_add_f32_e64 v3, |v2|, s12
; %bb.358:
	s_or_b64 exec, exec, s[10:11]
                                        ; implicit-def: $vgpr5
.LBB223_359:
	s_andn2_saveexec_b64 s[8:9], s[8:9]
; %bb.360:
	s_mov_b32 s10, 0x7f800000
	v_mov_b32_e32 v3, 0x7e
	v_mov_b32_e32 v6, 0x7f
	v_cmp_lt_u32_e32 vcc, s10, v5
	v_cndmask_b32_e32 v3, v3, v6, vcc
; %bb.361:
	s_or_b64 exec, exec, s[8:9]
	v_lshrrev_b32_e32 v2, 24, v2
	s_movk_i32 s8, 0x80
	v_and_or_b32 v2, v2, s8, v3
	global_store_byte v[0:1], v2, off
.LBB223_362:
	s_mov_b64 s[8:9], 0
.LBB223_363:
	s_andn2_b64 vcc, exec, s[8:9]
	s_cbranch_vccnz .LBB223_373
; %bb.364:
	v_cvt_f32_i32_sdwa v2, sext(v4) dst_sel:DWORD dst_unused:UNUSED_PAD src0_sel:WORD_0
	s_mov_b32 s8, 0x47800000
                                        ; implicit-def: $vgpr3
	v_and_b32_e32 v5, 0x7fffffff, v2
	v_cmp_gt_u32_e32 vcc, s8, v5
	s_and_saveexec_b64 s[8:9], vcc
	s_xor_b64 s[8:9], exec, s[8:9]
	s_cbranch_execz .LBB223_370
; %bb.365:
	s_mov_b32 s10, 0x387fffff
	v_cmp_lt_u32_e32 vcc, s10, v5
                                        ; implicit-def: $vgpr3
	s_and_saveexec_b64 s[10:11], vcc
	s_xor_b64 s[10:11], exec, s[10:11]
; %bb.366:
	v_bfe_u32 v3, v2, 21, 1
	s_mov_b32 s12, 0x80fffff
	v_add3_u32 v3, v2, v3, s12
	v_lshrrev_b32_e32 v3, 21, v3
; %bb.367:
	s_andn2_saveexec_b64 s[10:11], s[10:11]
; %bb.368:
	s_mov_b32 s12, 0x43000000
	v_add_f32_e64 v3, |v2|, s12
; %bb.369:
	s_or_b64 exec, exec, s[10:11]
                                        ; implicit-def: $vgpr5
.LBB223_370:
	s_andn2_saveexec_b64 s[8:9], s[8:9]
; %bb.371:
	s_mov_b32 s10, 0x7f800000
	v_mov_b32_e32 v3, 0x7c
	v_mov_b32_e32 v6, 0x7f
	v_cmp_lt_u32_e32 vcc, s10, v5
	v_cndmask_b32_e32 v3, v3, v6, vcc
; %bb.372:
	s_or_b64 exec, exec, s[8:9]
	v_lshrrev_b32_e32 v2, 24, v2
	s_movk_i32 s8, 0x80
	v_and_or_b32 v2, v2, s8, v3
	global_store_byte v[0:1], v2, off
.LBB223_373:
	s_mov_b64 s[10:11], 0
	s_mov_b64 s[8:9], -1
.LBB223_374:
	s_andn2_b64 vcc, exec, s[10:11]
	s_cbranch_vccnz .LBB223_382
; %bb.375:
	s_cmp_gt_i32 s15, 14
	s_mov_b64 s[10:11], -1
	s_cbranch_scc0 .LBB223_379
; %bb.376:
	s_cmp_eq_u32 s15, 15
	s_mov_b64 s[0:1], -1
	s_cbranch_scc0 .LBB223_378
; %bb.377:
	v_cvt_f32_i32_sdwa v2, sext(v4) dst_sel:DWORD dst_unused:UNUSED_PAD src0_sel:WORD_0
	s_movk_i32 s0, 0x7fff
	s_mov_b64 s[8:9], -1
	v_bfe_u32 v3, v2, 16, 1
	v_add3_u32 v2, v2, v3, s0
	global_store_short_d16_hi v[0:1], v2, off
	s_mov_b64 s[0:1], 0
.LBB223_378:
	s_mov_b64 s[10:11], 0
.LBB223_379:
	s_and_b64 vcc, exec, s[10:11]
	s_cbranch_vccz .LBB223_382
; %bb.380:
	s_cmp_eq_u32 s15, 11
	s_mov_b64 s[0:1], -1
	s_cbranch_scc0 .LBB223_382
; %bb.381:
	v_cmp_ne_u16_e32 vcc, 0, v4
	v_cndmask_b32_e64 v2, 0, 1, vcc
	s_mov_b64 s[8:9], -1
	s_mov_b64 s[0:1], 0
	global_store_byte v[0:1], v2, off
.LBB223_382:
	s_mov_b64 s[10:11], 0
.LBB223_383:
	s_and_b64 vcc, exec, s[10:11]
	s_cbranch_vccz .LBB223_422
; %bb.384:
	s_and_b32 s10, 0xffff, s14
	s_cmp_lt_i32 s10, 5
	s_mov_b64 s[8:9], -1
	s_cbranch_scc1 .LBB223_405
; %bb.385:
	s_cmp_lt_i32 s10, 8
	s_cbranch_scc1 .LBB223_395
; %bb.386:
	s_cmp_lt_i32 s10, 9
	s_cbranch_scc1 .LBB223_392
; %bb.387:
	s_cmp_gt_i32 s10, 9
	s_cbranch_scc0 .LBB223_389
; %bb.388:
	v_bfe_i32 v2, v4, 0, 16
	v_cvt_f64_i32_e32 v[9:10], v2
	v_mov_b32_e32 v11, 0
	v_mov_b32_e32 v12, v11
	s_mov_b64 s[8:9], 0
	global_store_dwordx4 v[0:1], v[9:12], off
.LBB223_389:
	s_andn2_b64 vcc, exec, s[8:9]
	s_cbranch_vccnz .LBB223_391
; %bb.390:
	v_cvt_f32_i32_sdwa v2, sext(v4) dst_sel:DWORD dst_unused:UNUSED_PAD src0_sel:WORD_0
	v_mov_b32_e32 v3, 0
	global_store_dwordx2 v[0:1], v[2:3], off
.LBB223_391:
	s_mov_b64 s[8:9], 0
.LBB223_392:
	s_andn2_b64 vcc, exec, s[8:9]
	s_cbranch_vccnz .LBB223_394
; %bb.393:
	v_cvt_f16_i16_e32 v2, v4
	global_store_dword v[0:1], v2, off
.LBB223_394:
	s_mov_b64 s[8:9], 0
.LBB223_395:
	s_andn2_b64 vcc, exec, s[8:9]
	s_cbranch_vccnz .LBB223_404
; %bb.396:
	s_cmp_lt_i32 s10, 6
	s_mov_b64 s[8:9], -1
	s_cbranch_scc1 .LBB223_402
; %bb.397:
	s_cmp_gt_i32 s10, 6
	s_cbranch_scc0 .LBB223_399
; %bb.398:
	v_bfe_i32 v2, v4, 0, 16
	v_cvt_f64_i32_e32 v[2:3], v2
	s_mov_b64 s[8:9], 0
	global_store_dwordx2 v[0:1], v[2:3], off
.LBB223_399:
	s_andn2_b64 vcc, exec, s[8:9]
	s_cbranch_vccnz .LBB223_401
; %bb.400:
	v_cvt_f32_i32_sdwa v2, sext(v4) dst_sel:DWORD dst_unused:UNUSED_PAD src0_sel:WORD_0
	global_store_dword v[0:1], v2, off
.LBB223_401:
	s_mov_b64 s[8:9], 0
.LBB223_402:
	s_andn2_b64 vcc, exec, s[8:9]
	s_cbranch_vccnz .LBB223_404
; %bb.403:
	v_cvt_f16_i16_e32 v2, v4
	global_store_short v[0:1], v2, off
.LBB223_404:
	s_mov_b64 s[8:9], 0
.LBB223_405:
	s_andn2_b64 vcc, exec, s[8:9]
	s_cbranch_vccnz .LBB223_421
; %bb.406:
	s_cmp_lt_i32 s10, 2
	s_mov_b64 s[8:9], -1
	s_cbranch_scc1 .LBB223_416
; %bb.407:
	s_cmp_lt_i32 s10, 3
	s_cbranch_scc1 .LBB223_413
; %bb.408:
	s_cmp_gt_i32 s10, 3
	v_bfe_i32 v2, v4, 0, 16
	s_cbranch_scc0 .LBB223_410
; %bb.409:
	v_ashrrev_i32_e32 v3, 31, v2
	s_mov_b64 s[8:9], 0
	global_store_dwordx2 v[0:1], v[2:3], off
.LBB223_410:
	s_andn2_b64 vcc, exec, s[8:9]
	s_cbranch_vccnz .LBB223_412
; %bb.411:
	global_store_dword v[0:1], v2, off
.LBB223_412:
	s_mov_b64 s[8:9], 0
.LBB223_413:
	s_andn2_b64 vcc, exec, s[8:9]
	s_cbranch_vccnz .LBB223_415
; %bb.414:
	global_store_short v[0:1], v4, off
.LBB223_415:
	s_mov_b64 s[8:9], 0
.LBB223_416:
	s_andn2_b64 vcc, exec, s[8:9]
	s_cbranch_vccnz .LBB223_421
; %bb.417:
	s_cmp_gt_i32 s10, 0
	s_mov_b64 s[8:9], -1
	s_cbranch_scc0 .LBB223_419
; %bb.418:
	s_mov_b64 s[8:9], 0
	global_store_byte v[0:1], v4, off
.LBB223_419:
	s_andn2_b64 vcc, exec, s[8:9]
	s_cbranch_vccnz .LBB223_421
; %bb.420:
	global_store_byte v[0:1], v4, off
.LBB223_421:
	s_mov_b64 s[8:9], -1
.LBB223_422:
	s_andn2_b64 vcc, exec, s[8:9]
	s_cbranch_vccnz .LBB223_424
; %bb.423:
	v_add_u32_e32 v8, 0x80, v8
	s_mov_b64 s[8:9], -1
	s_branch .LBB223_533
.LBB223_424:
	s_mov_b64 s[8:9], 0
	s_branch .LBB223_532
.LBB223_425:
	s_mov_b64 s[2:3], -1
                                        ; implicit-def: $vgpr3
.LBB223_426:
	s_mov_b64 s[8:9], 0
.LBB223_427:
	s_and_b64 vcc, exec, s[8:9]
	s_cbranch_vccz .LBB223_431
; %bb.428:
	s_cmp_eq_u32 s10, 29
	s_cbranch_scc0 .LBB223_430
; %bb.429:
	global_load_dwordx2 v[3:4], v[1:2], off
	s_mov_b64 s[0:1], -1
	s_mov_b64 s[2:3], 0
	s_branch .LBB223_431
.LBB223_430:
	s_mov_b64 s[2:3], -1
                                        ; implicit-def: $vgpr3
.LBB223_431:
	s_mov_b64 s[8:9], 0
.LBB223_432:
	s_and_b64 vcc, exec, s[8:9]
	s_cbranch_vccz .LBB223_448
; %bb.433:
	s_cmp_lt_i32 s10, 27
	s_cbranch_scc1 .LBB223_436
; %bb.434:
	s_cmp_gt_i32 s10, 27
	s_cbranch_scc0 .LBB223_437
; %bb.435:
	global_load_dword v3, v[1:2], off
	s_mov_b64 s[0:1], 0
	s_branch .LBB223_438
.LBB223_436:
	s_mov_b64 s[0:1], -1
                                        ; implicit-def: $vgpr3
	s_branch .LBB223_441
.LBB223_437:
	s_mov_b64 s[0:1], -1
                                        ; implicit-def: $vgpr3
.LBB223_438:
	s_andn2_b64 vcc, exec, s[0:1]
	s_cbranch_vccnz .LBB223_440
; %bb.439:
	global_load_ushort v3, v[1:2], off
.LBB223_440:
	s_mov_b64 s[0:1], 0
.LBB223_441:
	s_andn2_b64 vcc, exec, s[0:1]
	s_cbranch_vccnz .LBB223_447
; %bb.442:
	global_load_ubyte v4, v[1:2], off
	s_movk_i32 s0, 0x7f
	s_mov_b64 s[8:9], 0
	s_waitcnt vmcnt(0)
	v_cmp_lt_i16_e32 vcc, s0, v4
	s_and_saveexec_b64 s[0:1], vcc
	s_xor_b64 s[0:1], exec, s[0:1]
	s_cbranch_execz .LBB223_459
; %bb.443:
	s_movk_i32 s8, 0x80
	v_cmp_ne_u16_e32 vcc, s8, v4
	s_and_b64 s[8:9], vcc, exec
	s_andn2_saveexec_b64 s[0:1], s[0:1]
	s_cbranch_execnz .LBB223_460
.LBB223_444:
	s_or_b64 exec, exec, s[0:1]
	v_mov_b32_e32 v3, 0
	s_and_saveexec_b64 s[0:1], s[8:9]
	s_cbranch_execz .LBB223_446
.LBB223_445:
	v_lshlrev_b32_e32 v3, 24, v4
	v_and_b32_e32 v4, 0xffff, v4
	v_and_b32_e32 v5, 7, v4
	v_ffbh_u32_e32 v7, v5
	v_min_u32_e32 v7, 32, v7
	v_subrev_u32_e32 v9, 28, v7
	v_bfe_u32 v6, v4, 3, 4
	v_lshlrev_b32_e32 v4, v9, v4
	v_sub_u32_e32 v7, 29, v7
	v_and_b32_e32 v4, 7, v4
	v_cmp_eq_u32_e32 vcc, 0, v6
	v_cndmask_b32_e32 v6, v6, v7, vcc
	v_cndmask_b32_e32 v4, v5, v4, vcc
	v_mov_b32_e32 v5, 0x3b800000
	v_lshlrev_b32_e32 v4, 20, v4
	v_and_b32_e32 v3, 0x80000000, v3
	v_lshl_add_u32 v5, v6, 23, v5
	v_or3_b32 v3, v3, v5, v4
	v_cvt_i32_f32_e32 v3, v3
.LBB223_446:
	s_or_b64 exec, exec, s[0:1]
.LBB223_447:
	s_mov_b64 s[0:1], -1
.LBB223_448:
	s_mov_b64 s[8:9], 0
.LBB223_449:
	s_and_b64 vcc, exec, s[8:9]
	s_cbranch_vccz .LBB223_482
; %bb.450:
	s_cmp_gt_i32 s10, 22
	s_cbranch_scc0 .LBB223_458
; %bb.451:
	s_cmp_lt_i32 s10, 24
	s_cbranch_scc1 .LBB223_461
; %bb.452:
	s_cmp_gt_i32 s10, 24
	s_cbranch_scc0 .LBB223_462
; %bb.453:
	global_load_ubyte v4, v[1:2], off
	s_movk_i32 s0, 0x7f
	s_mov_b64 s[8:9], 0
	s_waitcnt vmcnt(0)
	v_cmp_lt_i16_e32 vcc, s0, v4
	s_and_saveexec_b64 s[0:1], vcc
	s_xor_b64 s[0:1], exec, s[0:1]
	s_cbranch_execz .LBB223_474
; %bb.454:
	s_movk_i32 s8, 0x80
	v_cmp_ne_u16_e32 vcc, s8, v4
	s_and_b64 s[8:9], vcc, exec
	s_andn2_saveexec_b64 s[0:1], s[0:1]
	s_cbranch_execnz .LBB223_475
.LBB223_455:
	s_or_b64 exec, exec, s[0:1]
	v_mov_b32_e32 v3, 0
	s_and_saveexec_b64 s[0:1], s[8:9]
	s_cbranch_execz .LBB223_457
.LBB223_456:
	v_lshlrev_b32_e32 v3, 24, v4
	v_and_b32_e32 v4, 0xffff, v4
	v_and_b32_e32 v5, 3, v4
	v_ffbh_u32_e32 v7, v5
	v_min_u32_e32 v7, 32, v7
	v_subrev_u32_e32 v9, 29, v7
	v_bfe_u32 v6, v4, 2, 5
	v_lshlrev_b32_e32 v4, v9, v4
	v_sub_u32_e32 v7, 30, v7
	v_and_b32_e32 v4, 3, v4
	v_cmp_eq_u32_e32 vcc, 0, v6
	v_cndmask_b32_e32 v6, v6, v7, vcc
	v_cndmask_b32_e32 v4, v5, v4, vcc
	v_mov_b32_e32 v5, 0x37800000
	v_lshlrev_b32_e32 v4, 21, v4
	v_and_b32_e32 v3, 0x80000000, v3
	v_lshl_add_u32 v5, v6, 23, v5
	v_or3_b32 v3, v3, v5, v4
	v_cvt_i32_f32_e32 v3, v3
.LBB223_457:
	s_or_b64 exec, exec, s[0:1]
	s_mov_b64 s[0:1], 0
	s_branch .LBB223_463
.LBB223_458:
	s_mov_b64 s[8:9], -1
                                        ; implicit-def: $vgpr3
	s_branch .LBB223_469
.LBB223_459:
	s_andn2_saveexec_b64 s[0:1], s[0:1]
	s_cbranch_execz .LBB223_444
.LBB223_460:
	v_cmp_ne_u16_e32 vcc, 0, v4
	s_andn2_b64 s[8:9], s[8:9], exec
	s_and_b64 s[12:13], vcc, exec
	s_or_b64 s[8:9], s[8:9], s[12:13]
	s_or_b64 exec, exec, s[0:1]
	v_mov_b32_e32 v3, 0
	s_and_saveexec_b64 s[0:1], s[8:9]
	s_cbranch_execnz .LBB223_445
	s_branch .LBB223_446
.LBB223_461:
	s_mov_b64 s[0:1], -1
                                        ; implicit-def: $vgpr3
	s_branch .LBB223_466
.LBB223_462:
	s_mov_b64 s[0:1], -1
                                        ; implicit-def: $vgpr3
.LBB223_463:
	s_and_b64 vcc, exec, s[0:1]
	s_cbranch_vccz .LBB223_465
; %bb.464:
	global_load_ubyte v3, v[1:2], off
	s_mov_b32 s0, 0x7f800000
	s_waitcnt vmcnt(0)
	v_lshlrev_b32_e32 v3, 24, v3
	v_and_b32_e32 v4, 0x7f000000, v3
	v_ffbh_u32_e32 v5, v4
	v_min_u32_e32 v5, 32, v5
	v_sub_u32_e64 v5, v5, 4 clamp
	v_lshlrev_b32_e32 v7, v5, v4
	v_lshlrev_b32_e32 v5, 23, v5
	v_lshrrev_b32_e32 v7, 4, v7
	v_add_u32_e32 v6, 0x1000000, v4
	v_sub_u32_e32 v5, v7, v5
	v_ashrrev_i32_e32 v6, 8, v6
	v_add_u32_e32 v5, 0x3c000000, v5
	v_and_or_b32 v5, v6, s0, v5
	v_cmp_ne_u32_e32 vcc, 0, v4
	v_cndmask_b32_e32 v4, 0, v5, vcc
	s_brev_b32 s0, 1
	v_and_or_b32 v3, v3, s0, v4
	v_cvt_i32_f32_e32 v3, v3
.LBB223_465:
	s_mov_b64 s[0:1], 0
.LBB223_466:
	s_andn2_b64 vcc, exec, s[0:1]
	s_cbranch_vccnz .LBB223_468
; %bb.467:
	global_load_ubyte v3, v[1:2], off
	s_movk_i32 s0, 0x7f00
	s_brev_b32 s1, 16
	s_waitcnt vmcnt(0)
	v_lshlrev_b16_e32 v4, 8, v3
	v_lshlrev_b32_e32 v3, 25, v3
	v_lshrrev_b32_e32 v5, 4, v3
	v_and_or_b32 v6, v4, s0, 0.5
	v_or_b32_e32 v5, 0x70000000, v5
	v_add_f32_e32 v6, -0.5, v6
	v_mul_f32_e32 v5, 0x7800000, v5
	v_cmp_gt_u32_e32 vcc, s1, v3
	v_bfe_i32 v4, v4, 0, 16
	v_cndmask_b32_e32 v3, v5, v6, vcc
	s_brev_b32 s0, 1
	v_and_or_b32 v3, v4, s0, v3
	v_cvt_i32_f32_e32 v3, v3
.LBB223_468:
	s_mov_b64 s[8:9], 0
	s_mov_b64 s[0:1], -1
.LBB223_469:
	s_andn2_b64 vcc, exec, s[8:9]
	s_cbranch_vccnz .LBB223_482
; %bb.470:
	s_cmp_gt_i32 s10, 14
	s_cbranch_scc0 .LBB223_473
; %bb.471:
	s_cmp_eq_u32 s10, 15
	s_cbranch_scc0 .LBB223_476
; %bb.472:
	global_load_ushort v3, v[1:2], off
	s_mov_b64 s[0:1], -1
	s_mov_b64 s[2:3], 0
	s_waitcnt vmcnt(0)
	v_lshlrev_b32_e32 v3, 16, v3
	v_cvt_i32_f32_e32 v3, v3
	s_branch .LBB223_477
.LBB223_473:
	s_mov_b64 s[8:9], -1
                                        ; implicit-def: $vgpr3
	s_branch .LBB223_478
.LBB223_474:
	s_andn2_saveexec_b64 s[0:1], s[0:1]
	s_cbranch_execz .LBB223_455
.LBB223_475:
	v_cmp_ne_u16_e32 vcc, 0, v4
	s_andn2_b64 s[8:9], s[8:9], exec
	s_and_b64 s[12:13], vcc, exec
	s_or_b64 s[8:9], s[8:9], s[12:13]
	s_or_b64 exec, exec, s[0:1]
	v_mov_b32_e32 v3, 0
	s_and_saveexec_b64 s[0:1], s[8:9]
	s_cbranch_execnz .LBB223_456
	s_branch .LBB223_457
.LBB223_476:
	s_mov_b64 s[2:3], -1
                                        ; implicit-def: $vgpr3
.LBB223_477:
	s_mov_b64 s[8:9], 0
.LBB223_478:
	s_and_b64 vcc, exec, s[8:9]
	s_cbranch_vccz .LBB223_482
; %bb.479:
	s_cmp_eq_u32 s10, 11
	s_cbranch_scc0 .LBB223_481
; %bb.480:
	global_load_ubyte v3, v[1:2], off
	s_mov_b64 s[0:1], -1
	s_mov_b64 s[2:3], 0
	s_waitcnt vmcnt(0)
	v_cmp_ne_u16_e32 vcc, 0, v3
	v_cndmask_b32_e64 v3, 0, 1, vcc
	s_branch .LBB223_482
.LBB223_481:
	s_mov_b64 s[2:3], -1
                                        ; implicit-def: $vgpr3
.LBB223_482:
	s_branch .LBB223_289
.LBB223_483:
	s_cmp_lt_i32 s10, 5
	s_cbranch_scc1 .LBB223_488
; %bb.484:
	s_cmp_lt_i32 s10, 8
	s_cbranch_scc1 .LBB223_489
; %bb.485:
	;; [unrolled: 3-line block ×3, first 2 shown]
	s_cmp_gt_i32 s10, 9
	s_cbranch_scc0 .LBB223_491
; %bb.487:
	global_load_dwordx2 v[3:4], v[1:2], off
	s_mov_b64 s[0:1], 0
	s_waitcnt vmcnt(0)
	v_cvt_i32_f64_e32 v3, v[3:4]
	s_branch .LBB223_492
.LBB223_488:
	s_mov_b64 s[0:1], -1
                                        ; implicit-def: $vgpr3
	s_branch .LBB223_510
.LBB223_489:
	s_mov_b64 s[0:1], -1
                                        ; implicit-def: $vgpr3
	s_branch .LBB223_498
.LBB223_490:
	s_mov_b64 s[0:1], -1
                                        ; implicit-def: $vgpr3
	s_branch .LBB223_495
.LBB223_491:
	s_mov_b64 s[0:1], -1
                                        ; implicit-def: $vgpr3
.LBB223_492:
	s_andn2_b64 vcc, exec, s[0:1]
	s_cbranch_vccnz .LBB223_494
; %bb.493:
	global_load_dword v3, v[1:2], off
	s_waitcnt vmcnt(0)
	v_cvt_i32_f32_e32 v3, v3
.LBB223_494:
	s_mov_b64 s[0:1], 0
.LBB223_495:
	s_andn2_b64 vcc, exec, s[0:1]
	s_cbranch_vccnz .LBB223_497
; %bb.496:
	global_load_dword v3, v[1:2], off
	s_waitcnt vmcnt(0)
	v_cvt_i16_f16_e32 v3, v3
.LBB223_497:
	s_mov_b64 s[0:1], 0
.LBB223_498:
	s_andn2_b64 vcc, exec, s[0:1]
	s_cbranch_vccnz .LBB223_509
; %bb.499:
	s_cmp_lt_i32 s10, 6
	s_cbranch_scc1 .LBB223_502
; %bb.500:
	s_cmp_gt_i32 s10, 6
	s_cbranch_scc0 .LBB223_503
; %bb.501:
	global_load_dwordx2 v[3:4], v[1:2], off
	s_mov_b64 s[0:1], 0
	s_waitcnt vmcnt(0)
	v_cvt_i32_f64_e32 v3, v[3:4]
	s_branch .LBB223_504
.LBB223_502:
	s_mov_b64 s[0:1], -1
                                        ; implicit-def: $vgpr3
	s_branch .LBB223_507
.LBB223_503:
	s_mov_b64 s[0:1], -1
                                        ; implicit-def: $vgpr3
.LBB223_504:
	s_andn2_b64 vcc, exec, s[0:1]
	s_cbranch_vccnz .LBB223_506
; %bb.505:
	global_load_dword v3, v[1:2], off
	s_waitcnt vmcnt(0)
	v_cvt_i32_f32_e32 v3, v3
.LBB223_506:
	s_mov_b64 s[0:1], 0
.LBB223_507:
	s_andn2_b64 vcc, exec, s[0:1]
	s_cbranch_vccnz .LBB223_509
; %bb.508:
	global_load_ushort v3, v[1:2], off
	s_waitcnt vmcnt(0)
	v_cvt_i16_f16_e32 v3, v3
.LBB223_509:
	s_mov_b64 s[0:1], 0
.LBB223_510:
	s_andn2_b64 vcc, exec, s[0:1]
	s_cbranch_vccnz .LBB223_530
; %bb.511:
	s_cmp_lt_i32 s10, 2
	s_cbranch_scc1 .LBB223_515
; %bb.512:
	s_cmp_lt_i32 s10, 3
	s_cbranch_scc1 .LBB223_516
; %bb.513:
	s_cmp_gt_i32 s10, 3
	s_cbranch_scc0 .LBB223_517
; %bb.514:
	global_load_dwordx2 v[3:4], v[1:2], off
	s_mov_b64 s[0:1], 0
	s_branch .LBB223_518
.LBB223_515:
	s_mov_b64 s[0:1], -1
                                        ; implicit-def: $vgpr3
	s_branch .LBB223_524
.LBB223_516:
	s_mov_b64 s[0:1], -1
                                        ; implicit-def: $vgpr3
	s_branch .LBB223_521
.LBB223_517:
	s_mov_b64 s[0:1], -1
                                        ; implicit-def: $vgpr3
.LBB223_518:
	s_andn2_b64 vcc, exec, s[0:1]
	s_cbranch_vccnz .LBB223_520
; %bb.519:
	global_load_dword v3, v[1:2], off
.LBB223_520:
	s_mov_b64 s[0:1], 0
.LBB223_521:
	s_andn2_b64 vcc, exec, s[0:1]
	s_cbranch_vccnz .LBB223_523
; %bb.522:
	global_load_ushort v3, v[1:2], off
.LBB223_523:
	s_mov_b64 s[0:1], 0
.LBB223_524:
	s_andn2_b64 vcc, exec, s[0:1]
	s_cbranch_vccnz .LBB223_530
; %bb.525:
	s_cmp_gt_i32 s10, 0
	s_cbranch_scc0 .LBB223_527
; %bb.526:
	global_load_sbyte v3, v[1:2], off
	s_mov_b64 s[0:1], 0
	s_branch .LBB223_528
.LBB223_527:
	s_mov_b64 s[0:1], -1
                                        ; implicit-def: $vgpr3
.LBB223_528:
	s_andn2_b64 vcc, exec, s[0:1]
	s_cbranch_vccnz .LBB223_530
; %bb.529:
	global_load_ubyte v3, v[1:2], off
.LBB223_530:
	s_branch .LBB223_290
.LBB223_531:
	s_mov_b64 s[8:9], 0
	s_mov_b64 s[0:1], s[52:53]
.LBB223_532:
                                        ; implicit-def: $vgpr8
.LBB223_533:
	s_andn2_b64 s[10:11], s[52:53], exec
	s_and_b64 s[0:1], s[0:1], exec
	s_or_b64 s[60:61], s[10:11], s[0:1]
	s_andn2_b64 s[0:1], s[54:55], exec
	s_and_b64 s[2:3], s[2:3], exec
	s_or_b64 s[58:59], s[0:1], s[2:3]
	s_orn2_b64 s[0:1], s[8:9], exec
.LBB223_534:
	s_or_b64 exec, exec, s[62:63]
	s_mov_b64 s[2:3], 0
	s_mov_b64 s[8:9], 0
	;; [unrolled: 1-line block ×3, first 2 shown]
                                        ; implicit-def: $vgpr1_vgpr2
                                        ; implicit-def: $vgpr0
                                        ; implicit-def: $vgpr3
	s_and_saveexec_b64 s[62:63], s[0:1]
	s_cbranch_execz .LBB223_901
; %bb.535:
	v_cmp_gt_i32_e32 vcc, s70, v8
	s_mov_b64 s[2:3], -1
	s_mov_b64 s[66:67], s[58:59]
	s_mov_b64 s[68:69], s[60:61]
	s_and_saveexec_b64 s[64:65], vcc
	s_cbranch_execz .LBB223_805
; %bb.536:
	s_andn2_b64 vcc, exec, s[40:41]
	s_cbranch_vccnz .LBB223_541
; %bb.537:
	s_andn2_b64 vcc, exec, s[50:51]
	s_cbranch_vccnz .LBB223_542
; %bb.538:
	s_add_i32 s78, s77, 1
	s_cmp_eq_u32 s72, 2
	s_cbranch_scc1 .LBB223_543
; %bb.539:
	s_and_b32 s71, s78, 28
	v_mov_b32_e32 v2, 0
	s_mov_b32 s79, 0
	s_mov_b64 s[66:67], s[34:35]
	s_mov_b64 s[68:69], s[48:49]
	v_mov_b32_e32 v0, 0
	v_mov_b32_e32 v1, v8
.LBB223_540:                            ; =>This Inner Loop Header: Depth=1
	s_load_dwordx8 s[16:23], s[66:67], 0x4
	s_load_dwordx4 s[0:3], s[66:67], 0x24
	s_load_dwordx8 s[8:15], s[68:69], 0x0
	s_add_u32 s66, s66, 48
	s_addc_u32 s67, s67, 0
	s_waitcnt vmcnt(0) lgkmcnt(0)
	v_mul_hi_u32 v3, s17, v1
	s_add_i32 s79, s79, 4
	s_add_u32 s68, s68, 32
	s_addc_u32 s69, s69, 0
	v_add_u32_e32 v3, v1, v3
	v_lshrrev_b32_e32 v3, s18, v3
	v_mul_lo_u32 v4, v3, s16
	v_mul_hi_u32 v5, s20, v3
	s_cmp_eq_u32 s71, s79
	v_sub_u32_e32 v1, v1, v4
	v_add_u32_e32 v4, v3, v5
	v_mul_lo_u32 v5, v1, s8
	v_mul_lo_u32 v6, v1, s9
	v_lshrrev_b32_e32 v1, s21, v4
	v_mul_lo_u32 v4, v1, s19
	v_mul_hi_u32 v7, s23, v1
	v_sub_u32_e32 v3, v3, v4
	v_add_u32_e32 v4, v1, v7
	v_lshrrev_b32_e32 v4, s0, v4
	v_mul_hi_u32 v9, s2, v4
	v_mul_lo_u32 v10, v4, s22
	v_mul_lo_u32 v7, v3, s10
	;; [unrolled: 1-line block ×3, first 2 shown]
	v_sub_u32_e32 v10, v1, v10
	v_add_u32_e32 v1, v4, v9
	v_lshrrev_b32_e32 v1, s3, v1
	v_mul_lo_u32 v9, v1, s1
	v_mul_lo_u32 v11, v10, s12
	;; [unrolled: 1-line block ×3, first 2 shown]
	v_add3_u32 v0, v5, v0, v7
	v_sub_u32_e32 v4, v4, v9
	v_mul_lo_u32 v9, v4, s14
	v_mul_lo_u32 v4, v4, s15
	v_add3_u32 v2, v6, v2, v3
	v_add3_u32 v0, v11, v0, v9
	;; [unrolled: 1-line block ×3, first 2 shown]
	s_cbranch_scc0 .LBB223_540
	s_branch .LBB223_544
.LBB223_541:
	s_mov_b64 s[0:1], -1
                                        ; implicit-def: $vgpr0
                                        ; implicit-def: $vgpr2
	s_branch .LBB223_548
.LBB223_542:
	v_mov_b32_e32 v0, 0
	v_mov_b32_e32 v2, 0
	s_branch .LBB223_547
.LBB223_543:
	s_mov_b32 s71, 0
	v_mov_b32_e32 v0, 0
	v_mov_b32_e32 v2, 0
	v_mov_b32_e32 v1, v8
.LBB223_544:
	s_and_b32 s8, s78, 3
	s_cmp_eq_u32 s8, 0
	s_cbranch_scc1 .LBB223_547
; %bb.545:
	s_lshl_b32 s0, s71, 3
	s_add_u32 s0, s34, s0
	s_addc_u32 s1, s35, 0
	s_add_u32 s0, s0, 0xc4
	s_addc_u32 s1, s1, 0
	s_mul_i32 s2, s71, 12
	s_add_u32 s2, s34, s2
	s_addc_u32 s3, s35, 0
.LBB223_546:                            ; =>This Inner Loop Header: Depth=1
	s_load_dwordx2 s[10:11], s[2:3], 0x4
	s_load_dword s9, s[2:3], 0xc
	s_load_dwordx2 s[12:13], s[0:1], 0x0
	s_add_u32 s2, s2, 12
	s_addc_u32 s3, s3, 0
	s_waitcnt vmcnt(0) lgkmcnt(0)
	v_mul_hi_u32 v3, s11, v1
	s_add_u32 s0, s0, 8
	s_addc_u32 s1, s1, 0
	s_add_i32 s8, s8, -1
	v_add_u32_e32 v3, v1, v3
	v_lshrrev_b32_e32 v4, s9, v3
	v_mul_lo_u32 v3, v4, s10
	s_cmp_lg_u32 s8, 0
	v_sub_u32_e32 v3, v1, v3
	v_mad_u64_u32 v[0:1], s[10:11], v3, s12, v[0:1]
	v_mad_u64_u32 v[2:3], s[10:11], v3, s13, v[2:3]
	v_mov_b32_e32 v1, v4
	s_cbranch_scc1 .LBB223_546
.LBB223_547:
	s_mov_b64 s[0:1], 0
.LBB223_548:
	s_andn2_b64 vcc, exec, s[0:1]
	s_cbranch_vccnz .LBB223_551
; %bb.549:
	v_mul_hi_u32 v0, s29, v8
	s_andn2_b64 vcc, exec, s[46:47]
	v_add_u32_e32 v0, v8, v0
	v_lshrrev_b32_e32 v1, s30, v0
	v_mul_lo_u32 v0, v1, s28
	v_sub_u32_e32 v2, v8, v0
	v_mul_lo_u32 v0, v2, s36
	v_mul_lo_u32 v2, v2, s37
	s_cbranch_vccnz .LBB223_551
; %bb.550:
	s_waitcnt vmcnt(0)
	v_mul_hi_u32 v3, s44, v1
	v_add_u32_e32 v3, v1, v3
	v_lshrrev_b32_e32 v3, s45, v3
	v_mul_lo_u32 v3, v3, s31
	v_sub_u32_e32 v3, v1, v3
	v_mad_u64_u32 v[0:1], s[0:1], v3, s38, v[0:1]
	v_mad_u64_u32 v[2:3], s[0:1], v3, s39, v[2:3]
.LBB223_551:
	s_waitcnt vmcnt(0)
	v_mov_b32_e32 v3, s27
	s_and_b32 s10, 0xffff, s76
	v_add_co_u32_e32 v1, vcc, s26, v2
	s_cmp_lt_i32 s10, 11
	v_addc_co_u32_e32 v2, vcc, 0, v3, vcc
	s_cbranch_scc1 .LBB223_558
; %bb.552:
	s_cmp_gt_i32 s10, 25
	s_cbranch_scc0 .LBB223_559
; %bb.553:
	s_cmp_gt_i32 s10, 28
	s_cbranch_scc0 .LBB223_560
	;; [unrolled: 3-line block ×4, first 2 shown]
; %bb.556:
	s_cmp_eq_u32 s10, 46
	s_mov_b64 s[8:9], 0
	s_cbranch_scc0 .LBB223_567
; %bb.557:
	global_load_dword v3, v[1:2], off
	s_mov_b64 s[0:1], -1
	s_mov_b64 s[2:3], 0
	s_waitcnt vmcnt(0)
	v_lshlrev_b32_e32 v3, 16, v3
	v_cvt_i32_f32_e32 v3, v3
	s_branch .LBB223_568
.LBB223_558:
	s_mov_b64 s[8:9], -1
	s_mov_b64 s[0:1], 0
                                        ; implicit-def: $vgpr3
	s_mov_b64 s[2:3], s[58:59]
	s_branch .LBB223_629
.LBB223_559:
	s_mov_b64 s[8:9], -1
	s_mov_b64 s[0:1], 0
	s_mov_b64 s[2:3], s[58:59]
                                        ; implicit-def: $vgpr3
	s_branch .LBB223_595
.LBB223_560:
	s_mov_b64 s[8:9], -1
	s_mov_b64 s[0:1], 0
	s_mov_b64 s[2:3], s[58:59]
                                        ; implicit-def: $vgpr3
	s_branch .LBB223_578
.LBB223_561:
	s_mov_b64 s[8:9], -1
	s_mov_b64 s[0:1], 0
	s_mov_b64 s[2:3], s[58:59]
                                        ; implicit-def: $vgpr3
	s_branch .LBB223_573
.LBB223_562:
	s_andn2_saveexec_b64 s[12:13], s[12:13]
	s_cbranch_execz .LBB223_335
.LBB223_563:
	s_mov_b32 s16, 0x46000000
	v_add_f32_e64 v3, |v2|, s16
	v_and_b32_e32 v3, 0xff, v3
	v_cmp_ne_u32_e32 vcc, 0, v3
	s_andn2_b64 s[10:11], s[10:11], exec
	s_and_b64 s[16:17], vcc, exec
	s_or_b64 s[10:11], s[10:11], s[16:17]
	s_or_b64 exec, exec, s[12:13]
	v_mov_b32_e32 v5, 0
	s_and_saveexec_b64 s[12:13], s[10:11]
	s_cbranch_execnz .LBB223_336
	s_branch .LBB223_337
.LBB223_564:
	s_mov_b64 s[8:9], -1
	s_mov_b64 s[0:1], 0
	s_mov_b64 s[2:3], s[58:59]
                                        ; implicit-def: $vgpr3
	s_branch .LBB223_568
.LBB223_565:
	s_andn2_saveexec_b64 s[12:13], s[12:13]
	s_cbranch_execz .LBB223_348
.LBB223_566:
	s_mov_b32 s16, 0x42800000
	v_add_f32_e64 v3, |v2|, s16
	v_and_b32_e32 v3, 0xff, v3
	v_cmp_ne_u32_e32 vcc, 0, v3
	s_andn2_b64 s[10:11], s[10:11], exec
	s_and_b64 s[16:17], vcc, exec
	s_or_b64 s[10:11], s[10:11], s[16:17]
	s_or_b64 exec, exec, s[12:13]
	v_mov_b32_e32 v5, 0
	s_and_saveexec_b64 s[12:13], s[10:11]
	s_cbranch_execnz .LBB223_349
	s_branch .LBB223_350
.LBB223_567:
	s_mov_b64 s[2:3], -1
                                        ; implicit-def: $vgpr3
	s_mov_b64 s[0:1], 0
.LBB223_568:
	s_and_b64 vcc, exec, s[8:9]
	s_cbranch_vccz .LBB223_572
; %bb.569:
	s_cmp_eq_u32 s10, 44
	s_cbranch_scc0 .LBB223_571
; %bb.570:
	global_load_ubyte v3, v[1:2], off
	s_mov_b64 s[0:1], -1
	s_mov_b64 s[2:3], 0
	s_waitcnt vmcnt(0)
	v_lshlrev_b32_e32 v4, 23, v3
	v_cvt_i32_f32_e32 v4, v4
	v_cmp_ne_u32_e32 vcc, 0, v3
	v_cndmask_b32_e32 v3, 0, v4, vcc
	s_branch .LBB223_572
.LBB223_571:
	s_mov_b64 s[2:3], -1
                                        ; implicit-def: $vgpr3
.LBB223_572:
	s_mov_b64 s[8:9], 0
.LBB223_573:
	s_and_b64 vcc, exec, s[8:9]
	s_cbranch_vccz .LBB223_577
; %bb.574:
	s_cmp_eq_u32 s10, 29
	s_cbranch_scc0 .LBB223_576
; %bb.575:
	global_load_dwordx2 v[3:4], v[1:2], off
	s_mov_b64 s[0:1], -1
	s_mov_b64 s[2:3], 0
	s_branch .LBB223_577
.LBB223_576:
	s_mov_b64 s[2:3], -1
                                        ; implicit-def: $vgpr3
.LBB223_577:
	s_mov_b64 s[8:9], 0
.LBB223_578:
	s_and_b64 vcc, exec, s[8:9]
	s_cbranch_vccz .LBB223_594
; %bb.579:
	s_cmp_lt_i32 s10, 27
	s_cbranch_scc1 .LBB223_582
; %bb.580:
	s_cmp_gt_i32 s10, 27
	s_cbranch_scc0 .LBB223_583
; %bb.581:
	global_load_dword v3, v[1:2], off
	s_mov_b64 s[0:1], 0
	s_branch .LBB223_584
.LBB223_582:
	s_mov_b64 s[0:1], -1
                                        ; implicit-def: $vgpr3
	s_branch .LBB223_587
.LBB223_583:
	s_mov_b64 s[0:1], -1
                                        ; implicit-def: $vgpr3
.LBB223_584:
	s_andn2_b64 vcc, exec, s[0:1]
	s_cbranch_vccnz .LBB223_586
; %bb.585:
	global_load_ushort v3, v[1:2], off
.LBB223_586:
	s_mov_b64 s[0:1], 0
.LBB223_587:
	s_andn2_b64 vcc, exec, s[0:1]
	s_cbranch_vccnz .LBB223_593
; %bb.588:
	global_load_ubyte v4, v[1:2], off
	s_movk_i32 s0, 0x7f
	s_mov_b64 s[8:9], 0
	s_waitcnt vmcnt(0)
	v_cmp_lt_i16_e32 vcc, s0, v4
	s_and_saveexec_b64 s[0:1], vcc
	s_xor_b64 s[0:1], exec, s[0:1]
	s_cbranch_execz .LBB223_605
; %bb.589:
	s_movk_i32 s8, 0x80
	v_cmp_ne_u16_e32 vcc, s8, v4
	s_and_b64 s[8:9], vcc, exec
	s_andn2_saveexec_b64 s[0:1], s[0:1]
	s_cbranch_execnz .LBB223_606
.LBB223_590:
	s_or_b64 exec, exec, s[0:1]
	v_mov_b32_e32 v3, 0
	s_and_saveexec_b64 s[0:1], s[8:9]
	s_cbranch_execz .LBB223_592
.LBB223_591:
	v_lshlrev_b32_e32 v3, 24, v4
	v_and_b32_e32 v4, 0xffff, v4
	v_and_b32_e32 v5, 7, v4
	v_ffbh_u32_e32 v7, v5
	v_min_u32_e32 v7, 32, v7
	v_subrev_u32_e32 v9, 28, v7
	v_bfe_u32 v6, v4, 3, 4
	v_lshlrev_b32_e32 v4, v9, v4
	v_sub_u32_e32 v7, 29, v7
	v_and_b32_e32 v4, 7, v4
	v_cmp_eq_u32_e32 vcc, 0, v6
	v_cndmask_b32_e32 v6, v6, v7, vcc
	v_cndmask_b32_e32 v4, v5, v4, vcc
	v_mov_b32_e32 v5, 0x3b800000
	v_lshlrev_b32_e32 v4, 20, v4
	v_and_b32_e32 v3, 0x80000000, v3
	v_lshl_add_u32 v5, v6, 23, v5
	v_or3_b32 v3, v3, v5, v4
	v_cvt_i32_f32_e32 v3, v3
.LBB223_592:
	s_or_b64 exec, exec, s[0:1]
.LBB223_593:
	s_mov_b64 s[0:1], -1
.LBB223_594:
	s_mov_b64 s[8:9], 0
.LBB223_595:
	s_and_b64 vcc, exec, s[8:9]
	s_cbranch_vccz .LBB223_628
; %bb.596:
	s_cmp_gt_i32 s10, 22
	s_cbranch_scc0 .LBB223_604
; %bb.597:
	s_cmp_lt_i32 s10, 24
	s_cbranch_scc1 .LBB223_607
; %bb.598:
	s_cmp_gt_i32 s10, 24
	s_cbranch_scc0 .LBB223_608
; %bb.599:
	global_load_ubyte v4, v[1:2], off
	s_movk_i32 s0, 0x7f
	s_mov_b64 s[8:9], 0
	s_waitcnt vmcnt(0)
	v_cmp_lt_i16_e32 vcc, s0, v4
	s_and_saveexec_b64 s[0:1], vcc
	s_xor_b64 s[0:1], exec, s[0:1]
	s_cbranch_execz .LBB223_620
; %bb.600:
	s_movk_i32 s8, 0x80
	v_cmp_ne_u16_e32 vcc, s8, v4
	s_and_b64 s[8:9], vcc, exec
	s_andn2_saveexec_b64 s[0:1], s[0:1]
	s_cbranch_execnz .LBB223_621
.LBB223_601:
	s_or_b64 exec, exec, s[0:1]
	v_mov_b32_e32 v3, 0
	s_and_saveexec_b64 s[0:1], s[8:9]
	s_cbranch_execz .LBB223_603
.LBB223_602:
	v_lshlrev_b32_e32 v3, 24, v4
	v_and_b32_e32 v4, 0xffff, v4
	v_and_b32_e32 v5, 3, v4
	v_ffbh_u32_e32 v7, v5
	v_min_u32_e32 v7, 32, v7
	v_subrev_u32_e32 v9, 29, v7
	v_bfe_u32 v6, v4, 2, 5
	v_lshlrev_b32_e32 v4, v9, v4
	v_sub_u32_e32 v7, 30, v7
	v_and_b32_e32 v4, 3, v4
	v_cmp_eq_u32_e32 vcc, 0, v6
	v_cndmask_b32_e32 v6, v6, v7, vcc
	v_cndmask_b32_e32 v4, v5, v4, vcc
	v_mov_b32_e32 v5, 0x37800000
	v_lshlrev_b32_e32 v4, 21, v4
	v_and_b32_e32 v3, 0x80000000, v3
	v_lshl_add_u32 v5, v6, 23, v5
	v_or3_b32 v3, v3, v5, v4
	v_cvt_i32_f32_e32 v3, v3
.LBB223_603:
	s_or_b64 exec, exec, s[0:1]
	s_mov_b64 s[0:1], 0
	s_branch .LBB223_609
.LBB223_604:
	s_mov_b64 s[8:9], -1
                                        ; implicit-def: $vgpr3
	s_branch .LBB223_615
.LBB223_605:
	s_andn2_saveexec_b64 s[0:1], s[0:1]
	s_cbranch_execz .LBB223_590
.LBB223_606:
	v_cmp_ne_u16_e32 vcc, 0, v4
	s_andn2_b64 s[8:9], s[8:9], exec
	s_and_b64 s[12:13], vcc, exec
	s_or_b64 s[8:9], s[8:9], s[12:13]
	s_or_b64 exec, exec, s[0:1]
	v_mov_b32_e32 v3, 0
	s_and_saveexec_b64 s[0:1], s[8:9]
	s_cbranch_execnz .LBB223_591
	s_branch .LBB223_592
.LBB223_607:
	s_mov_b64 s[0:1], -1
                                        ; implicit-def: $vgpr3
	s_branch .LBB223_612
.LBB223_608:
	s_mov_b64 s[0:1], -1
                                        ; implicit-def: $vgpr3
.LBB223_609:
	s_and_b64 vcc, exec, s[0:1]
	s_cbranch_vccz .LBB223_611
; %bb.610:
	global_load_ubyte v3, v[1:2], off
	s_mov_b32 s0, 0x7f800000
	s_waitcnt vmcnt(0)
	v_lshlrev_b32_e32 v3, 24, v3
	v_and_b32_e32 v4, 0x7f000000, v3
	v_ffbh_u32_e32 v5, v4
	v_min_u32_e32 v5, 32, v5
	v_sub_u32_e64 v5, v5, 4 clamp
	v_lshlrev_b32_e32 v7, v5, v4
	v_lshlrev_b32_e32 v5, 23, v5
	v_lshrrev_b32_e32 v7, 4, v7
	v_add_u32_e32 v6, 0x1000000, v4
	v_sub_u32_e32 v5, v7, v5
	v_ashrrev_i32_e32 v6, 8, v6
	v_add_u32_e32 v5, 0x3c000000, v5
	v_and_or_b32 v5, v6, s0, v5
	v_cmp_ne_u32_e32 vcc, 0, v4
	v_cndmask_b32_e32 v4, 0, v5, vcc
	s_brev_b32 s0, 1
	v_and_or_b32 v3, v3, s0, v4
	v_cvt_i32_f32_e32 v3, v3
.LBB223_611:
	s_mov_b64 s[0:1], 0
.LBB223_612:
	s_andn2_b64 vcc, exec, s[0:1]
	s_cbranch_vccnz .LBB223_614
; %bb.613:
	global_load_ubyte v3, v[1:2], off
	s_movk_i32 s0, 0x7f00
	s_brev_b32 s1, 16
	s_waitcnt vmcnt(0)
	v_lshlrev_b16_e32 v4, 8, v3
	v_lshlrev_b32_e32 v3, 25, v3
	v_lshrrev_b32_e32 v5, 4, v3
	v_and_or_b32 v6, v4, s0, 0.5
	v_or_b32_e32 v5, 0x70000000, v5
	v_add_f32_e32 v6, -0.5, v6
	v_mul_f32_e32 v5, 0x7800000, v5
	v_cmp_gt_u32_e32 vcc, s1, v3
	v_bfe_i32 v4, v4, 0, 16
	v_cndmask_b32_e32 v3, v5, v6, vcc
	s_brev_b32 s0, 1
	v_and_or_b32 v3, v4, s0, v3
	v_cvt_i32_f32_e32 v3, v3
.LBB223_614:
	s_mov_b64 s[8:9], 0
	s_mov_b64 s[0:1], -1
.LBB223_615:
	s_andn2_b64 vcc, exec, s[8:9]
	s_cbranch_vccnz .LBB223_628
; %bb.616:
	s_cmp_gt_i32 s10, 14
	s_cbranch_scc0 .LBB223_619
; %bb.617:
	s_cmp_eq_u32 s10, 15
	s_cbranch_scc0 .LBB223_622
; %bb.618:
	global_load_ushort v3, v[1:2], off
	s_mov_b64 s[0:1], -1
	s_mov_b64 s[2:3], 0
	s_waitcnt vmcnt(0)
	v_lshlrev_b32_e32 v3, 16, v3
	v_cvt_i32_f32_e32 v3, v3
	s_branch .LBB223_623
.LBB223_619:
	s_mov_b64 s[8:9], -1
                                        ; implicit-def: $vgpr3
	s_branch .LBB223_624
.LBB223_620:
	s_andn2_saveexec_b64 s[0:1], s[0:1]
	s_cbranch_execz .LBB223_601
.LBB223_621:
	v_cmp_ne_u16_e32 vcc, 0, v4
	s_andn2_b64 s[8:9], s[8:9], exec
	s_and_b64 s[12:13], vcc, exec
	s_or_b64 s[8:9], s[8:9], s[12:13]
	s_or_b64 exec, exec, s[0:1]
	v_mov_b32_e32 v3, 0
	s_and_saveexec_b64 s[0:1], s[8:9]
	s_cbranch_execnz .LBB223_602
	s_branch .LBB223_603
.LBB223_622:
	s_mov_b64 s[2:3], -1
                                        ; implicit-def: $vgpr3
.LBB223_623:
	s_mov_b64 s[8:9], 0
.LBB223_624:
	s_and_b64 vcc, exec, s[8:9]
	s_cbranch_vccz .LBB223_628
; %bb.625:
	s_cmp_eq_u32 s10, 11
	s_cbranch_scc0 .LBB223_627
; %bb.626:
	global_load_ubyte v3, v[1:2], off
	s_mov_b64 s[0:1], -1
	s_mov_b64 s[2:3], 0
	s_waitcnt vmcnt(0)
	v_cmp_ne_u16_e32 vcc, 0, v3
	v_cndmask_b32_e64 v3, 0, 1, vcc
	s_branch .LBB223_628
.LBB223_627:
	s_mov_b64 s[2:3], -1
                                        ; implicit-def: $vgpr3
.LBB223_628:
	s_mov_b64 s[8:9], 0
.LBB223_629:
	s_and_b64 vcc, exec, s[8:9]
	s_cbranch_vccz .LBB223_678
; %bb.630:
	s_cmp_lt_i32 s10, 5
	s_cbranch_scc1 .LBB223_635
; %bb.631:
	s_cmp_lt_i32 s10, 8
	s_cbranch_scc1 .LBB223_636
	;; [unrolled: 3-line block ×3, first 2 shown]
; %bb.633:
	s_cmp_gt_i32 s10, 9
	s_cbranch_scc0 .LBB223_638
; %bb.634:
	global_load_dwordx2 v[3:4], v[1:2], off
	s_mov_b64 s[0:1], 0
	s_waitcnt vmcnt(0)
	v_cvt_i32_f64_e32 v3, v[3:4]
	s_branch .LBB223_639
.LBB223_635:
	s_mov_b64 s[0:1], -1
                                        ; implicit-def: $vgpr3
	s_branch .LBB223_657
.LBB223_636:
	s_mov_b64 s[0:1], -1
                                        ; implicit-def: $vgpr3
	s_branch .LBB223_645
.LBB223_637:
	s_mov_b64 s[0:1], -1
                                        ; implicit-def: $vgpr3
	s_branch .LBB223_642
.LBB223_638:
	s_mov_b64 s[0:1], -1
                                        ; implicit-def: $vgpr3
.LBB223_639:
	s_andn2_b64 vcc, exec, s[0:1]
	s_cbranch_vccnz .LBB223_641
; %bb.640:
	global_load_dword v3, v[1:2], off
	s_waitcnt vmcnt(0)
	v_cvt_i32_f32_e32 v3, v3
.LBB223_641:
	s_mov_b64 s[0:1], 0
.LBB223_642:
	s_andn2_b64 vcc, exec, s[0:1]
	s_cbranch_vccnz .LBB223_644
; %bb.643:
	global_load_dword v3, v[1:2], off
	s_waitcnt vmcnt(0)
	v_cvt_i16_f16_e32 v3, v3
.LBB223_644:
	s_mov_b64 s[0:1], 0
.LBB223_645:
	s_andn2_b64 vcc, exec, s[0:1]
	s_cbranch_vccnz .LBB223_656
; %bb.646:
	s_cmp_lt_i32 s10, 6
	s_cbranch_scc1 .LBB223_649
; %bb.647:
	s_cmp_gt_i32 s10, 6
	s_cbranch_scc0 .LBB223_650
; %bb.648:
	global_load_dwordx2 v[3:4], v[1:2], off
	s_mov_b64 s[0:1], 0
	s_waitcnt vmcnt(0)
	v_cvt_i32_f64_e32 v3, v[3:4]
	s_branch .LBB223_651
.LBB223_649:
	s_mov_b64 s[0:1], -1
                                        ; implicit-def: $vgpr3
	s_branch .LBB223_654
.LBB223_650:
	s_mov_b64 s[0:1], -1
                                        ; implicit-def: $vgpr3
.LBB223_651:
	s_andn2_b64 vcc, exec, s[0:1]
	s_cbranch_vccnz .LBB223_653
; %bb.652:
	global_load_dword v3, v[1:2], off
	s_waitcnt vmcnt(0)
	v_cvt_i32_f32_e32 v3, v3
.LBB223_653:
	s_mov_b64 s[0:1], 0
.LBB223_654:
	s_andn2_b64 vcc, exec, s[0:1]
	s_cbranch_vccnz .LBB223_656
; %bb.655:
	global_load_ushort v3, v[1:2], off
	s_waitcnt vmcnt(0)
	v_cvt_i16_f16_e32 v3, v3
.LBB223_656:
	s_mov_b64 s[0:1], 0
.LBB223_657:
	s_andn2_b64 vcc, exec, s[0:1]
	s_cbranch_vccnz .LBB223_677
; %bb.658:
	s_cmp_lt_i32 s10, 2
	s_cbranch_scc1 .LBB223_662
; %bb.659:
	s_cmp_lt_i32 s10, 3
	s_cbranch_scc1 .LBB223_663
; %bb.660:
	s_cmp_gt_i32 s10, 3
	s_cbranch_scc0 .LBB223_664
; %bb.661:
	global_load_dwordx2 v[3:4], v[1:2], off
	s_mov_b64 s[0:1], 0
	s_branch .LBB223_665
.LBB223_662:
	s_mov_b64 s[0:1], -1
                                        ; implicit-def: $vgpr3
	s_branch .LBB223_671
.LBB223_663:
	s_mov_b64 s[0:1], -1
                                        ; implicit-def: $vgpr3
	s_branch .LBB223_668
.LBB223_664:
	s_mov_b64 s[0:1], -1
                                        ; implicit-def: $vgpr3
.LBB223_665:
	s_andn2_b64 vcc, exec, s[0:1]
	s_cbranch_vccnz .LBB223_667
; %bb.666:
	global_load_dword v3, v[1:2], off
.LBB223_667:
	s_mov_b64 s[0:1], 0
.LBB223_668:
	s_andn2_b64 vcc, exec, s[0:1]
	s_cbranch_vccnz .LBB223_670
; %bb.669:
	global_load_ushort v3, v[1:2], off
.LBB223_670:
	s_mov_b64 s[0:1], 0
.LBB223_671:
	s_andn2_b64 vcc, exec, s[0:1]
	s_cbranch_vccnz .LBB223_677
; %bb.672:
	s_cmp_gt_i32 s10, 0
	s_cbranch_scc0 .LBB223_674
; %bb.673:
	global_load_sbyte v3, v[1:2], off
	s_mov_b64 s[0:1], 0
	s_branch .LBB223_675
.LBB223_674:
	s_mov_b64 s[0:1], -1
                                        ; implicit-def: $vgpr3
.LBB223_675:
	s_andn2_b64 vcc, exec, s[0:1]
	s_cbranch_vccnz .LBB223_677
; %bb.676:
	global_load_ubyte v3, v[1:2], off
.LBB223_677:
	s_mov_b64 s[0:1], -1
.LBB223_678:
	s_andn2_b64 vcc, exec, s[0:1]
	s_cbranch_vccnz .LBB223_686
; %bb.679:
	s_waitcnt vmcnt(0)
	v_ashrrev_i32_sdwa v1, v3, s74 dst_sel:DWORD dst_unused:UNUSED_PAD src0_sel:WORD_0 src1_sel:DWORD
	v_mov_b32_e32 v2, s75
	v_cmp_lt_u16_e32 vcc, 14, v3
	v_cndmask_b32_e32 v4, v1, v2, vcc
	v_mov_b32_e32 v1, s25
	s_and_b32 s14, s73, 0xff
	v_add_co_u32_e32 v0, vcc, s24, v0
	s_cmp_lt_i32 s14, 11
	v_addc_co_u32_e32 v1, vcc, 0, v1, vcc
	s_cbranch_scc1 .LBB223_687
; %bb.680:
	s_and_b32 s15, 0xffff, s14
	s_cmp_gt_i32 s15, 25
	s_cbranch_scc0 .LBB223_688
; %bb.681:
	s_cmp_gt_i32 s15, 28
	s_cbranch_scc0 .LBB223_689
; %bb.682:
	;; [unrolled: 3-line block ×4, first 2 shown]
	s_mov_b64 s[10:11], 0
	s_mov_b64 s[0:1], -1
	s_cmp_eq_u32 s15, 46
	s_mov_b64 s[8:9], 0
	s_cbranch_scc0 .LBB223_692
; %bb.685:
	v_cvt_f32_i32_sdwa v2, sext(v4) dst_sel:DWORD dst_unused:UNUSED_PAD src0_sel:WORD_0
	s_movk_i32 s0, 0x7fff
	s_mov_b64 s[8:9], -1
	v_bfe_u32 v3, v2, 16, 1
	v_add3_u32 v2, v2, v3, s0
	v_lshrrev_b32_e32 v2, 16, v2
	global_store_dword v[0:1], v2, off
	s_mov_b64 s[0:1], 0
	s_branch .LBB223_692
.LBB223_686:
	s_mov_b64 s[8:9], 0
	s_mov_b64 s[0:1], s[60:61]
	s_branch .LBB223_803
.LBB223_687:
	s_mov_b64 s[10:11], -1
	s_mov_b64 s[8:9], 0
	s_mov_b64 s[0:1], s[60:61]
	s_branch .LBB223_761
.LBB223_688:
	s_mov_b64 s[10:11], -1
	s_mov_b64 s[8:9], 0
	s_mov_b64 s[0:1], s[60:61]
	s_branch .LBB223_719
.LBB223_689:
	s_mov_b64 s[10:11], -1
	s_mov_b64 s[8:9], 0
	s_mov_b64 s[0:1], s[60:61]
	s_branch .LBB223_702
.LBB223_690:
	s_mov_b64 s[10:11], -1
	s_mov_b64 s[8:9], 0
	s_mov_b64 s[0:1], s[60:61]
	s_branch .LBB223_698
.LBB223_691:
	s_mov_b64 s[10:11], -1
	s_mov_b64 s[8:9], 0
	s_mov_b64 s[0:1], s[60:61]
.LBB223_692:
	s_and_b64 vcc, exec, s[10:11]
	s_cbranch_vccz .LBB223_697
; %bb.693:
	s_cmp_eq_u32 s15, 44
	s_mov_b64 s[0:1], -1
	s_cbranch_scc0 .LBB223_697
; %bb.694:
	v_cvt_f32_i32_sdwa v2, sext(v4) dst_sel:DWORD dst_unused:UNUSED_PAD src0_sel:WORD_0
	s_movk_i32 s0, 0xff
	v_mov_b32_e32 v5, 0xff
	v_bfe_u32 v3, v2, 23, 8
	v_cmp_ne_u32_e32 vcc, s0, v3
	s_and_saveexec_b64 s[8:9], vcc
; %bb.695:
	s_mov_b32 s0, 0x3fffff
	v_lshrrev_b32_e32 v5, 23, v2
	v_and_b32_e32 v6, 0x400000, v2
	v_and_or_b32 v2, v2, s0, v3
	v_cmp_ne_u32_e32 vcc, 0, v6
	v_cmp_ne_u32_e64 s[0:1], 0, v2
	s_and_b64 s[0:1], vcc, s[0:1]
	v_cndmask_b32_e64 v2, 0, 1, s[0:1]
	v_add_u32_e32 v5, v5, v2
; %bb.696:
	s_or_b64 exec, exec, s[8:9]
	s_mov_b64 s[8:9], -1
	s_mov_b64 s[0:1], 0
	global_store_byte v[0:1], v5, off
.LBB223_697:
	s_mov_b64 s[10:11], 0
.LBB223_698:
	s_and_b64 vcc, exec, s[10:11]
	s_cbranch_vccz .LBB223_701
; %bb.699:
	s_cmp_eq_u32 s15, 29
	s_mov_b64 s[0:1], -1
	s_cbranch_scc0 .LBB223_701
; %bb.700:
	v_bfe_i32 v2, v4, 0, 16
	v_ashrrev_i32_e32 v3, 31, v2
	global_store_dwordx2 v[0:1], v[2:3], off
	s_mov_b64 s[8:9], -1
	s_mov_b64 s[0:1], 0
.LBB223_701:
	s_mov_b64 s[10:11], 0
.LBB223_702:
	s_and_b64 vcc, exec, s[10:11]
	s_cbranch_vccz .LBB223_718
; %bb.703:
	s_cmp_lt_i32 s15, 27
	s_mov_b64 s[8:9], -1
	s_cbranch_scc1 .LBB223_709
; %bb.704:
	s_cmp_gt_i32 s15, 27
	s_cbranch_scc0 .LBB223_706
; %bb.705:
	v_bfe_i32 v2, v4, 0, 16
	s_mov_b64 s[8:9], 0
	global_store_dword v[0:1], v2, off
.LBB223_706:
	s_andn2_b64 vcc, exec, s[8:9]
	s_cbranch_vccnz .LBB223_708
; %bb.707:
	global_store_short v[0:1], v4, off
.LBB223_708:
	s_mov_b64 s[8:9], 0
.LBB223_709:
	s_andn2_b64 vcc, exec, s[8:9]
	s_cbranch_vccnz .LBB223_717
; %bb.710:
	v_cvt_f32_i32_sdwa v2, sext(v4) dst_sel:DWORD dst_unused:UNUSED_PAD src0_sel:WORD_0
	s_mov_b32 s8, 0x43800000
	v_mov_b32_e32 v5, 0x80
	v_and_b32_e32 v3, 0x7fffffff, v2
	v_cmp_gt_u32_e32 vcc, s8, v3
	s_and_saveexec_b64 s[8:9], vcc
	s_cbranch_execz .LBB223_716
; %bb.711:
	s_mov_b32 s10, 0x3bffffff
	v_cmp_lt_u32_e32 vcc, s10, v3
	s_mov_b64 s[10:11], 0
                                        ; implicit-def: $vgpr3
	s_and_saveexec_b64 s[12:13], vcc
	s_xor_b64 s[12:13], exec, s[12:13]
	s_cbranch_execz .LBB223_833
; %bb.712:
	v_bfe_u32 v3, v2, 20, 1
	s_mov_b32 s16, 0x487ffff
	v_add3_u32 v3, v2, v3, s16
	s_mov_b64 s[10:11], exec
	v_lshrrev_b32_e32 v3, 20, v3
	s_andn2_saveexec_b64 s[12:13], s[12:13]
	s_cbranch_execnz .LBB223_834
.LBB223_713:
	s_or_b64 exec, exec, s[12:13]
	v_mov_b32_e32 v5, 0
	s_and_saveexec_b64 s[12:13], s[10:11]
.LBB223_714:
	v_lshrrev_b32_e32 v2, 24, v2
	s_movk_i32 s10, 0x80
	v_and_or_b32 v5, v2, s10, v3
.LBB223_715:
	s_or_b64 exec, exec, s[12:13]
.LBB223_716:
	s_or_b64 exec, exec, s[8:9]
	global_store_byte v[0:1], v5, off
.LBB223_717:
	s_mov_b64 s[8:9], -1
.LBB223_718:
	s_mov_b64 s[10:11], 0
.LBB223_719:
	s_and_b64 vcc, exec, s[10:11]
	s_cbranch_vccz .LBB223_760
; %bb.720:
	s_cmp_gt_i32 s15, 22
	s_mov_b64 s[10:11], -1
	s_cbranch_scc0 .LBB223_752
; %bb.721:
	s_cmp_lt_i32 s15, 24
	s_mov_b64 s[8:9], -1
	s_cbranch_scc1 .LBB223_741
; %bb.722:
	s_cmp_gt_i32 s15, 24
	s_cbranch_scc0 .LBB223_730
; %bb.723:
	v_cvt_f32_i32_sdwa v2, sext(v4) dst_sel:DWORD dst_unused:UNUSED_PAD src0_sel:WORD_0
	s_mov_b32 s8, 0x47800000
	v_mov_b32_e32 v5, 0x80
	v_and_b32_e32 v3, 0x7fffffff, v2
	v_cmp_gt_u32_e32 vcc, s8, v3
	s_and_saveexec_b64 s[8:9], vcc
	s_cbranch_execz .LBB223_729
; %bb.724:
	s_mov_b32 s10, 0x37ffffff
	v_cmp_lt_u32_e32 vcc, s10, v3
	s_mov_b64 s[10:11], 0
                                        ; implicit-def: $vgpr3
	s_and_saveexec_b64 s[12:13], vcc
	s_xor_b64 s[12:13], exec, s[12:13]
	s_cbranch_execz .LBB223_836
; %bb.725:
	v_bfe_u32 v3, v2, 21, 1
	s_mov_b32 s16, 0x88fffff
	v_add3_u32 v3, v2, v3, s16
	s_mov_b64 s[10:11], exec
	v_lshrrev_b32_e32 v3, 21, v3
	s_andn2_saveexec_b64 s[12:13], s[12:13]
	s_cbranch_execnz .LBB223_837
.LBB223_726:
	s_or_b64 exec, exec, s[12:13]
	v_mov_b32_e32 v5, 0
	s_and_saveexec_b64 s[12:13], s[10:11]
.LBB223_727:
	v_lshrrev_b32_e32 v2, 24, v2
	s_movk_i32 s10, 0x80
	v_and_or_b32 v5, v2, s10, v3
.LBB223_728:
	s_or_b64 exec, exec, s[12:13]
.LBB223_729:
	s_or_b64 exec, exec, s[8:9]
	s_mov_b64 s[8:9], 0
	global_store_byte v[0:1], v5, off
.LBB223_730:
	s_and_b64 vcc, exec, s[8:9]
	s_cbranch_vccz .LBB223_740
; %bb.731:
	v_cvt_f32_i32_sdwa v2, sext(v4) dst_sel:DWORD dst_unused:UNUSED_PAD src0_sel:WORD_0
	s_mov_b32 s8, 0x43f00000
                                        ; implicit-def: $vgpr3
	v_and_b32_e32 v5, 0x7fffffff, v2
	v_cmp_gt_u32_e32 vcc, s8, v5
	s_and_saveexec_b64 s[8:9], vcc
	s_xor_b64 s[8:9], exec, s[8:9]
	s_cbranch_execz .LBB223_737
; %bb.732:
	s_mov_b32 s10, 0x3c7fffff
	v_cmp_lt_u32_e32 vcc, s10, v5
                                        ; implicit-def: $vgpr3
	s_and_saveexec_b64 s[10:11], vcc
	s_xor_b64 s[10:11], exec, s[10:11]
; %bb.733:
	v_bfe_u32 v3, v2, 20, 1
	s_mov_b32 s12, 0x407ffff
	v_add3_u32 v3, v2, v3, s12
	v_lshrrev_b32_e32 v5, 20, v3
	v_and_b32_e32 v3, 0xff00000, v3
	s_mov_b32 s12, 0x7f00000
	v_mov_b32_e32 v6, 0x7e
	v_cmp_ne_u32_e32 vcc, s12, v3
	v_cndmask_b32_e32 v3, v6, v5, vcc
; %bb.734:
	s_andn2_saveexec_b64 s[10:11], s[10:11]
; %bb.735:
	s_mov_b32 s12, 0x46800000
	v_add_f32_e64 v3, |v2|, s12
; %bb.736:
	s_or_b64 exec, exec, s[10:11]
                                        ; implicit-def: $vgpr5
.LBB223_737:
	s_andn2_saveexec_b64 s[8:9], s[8:9]
; %bb.738:
	s_mov_b32 s10, 0x7f800000
	v_mov_b32_e32 v3, 0x7e
	v_mov_b32_e32 v6, 0x7f
	v_cmp_lt_u32_e32 vcc, s10, v5
	v_cndmask_b32_e32 v3, v3, v6, vcc
; %bb.739:
	s_or_b64 exec, exec, s[8:9]
	v_lshrrev_b32_e32 v2, 24, v2
	s_movk_i32 s8, 0x80
	v_and_or_b32 v2, v2, s8, v3
	global_store_byte v[0:1], v2, off
.LBB223_740:
	s_mov_b64 s[8:9], 0
.LBB223_741:
	s_andn2_b64 vcc, exec, s[8:9]
	s_cbranch_vccnz .LBB223_751
; %bb.742:
	v_cvt_f32_i32_sdwa v2, sext(v4) dst_sel:DWORD dst_unused:UNUSED_PAD src0_sel:WORD_0
	s_mov_b32 s8, 0x47800000
                                        ; implicit-def: $vgpr3
	v_and_b32_e32 v5, 0x7fffffff, v2
	v_cmp_gt_u32_e32 vcc, s8, v5
	s_and_saveexec_b64 s[8:9], vcc
	s_xor_b64 s[8:9], exec, s[8:9]
	s_cbranch_execz .LBB223_748
; %bb.743:
	s_mov_b32 s10, 0x387fffff
	v_cmp_lt_u32_e32 vcc, s10, v5
                                        ; implicit-def: $vgpr3
	s_and_saveexec_b64 s[10:11], vcc
	s_xor_b64 s[10:11], exec, s[10:11]
; %bb.744:
	v_bfe_u32 v3, v2, 21, 1
	s_mov_b32 s12, 0x80fffff
	v_add3_u32 v3, v2, v3, s12
	v_lshrrev_b32_e32 v3, 21, v3
; %bb.745:
	s_andn2_saveexec_b64 s[10:11], s[10:11]
; %bb.746:
	s_mov_b32 s12, 0x43000000
	v_add_f32_e64 v3, |v2|, s12
; %bb.747:
	s_or_b64 exec, exec, s[10:11]
                                        ; implicit-def: $vgpr5
.LBB223_748:
	s_andn2_saveexec_b64 s[8:9], s[8:9]
; %bb.749:
	s_mov_b32 s10, 0x7f800000
	v_mov_b32_e32 v3, 0x7c
	v_mov_b32_e32 v6, 0x7f
	v_cmp_lt_u32_e32 vcc, s10, v5
	v_cndmask_b32_e32 v3, v3, v6, vcc
; %bb.750:
	s_or_b64 exec, exec, s[8:9]
	v_lshrrev_b32_e32 v2, 24, v2
	s_movk_i32 s8, 0x80
	v_and_or_b32 v2, v2, s8, v3
	global_store_byte v[0:1], v2, off
.LBB223_751:
	s_mov_b64 s[10:11], 0
	s_mov_b64 s[8:9], -1
.LBB223_752:
	s_andn2_b64 vcc, exec, s[10:11]
	s_cbranch_vccnz .LBB223_760
; %bb.753:
	s_cmp_gt_i32 s15, 14
	s_mov_b64 s[10:11], -1
	s_cbranch_scc0 .LBB223_757
; %bb.754:
	s_cmp_eq_u32 s15, 15
	s_mov_b64 s[0:1], -1
	s_cbranch_scc0 .LBB223_756
; %bb.755:
	v_cvt_f32_i32_sdwa v2, sext(v4) dst_sel:DWORD dst_unused:UNUSED_PAD src0_sel:WORD_0
	s_movk_i32 s0, 0x7fff
	s_mov_b64 s[8:9], -1
	v_bfe_u32 v3, v2, 16, 1
	v_add3_u32 v2, v2, v3, s0
	global_store_short_d16_hi v[0:1], v2, off
	s_mov_b64 s[0:1], 0
.LBB223_756:
	s_mov_b64 s[10:11], 0
.LBB223_757:
	s_and_b64 vcc, exec, s[10:11]
	s_cbranch_vccz .LBB223_760
; %bb.758:
	s_cmp_eq_u32 s15, 11
	s_mov_b64 s[0:1], -1
	s_cbranch_scc0 .LBB223_760
; %bb.759:
	v_cmp_ne_u16_e32 vcc, 0, v4
	v_cndmask_b32_e64 v2, 0, 1, vcc
	s_mov_b64 s[8:9], -1
	s_mov_b64 s[0:1], 0
	global_store_byte v[0:1], v2, off
.LBB223_760:
	s_mov_b64 s[10:11], 0
.LBB223_761:
	s_and_b64 vcc, exec, s[10:11]
	s_cbranch_vccz .LBB223_800
; %bb.762:
	s_and_b32 s10, 0xffff, s14
	s_cmp_lt_i32 s10, 5
	s_mov_b64 s[8:9], -1
	s_cbranch_scc1 .LBB223_783
; %bb.763:
	s_cmp_lt_i32 s10, 8
	s_cbranch_scc1 .LBB223_773
; %bb.764:
	s_cmp_lt_i32 s10, 9
	s_cbranch_scc1 .LBB223_770
; %bb.765:
	s_cmp_gt_i32 s10, 9
	s_cbranch_scc0 .LBB223_767
; %bb.766:
	v_bfe_i32 v2, v4, 0, 16
	v_cvt_f64_i32_e32 v[9:10], v2
	v_mov_b32_e32 v11, 0
	v_mov_b32_e32 v12, v11
	s_mov_b64 s[8:9], 0
	global_store_dwordx4 v[0:1], v[9:12], off
.LBB223_767:
	s_andn2_b64 vcc, exec, s[8:9]
	s_cbranch_vccnz .LBB223_769
; %bb.768:
	v_cvt_f32_i32_sdwa v2, sext(v4) dst_sel:DWORD dst_unused:UNUSED_PAD src0_sel:WORD_0
	v_mov_b32_e32 v3, 0
	global_store_dwordx2 v[0:1], v[2:3], off
.LBB223_769:
	s_mov_b64 s[8:9], 0
.LBB223_770:
	s_andn2_b64 vcc, exec, s[8:9]
	s_cbranch_vccnz .LBB223_772
; %bb.771:
	v_cvt_f16_i16_e32 v2, v4
	global_store_dword v[0:1], v2, off
.LBB223_772:
	s_mov_b64 s[8:9], 0
.LBB223_773:
	s_andn2_b64 vcc, exec, s[8:9]
	s_cbranch_vccnz .LBB223_782
; %bb.774:
	s_cmp_lt_i32 s10, 6
	s_mov_b64 s[8:9], -1
	s_cbranch_scc1 .LBB223_780
; %bb.775:
	s_cmp_gt_i32 s10, 6
	s_cbranch_scc0 .LBB223_777
; %bb.776:
	v_bfe_i32 v2, v4, 0, 16
	v_cvt_f64_i32_e32 v[2:3], v2
	s_mov_b64 s[8:9], 0
	global_store_dwordx2 v[0:1], v[2:3], off
.LBB223_777:
	s_andn2_b64 vcc, exec, s[8:9]
	s_cbranch_vccnz .LBB223_779
; %bb.778:
	v_cvt_f32_i32_sdwa v2, sext(v4) dst_sel:DWORD dst_unused:UNUSED_PAD src0_sel:WORD_0
	global_store_dword v[0:1], v2, off
.LBB223_779:
	s_mov_b64 s[8:9], 0
.LBB223_780:
	s_andn2_b64 vcc, exec, s[8:9]
	s_cbranch_vccnz .LBB223_782
; %bb.781:
	v_cvt_f16_i16_e32 v2, v4
	global_store_short v[0:1], v2, off
.LBB223_782:
	s_mov_b64 s[8:9], 0
.LBB223_783:
	s_andn2_b64 vcc, exec, s[8:9]
	s_cbranch_vccnz .LBB223_799
; %bb.784:
	s_cmp_lt_i32 s10, 2
	s_mov_b64 s[8:9], -1
	s_cbranch_scc1 .LBB223_794
; %bb.785:
	s_cmp_lt_i32 s10, 3
	s_cbranch_scc1 .LBB223_791
; %bb.786:
	s_cmp_gt_i32 s10, 3
	v_bfe_i32 v2, v4, 0, 16
	s_cbranch_scc0 .LBB223_788
; %bb.787:
	v_ashrrev_i32_e32 v3, 31, v2
	s_mov_b64 s[8:9], 0
	global_store_dwordx2 v[0:1], v[2:3], off
.LBB223_788:
	s_andn2_b64 vcc, exec, s[8:9]
	s_cbranch_vccnz .LBB223_790
; %bb.789:
	global_store_dword v[0:1], v2, off
.LBB223_790:
	s_mov_b64 s[8:9], 0
.LBB223_791:
	s_andn2_b64 vcc, exec, s[8:9]
	s_cbranch_vccnz .LBB223_793
; %bb.792:
	global_store_short v[0:1], v4, off
.LBB223_793:
	s_mov_b64 s[8:9], 0
.LBB223_794:
	s_andn2_b64 vcc, exec, s[8:9]
	s_cbranch_vccnz .LBB223_799
; %bb.795:
	s_cmp_gt_i32 s10, 0
	s_mov_b64 s[8:9], -1
	s_cbranch_scc0 .LBB223_797
; %bb.796:
	s_mov_b64 s[8:9], 0
	global_store_byte v[0:1], v4, off
.LBB223_797:
	s_andn2_b64 vcc, exec, s[8:9]
	s_cbranch_vccnz .LBB223_799
; %bb.798:
	global_store_byte v[0:1], v4, off
.LBB223_799:
	s_mov_b64 s[8:9], -1
.LBB223_800:
	s_andn2_b64 vcc, exec, s[8:9]
	s_cbranch_vccnz .LBB223_802
; %bb.801:
	v_add_u32_e32 v8, 0x80, v8
	s_mov_b64 s[8:9], -1
	s_branch .LBB223_804
.LBB223_802:
	s_mov_b64 s[8:9], 0
.LBB223_803:
                                        ; implicit-def: $vgpr8
.LBB223_804:
	s_andn2_b64 s[10:11], s[60:61], exec
	s_and_b64 s[0:1], s[0:1], exec
	s_or_b64 s[68:69], s[10:11], s[0:1]
	s_andn2_b64 s[0:1], s[58:59], exec
	s_and_b64 s[2:3], s[2:3], exec
	s_or_b64 s[66:67], s[0:1], s[2:3]
	s_orn2_b64 s[2:3], s[8:9], exec
.LBB223_805:
	s_or_b64 exec, exec, s[64:65]
	s_mov_b64 s[0:1], 0
	s_mov_b64 s[8:9], 0
	;; [unrolled: 1-line block ×3, first 2 shown]
                                        ; implicit-def: $vgpr1_vgpr2
                                        ; implicit-def: $vgpr0
                                        ; implicit-def: $vgpr3
	s_and_saveexec_b64 s[64:65], s[2:3]
	s_cbranch_execz .LBB223_900
; %bb.806:
	v_cmp_gt_i32_e32 vcc, s70, v8
	s_mov_b64 s[2:3], 0
	s_mov_b64 s[12:13], s[66:67]
                                        ; implicit-def: $vgpr1_vgpr2
                                        ; implicit-def: $vgpr0
                                        ; implicit-def: $vgpr3
	s_and_saveexec_b64 s[70:71], vcc
	s_cbranch_execz .LBB223_899
; %bb.807:
	s_andn2_b64 vcc, exec, s[40:41]
	s_cbranch_vccnz .LBB223_812
; %bb.808:
	s_andn2_b64 vcc, exec, s[50:51]
	s_cbranch_vccnz .LBB223_813
; %bb.809:
	s_add_i32 s78, s77, 1
	s_cmp_eq_u32 s72, 2
	s_cbranch_scc1 .LBB223_814
; %bb.810:
	s_and_b32 s77, s78, 28
	v_mov_b32_e32 v2, 0
	s_mov_b32 s79, 0
	s_mov_b64 s[50:51], s[34:35]
	v_mov_b32_e32 v0, 0
	v_mov_b32_e32 v1, v8
.LBB223_811:                            ; =>This Inner Loop Header: Depth=1
	s_load_dwordx8 s[16:23], s[50:51], 0x4
	s_load_dwordx4 s[0:3], s[50:51], 0x24
	s_load_dwordx8 s[8:15], s[48:49], 0x0
	s_add_u32 s50, s50, 48
	s_addc_u32 s51, s51, 0
	s_waitcnt vmcnt(0) lgkmcnt(0)
	v_mul_hi_u32 v3, s17, v1
	s_add_i32 s79, s79, 4
	s_add_u32 s48, s48, 32
	s_addc_u32 s49, s49, 0
	v_add_u32_e32 v3, v1, v3
	v_lshrrev_b32_e32 v3, s18, v3
	v_mul_lo_u32 v4, v3, s16
	v_mul_hi_u32 v5, s20, v3
	s_cmp_eq_u32 s77, s79
	v_sub_u32_e32 v1, v1, v4
	v_add_u32_e32 v4, v3, v5
	v_mul_lo_u32 v5, v1, s8
	v_mul_lo_u32 v6, v1, s9
	v_lshrrev_b32_e32 v1, s21, v4
	v_mul_lo_u32 v4, v1, s19
	v_mul_hi_u32 v7, s23, v1
	v_sub_u32_e32 v3, v3, v4
	v_add_u32_e32 v4, v1, v7
	v_lshrrev_b32_e32 v4, s0, v4
	v_mul_hi_u32 v9, s2, v4
	v_mul_lo_u32 v10, v4, s22
	v_mul_lo_u32 v7, v3, s10
	;; [unrolled: 1-line block ×3, first 2 shown]
	v_sub_u32_e32 v10, v1, v10
	v_add_u32_e32 v1, v4, v9
	v_lshrrev_b32_e32 v1, s3, v1
	v_mul_lo_u32 v9, v1, s1
	v_mul_lo_u32 v11, v10, s12
	;; [unrolled: 1-line block ×3, first 2 shown]
	v_add3_u32 v0, v5, v0, v7
	v_sub_u32_e32 v4, v4, v9
	v_mul_lo_u32 v9, v4, s14
	v_mul_lo_u32 v4, v4, s15
	v_add3_u32 v2, v6, v2, v3
	v_add3_u32 v0, v11, v0, v9
	;; [unrolled: 1-line block ×3, first 2 shown]
	s_cbranch_scc0 .LBB223_811
	s_branch .LBB223_815
.LBB223_812:
	s_mov_b64 s[0:1], -1
                                        ; implicit-def: $vgpr0
                                        ; implicit-def: $vgpr2
	s_branch .LBB223_819
.LBB223_813:
	v_mov_b32_e32 v0, 0
	v_mov_b32_e32 v2, 0
	s_branch .LBB223_818
.LBB223_814:
	s_mov_b32 s77, 0
	v_mov_b32_e32 v0, 0
	v_mov_b32_e32 v2, 0
	;; [unrolled: 1-line block ×3, first 2 shown]
.LBB223_815:
	s_and_b32 s8, s78, 3
	s_cmp_eq_u32 s8, 0
	s_cbranch_scc1 .LBB223_818
; %bb.816:
	s_lshl_b32 s0, s77, 3
	s_add_u32 s0, s34, s0
	s_addc_u32 s1, s35, 0
	s_add_u32 s0, s0, 0xc4
	s_addc_u32 s1, s1, 0
	s_mul_i32 s2, s77, 12
	s_add_u32 s2, s34, s2
	s_addc_u32 s3, s35, 0
.LBB223_817:                            ; =>This Inner Loop Header: Depth=1
	s_load_dwordx2 s[10:11], s[2:3], 0x4
	s_load_dword s9, s[2:3], 0xc
	s_load_dwordx2 s[12:13], s[0:1], 0x0
	s_add_u32 s2, s2, 12
	s_addc_u32 s3, s3, 0
	s_waitcnt vmcnt(0) lgkmcnt(0)
	v_mul_hi_u32 v3, s11, v1
	s_add_u32 s0, s0, 8
	s_addc_u32 s1, s1, 0
	s_add_i32 s8, s8, -1
	v_add_u32_e32 v3, v1, v3
	v_lshrrev_b32_e32 v4, s9, v3
	v_mul_lo_u32 v3, v4, s10
	s_cmp_lg_u32 s8, 0
	v_sub_u32_e32 v3, v1, v3
	v_mad_u64_u32 v[0:1], s[10:11], v3, s12, v[0:1]
	v_mad_u64_u32 v[2:3], s[10:11], v3, s13, v[2:3]
	v_mov_b32_e32 v1, v4
	s_cbranch_scc1 .LBB223_817
.LBB223_818:
	s_mov_b64 s[0:1], 0
.LBB223_819:
	s_andn2_b64 vcc, exec, s[0:1]
	s_cbranch_vccnz .LBB223_822
; %bb.820:
	v_mul_hi_u32 v0, s29, v8
	s_andn2_b64 vcc, exec, s[46:47]
	v_add_u32_e32 v0, v8, v0
	v_lshrrev_b32_e32 v1, s30, v0
	v_mul_lo_u32 v0, v1, s28
	v_sub_u32_e32 v2, v8, v0
	v_mul_lo_u32 v0, v2, s36
	v_mul_lo_u32 v2, v2, s37
	s_cbranch_vccnz .LBB223_822
; %bb.821:
	s_waitcnt vmcnt(0)
	v_mul_hi_u32 v3, s44, v1
	v_add_u32_e32 v3, v1, v3
	v_lshrrev_b32_e32 v3, s45, v3
	v_mul_lo_u32 v3, v3, s31
	v_sub_u32_e32 v3, v1, v3
	v_mad_u64_u32 v[0:1], s[0:1], v3, s38, v[0:1]
	v_mad_u64_u32 v[2:3], s[0:1], v3, s39, v[2:3]
.LBB223_822:
	s_waitcnt vmcnt(0)
	v_mov_b32_e32 v3, s27
	s_and_b32 s12, 0xffff, s76
	v_add_co_u32_e32 v1, vcc, s26, v2
	s_cmp_lt_i32 s12, 11
	v_addc_co_u32_e32 v2, vcc, 0, v3, vcc
	s_cbranch_scc1 .LBB223_829
; %bb.823:
	s_cmp_gt_i32 s12, 25
	s_mov_b64 s[2:3], 0
	s_cbranch_scc0 .LBB223_830
; %bb.824:
	s_cmp_gt_i32 s12, 28
	s_cbranch_scc0 .LBB223_831
; %bb.825:
	s_cmp_gt_i32 s12, 43
	;; [unrolled: 3-line block ×3, first 2 shown]
	s_cbranch_scc0 .LBB223_835
; %bb.827:
	s_cmp_eq_u32 s12, 46
	s_mov_b64 s[10:11], 0
	s_cbranch_scc0 .LBB223_838
; %bb.828:
	global_load_dword v3, v[1:2], off
	s_mov_b64 s[0:1], 0
	s_mov_b64 s[8:9], -1
	s_waitcnt vmcnt(0)
	v_lshlrev_b32_e32 v3, 16, v3
	v_cvt_i32_f32_e32 v3, v3
	s_branch .LBB223_839
.LBB223_829:
	s_mov_b64 s[12:13], -1
	s_mov_b64 s[8:9], 0
	s_mov_b64 s[2:3], 0
	;; [unrolled: 1-line block ×3, first 2 shown]
                                        ; implicit-def: $vgpr3
	s_branch .LBB223_898
.LBB223_830:
	s_mov_b64 s[10:11], -1
	s_mov_b64 s[8:9], 0
	s_mov_b64 s[0:1], s[66:67]
                                        ; implicit-def: $vgpr3
	s_branch .LBB223_866
.LBB223_831:
	s_mov_b64 s[10:11], -1
	s_mov_b64 s[8:9], 0
	s_mov_b64 s[0:1], s[66:67]
                                        ; implicit-def: $vgpr3
	s_branch .LBB223_849
.LBB223_832:
	s_mov_b64 s[10:11], -1
	s_mov_b64 s[8:9], 0
	s_mov_b64 s[0:1], s[66:67]
                                        ; implicit-def: $vgpr3
	s_branch .LBB223_844
.LBB223_833:
	s_andn2_saveexec_b64 s[12:13], s[12:13]
	s_cbranch_execz .LBB223_713
.LBB223_834:
	s_mov_b32 s16, 0x46000000
	v_add_f32_e64 v3, |v2|, s16
	v_and_b32_e32 v3, 0xff, v3
	v_cmp_ne_u32_e32 vcc, 0, v3
	s_andn2_b64 s[10:11], s[10:11], exec
	s_and_b64 s[16:17], vcc, exec
	s_or_b64 s[10:11], s[10:11], s[16:17]
	s_or_b64 exec, exec, s[12:13]
	v_mov_b32_e32 v5, 0
	s_and_saveexec_b64 s[12:13], s[10:11]
	s_cbranch_execnz .LBB223_714
	s_branch .LBB223_715
.LBB223_835:
	s_mov_b64 s[10:11], -1
	s_mov_b64 s[8:9], 0
	s_mov_b64 s[0:1], s[66:67]
                                        ; implicit-def: $vgpr3
	s_branch .LBB223_839
.LBB223_836:
	s_andn2_saveexec_b64 s[12:13], s[12:13]
	s_cbranch_execz .LBB223_726
.LBB223_837:
	s_mov_b32 s16, 0x42800000
	v_add_f32_e64 v3, |v2|, s16
	v_and_b32_e32 v3, 0xff, v3
	v_cmp_ne_u32_e32 vcc, 0, v3
	s_andn2_b64 s[10:11], s[10:11], exec
	s_and_b64 s[16:17], vcc, exec
	s_or_b64 s[10:11], s[10:11], s[16:17]
	s_or_b64 exec, exec, s[12:13]
	v_mov_b32_e32 v5, 0
	s_and_saveexec_b64 s[12:13], s[10:11]
	s_cbranch_execnz .LBB223_727
	s_branch .LBB223_728
.LBB223_838:
	s_mov_b64 s[0:1], -1
                                        ; implicit-def: $vgpr3
	s_mov_b64 s[8:9], 0
.LBB223_839:
	s_and_b64 vcc, exec, s[10:11]
	s_cbranch_vccz .LBB223_843
; %bb.840:
	s_cmp_eq_u32 s12, 44
	s_cbranch_scc0 .LBB223_842
; %bb.841:
	global_load_ubyte v3, v[1:2], off
	s_mov_b64 s[0:1], 0
	s_mov_b64 s[8:9], -1
	s_waitcnt vmcnt(0)
	v_lshlrev_b32_e32 v4, 23, v3
	v_cvt_i32_f32_e32 v4, v4
	v_cmp_ne_u32_e32 vcc, 0, v3
	v_cndmask_b32_e32 v3, 0, v4, vcc
	s_branch .LBB223_843
.LBB223_842:
	s_mov_b64 s[0:1], -1
                                        ; implicit-def: $vgpr3
.LBB223_843:
	s_mov_b64 s[10:11], 0
.LBB223_844:
	s_and_b64 vcc, exec, s[10:11]
	s_cbranch_vccz .LBB223_848
; %bb.845:
	s_cmp_eq_u32 s12, 29
	s_cbranch_scc0 .LBB223_847
; %bb.846:
	global_load_dwordx2 v[3:4], v[1:2], off
	s_mov_b64 s[0:1], 0
	s_mov_b64 s[8:9], -1
	s_branch .LBB223_848
.LBB223_847:
	s_mov_b64 s[0:1], -1
                                        ; implicit-def: $vgpr3
.LBB223_848:
	s_mov_b64 s[10:11], 0
.LBB223_849:
	s_and_b64 vcc, exec, s[10:11]
	s_cbranch_vccz .LBB223_865
; %bb.850:
	s_cmp_lt_i32 s12, 27
	s_cbranch_scc1 .LBB223_853
; %bb.851:
	s_cmp_gt_i32 s12, 27
	s_cbranch_scc0 .LBB223_854
; %bb.852:
	global_load_dword v3, v[1:2], off
	s_mov_b64 s[8:9], 0
	s_branch .LBB223_855
.LBB223_853:
	s_mov_b64 s[8:9], -1
                                        ; implicit-def: $vgpr3
	s_branch .LBB223_858
.LBB223_854:
	s_mov_b64 s[8:9], -1
                                        ; implicit-def: $vgpr3
.LBB223_855:
	s_andn2_b64 vcc, exec, s[8:9]
	s_cbranch_vccnz .LBB223_857
; %bb.856:
	global_load_ushort v3, v[1:2], off
.LBB223_857:
	s_mov_b64 s[8:9], 0
.LBB223_858:
	s_andn2_b64 vcc, exec, s[8:9]
	s_cbranch_vccnz .LBB223_864
; %bb.859:
	global_load_ubyte v4, v[1:2], off
	s_movk_i32 s8, 0x7f
	s_mov_b64 s[10:11], 0
	s_waitcnt vmcnt(0)
	v_cmp_lt_i16_e32 vcc, s8, v4
	s_and_saveexec_b64 s[8:9], vcc
	s_xor_b64 s[8:9], exec, s[8:9]
	s_cbranch_execz .LBB223_876
; %bb.860:
	s_movk_i32 s10, 0x80
	v_cmp_ne_u16_e32 vcc, s10, v4
	s_and_b64 s[10:11], vcc, exec
	s_andn2_saveexec_b64 s[8:9], s[8:9]
	s_cbranch_execnz .LBB223_877
.LBB223_861:
	s_or_b64 exec, exec, s[8:9]
	v_mov_b32_e32 v3, 0
	s_and_saveexec_b64 s[8:9], s[10:11]
	s_cbranch_execz .LBB223_863
.LBB223_862:
	v_lshlrev_b32_e32 v3, 24, v4
	v_and_b32_e32 v4, 0xffff, v4
	v_and_b32_e32 v5, 7, v4
	v_ffbh_u32_e32 v7, v5
	v_min_u32_e32 v7, 32, v7
	v_subrev_u32_e32 v8, 28, v7
	v_bfe_u32 v6, v4, 3, 4
	v_lshlrev_b32_e32 v4, v8, v4
	v_sub_u32_e32 v7, 29, v7
	v_and_b32_e32 v4, 7, v4
	v_cmp_eq_u32_e32 vcc, 0, v6
	v_cndmask_b32_e32 v6, v6, v7, vcc
	v_cndmask_b32_e32 v4, v5, v4, vcc
	v_mov_b32_e32 v5, 0x3b800000
	v_lshlrev_b32_e32 v4, 20, v4
	v_and_b32_e32 v3, 0x80000000, v3
	v_lshl_add_u32 v5, v6, 23, v5
	v_or3_b32 v3, v3, v5, v4
	v_cvt_i32_f32_e32 v3, v3
.LBB223_863:
	s_or_b64 exec, exec, s[8:9]
.LBB223_864:
	s_mov_b64 s[8:9], -1
.LBB223_865:
	s_mov_b64 s[10:11], 0
.LBB223_866:
	s_and_b64 vcc, exec, s[10:11]
	s_cbranch_vccz .LBB223_897
; %bb.867:
	s_cmp_gt_i32 s12, 22
	s_cbranch_scc0 .LBB223_875
; %bb.868:
	s_cmp_lt_i32 s12, 24
	s_cbranch_scc1 .LBB223_878
; %bb.869:
	s_cmp_gt_i32 s12, 24
	s_cbranch_scc0 .LBB223_879
; %bb.870:
	global_load_ubyte v4, v[1:2], off
	s_movk_i32 s2, 0x7f
	s_mov_b64 s[8:9], 0
	s_waitcnt vmcnt(0)
	v_cmp_lt_i16_e32 vcc, s2, v4
	s_and_saveexec_b64 s[2:3], vcc
	s_xor_b64 s[2:3], exec, s[2:3]
	s_cbranch_execz .LBB223_891
; %bb.871:
	s_movk_i32 s8, 0x80
	v_cmp_ne_u16_e32 vcc, s8, v4
	s_and_b64 s[8:9], vcc, exec
	s_andn2_saveexec_b64 s[2:3], s[2:3]
	s_cbranch_execnz .LBB223_892
.LBB223_872:
	s_or_b64 exec, exec, s[2:3]
	v_mov_b32_e32 v3, 0
	s_and_saveexec_b64 s[2:3], s[8:9]
	s_cbranch_execz .LBB223_874
.LBB223_873:
	v_lshlrev_b32_e32 v3, 24, v4
	v_and_b32_e32 v4, 0xffff, v4
	v_and_b32_e32 v5, 3, v4
	v_ffbh_u32_e32 v7, v5
	v_min_u32_e32 v7, 32, v7
	v_subrev_u32_e32 v8, 29, v7
	v_bfe_u32 v6, v4, 2, 5
	v_lshlrev_b32_e32 v4, v8, v4
	v_sub_u32_e32 v7, 30, v7
	v_and_b32_e32 v4, 3, v4
	v_cmp_eq_u32_e32 vcc, 0, v6
	v_cndmask_b32_e32 v6, v6, v7, vcc
	v_cndmask_b32_e32 v4, v5, v4, vcc
	v_mov_b32_e32 v5, 0x37800000
	v_lshlrev_b32_e32 v4, 21, v4
	v_and_b32_e32 v3, 0x80000000, v3
	v_lshl_add_u32 v5, v6, 23, v5
	v_or3_b32 v3, v3, v5, v4
	v_cvt_i32_f32_e32 v3, v3
.LBB223_874:
	s_or_b64 exec, exec, s[2:3]
	s_mov_b64 s[2:3], 0
	s_branch .LBB223_880
.LBB223_875:
	s_mov_b64 s[2:3], -1
                                        ; implicit-def: $vgpr3
	s_branch .LBB223_886
.LBB223_876:
	s_andn2_saveexec_b64 s[8:9], s[8:9]
	s_cbranch_execz .LBB223_861
.LBB223_877:
	v_cmp_ne_u16_e32 vcc, 0, v4
	s_andn2_b64 s[10:11], s[10:11], exec
	s_and_b64 s[14:15], vcc, exec
	s_or_b64 s[10:11], s[10:11], s[14:15]
	s_or_b64 exec, exec, s[8:9]
	v_mov_b32_e32 v3, 0
	s_and_saveexec_b64 s[8:9], s[10:11]
	s_cbranch_execnz .LBB223_862
	s_branch .LBB223_863
.LBB223_878:
	s_mov_b64 s[2:3], -1
                                        ; implicit-def: $vgpr3
	s_branch .LBB223_883
.LBB223_879:
	s_mov_b64 s[2:3], -1
                                        ; implicit-def: $vgpr3
.LBB223_880:
	s_and_b64 vcc, exec, s[2:3]
	s_cbranch_vccz .LBB223_882
; %bb.881:
	global_load_ubyte v3, v[1:2], off
	s_mov_b32 s2, 0x7f800000
	s_waitcnt vmcnt(0)
	v_lshlrev_b32_e32 v3, 24, v3
	v_and_b32_e32 v4, 0x7f000000, v3
	v_ffbh_u32_e32 v5, v4
	v_min_u32_e32 v5, 32, v5
	v_sub_u32_e64 v5, v5, 4 clamp
	v_lshlrev_b32_e32 v7, v5, v4
	v_lshlrev_b32_e32 v5, 23, v5
	v_lshrrev_b32_e32 v7, 4, v7
	v_add_u32_e32 v6, 0x1000000, v4
	v_sub_u32_e32 v5, v7, v5
	v_ashrrev_i32_e32 v6, 8, v6
	v_add_u32_e32 v5, 0x3c000000, v5
	v_and_or_b32 v5, v6, s2, v5
	v_cmp_ne_u32_e32 vcc, 0, v4
	v_cndmask_b32_e32 v4, 0, v5, vcc
	s_brev_b32 s2, 1
	v_and_or_b32 v3, v3, s2, v4
	v_cvt_i32_f32_e32 v3, v3
.LBB223_882:
	s_mov_b64 s[2:3], 0
.LBB223_883:
	s_andn2_b64 vcc, exec, s[2:3]
	s_cbranch_vccnz .LBB223_885
; %bb.884:
	global_load_ubyte v3, v[1:2], off
	s_movk_i32 s2, 0x7f00
	s_brev_b32 s3, 16
	s_waitcnt vmcnt(0)
	v_lshlrev_b16_e32 v4, 8, v3
	v_lshlrev_b32_e32 v3, 25, v3
	v_lshrrev_b32_e32 v5, 4, v3
	v_and_or_b32 v6, v4, s2, 0.5
	v_or_b32_e32 v5, 0x70000000, v5
	v_add_f32_e32 v6, -0.5, v6
	v_mul_f32_e32 v5, 0x7800000, v5
	v_cmp_gt_u32_e32 vcc, s3, v3
	v_bfe_i32 v4, v4, 0, 16
	v_cndmask_b32_e32 v3, v5, v6, vcc
	s_brev_b32 s2, 1
	v_and_or_b32 v3, v4, s2, v3
	v_cvt_i32_f32_e32 v3, v3
.LBB223_885:
	s_mov_b64 s[2:3], 0
	s_mov_b64 s[8:9], -1
.LBB223_886:
	s_andn2_b64 vcc, exec, s[2:3]
	s_mov_b64 s[2:3], 0
	s_cbranch_vccnz .LBB223_897
; %bb.887:
	s_cmp_gt_i32 s12, 14
	s_cbranch_scc0 .LBB223_890
; %bb.888:
	s_cmp_eq_u32 s12, 15
	s_cbranch_scc0 .LBB223_893
; %bb.889:
	global_load_ushort v3, v[1:2], off
	s_mov_b64 s[0:1], 0
	s_mov_b64 s[8:9], -1
	s_waitcnt vmcnt(0)
	v_lshlrev_b32_e32 v3, 16, v3
	v_cvt_i32_f32_e32 v3, v3
	s_branch .LBB223_894
.LBB223_890:
	s_mov_b64 s[10:11], -1
                                        ; implicit-def: $vgpr3
	s_branch .LBB223_895
.LBB223_891:
	s_andn2_saveexec_b64 s[2:3], s[2:3]
	s_cbranch_execz .LBB223_872
.LBB223_892:
	v_cmp_ne_u16_e32 vcc, 0, v4
	s_andn2_b64 s[8:9], s[8:9], exec
	s_and_b64 s[10:11], vcc, exec
	s_or_b64 s[8:9], s[8:9], s[10:11]
	s_or_b64 exec, exec, s[2:3]
	v_mov_b32_e32 v3, 0
	s_and_saveexec_b64 s[2:3], s[8:9]
	s_cbranch_execnz .LBB223_873
	s_branch .LBB223_874
.LBB223_893:
	s_mov_b64 s[0:1], -1
                                        ; implicit-def: $vgpr3
.LBB223_894:
	s_mov_b64 s[10:11], 0
.LBB223_895:
	s_and_b64 vcc, exec, s[10:11]
	s_cbranch_vccz .LBB223_897
; %bb.896:
	s_cmp_lg_u32 s12, 11
	s_cselect_b64 s[10:11], -1, 0
	s_andn2_b64 s[0:1], s[0:1], exec
	s_and_b64 s[10:11], s[10:11], exec
	s_mov_b64 s[2:3], -1
	s_or_b64 s[0:1], s[0:1], s[10:11]
.LBB223_897:
	s_mov_b64 s[12:13], 0
.LBB223_898:
	s_and_b64 s[10:11], s[8:9], exec
	s_and_b64 s[8:9], s[12:13], exec
	s_andn2_b64 s[12:13], s[66:67], exec
	s_and_b64 s[0:1], s[0:1], exec
	s_and_b64 s[2:3], s[2:3], exec
	s_or_b64 s[12:13], s[12:13], s[0:1]
.LBB223_899:
	s_or_b64 exec, exec, s[70:71]
	s_and_b64 s[0:1], s[2:3], exec
	s_andn2_b64 s[2:3], s[66:67], exec
	s_and_b64 s[12:13], s[12:13], exec
	s_and_b64 s[10:11], s[10:11], exec
	;; [unrolled: 1-line block ×3, first 2 shown]
	s_or_b64 s[66:67], s[2:3], s[12:13]
.LBB223_900:
	s_or_b64 exec, exec, s[64:65]
	s_andn2_b64 s[2:3], s[60:61], exec
	s_and_b64 s[12:13], s[68:69], exec
	s_or_b64 s[60:61], s[2:3], s[12:13]
	s_and_b64 s[2:3], s[0:1], exec
	s_andn2_b64 s[0:1], s[58:59], exec
	s_and_b64 s[12:13], s[66:67], exec
	s_and_b64 s[10:11], s[10:11], exec
	;; [unrolled: 1-line block ×3, first 2 shown]
	s_or_b64 s[58:59], s[0:1], s[12:13]
.LBB223_901:
	s_or_b64 exec, exec, s[62:63]
	s_andn2_b64 s[0:1], s[52:53], exec
	s_and_b64 s[12:13], s[60:61], exec
	s_or_b64 s[52:53], s[0:1], s[12:13]
	s_and_b64 s[0:1], s[10:11], exec
	s_and_b64 s[10:11], s[8:9], exec
	;; [unrolled: 1-line block ×3, first 2 shown]
	s_andn2_b64 s[2:3], s[54:55], exec
	s_and_b64 s[8:9], s[58:59], exec
	s_or_b64 s[54:55], s[2:3], s[8:9]
	s_or_b64 exec, exec, s[56:57]
	s_mov_b64 s[2:3], 0
	s_and_saveexec_b64 s[8:9], s[54:55]
	s_cbranch_execz .LBB223_270
.LBB223_902:
	s_mov_b64 s[2:3], exec
	s_andn2_b64 s[60:61], s[60:61], exec
	s_trap 2
	s_or_b64 exec, exec, s[8:9]
	s_and_saveexec_b64 s[8:9], s[60:61]
	s_xor_b64 s[8:9], exec, s[8:9]
	s_cbranch_execnz .LBB223_271
.LBB223_903:
	s_or_b64 exec, exec, s[8:9]
	s_and_saveexec_b64 s[8:9], s[10:11]
	s_cbranch_execz .LBB223_949
.LBB223_904:
	s_sext_i32_i16 s10, s76
	s_cmp_lt_i32 s10, 5
	s_cbranch_scc1 .LBB223_909
; %bb.905:
	s_cmp_lt_i32 s10, 8
	s_cbranch_scc1 .LBB223_910
; %bb.906:
	;; [unrolled: 3-line block ×3, first 2 shown]
	s_cmp_gt_i32 s10, 9
	s_cbranch_scc0 .LBB223_912
; %bb.908:
	global_load_dwordx2 v[3:4], v[1:2], off
	s_mov_b64 s[10:11], 0
	s_waitcnt vmcnt(0)
	v_cvt_i32_f64_e32 v3, v[3:4]
	s_branch .LBB223_913
.LBB223_909:
                                        ; implicit-def: $vgpr3
	s_branch .LBB223_930
.LBB223_910:
                                        ; implicit-def: $vgpr3
	s_branch .LBB223_919
.LBB223_911:
	s_mov_b64 s[10:11], -1
                                        ; implicit-def: $vgpr3
	s_branch .LBB223_916
.LBB223_912:
	s_mov_b64 s[10:11], -1
                                        ; implicit-def: $vgpr3
.LBB223_913:
	s_andn2_b64 vcc, exec, s[10:11]
	s_cbranch_vccnz .LBB223_915
; %bb.914:
	global_load_dword v3, v[1:2], off
	s_waitcnt vmcnt(0)
	v_cvt_i32_f32_e32 v3, v3
.LBB223_915:
	s_mov_b64 s[10:11], 0
.LBB223_916:
	s_andn2_b64 vcc, exec, s[10:11]
	s_cbranch_vccnz .LBB223_918
; %bb.917:
	global_load_dword v3, v[1:2], off
	s_waitcnt vmcnt(0)
	v_cvt_i16_f16_e32 v3, v3
.LBB223_918:
	s_cbranch_execnz .LBB223_929
.LBB223_919:
	s_sext_i32_i16 s10, s76
	s_cmp_lt_i32 s10, 6
	s_cbranch_scc1 .LBB223_922
; %bb.920:
	s_cmp_gt_i32 s10, 6
	s_cbranch_scc0 .LBB223_923
; %bb.921:
	global_load_dwordx2 v[3:4], v[1:2], off
	s_mov_b64 s[10:11], 0
	s_waitcnt vmcnt(0)
	v_cvt_i32_f64_e32 v3, v[3:4]
	s_branch .LBB223_924
.LBB223_922:
	s_mov_b64 s[10:11], -1
                                        ; implicit-def: $vgpr3
	s_branch .LBB223_927
.LBB223_923:
	s_mov_b64 s[10:11], -1
                                        ; implicit-def: $vgpr3
.LBB223_924:
	s_andn2_b64 vcc, exec, s[10:11]
	s_cbranch_vccnz .LBB223_926
; %bb.925:
	global_load_dword v3, v[1:2], off
	s_waitcnt vmcnt(0)
	v_cvt_i32_f32_e32 v3, v3
.LBB223_926:
	s_mov_b64 s[10:11], 0
.LBB223_927:
	s_andn2_b64 vcc, exec, s[10:11]
	s_cbranch_vccnz .LBB223_929
; %bb.928:
	global_load_ushort v3, v[1:2], off
	s_waitcnt vmcnt(0)
	v_cvt_i16_f16_e32 v3, v3
.LBB223_929:
	s_cbranch_execnz .LBB223_948
.LBB223_930:
	s_sext_i32_i16 s10, s76
	s_cmp_lt_i32 s10, 2
	s_cbranch_scc1 .LBB223_934
; %bb.931:
	s_cmp_lt_i32 s10, 3
	s_cbranch_scc1 .LBB223_935
; %bb.932:
	s_cmp_gt_i32 s10, 3
	s_cbranch_scc0 .LBB223_936
; %bb.933:
	global_load_dwordx2 v[3:4], v[1:2], off
	s_mov_b64 s[10:11], 0
	s_branch .LBB223_937
.LBB223_934:
                                        ; implicit-def: $vgpr3
	s_branch .LBB223_943
.LBB223_935:
	s_mov_b64 s[10:11], -1
                                        ; implicit-def: $vgpr3
	s_branch .LBB223_940
.LBB223_936:
	s_mov_b64 s[10:11], -1
                                        ; implicit-def: $vgpr3
.LBB223_937:
	s_andn2_b64 vcc, exec, s[10:11]
	s_cbranch_vccnz .LBB223_939
; %bb.938:
	global_load_dword v3, v[1:2], off
.LBB223_939:
	s_mov_b64 s[10:11], 0
.LBB223_940:
	s_andn2_b64 vcc, exec, s[10:11]
	s_cbranch_vccnz .LBB223_942
; %bb.941:
	global_load_ushort v3, v[1:2], off
.LBB223_942:
	s_cbranch_execnz .LBB223_948
.LBB223_943:
	s_sext_i32_i16 s10, s76
	s_cmp_gt_i32 s10, 0
	s_cbranch_scc0 .LBB223_945
; %bb.944:
	global_load_sbyte v3, v[1:2], off
	s_mov_b64 s[10:11], 0
	s_branch .LBB223_946
.LBB223_945:
	s_mov_b64 s[10:11], -1
                                        ; implicit-def: $vgpr3
.LBB223_946:
	s_andn2_b64 vcc, exec, s[10:11]
	s_cbranch_vccnz .LBB223_948
; %bb.947:
	global_load_ubyte v3, v[1:2], off
.LBB223_948:
	s_or_b64 s[0:1], s[0:1], exec
.LBB223_949:
	s_or_b64 exec, exec, s[8:9]
	s_mov_b64 s[12:13], 0
	s_mov_b64 s[10:11], 0
                                        ; implicit-def: $sgpr18
                                        ; implicit-def: $vgpr1_vgpr2
                                        ; implicit-def: $vgpr4
	s_and_saveexec_b64 s[8:9], s[0:1]
	s_cbranch_execz .LBB223_957
; %bb.950:
	s_waitcnt vmcnt(0)
	v_ashrrev_i32_sdwa v1, v3, s74 dst_sel:DWORD dst_unused:UNUSED_PAD src0_sel:WORD_0 src1_sel:DWORD
	v_mov_b32_e32 v2, s75
	v_cmp_lt_u16_e32 vcc, 14, v3
	v_cndmask_b32_e32 v4, v1, v2, vcc
	v_mov_b32_e32 v2, s25
	s_and_b32 s18, s73, 0xff
	v_add_co_u32_e32 v1, vcc, s24, v0
	s_cmp_lt_i32 s18, 11
	v_addc_co_u32_e32 v2, vcc, 0, v2, vcc
	s_cbranch_scc1 .LBB223_960
; %bb.951:
	s_and_b32 s19, 0xffff, s18
	s_mov_b64 s[12:13], -1
	s_cmp_gt_i32 s19, 25
	s_mov_b64 s[0:1], s[52:53]
	s_cbranch_scc0 .LBB223_988
; %bb.952:
	s_mov_b64 s[10:11], -1
	s_cmp_gt_i32 s19, 28
	s_mov_b64 s[0:1], s[52:53]
	s_cbranch_scc0 .LBB223_972
; %bb.953:
	s_cmp_gt_i32 s19, 43
	s_mov_b64 s[0:1], s[52:53]
	s_cbranch_scc0 .LBB223_968
; %bb.954:
	s_cmp_gt_i32 s19, 45
	s_mov_b64 s[0:1], s[52:53]
	s_cbranch_scc0 .LBB223_962
; %bb.955:
	s_cmp_eq_u32 s19, 46
	s_mov_b64 s[0:1], -1
	s_cbranch_scc0 .LBB223_961
; %bb.956:
	v_cvt_f32_i32_sdwa v0, sext(v4) dst_sel:DWORD dst_unused:UNUSED_PAD src0_sel:WORD_0
	s_movk_i32 s0, 0x7fff
	s_mov_b64 s[10:11], 0
	v_bfe_u32 v3, v0, 16, 1
	v_add3_u32 v0, v0, v3, s0
	v_lshrrev_b32_e32 v0, 16, v0
	global_store_dword v[1:2], v0, off
	s_mov_b64 s[0:1], 0
	s_branch .LBB223_962
.LBB223_957:
	s_or_b64 exec, exec, s[8:9]
	s_and_saveexec_b64 s[0:1], s[52:53]
	s_cbranch_execnz .LBB223_1030
.LBB223_958:
	s_or_b64 exec, exec, s[0:1]
	s_and_saveexec_b64 s[0:1], s[12:13]
	s_xor_b64 s[0:1], exec, s[0:1]
	s_cbranch_execz .LBB223_1031
.LBB223_959:
	s_waitcnt vmcnt(0)
	v_cmp_ne_u16_e32 vcc, 0, v4
	v_cndmask_b32_e64 v0, 0, 1, vcc
	global_store_byte v[1:2], v0, off
	s_or_b64 exec, exec, s[0:1]
	s_and_saveexec_b64 s[0:1], s[10:11]
	s_xor_b64 s[0:1], exec, s[0:1]
	s_cbranch_execz .LBB223_1069
	s_branch .LBB223_1032
.LBB223_960:
	s_mov_b64 s[10:11], -1
	s_mov_b64 s[0:1], s[52:53]
	s_branch .LBB223_1029
.LBB223_961:
	s_mov_b64 s[10:11], 0
.LBB223_962:
	s_and_b64 vcc, exec, s[10:11]
	s_cbranch_vccz .LBB223_967
; %bb.963:
	s_cmp_eq_u32 s19, 44
	s_mov_b64 s[0:1], -1
	s_cbranch_scc0 .LBB223_967
; %bb.964:
	v_cvt_f32_i32_sdwa v0, sext(v4) dst_sel:DWORD dst_unused:UNUSED_PAD src0_sel:WORD_0
	s_movk_i32 s0, 0xff
	v_mov_b32_e32 v5, 0xff
	v_bfe_u32 v3, v0, 23, 8
	v_cmp_ne_u32_e32 vcc, s0, v3
	s_and_saveexec_b64 s[10:11], vcc
; %bb.965:
	s_mov_b32 s0, 0x3fffff
	v_lshrrev_b32_e32 v5, 23, v0
	v_and_b32_e32 v6, 0x400000, v0
	v_and_or_b32 v0, v0, s0, v3
	v_cmp_ne_u32_e32 vcc, 0, v6
	v_cmp_ne_u32_e64 s[0:1], 0, v0
	s_and_b64 s[0:1], vcc, s[0:1]
	v_cndmask_b32_e64 v0, 0, 1, s[0:1]
	v_add_u32_e32 v5, v5, v0
; %bb.966:
	s_or_b64 exec, exec, s[10:11]
	s_mov_b64 s[0:1], 0
	global_store_byte v[1:2], v5, off
.LBB223_967:
	s_mov_b64 s[10:11], 0
.LBB223_968:
	s_and_b64 vcc, exec, s[10:11]
	s_cbranch_vccz .LBB223_971
; %bb.969:
	s_cmp_eq_u32 s19, 29
	s_mov_b64 s[0:1], -1
	s_cbranch_scc0 .LBB223_971
; %bb.970:
	v_bfe_i32 v5, v4, 0, 16
	v_ashrrev_i32_e32 v6, 31, v5
	global_store_dwordx2 v[1:2], v[5:6], off
	s_mov_b64 s[0:1], 0
.LBB223_971:
	s_mov_b64 s[10:11], 0
.LBB223_972:
	s_and_b64 vcc, exec, s[10:11]
	s_cbranch_vccz .LBB223_987
; %bb.973:
	s_cmp_lt_i32 s19, 27
	s_mov_b64 s[10:11], -1
	s_cbranch_scc1 .LBB223_979
; %bb.974:
	s_cmp_gt_i32 s19, 27
	s_cbranch_scc0 .LBB223_976
; %bb.975:
	v_bfe_i32 v0, v4, 0, 16
	s_mov_b64 s[10:11], 0
	global_store_dword v[1:2], v0, off
.LBB223_976:
	s_andn2_b64 vcc, exec, s[10:11]
	s_cbranch_vccnz .LBB223_978
; %bb.977:
	global_store_short v[1:2], v4, off
.LBB223_978:
	s_mov_b64 s[10:11], 0
.LBB223_979:
	s_andn2_b64 vcc, exec, s[10:11]
	s_cbranch_vccnz .LBB223_987
; %bb.980:
	v_cvt_f32_i32_sdwa v0, sext(v4) dst_sel:DWORD dst_unused:UNUSED_PAD src0_sel:WORD_0
	s_mov_b32 s10, 0x43800000
	v_mov_b32_e32 v5, 0x80
	v_and_b32_e32 v3, 0x7fffffff, v0
	v_cmp_gt_u32_e32 vcc, s10, v3
	s_and_saveexec_b64 s[10:11], vcc
	s_cbranch_execz .LBB223_986
; %bb.981:
	s_mov_b32 s12, 0x3bffffff
	v_cmp_lt_u32_e32 vcc, s12, v3
	s_mov_b64 s[12:13], 0
                                        ; implicit-def: $vgpr3
	s_and_saveexec_b64 s[14:15], vcc
	s_xor_b64 s[14:15], exec, s[14:15]
	s_cbranch_execz .LBB223_1140
; %bb.982:
	v_bfe_u32 v3, v0, 20, 1
	s_mov_b32 s16, 0x487ffff
	v_add3_u32 v3, v0, v3, s16
	s_mov_b64 s[12:13], exec
	v_lshrrev_b32_e32 v3, 20, v3
	s_andn2_saveexec_b64 s[14:15], s[14:15]
	s_cbranch_execnz .LBB223_1141
.LBB223_983:
	s_or_b64 exec, exec, s[14:15]
	v_mov_b32_e32 v5, 0
	s_and_saveexec_b64 s[14:15], s[12:13]
.LBB223_984:
	v_lshrrev_b32_e32 v0, 24, v0
	s_movk_i32 s12, 0x80
	v_and_or_b32 v5, v0, s12, v3
.LBB223_985:
	s_or_b64 exec, exec, s[14:15]
.LBB223_986:
	s_or_b64 exec, exec, s[10:11]
	global_store_byte v[1:2], v5, off
.LBB223_987:
	s_mov_b64 s[12:13], 0
.LBB223_988:
	s_mov_b64 s[10:11], 0
	s_and_b64 vcc, exec, s[12:13]
	s_cbranch_vccz .LBB223_1028
; %bb.989:
	s_cmp_gt_i32 s19, 22
	s_mov_b64 s[12:13], -1
	s_cbranch_scc0 .LBB223_1021
; %bb.990:
	s_cmp_lt_i32 s19, 24
	s_cbranch_scc1 .LBB223_1010
; %bb.991:
	s_cmp_gt_i32 s19, 24
	s_cbranch_scc0 .LBB223_999
; %bb.992:
	v_cvt_f32_i32_sdwa v0, sext(v4) dst_sel:DWORD dst_unused:UNUSED_PAD src0_sel:WORD_0
	s_mov_b32 s12, 0x47800000
	v_mov_b32_e32 v5, 0x80
	v_and_b32_e32 v3, 0x7fffffff, v0
	v_cmp_gt_u32_e32 vcc, s12, v3
	s_and_saveexec_b64 s[12:13], vcc
	s_cbranch_execz .LBB223_998
; %bb.993:
	s_mov_b32 s14, 0x37ffffff
	v_cmp_lt_u32_e32 vcc, s14, v3
	s_mov_b64 s[14:15], 0
                                        ; implicit-def: $vgpr3
	s_and_saveexec_b64 s[16:17], vcc
	s_xor_b64 s[16:17], exec, s[16:17]
	s_cbranch_execz .LBB223_1260
; %bb.994:
	v_bfe_u32 v3, v0, 21, 1
	s_mov_b32 s20, 0x88fffff
	v_add3_u32 v3, v0, v3, s20
	s_mov_b64 s[14:15], exec
	v_lshrrev_b32_e32 v3, 21, v3
	s_andn2_saveexec_b64 s[16:17], s[16:17]
	s_cbranch_execnz .LBB223_1261
.LBB223_995:
	s_or_b64 exec, exec, s[16:17]
	v_mov_b32_e32 v5, 0
	s_and_saveexec_b64 s[16:17], s[14:15]
.LBB223_996:
	v_lshrrev_b32_e32 v0, 24, v0
	s_movk_i32 s14, 0x80
	v_and_or_b32 v5, v0, s14, v3
.LBB223_997:
	s_or_b64 exec, exec, s[16:17]
.LBB223_998:
	s_or_b64 exec, exec, s[12:13]
	s_mov_b64 s[12:13], 0
	global_store_byte v[1:2], v5, off
.LBB223_999:
	s_and_b64 vcc, exec, s[12:13]
	s_cbranch_vccz .LBB223_1009
; %bb.1000:
	v_cvt_f32_i32_sdwa v0, sext(v4) dst_sel:DWORD dst_unused:UNUSED_PAD src0_sel:WORD_0
	s_mov_b32 s12, 0x43f00000
                                        ; implicit-def: $vgpr3
	v_and_b32_e32 v5, 0x7fffffff, v0
	v_cmp_gt_u32_e32 vcc, s12, v5
	s_and_saveexec_b64 s[12:13], vcc
	s_xor_b64 s[12:13], exec, s[12:13]
	s_cbranch_execz .LBB223_1006
; %bb.1001:
	s_mov_b32 s14, 0x3c7fffff
	v_cmp_lt_u32_e32 vcc, s14, v5
                                        ; implicit-def: $vgpr3
	s_and_saveexec_b64 s[14:15], vcc
	s_xor_b64 s[14:15], exec, s[14:15]
; %bb.1002:
	v_bfe_u32 v3, v0, 20, 1
	s_mov_b32 s16, 0x407ffff
	v_add3_u32 v3, v0, v3, s16
	v_lshrrev_b32_e32 v5, 20, v3
	v_and_b32_e32 v3, 0xff00000, v3
	s_mov_b32 s16, 0x7f00000
	v_mov_b32_e32 v6, 0x7e
	v_cmp_ne_u32_e32 vcc, s16, v3
	v_cndmask_b32_e32 v3, v6, v5, vcc
; %bb.1003:
	s_andn2_saveexec_b64 s[14:15], s[14:15]
; %bb.1004:
	s_mov_b32 s16, 0x46800000
	v_add_f32_e64 v3, |v0|, s16
; %bb.1005:
	s_or_b64 exec, exec, s[14:15]
                                        ; implicit-def: $vgpr5
.LBB223_1006:
	s_andn2_saveexec_b64 s[12:13], s[12:13]
; %bb.1007:
	s_mov_b32 s14, 0x7f800000
	v_mov_b32_e32 v3, 0x7e
	v_mov_b32_e32 v6, 0x7f
	v_cmp_lt_u32_e32 vcc, s14, v5
	v_cndmask_b32_e32 v3, v3, v6, vcc
; %bb.1008:
	s_or_b64 exec, exec, s[12:13]
	v_lshrrev_b32_e32 v0, 24, v0
	s_movk_i32 s12, 0x80
	v_and_or_b32 v0, v0, s12, v3
	global_store_byte v[1:2], v0, off
.LBB223_1009:
	s_mov_b64 s[12:13], 0
.LBB223_1010:
	s_andn2_b64 vcc, exec, s[12:13]
	s_cbranch_vccnz .LBB223_1020
; %bb.1011:
	v_cvt_f32_i32_sdwa v0, sext(v4) dst_sel:DWORD dst_unused:UNUSED_PAD src0_sel:WORD_0
	s_mov_b32 s12, 0x47800000
                                        ; implicit-def: $vgpr3
	v_and_b32_e32 v5, 0x7fffffff, v0
	v_cmp_gt_u32_e32 vcc, s12, v5
	s_and_saveexec_b64 s[12:13], vcc
	s_xor_b64 s[12:13], exec, s[12:13]
	s_cbranch_execz .LBB223_1017
; %bb.1012:
	s_mov_b32 s14, 0x387fffff
	v_cmp_lt_u32_e32 vcc, s14, v5
                                        ; implicit-def: $vgpr3
	s_and_saveexec_b64 s[14:15], vcc
	s_xor_b64 s[14:15], exec, s[14:15]
; %bb.1013:
	v_bfe_u32 v3, v0, 21, 1
	s_mov_b32 s16, 0x80fffff
	v_add3_u32 v3, v0, v3, s16
	v_lshrrev_b32_e32 v3, 21, v3
; %bb.1014:
	s_andn2_saveexec_b64 s[14:15], s[14:15]
; %bb.1015:
	s_mov_b32 s16, 0x43000000
	v_add_f32_e64 v3, |v0|, s16
; %bb.1016:
	s_or_b64 exec, exec, s[14:15]
                                        ; implicit-def: $vgpr5
.LBB223_1017:
	s_andn2_saveexec_b64 s[12:13], s[12:13]
; %bb.1018:
	s_mov_b32 s14, 0x7f800000
	v_mov_b32_e32 v3, 0x7c
	v_mov_b32_e32 v6, 0x7f
	v_cmp_lt_u32_e32 vcc, s14, v5
	v_cndmask_b32_e32 v3, v3, v6, vcc
; %bb.1019:
	s_or_b64 exec, exec, s[12:13]
	v_lshrrev_b32_e32 v0, 24, v0
	s_movk_i32 s12, 0x80
	v_and_or_b32 v0, v0, s12, v3
	global_store_byte v[1:2], v0, off
.LBB223_1020:
	s_mov_b64 s[12:13], 0
.LBB223_1021:
	s_andn2_b64 vcc, exec, s[12:13]
	s_mov_b64 s[12:13], 0
	s_cbranch_vccnz .LBB223_1029
; %bb.1022:
	s_cmp_gt_i32 s19, 14
	s_mov_b64 s[14:15], -1
	s_cbranch_scc0 .LBB223_1026
; %bb.1023:
	s_cmp_eq_u32 s19, 15
	s_mov_b64 s[0:1], -1
	s_cbranch_scc0 .LBB223_1025
; %bb.1024:
	v_cvt_f32_i32_sdwa v0, sext(v4) dst_sel:DWORD dst_unused:UNUSED_PAD src0_sel:WORD_0
	s_movk_i32 s0, 0x7fff
	v_bfe_u32 v3, v0, 16, 1
	v_add3_u32 v0, v0, v3, s0
	global_store_short_d16_hi v[1:2], v0, off
	s_mov_b64 s[0:1], 0
.LBB223_1025:
	s_mov_b64 s[14:15], 0
.LBB223_1026:
	s_and_b64 vcc, exec, s[14:15]
	s_cbranch_vccz .LBB223_1029
; %bb.1027:
	s_cmp_lg_u32 s19, 11
	s_cselect_b64 s[14:15], -1, 0
	s_andn2_b64 s[0:1], s[0:1], exec
	s_and_b64 s[14:15], s[14:15], exec
	s_mov_b64 s[12:13], -1
	s_or_b64 s[0:1], s[0:1], s[14:15]
	s_branch .LBB223_1029
.LBB223_1028:
	s_mov_b64 s[12:13], 0
.LBB223_1029:
	s_andn2_b64 s[14:15], s[52:53], exec
	s_and_b64 s[0:1], s[0:1], exec
	s_and_b64 s[10:11], s[10:11], exec
	;; [unrolled: 1-line block ×3, first 2 shown]
	s_or_b64 s[52:53], s[14:15], s[0:1]
	s_or_b64 exec, exec, s[8:9]
	s_and_saveexec_b64 s[0:1], s[52:53]
	s_cbranch_execz .LBB223_958
.LBB223_1030:
	s_or_b64 s[2:3], s[2:3], exec
	s_andn2_b64 s[12:13], s[12:13], exec
	s_trap 2
	s_or_b64 exec, exec, s[0:1]
	s_and_saveexec_b64 s[0:1], s[12:13]
	s_xor_b64 s[0:1], exec, s[0:1]
	s_cbranch_execnz .LBB223_959
.LBB223_1031:
	s_or_b64 exec, exec, s[0:1]
	s_and_saveexec_b64 s[0:1], s[10:11]
	s_xor_b64 s[0:1], exec, s[0:1]
	s_cbranch_execz .LBB223_1069
.LBB223_1032:
	s_sext_i32_i16 s10, s18
	s_cmp_lt_i32 s10, 5
	s_mov_b64 s[8:9], -1
	s_cbranch_scc1 .LBB223_1053
; %bb.1033:
	s_cmp_lt_i32 s10, 8
	s_cbranch_scc1 .LBB223_1043
; %bb.1034:
	s_cmp_lt_i32 s10, 9
	s_cbranch_scc1 .LBB223_1040
; %bb.1035:
	s_cmp_gt_i32 s10, 9
	s_cbranch_scc0 .LBB223_1037
; %bb.1036:
	s_waitcnt vmcnt(0)
	v_bfe_i32 v0, v4, 0, 16
	v_cvt_f64_i32_e32 v[5:6], v0
	v_mov_b32_e32 v7, 0
	v_mov_b32_e32 v8, v7
	s_mov_b64 s[8:9], 0
	global_store_dwordx4 v[1:2], v[5:8], off
.LBB223_1037:
	s_andn2_b64 vcc, exec, s[8:9]
	s_cbranch_vccnz .LBB223_1039
; %bb.1038:
	s_waitcnt vmcnt(0)
	v_cvt_f32_i32_sdwa v5, sext(v4) dst_sel:DWORD dst_unused:UNUSED_PAD src0_sel:WORD_0
	v_mov_b32_e32 v6, 0
	global_store_dwordx2 v[1:2], v[5:6], off
.LBB223_1039:
	s_mov_b64 s[8:9], 0
.LBB223_1040:
	s_andn2_b64 vcc, exec, s[8:9]
	s_cbranch_vccnz .LBB223_1042
; %bb.1041:
	s_waitcnt vmcnt(0)
	v_cvt_f16_i16_e32 v0, v4
	global_store_dword v[1:2], v0, off
.LBB223_1042:
	s_mov_b64 s[8:9], 0
.LBB223_1043:
	s_andn2_b64 vcc, exec, s[8:9]
	s_cbranch_vccnz .LBB223_1052
; %bb.1044:
	s_sext_i32_i16 s10, s18
	s_cmp_lt_i32 s10, 6
	s_mov_b64 s[8:9], -1
	s_cbranch_scc1 .LBB223_1050
; %bb.1045:
	s_cmp_gt_i32 s10, 6
	s_cbranch_scc0 .LBB223_1047
; %bb.1046:
	s_waitcnt vmcnt(0)
	v_bfe_i32 v0, v4, 0, 16
	v_cvt_f64_i32_e32 v[5:6], v0
	s_mov_b64 s[8:9], 0
	global_store_dwordx2 v[1:2], v[5:6], off
.LBB223_1047:
	s_andn2_b64 vcc, exec, s[8:9]
	s_cbranch_vccnz .LBB223_1049
; %bb.1048:
	s_waitcnt vmcnt(0)
	v_cvt_f32_i32_sdwa v0, sext(v4) dst_sel:DWORD dst_unused:UNUSED_PAD src0_sel:WORD_0
	global_store_dword v[1:2], v0, off
.LBB223_1049:
	s_mov_b64 s[8:9], 0
.LBB223_1050:
	s_andn2_b64 vcc, exec, s[8:9]
	s_cbranch_vccnz .LBB223_1052
; %bb.1051:
	s_waitcnt vmcnt(0)
	v_cvt_f16_i16_e32 v0, v4
	global_store_short v[1:2], v0, off
.LBB223_1052:
	s_mov_b64 s[8:9], 0
.LBB223_1053:
	s_andn2_b64 vcc, exec, s[8:9]
	s_cbranch_vccnz .LBB223_1069
; %bb.1054:
	s_sext_i32_i16 s10, s18
	s_cmp_lt_i32 s10, 2
	s_mov_b64 s[8:9], -1
	s_cbranch_scc1 .LBB223_1064
; %bb.1055:
	s_cmp_lt_i32 s10, 3
	s_cbranch_scc1 .LBB223_1061
; %bb.1056:
	s_cmp_gt_i32 s10, 3
	s_cbranch_scc0 .LBB223_1058
; %bb.1057:
	s_waitcnt vmcnt(0)
	v_bfe_i32 v5, v4, 0, 16
	v_ashrrev_i32_e32 v6, 31, v5
	s_mov_b64 s[8:9], 0
	global_store_dwordx2 v[1:2], v[5:6], off
.LBB223_1058:
	s_andn2_b64 vcc, exec, s[8:9]
	s_cbranch_vccnz .LBB223_1060
; %bb.1059:
	s_waitcnt vmcnt(0)
	v_bfe_i32 v0, v4, 0, 16
	global_store_dword v[1:2], v0, off
.LBB223_1060:
	s_mov_b64 s[8:9], 0
.LBB223_1061:
	s_andn2_b64 vcc, exec, s[8:9]
	s_cbranch_vccnz .LBB223_1063
; %bb.1062:
	s_waitcnt vmcnt(0)
	global_store_short v[1:2], v4, off
.LBB223_1063:
	s_mov_b64 s[8:9], 0
.LBB223_1064:
	s_andn2_b64 vcc, exec, s[8:9]
	s_cbranch_vccnz .LBB223_1069
; %bb.1065:
	s_sext_i32_i16 s8, s18
	s_cmp_gt_i32 s8, 0
	s_mov_b64 s[8:9], -1
	s_cbranch_scc0 .LBB223_1067
; %bb.1066:
	s_mov_b64 s[8:9], 0
	s_waitcnt vmcnt(0)
	global_store_byte v[1:2], v4, off
.LBB223_1067:
	s_andn2_b64 vcc, exec, s[8:9]
	s_cbranch_vccnz .LBB223_1069
; %bb.1068:
	s_waitcnt vmcnt(0)
	global_store_byte v[1:2], v4, off
.LBB223_1069:
	s_or_b64 exec, exec, s[0:1]
	s_and_b64 s[28:29], s[2:3], exec
                                        ; implicit-def: $vgpr15
                                        ; implicit-def: $vgpr8
.LBB223_1070:
	s_or_saveexec_b64 s[30:31], s[42:43]
	s_mov_b64 s[0:1], 0
                                        ; implicit-def: $vgpr0_vgpr1
                                        ; implicit-def: $sgpr14
                                        ; implicit-def: $vgpr2
	s_xor_b64 exec, exec, s[30:31]
	s_cbranch_execz .LBB223_2057
; %bb.1071:
	v_cndmask_b32_e64 v0, 0, 1, s[40:41]
	v_cmp_ne_u32_e64 s[0:1], 1, v0
	s_andn2_b64 vcc, exec, s[40:41]
	s_cbranch_vccnz .LBB223_1077
; %bb.1072:
	s_cmp_lg_u32 s33, 0
	s_mov_b32 s36, 0
	s_cbranch_scc0 .LBB223_1078
; %bb.1073:
	s_min_u32 s37, s72, 15
	s_add_i32 s37, s37, 1
	s_cmp_eq_u32 s72, 2
	s_cbranch_scc1 .LBB223_1079
; %bb.1074:
	s_and_b32 s36, s37, 28
	s_add_u32 s2, s34, 0xc4
	s_addc_u32 s3, s35, 0
	v_mov_b32_e32 v13, 0
	s_mov_b32 s38, 0
	s_mov_b64 s[6:7], s[34:35]
	v_mov_b32_e32 v6, 0
	v_mov_b32_e32 v0, v8
.LBB223_1075:                           ; =>This Inner Loop Header: Depth=1
	s_load_dwordx8 s[16:23], s[6:7], 0x4
	s_load_dwordx4 s[24:27], s[6:7], 0x24
	s_load_dwordx8 s[8:15], s[2:3], 0x0
	s_add_u32 s6, s6, 48
	s_addc_u32 s7, s7, 0
	s_waitcnt lgkmcnt(0)
	v_mul_hi_u32 v1, s17, v0
	s_add_i32 s38, s38, 4
	s_add_u32 s2, s2, 32
	s_addc_u32 s3, s3, 0
	v_add_u32_e32 v1, v0, v1
	v_lshrrev_b32_e32 v1, s18, v1
	v_mul_lo_u32 v2, v1, s16
	s_waitcnt vmcnt(0)
	v_mul_hi_u32 v3, s20, v1
	s_cmp_lg_u32 s36, s38
	v_sub_u32_e32 v0, v0, v2
	v_add_u32_e32 v2, v1, v3
	v_mul_lo_u32 v3, v0, s8
	v_mul_lo_u32 v4, v0, s9
	v_lshrrev_b32_e32 v0, s21, v2
	v_mul_lo_u32 v2, v0, s19
	v_mul_hi_u32 v5, s23, v0
	v_sub_u32_e32 v1, v1, v2
	v_add_u32_e32 v2, v0, v5
	v_lshrrev_b32_e32 v2, s24, v2
	v_mul_hi_u32 v7, s26, v2
	v_mul_lo_u32 v9, v2, s22
	v_mul_lo_u32 v5, v1, s10
	;; [unrolled: 1-line block ×3, first 2 shown]
	v_sub_u32_e32 v9, v0, v9
	v_add_u32_e32 v0, v2, v7
	v_lshrrev_b32_e32 v0, s27, v0
	v_mul_lo_u32 v7, v0, s25
	v_mul_lo_u32 v10, v9, s12
	;; [unrolled: 1-line block ×3, first 2 shown]
	v_add3_u32 v3, v3, v6, v5
	v_sub_u32_e32 v2, v2, v7
	v_mul_lo_u32 v7, v2, s14
	v_mul_lo_u32 v2, v2, s15
	v_add3_u32 v1, v4, v13, v1
	v_add3_u32 v6, v10, v3, v7
	;; [unrolled: 1-line block ×3, first 2 shown]
	s_cbranch_scc1 .LBB223_1075
; %bb.1076:
	s_and_b32 s8, s37, 3
	s_cmp_eq_u32 s8, 0
	s_cbranch_scc0 .LBB223_1080
	s_branch .LBB223_1082
.LBB223_1077:
                                        ; implicit-def: $vgpr6
                                        ; implicit-def: $vgpr13
	s_branch .LBB223_1083
.LBB223_1078:
	v_mov_b32_e32 v6, 0
	v_mov_b32_e32 v13, 0
	s_branch .LBB223_1082
.LBB223_1079:
	v_mov_b32_e32 v6, 0
	v_mov_b32_e32 v13, 0
	;; [unrolled: 1-line block ×3, first 2 shown]
	s_and_b32 s8, s37, 3
	s_cmp_eq_u32 s8, 0
	s_cbranch_scc1 .LBB223_1082
.LBB223_1080:
	s_lshl_b32 s2, s36, 3
	s_add_u32 s2, s34, s2
	s_addc_u32 s3, s35, 0
	s_add_u32 s2, s2, 0xc4
	s_addc_u32 s3, s3, 0
	s_mul_i32 s6, s36, 12
	s_add_u32 s6, s34, s6
	s_addc_u32 s7, s35, 0
.LBB223_1081:                           ; =>This Inner Loop Header: Depth=1
	s_load_dwordx2 s[10:11], s[6:7], 0x4
	s_load_dword s9, s[6:7], 0xc
	s_load_dwordx2 s[12:13], s[2:3], 0x0
	s_add_u32 s6, s6, 12
	s_addc_u32 s7, s7, 0
	s_waitcnt lgkmcnt(0)
	v_mul_hi_u32 v1, s11, v0
	s_add_u32 s2, s2, 8
	s_addc_u32 s3, s3, 0
	s_add_i32 s8, s8, -1
	v_add_u32_e32 v1, v0, v1
	v_lshrrev_b32_e32 v1, s9, v1
	v_mul_lo_u32 v2, v1, s10
	s_cmp_lg_u32 s8, 0
	v_sub_u32_e32 v0, v0, v2
	v_mad_u64_u32 v[6:7], s[10:11], v0, s12, v[6:7]
	v_mad_u64_u32 v[13:14], s[10:11], v0, s13, v[13:14]
	v_mov_b32_e32 v0, v1
	s_cbranch_scc1 .LBB223_1081
.LBB223_1082:
	s_cbranch_execnz .LBB223_1085
.LBB223_1083:
	s_load_dwordx4 s[8:11], s[34:35], 0x4
	s_load_dwordx2 s[2:3], s[34:35], 0xc4
	s_cmp_lt_u32 s33, 2
	s_waitcnt lgkmcnt(0)
	v_mul_hi_u32 v0, s9, v8
	v_add_u32_e32 v0, v8, v0
	v_lshrrev_b32_e32 v0, s10, v0
	v_mul_lo_u32 v1, v0, s8
	v_sub_u32_e32 v1, v8, v1
	v_mul_lo_u32 v6, v1, s2
	v_mul_lo_u32 v13, v1, s3
	s_cbranch_scc1 .LBB223_1085
; %bb.1084:
	s_load_dwordx4 s[8:11], s[34:35], 0x10
	s_load_dwordx2 s[2:3], s[34:35], 0xcc
	s_waitcnt lgkmcnt(0)
	v_mul_hi_u32 v1, s9, v0
	v_add_u32_e32 v1, v0, v1
	v_lshrrev_b32_e32 v1, s10, v1
	v_mul_lo_u32 v1, v1, s8
	v_sub_u32_e32 v0, v0, v1
	v_mad_u64_u32 v[6:7], s[6:7], v0, s2, v[6:7]
	v_mad_u64_u32 v[13:14], s[2:3], v0, s3, v[13:14]
.LBB223_1085:
	s_and_b64 vcc, exec, s[0:1]
	v_add_u32_e32 v0, 0x80, v8
	s_cbranch_vccnz .LBB223_1091
; %bb.1086:
	s_cmp_lg_u32 s33, 0
	s_mov_b32 s36, 0
	s_cbranch_scc0 .LBB223_1092
; %bb.1087:
	s_min_u32 s37, s72, 15
	s_add_i32 s37, s37, 1
	s_cmp_eq_u32 s72, 2
	s_cbranch_scc1 .LBB223_1093
; %bb.1088:
	s_and_b32 s36, s37, 28
	s_add_u32 s2, s34, 0xc4
	s_addc_u32 s3, s35, 0
	v_mov_b32_e32 v11, 0
	s_mov_b32 s38, 0
	s_mov_b64 s[6:7], s[34:35]
	s_waitcnt vmcnt(0)
	v_mov_b32_e32 v4, 0
	v_mov_b32_e32 v1, v0
.LBB223_1089:                           ; =>This Inner Loop Header: Depth=1
	s_load_dwordx8 s[16:23], s[6:7], 0x4
	s_load_dwordx4 s[24:27], s[6:7], 0x24
	s_load_dwordx8 s[8:15], s[2:3], 0x0
	s_add_u32 s6, s6, 48
	s_addc_u32 s7, s7, 0
	s_waitcnt lgkmcnt(0)
	v_mul_hi_u32 v2, s17, v1
	s_add_i32 s38, s38, 4
	s_add_u32 s2, s2, 32
	s_addc_u32 s3, s3, 0
	v_add_u32_e32 v2, v1, v2
	v_lshrrev_b32_e32 v2, s18, v2
	v_mul_lo_u32 v3, v2, s16
	v_mul_hi_u32 v5, s20, v2
	s_cmp_lg_u32 s36, s38
	v_sub_u32_e32 v1, v1, v3
	v_add_u32_e32 v3, v2, v5
	v_mul_lo_u32 v5, v1, s8
	v_mul_lo_u32 v7, v1, s9
	v_lshrrev_b32_e32 v1, s21, v3
	v_mul_lo_u32 v3, v1, s19
	v_mul_hi_u32 v9, s23, v1
	v_sub_u32_e32 v2, v2, v3
	v_add_u32_e32 v3, v1, v9
	v_lshrrev_b32_e32 v3, s24, v3
	v_mul_hi_u32 v10, s26, v3
	v_mul_lo_u32 v12, v3, s22
	v_mul_lo_u32 v9, v2, s10
	;; [unrolled: 1-line block ×3, first 2 shown]
	v_sub_u32_e32 v12, v1, v12
	v_add_u32_e32 v1, v3, v10
	v_lshrrev_b32_e32 v1, s27, v1
	v_mul_lo_u32 v10, v1, s25
	v_mul_lo_u32 v14, v12, s12
	;; [unrolled: 1-line block ×3, first 2 shown]
	v_add3_u32 v4, v5, v4, v9
	v_sub_u32_e32 v3, v3, v10
	v_mul_lo_u32 v10, v3, s14
	v_mul_lo_u32 v3, v3, s15
	v_add3_u32 v2, v7, v11, v2
	v_add3_u32 v4, v14, v4, v10
	;; [unrolled: 1-line block ×3, first 2 shown]
	s_cbranch_scc1 .LBB223_1089
; %bb.1090:
	s_and_b32 s8, s37, 3
	s_cmp_eq_u32 s8, 0
	s_cbranch_scc0 .LBB223_1094
	s_branch .LBB223_1096
.LBB223_1091:
                                        ; implicit-def: $vgpr4
                                        ; implicit-def: $vgpr11
	s_branch .LBB223_1097
.LBB223_1092:
	s_waitcnt vmcnt(0)
	v_mov_b32_e32 v4, 0
	v_mov_b32_e32 v11, 0
	s_branch .LBB223_1096
.LBB223_1093:
	s_waitcnt vmcnt(0)
	v_mov_b32_e32 v4, 0
	v_mov_b32_e32 v11, 0
	;; [unrolled: 1-line block ×3, first 2 shown]
	s_and_b32 s8, s37, 3
	s_cmp_eq_u32 s8, 0
	s_cbranch_scc1 .LBB223_1096
.LBB223_1094:
	s_lshl_b32 s2, s36, 3
	s_add_u32 s2, s34, s2
	s_addc_u32 s3, s35, 0
	s_add_u32 s2, s2, 0xc4
	s_addc_u32 s3, s3, 0
	s_mul_i32 s6, s36, 12
	s_add_u32 s6, s34, s6
	s_addc_u32 s7, s35, 0
.LBB223_1095:                           ; =>This Inner Loop Header: Depth=1
	s_load_dwordx2 s[10:11], s[6:7], 0x4
	s_load_dword s9, s[6:7], 0xc
	s_load_dwordx2 s[12:13], s[2:3], 0x0
	s_add_u32 s6, s6, 12
	s_addc_u32 s7, s7, 0
	s_waitcnt lgkmcnt(0)
	v_mul_hi_u32 v2, s11, v1
	s_add_u32 s2, s2, 8
	s_addc_u32 s3, s3, 0
	s_add_i32 s8, s8, -1
	v_add_u32_e32 v2, v1, v2
	v_lshrrev_b32_e32 v2, s9, v2
	v_mul_lo_u32 v3, v2, s10
	s_cmp_lg_u32 s8, 0
	v_sub_u32_e32 v1, v1, v3
	v_mad_u64_u32 v[4:5], s[10:11], v1, s12, v[4:5]
	v_mad_u64_u32 v[11:12], s[10:11], v1, s13, v[11:12]
	v_mov_b32_e32 v1, v2
	s_cbranch_scc1 .LBB223_1095
.LBB223_1096:
	s_cbranch_execnz .LBB223_1099
.LBB223_1097:
	s_load_dwordx4 s[8:11], s[34:35], 0x4
	s_load_dwordx2 s[2:3], s[34:35], 0xc4
	s_cmp_lt_u32 s33, 2
	s_waitcnt lgkmcnt(0)
	v_mul_hi_u32 v1, s9, v0
	v_add_u32_e32 v1, v0, v1
	v_lshrrev_b32_e32 v1, s10, v1
	v_mul_lo_u32 v2, v1, s8
	v_sub_u32_e32 v0, v0, v2
	s_waitcnt vmcnt(0)
	v_mul_lo_u32 v4, v0, s2
	v_mul_lo_u32 v11, v0, s3
	s_cbranch_scc1 .LBB223_1099
; %bb.1098:
	s_load_dwordx4 s[8:11], s[34:35], 0x10
	s_load_dwordx2 s[2:3], s[34:35], 0xcc
	s_waitcnt lgkmcnt(0)
	v_mul_hi_u32 v0, s9, v1
	v_add_u32_e32 v0, v1, v0
	v_lshrrev_b32_e32 v0, s10, v0
	v_mul_lo_u32 v0, v0, s8
	v_sub_u32_e32 v0, v1, v0
	v_mad_u64_u32 v[4:5], s[6:7], v0, s2, v[4:5]
	v_mad_u64_u32 v[11:12], s[2:3], v0, s3, v[11:12]
.LBB223_1099:
	s_and_b64 vcc, exec, s[0:1]
	v_add_u32_e32 v0, 0x100, v8
	s_cbranch_vccnz .LBB223_1105
; %bb.1100:
	s_cmp_lg_u32 s33, 0
	s_mov_b32 s36, 0
	s_cbranch_scc0 .LBB223_1106
; %bb.1101:
	s_min_u32 s37, s72, 15
	s_add_i32 s37, s37, 1
	s_cmp_eq_u32 s72, 2
	s_cbranch_scc1 .LBB223_1107
; %bb.1102:
	s_and_b32 s36, s37, 28
	s_add_u32 s2, s34, 0xc4
	s_addc_u32 s3, s35, 0
	v_mov_b32_e32 v9, 0
	s_mov_b32 s38, 0
	s_mov_b64 s[6:7], s[34:35]
	v_mov_b32_e32 v2, 0
	v_mov_b32_e32 v1, v0
.LBB223_1103:                           ; =>This Inner Loop Header: Depth=1
	s_load_dwordx8 s[16:23], s[6:7], 0x4
	s_load_dwordx4 s[24:27], s[6:7], 0x24
	s_load_dwordx8 s[8:15], s[2:3], 0x0
	s_add_u32 s6, s6, 48
	s_addc_u32 s7, s7, 0
	s_waitcnt vmcnt(0) lgkmcnt(0)
	v_mul_hi_u32 v3, s17, v1
	s_add_i32 s38, s38, 4
	s_add_u32 s2, s2, 32
	s_addc_u32 s3, s3, 0
	v_add_u32_e32 v3, v1, v3
	v_lshrrev_b32_e32 v3, s18, v3
	v_mul_lo_u32 v5, v3, s16
	v_mul_hi_u32 v7, s20, v3
	s_cmp_lg_u32 s36, s38
	v_sub_u32_e32 v1, v1, v5
	v_add_u32_e32 v5, v3, v7
	v_mul_lo_u32 v7, v1, s8
	v_mul_lo_u32 v8, v1, s9
	v_lshrrev_b32_e32 v1, s21, v5
	v_mul_lo_u32 v5, v1, s19
	v_mul_hi_u32 v10, s23, v1
	v_sub_u32_e32 v3, v3, v5
	v_add_u32_e32 v5, v1, v10
	v_lshrrev_b32_e32 v5, s24, v5
	v_mul_hi_u32 v12, s26, v5
	v_mul_lo_u32 v14, v5, s22
	v_mul_lo_u32 v10, v3, s10
	;; [unrolled: 1-line block ×3, first 2 shown]
	v_sub_u32_e32 v14, v1, v14
	v_add_u32_e32 v1, v5, v12
	v_lshrrev_b32_e32 v1, s27, v1
	v_mul_lo_u32 v12, v1, s25
	v_mul_lo_u32 v16, v14, s12
	;; [unrolled: 1-line block ×3, first 2 shown]
	v_add3_u32 v2, v7, v2, v10
	v_sub_u32_e32 v5, v5, v12
	v_mul_lo_u32 v12, v5, s14
	v_mul_lo_u32 v5, v5, s15
	v_add3_u32 v3, v8, v9, v3
	v_add3_u32 v2, v16, v2, v12
	;; [unrolled: 1-line block ×3, first 2 shown]
	s_cbranch_scc1 .LBB223_1103
; %bb.1104:
	s_and_b32 s8, s37, 3
	s_cmp_eq_u32 s8, 0
	s_cbranch_scc0 .LBB223_1108
	s_branch .LBB223_1110
.LBB223_1105:
                                        ; implicit-def: $vgpr2
                                        ; implicit-def: $vgpr9
	s_branch .LBB223_1111
.LBB223_1106:
	v_mov_b32_e32 v2, 0
	v_mov_b32_e32 v9, 0
	s_branch .LBB223_1110
.LBB223_1107:
	v_mov_b32_e32 v2, 0
	v_mov_b32_e32 v9, 0
	v_mov_b32_e32 v1, v0
	s_and_b32 s8, s37, 3
	s_cmp_eq_u32 s8, 0
	s_cbranch_scc1 .LBB223_1110
.LBB223_1108:
	s_lshl_b32 s2, s36, 3
	s_add_u32 s2, s34, s2
	s_addc_u32 s3, s35, 0
	s_add_u32 s2, s2, 0xc4
	s_addc_u32 s3, s3, 0
	s_mul_i32 s6, s36, 12
	s_add_u32 s6, s34, s6
	s_addc_u32 s7, s35, 0
.LBB223_1109:                           ; =>This Inner Loop Header: Depth=1
	s_load_dwordx2 s[10:11], s[6:7], 0x4
	s_load_dword s9, s[6:7], 0xc
	s_load_dwordx2 s[12:13], s[2:3], 0x0
	s_add_u32 s6, s6, 12
	s_addc_u32 s7, s7, 0
	s_waitcnt vmcnt(0) lgkmcnt(0)
	v_mul_hi_u32 v3, s11, v1
	s_add_u32 s2, s2, 8
	s_addc_u32 s3, s3, 0
	s_add_i32 s8, s8, -1
	v_add_u32_e32 v3, v1, v3
	v_lshrrev_b32_e32 v5, s9, v3
	v_mul_lo_u32 v3, v5, s10
	s_cmp_lg_u32 s8, 0
	v_sub_u32_e32 v1, v1, v3
	v_mad_u64_u32 v[2:3], s[10:11], v1, s12, v[2:3]
	v_mad_u64_u32 v[9:10], s[10:11], v1, s13, v[9:10]
	v_mov_b32_e32 v1, v5
	s_cbranch_scc1 .LBB223_1109
.LBB223_1110:
	s_cbranch_execnz .LBB223_1113
.LBB223_1111:
	s_load_dwordx4 s[8:11], s[34:35], 0x4
	s_load_dwordx2 s[2:3], s[34:35], 0xc4
	s_cmp_lt_u32 s33, 2
	s_waitcnt lgkmcnt(0)
	v_mul_hi_u32 v1, s9, v0
	v_add_u32_e32 v1, v0, v1
	v_lshrrev_b32_e32 v1, s10, v1
	v_mul_lo_u32 v2, v1, s8
	v_sub_u32_e32 v0, v0, v2
	v_mul_lo_u32 v2, v0, s2
	v_mul_lo_u32 v9, v0, s3
	s_cbranch_scc1 .LBB223_1113
; %bb.1112:
	s_load_dwordx4 s[8:11], s[34:35], 0x10
	s_load_dwordx2 s[2:3], s[34:35], 0xcc
	s_waitcnt lgkmcnt(0)
	v_mul_hi_u32 v0, s9, v1
	v_add_u32_e32 v0, v1, v0
	v_lshrrev_b32_e32 v0, s10, v0
	v_mul_lo_u32 v0, v0, s8
	v_sub_u32_e32 v0, v1, v0
	s_waitcnt vmcnt(0)
	v_mad_u64_u32 v[2:3], s[6:7], v0, s2, v[2:3]
	v_mad_u64_u32 v[9:10], s[2:3], v0, s3, v[9:10]
.LBB223_1113:
	s_and_b64 vcc, exec, s[0:1]
	s_cbranch_vccnz .LBB223_1119
; %bb.1114:
	s_cmp_lg_u32 s33, 0
	s_mov_b32 s26, 0
	s_cbranch_scc0 .LBB223_1120
; %bb.1115:
	s_min_u32 s27, s72, 15
	s_add_i32 s27, s27, 1
	s_cmp_eq_u32 s72, 2
	s_cbranch_scc1 .LBB223_1121
; %bb.1116:
	s_and_b32 s26, s27, 28
	s_add_u32 s6, s34, 0xc4
	s_addc_u32 s7, s35, 0
	v_mov_b32_e32 v7, 0
	s_mov_b32 s36, 0
	s_mov_b64 s[24:25], s[34:35]
	v_mov_b32_e32 v0, 0
	v_mov_b32_e32 v1, v15
.LBB223_1117:                           ; =>This Inner Loop Header: Depth=1
	s_load_dwordx8 s[16:23], s[24:25], 0x4
	s_load_dwordx4 s[0:3], s[24:25], 0x24
	s_load_dwordx8 s[8:15], s[6:7], 0x0
	s_add_u32 s24, s24, 48
	s_addc_u32 s25, s25, 0
	s_waitcnt vmcnt(0) lgkmcnt(0)
	v_mul_hi_u32 v3, s17, v1
	s_add_i32 s36, s36, 4
	s_add_u32 s6, s6, 32
	s_addc_u32 s7, s7, 0
	v_add_u32_e32 v3, v1, v3
	v_lshrrev_b32_e32 v3, s18, v3
	v_mul_lo_u32 v5, v3, s16
	v_mul_hi_u32 v8, s20, v3
	s_cmp_lg_u32 s26, s36
	v_sub_u32_e32 v1, v1, v5
	v_add_u32_e32 v5, v3, v8
	v_mul_lo_u32 v8, v1, s8
	v_mul_lo_u32 v10, v1, s9
	v_lshrrev_b32_e32 v1, s21, v5
	v_mul_lo_u32 v5, v1, s19
	v_mul_hi_u32 v12, s23, v1
	v_sub_u32_e32 v3, v3, v5
	v_add_u32_e32 v5, v1, v12
	v_lshrrev_b32_e32 v5, s0, v5
	v_mul_hi_u32 v14, s2, v5
	v_mul_lo_u32 v16, v5, s22
	v_mul_lo_u32 v12, v3, s10
	;; [unrolled: 1-line block ×3, first 2 shown]
	v_sub_u32_e32 v16, v1, v16
	v_add_u32_e32 v1, v5, v14
	v_lshrrev_b32_e32 v1, s3, v1
	v_mul_lo_u32 v14, v1, s1
	v_mul_lo_u32 v17, v16, s12
	v_mul_lo_u32 v16, v16, s13
	v_add3_u32 v0, v8, v0, v12
	v_sub_u32_e32 v5, v5, v14
	v_mul_lo_u32 v14, v5, s14
	v_mul_lo_u32 v5, v5, s15
	v_add3_u32 v3, v10, v7, v3
	v_add3_u32 v0, v17, v0, v14
	;; [unrolled: 1-line block ×3, first 2 shown]
	s_cbranch_scc1 .LBB223_1117
; %bb.1118:
	s_and_b32 s6, s27, 3
	s_cmp_eq_u32 s6, 0
	s_cbranch_scc0 .LBB223_1122
	s_branch .LBB223_1124
.LBB223_1119:
                                        ; implicit-def: $vgpr0
                                        ; implicit-def: $vgpr7
	s_branch .LBB223_1125
.LBB223_1120:
	v_mov_b32_e32 v0, 0
	v_mov_b32_e32 v7, 0
	s_branch .LBB223_1124
.LBB223_1121:
	v_mov_b32_e32 v0, 0
	v_mov_b32_e32 v7, 0
	;; [unrolled: 1-line block ×3, first 2 shown]
	s_and_b32 s6, s27, 3
	s_cmp_eq_u32 s6, 0
	s_cbranch_scc1 .LBB223_1124
.LBB223_1122:
	s_lshl_b32 s0, s26, 3
	s_add_u32 s0, s34, s0
	s_addc_u32 s1, s35, 0
	s_add_u32 s0, s0, 0xc4
	s_addc_u32 s1, s1, 0
	s_mul_i32 s2, s26, 12
	s_add_u32 s2, s34, s2
	s_addc_u32 s3, s35, 0
.LBB223_1123:                           ; =>This Inner Loop Header: Depth=1
	s_load_dwordx2 s[8:9], s[2:3], 0x4
	s_load_dword s7, s[2:3], 0xc
	s_load_dwordx2 s[10:11], s[0:1], 0x0
	s_add_u32 s2, s2, 12
	s_addc_u32 s3, s3, 0
	s_waitcnt vmcnt(0) lgkmcnt(0)
	v_mul_hi_u32 v3, s9, v1
	s_add_u32 s0, s0, 8
	s_addc_u32 s1, s1, 0
	s_add_i32 s6, s6, -1
	v_add_u32_e32 v3, v1, v3
	v_lshrrev_b32_e32 v3, s7, v3
	v_mul_lo_u32 v5, v3, s8
	s_cmp_lg_u32 s6, 0
	v_sub_u32_e32 v5, v1, v5
	v_mad_u64_u32 v[0:1], s[8:9], v5, s10, v[0:1]
	v_mad_u64_u32 v[7:8], s[8:9], v5, s11, v[7:8]
	v_mov_b32_e32 v1, v3
	s_cbranch_scc1 .LBB223_1123
.LBB223_1124:
	s_cbranch_execnz .LBB223_1127
.LBB223_1125:
	s_load_dwordx4 s[0:3], s[34:35], 0x4
	s_load_dwordx2 s[6:7], s[34:35], 0xc4
	s_cmp_lt_u32 s33, 2
	s_waitcnt lgkmcnt(0)
	v_mul_hi_u32 v0, s1, v15
	v_add_u32_e32 v0, v15, v0
	v_lshrrev_b32_e32 v1, s2, v0
	v_mul_lo_u32 v0, v1, s0
	s_waitcnt vmcnt(0)
	v_sub_u32_e32 v3, v15, v0
	v_mul_lo_u32 v0, v3, s6
	v_mul_lo_u32 v7, v3, s7
	s_cbranch_scc1 .LBB223_1127
; %bb.1126:
	s_load_dwordx4 s[0:3], s[34:35], 0x10
	s_load_dwordx2 s[6:7], s[34:35], 0xcc
	s_waitcnt lgkmcnt(0)
	v_mul_hi_u32 v3, s1, v1
	v_add_u32_e32 v3, v1, v3
	v_lshrrev_b32_e32 v3, s2, v3
	v_mul_lo_u32 v3, v3, s0
	v_sub_u32_e32 v3, v1, v3
	v_mad_u64_u32 v[0:1], s[0:1], v3, s6, v[0:1]
	v_mad_u64_u32 v[7:8], s[0:1], v3, s7, v[7:8]
.LBB223_1127:
	s_load_dwordx4 s[8:11], s[34:35], 0x148
	s_load_dword s14, s[4:5], 0x164
	s_waitcnt lgkmcnt(0)
	v_mov_b32_e32 v1, s11
	s_bfe_u32 s15, s14, 0x80008
	v_add_co_u32_e32 v15, vcc, s10, v13
	s_cmp_lt_i32 s15, 11
	v_addc_co_u32_e32 v16, vcc, 0, v1, vcc
	s_cbranch_scc1 .LBB223_1134
; %bb.1128:
	s_and_b32 s16, 0xffff, s15
	s_cmp_gt_i32 s16, 25
	s_mov_b64 s[6:7], 0
	s_cbranch_scc0 .LBB223_1136
; %bb.1129:
	s_cmp_gt_i32 s16, 28
	s_cbranch_scc0 .LBB223_1137
; %bb.1130:
	s_cmp_gt_i32 s16, 43
	s_cbranch_scc0 .LBB223_1138
; %bb.1131:
	s_cmp_gt_i32 s16, 45
	s_cbranch_scc0 .LBB223_1139
; %bb.1132:
	s_cmp_eq_u32 s16, 46
	s_mov_b64 s[2:3], 0
	s_cbranch_scc0 .LBB223_1142
; %bb.1133:
	global_load_dword v1, v[15:16], off
	s_mov_b64 s[0:1], 0
	s_mov_b64 s[12:13], -1
	s_waitcnt vmcnt(0)
	v_lshlrev_b32_e32 v1, 16, v1
	v_cvt_i32_f32_e32 v13, v1
	s_branch .LBB223_1143
.LBB223_1134:
	s_mov_b64 s[12:13], 0
                                        ; implicit-def: $vgpr13
	s_mov_b64 s[2:3], s[28:29]
	s_cbranch_execnz .LBB223_1201
.LBB223_1135:
	s_andn2_b64 vcc, exec, s[12:13]
	s_cbranch_vccz .LBB223_1246
	s_branch .LBB223_2055
.LBB223_1136:
	s_mov_b64 s[12:13], 0
	s_mov_b64 s[0:1], 0
                                        ; implicit-def: $vgpr13
	s_cbranch_execnz .LBB223_1168
	s_branch .LBB223_1197
.LBB223_1137:
	s_mov_b64 s[12:13], 0
	s_mov_b64 s[0:1], 0
                                        ; implicit-def: $vgpr13
	s_cbranch_execz .LBB223_1167
	s_branch .LBB223_1152
.LBB223_1138:
	s_mov_b64 s[12:13], 0
	s_mov_b64 s[0:1], 0
                                        ; implicit-def: $vgpr13
	s_cbranch_execnz .LBB223_1148
	s_branch .LBB223_1151
.LBB223_1139:
	s_mov_b64 s[2:3], -1
	s_mov_b64 s[12:13], 0
	s_mov_b64 s[0:1], 0
                                        ; implicit-def: $vgpr13
	s_branch .LBB223_1143
.LBB223_1140:
	s_andn2_saveexec_b64 s[14:15], s[14:15]
	s_cbranch_execz .LBB223_983
.LBB223_1141:
	s_mov_b32 s16, 0x46000000
	v_add_f32_e64 v3, |v0|, s16
	v_and_b32_e32 v3, 0xff, v3
	v_cmp_ne_u32_e32 vcc, 0, v3
	s_andn2_b64 s[12:13], s[12:13], exec
	s_and_b64 s[16:17], vcc, exec
	s_or_b64 s[12:13], s[12:13], s[16:17]
	s_or_b64 exec, exec, s[14:15]
	v_mov_b32_e32 v5, 0
	s_and_saveexec_b64 s[14:15], s[12:13]
	s_cbranch_execnz .LBB223_984
	s_branch .LBB223_985
.LBB223_1142:
	s_mov_b64 s[0:1], -1
                                        ; implicit-def: $vgpr13
	s_mov_b64 s[12:13], 0
.LBB223_1143:
	s_and_b64 vcc, exec, s[2:3]
	s_cbranch_vccz .LBB223_1146
; %bb.1144:
	s_cmp_eq_u32 s16, 44
	s_cbranch_scc0 .LBB223_1147
; %bb.1145:
	global_load_ubyte v1, v[15:16], off
	s_mov_b64 s[0:1], 0
	s_mov_b64 s[12:13], -1
	s_waitcnt vmcnt(0)
	v_lshlrev_b32_e32 v3, 23, v1
	v_cvt_i32_f32_e32 v3, v3
	v_cmp_ne_u32_e32 vcc, 0, v1
	v_cndmask_b32_e32 v13, 0, v3, vcc
.LBB223_1146:
	s_branch .LBB223_1151
.LBB223_1147:
	s_mov_b64 s[0:1], -1
                                        ; implicit-def: $vgpr13
	s_branch .LBB223_1151
.LBB223_1148:
	s_cmp_eq_u32 s16, 29
	s_cbranch_scc0 .LBB223_1150
; %bb.1149:
	global_load_dwordx2 v[13:14], v[15:16], off
	s_mov_b64 s[0:1], 0
	s_mov_b64 s[12:13], -1
	s_branch .LBB223_1151
.LBB223_1150:
	s_mov_b64 s[0:1], -1
                                        ; implicit-def: $vgpr13
.LBB223_1151:
	s_branch .LBB223_1167
.LBB223_1152:
	s_cmp_lt_i32 s16, 27
	s_cbranch_scc1 .LBB223_1155
; %bb.1153:
	s_cmp_gt_i32 s16, 27
	s_cbranch_scc0 .LBB223_1156
; %bb.1154:
	global_load_dword v13, v[15:16], off
	s_mov_b64 s[2:3], 0
	s_branch .LBB223_1157
.LBB223_1155:
	s_mov_b64 s[2:3], -1
                                        ; implicit-def: $vgpr13
	s_branch .LBB223_1160
.LBB223_1156:
	s_mov_b64 s[2:3], -1
                                        ; implicit-def: $vgpr13
.LBB223_1157:
	s_andn2_b64 vcc, exec, s[2:3]
	s_cbranch_vccnz .LBB223_1159
; %bb.1158:
	global_load_ushort v13, v[15:16], off
.LBB223_1159:
	s_mov_b64 s[2:3], 0
.LBB223_1160:
	s_andn2_b64 vcc, exec, s[2:3]
	s_cbranch_vccnz .LBB223_1166
; %bb.1161:
	global_load_ubyte v1, v[15:16], off
	s_movk_i32 s2, 0x7f
	s_mov_b64 s[12:13], 0
	s_waitcnt vmcnt(0)
	v_cmp_lt_i16_e32 vcc, s2, v1
	s_and_saveexec_b64 s[2:3], vcc
	s_xor_b64 s[2:3], exec, s[2:3]
	s_cbranch_execz .LBB223_1177
; %bb.1162:
	s_movk_i32 s12, 0x80
	v_cmp_ne_u16_e32 vcc, s12, v1
	s_and_b64 s[12:13], vcc, exec
	s_andn2_saveexec_b64 s[2:3], s[2:3]
	s_cbranch_execnz .LBB223_1178
.LBB223_1163:
	s_or_b64 exec, exec, s[2:3]
	v_mov_b32_e32 v13, 0
	s_and_saveexec_b64 s[2:3], s[12:13]
	s_cbranch_execz .LBB223_1165
.LBB223_1164:
	v_lshlrev_b32_e32 v3, 24, v1
	v_and_b32_e32 v1, 0xffff, v1
	v_and_b32_e32 v5, 7, v1
	v_ffbh_u32_e32 v10, v5
	v_min_u32_e32 v10, 32, v10
	v_subrev_u32_e32 v12, 28, v10
	v_bfe_u32 v8, v1, 3, 4
	v_lshlrev_b32_e32 v1, v12, v1
	v_sub_u32_e32 v10, 29, v10
	v_and_b32_e32 v1, 7, v1
	v_cmp_eq_u32_e32 vcc, 0, v8
	v_cndmask_b32_e32 v8, v8, v10, vcc
	v_cndmask_b32_e32 v1, v5, v1, vcc
	v_mov_b32_e32 v5, 0x3b800000
	v_lshlrev_b32_e32 v1, 20, v1
	v_and_b32_e32 v3, 0x80000000, v3
	v_lshl_add_u32 v5, v8, 23, v5
	v_or3_b32 v1, v3, v5, v1
	v_cvt_i32_f32_e32 v13, v1
.LBB223_1165:
	s_or_b64 exec, exec, s[2:3]
.LBB223_1166:
	s_mov_b64 s[12:13], -1
.LBB223_1167:
	s_branch .LBB223_1197
.LBB223_1168:
	s_cmp_gt_i32 s16, 22
	s_cbranch_scc0 .LBB223_1176
; %bb.1169:
	s_cmp_lt_i32 s16, 24
	s_cbranch_scc1 .LBB223_1179
; %bb.1170:
	s_cmp_gt_i32 s16, 24
	s_cbranch_scc0 .LBB223_1180
; %bb.1171:
	global_load_ubyte v1, v[15:16], off
	s_movk_i32 s2, 0x7f
	s_waitcnt vmcnt(0)
	v_cmp_lt_i16_e32 vcc, s2, v1
	s_and_saveexec_b64 s[2:3], vcc
	s_xor_b64 s[2:3], exec, s[2:3]
	s_cbranch_execz .LBB223_1191
; %bb.1172:
	s_movk_i32 s6, 0x80
	v_cmp_ne_u16_e32 vcc, s6, v1
	s_and_b64 s[6:7], vcc, exec
	s_andn2_saveexec_b64 s[2:3], s[2:3]
	s_cbranch_execnz .LBB223_1192
.LBB223_1173:
	s_or_b64 exec, exec, s[2:3]
	v_mov_b32_e32 v13, 0
	s_and_saveexec_b64 s[2:3], s[6:7]
	s_cbranch_execz .LBB223_1175
.LBB223_1174:
	v_lshlrev_b32_e32 v3, 24, v1
	v_and_b32_e32 v1, 0xffff, v1
	v_and_b32_e32 v5, 3, v1
	v_ffbh_u32_e32 v10, v5
	v_min_u32_e32 v10, 32, v10
	v_subrev_u32_e32 v12, 29, v10
	v_bfe_u32 v8, v1, 2, 5
	v_lshlrev_b32_e32 v1, v12, v1
	v_sub_u32_e32 v10, 30, v10
	v_and_b32_e32 v1, 3, v1
	v_cmp_eq_u32_e32 vcc, 0, v8
	v_cndmask_b32_e32 v8, v8, v10, vcc
	v_cndmask_b32_e32 v1, v5, v1, vcc
	v_mov_b32_e32 v5, 0x37800000
	v_lshlrev_b32_e32 v1, 21, v1
	v_and_b32_e32 v3, 0x80000000, v3
	v_lshl_add_u32 v5, v8, 23, v5
	v_or3_b32 v1, v3, v5, v1
	v_cvt_i32_f32_e32 v13, v1
.LBB223_1175:
	s_or_b64 exec, exec, s[2:3]
	s_mov_b64 s[2:3], 0
	s_branch .LBB223_1181
.LBB223_1176:
                                        ; implicit-def: $vgpr13
	s_mov_b64 s[6:7], 0
	s_branch .LBB223_1187
.LBB223_1177:
	s_andn2_saveexec_b64 s[2:3], s[2:3]
	s_cbranch_execz .LBB223_1163
.LBB223_1178:
	v_cmp_ne_u16_e32 vcc, 0, v1
	s_andn2_b64 s[12:13], s[12:13], exec
	s_and_b64 s[18:19], vcc, exec
	s_or_b64 s[12:13], s[12:13], s[18:19]
	s_or_b64 exec, exec, s[2:3]
	v_mov_b32_e32 v13, 0
	s_and_saveexec_b64 s[2:3], s[12:13]
	s_cbranch_execnz .LBB223_1164
	s_branch .LBB223_1165
.LBB223_1179:
	s_mov_b64 s[2:3], -1
                                        ; implicit-def: $vgpr13
	s_branch .LBB223_1184
.LBB223_1180:
	s_mov_b64 s[2:3], -1
                                        ; implicit-def: $vgpr13
.LBB223_1181:
	s_and_b64 vcc, exec, s[2:3]
	s_cbranch_vccz .LBB223_1183
; %bb.1182:
	global_load_ubyte v1, v[15:16], off
	s_mov_b32 s2, 0x7f800000
	s_waitcnt vmcnt(0)
	v_lshlrev_b32_e32 v1, 24, v1
	v_and_b32_e32 v3, 0x7f000000, v1
	v_ffbh_u32_e32 v5, v3
	v_min_u32_e32 v5, 32, v5
	v_sub_u32_e64 v5, v5, 4 clamp
	v_lshlrev_b32_e32 v10, v5, v3
	v_lshlrev_b32_e32 v5, 23, v5
	v_lshrrev_b32_e32 v10, 4, v10
	v_add_u32_e32 v8, 0x1000000, v3
	v_sub_u32_e32 v5, v10, v5
	v_ashrrev_i32_e32 v8, 8, v8
	v_add_u32_e32 v5, 0x3c000000, v5
	v_and_or_b32 v5, v8, s2, v5
	v_cmp_ne_u32_e32 vcc, 0, v3
	v_cndmask_b32_e32 v3, 0, v5, vcc
	s_brev_b32 s2, 1
	v_and_or_b32 v1, v1, s2, v3
	v_cvt_i32_f32_e32 v13, v1
.LBB223_1183:
	s_mov_b64 s[2:3], 0
.LBB223_1184:
	s_andn2_b64 vcc, exec, s[2:3]
	s_cbranch_vccnz .LBB223_1186
; %bb.1185:
	global_load_ubyte v1, v[15:16], off
	s_movk_i32 s2, 0x7f00
	s_brev_b32 s3, 16
	s_waitcnt vmcnt(0)
	v_lshlrev_b16_e32 v3, 8, v1
	v_lshlrev_b32_e32 v1, 25, v1
	v_lshrrev_b32_e32 v5, 4, v1
	v_and_or_b32 v8, v3, s2, 0.5
	v_or_b32_e32 v5, 0x70000000, v5
	v_add_f32_e32 v8, -0.5, v8
	v_mul_f32_e32 v5, 0x7800000, v5
	v_cmp_gt_u32_e32 vcc, s3, v1
	v_bfe_i32 v3, v3, 0, 16
	v_cndmask_b32_e32 v1, v5, v8, vcc
	s_brev_b32 s2, 1
	v_and_or_b32 v1, v3, s2, v1
	v_cvt_i32_f32_e32 v13, v1
.LBB223_1186:
	s_mov_b64 s[12:13], -1
	s_mov_b64 s[6:7], 0
	s_cbranch_execnz .LBB223_1197
.LBB223_1187:
	s_cmp_gt_i32 s16, 14
	s_cbranch_scc0 .LBB223_1190
; %bb.1188:
	s_cmp_eq_u32 s16, 15
	s_cbranch_scc0 .LBB223_1193
; %bb.1189:
	global_load_ushort v1, v[15:16], off
	s_mov_b64 s[0:1], 0
	s_mov_b64 s[12:13], -1
	s_waitcnt vmcnt(0)
	v_lshlrev_b32_e32 v1, 16, v1
	v_cvt_i32_f32_e32 v13, v1
	s_branch .LBB223_1194
.LBB223_1190:
	s_mov_b64 s[2:3], -1
                                        ; implicit-def: $vgpr13
	s_branch .LBB223_1195
.LBB223_1191:
	s_andn2_saveexec_b64 s[2:3], s[2:3]
	s_cbranch_execz .LBB223_1173
.LBB223_1192:
	v_cmp_ne_u16_e32 vcc, 0, v1
	s_andn2_b64 s[6:7], s[6:7], exec
	s_and_b64 s[12:13], vcc, exec
	s_or_b64 s[6:7], s[6:7], s[12:13]
	s_or_b64 exec, exec, s[2:3]
	v_mov_b32_e32 v13, 0
	s_and_saveexec_b64 s[2:3], s[6:7]
	s_cbranch_execnz .LBB223_1174
	s_branch .LBB223_1175
.LBB223_1193:
	s_mov_b64 s[0:1], -1
                                        ; implicit-def: $vgpr13
.LBB223_1194:
	s_mov_b64 s[2:3], 0
.LBB223_1195:
	s_and_b64 vcc, exec, s[2:3]
	s_cbranch_vccz .LBB223_1197
; %bb.1196:
	s_cmp_lg_u32 s16, 11
	s_mov_b64 s[6:7], -1
	s_cselect_b64 s[0:1], -1, 0
.LBB223_1197:
	s_and_b64 vcc, exec, s[0:1]
	s_mov_b64 s[2:3], s[28:29]
	s_cbranch_vccnz .LBB223_1258
; %bb.1198:
	s_andn2_b64 vcc, exec, s[6:7]
	s_cbranch_vccnz .LBB223_1200
.LBB223_1199:
	global_load_ubyte v1, v[15:16], off
	s_mov_b64 s[12:13], -1
	s_waitcnt vmcnt(0)
	v_cmp_ne_u16_e32 vcc, 0, v1
	v_cndmask_b32_e64 v13, 0, 1, vcc
.LBB223_1200:
	s_branch .LBB223_1135
.LBB223_1201:
	s_and_b32 s6, 0xffff, s15
	s_cmp_lt_i32 s6, 5
	s_cbranch_scc1 .LBB223_1206
; %bb.1202:
	s_cmp_lt_i32 s6, 8
	s_cbranch_scc1 .LBB223_1207
; %bb.1203:
	s_cmp_lt_i32 s6, 9
	s_cbranch_scc1 .LBB223_1208
; %bb.1204:
	s_cmp_gt_i32 s6, 9
	s_cbranch_scc0 .LBB223_1209
; %bb.1205:
	global_load_dwordx2 v[12:13], v[15:16], off
	s_mov_b64 s[0:1], 0
	s_waitcnt vmcnt(0)
	v_cvt_i32_f64_e32 v13, v[12:13]
	s_branch .LBB223_1210
.LBB223_1206:
                                        ; implicit-def: $vgpr13
	s_branch .LBB223_1227
.LBB223_1207:
                                        ; implicit-def: $vgpr13
	s_branch .LBB223_1216
.LBB223_1208:
	s_mov_b64 s[0:1], -1
                                        ; implicit-def: $vgpr13
	s_branch .LBB223_1213
.LBB223_1209:
	s_mov_b64 s[0:1], -1
                                        ; implicit-def: $vgpr13
.LBB223_1210:
	s_andn2_b64 vcc, exec, s[0:1]
	s_cbranch_vccnz .LBB223_1212
; %bb.1211:
	global_load_dword v1, v[15:16], off
	s_waitcnt vmcnt(0)
	v_cvt_i32_f32_e32 v13, v1
.LBB223_1212:
	s_mov_b64 s[0:1], 0
.LBB223_1213:
	s_andn2_b64 vcc, exec, s[0:1]
	s_cbranch_vccnz .LBB223_1215
; %bb.1214:
	global_load_dword v1, v[15:16], off
	s_waitcnt vmcnt(0)
	v_cvt_i16_f16_e32 v13, v1
.LBB223_1215:
	s_cbranch_execnz .LBB223_1226
.LBB223_1216:
	s_cmp_lt_i32 s6, 6
	s_cbranch_scc1 .LBB223_1219
; %bb.1217:
	s_cmp_gt_i32 s6, 6
	s_cbranch_scc0 .LBB223_1220
; %bb.1218:
	global_load_dwordx2 v[12:13], v[15:16], off
	s_mov_b64 s[0:1], 0
	s_waitcnt vmcnt(0)
	v_cvt_i32_f64_e32 v13, v[12:13]
	s_branch .LBB223_1221
.LBB223_1219:
	s_mov_b64 s[0:1], -1
                                        ; implicit-def: $vgpr13
	s_branch .LBB223_1224
.LBB223_1220:
	s_mov_b64 s[0:1], -1
                                        ; implicit-def: $vgpr13
.LBB223_1221:
	s_andn2_b64 vcc, exec, s[0:1]
	s_cbranch_vccnz .LBB223_1223
; %bb.1222:
	global_load_dword v1, v[15:16], off
	s_waitcnt vmcnt(0)
	v_cvt_i32_f32_e32 v13, v1
.LBB223_1223:
	s_mov_b64 s[0:1], 0
.LBB223_1224:
	s_andn2_b64 vcc, exec, s[0:1]
	s_cbranch_vccnz .LBB223_1226
; %bb.1225:
	global_load_ushort v1, v[15:16], off
	s_waitcnt vmcnt(0)
	v_cvt_i16_f16_e32 v13, v1
.LBB223_1226:
	s_cbranch_execnz .LBB223_1245
.LBB223_1227:
	s_cmp_lt_i32 s6, 2
	s_cbranch_scc1 .LBB223_1231
; %bb.1228:
	s_cmp_lt_i32 s6, 3
	s_cbranch_scc1 .LBB223_1232
; %bb.1229:
	s_cmp_gt_i32 s6, 3
	s_cbranch_scc0 .LBB223_1233
; %bb.1230:
	global_load_dwordx2 v[13:14], v[15:16], off
	s_mov_b64 s[0:1], 0
	s_branch .LBB223_1234
.LBB223_1231:
                                        ; implicit-def: $vgpr13
	s_branch .LBB223_1240
.LBB223_1232:
	s_mov_b64 s[0:1], -1
                                        ; implicit-def: $vgpr13
	s_branch .LBB223_1237
.LBB223_1233:
	s_mov_b64 s[0:1], -1
                                        ; implicit-def: $vgpr13
.LBB223_1234:
	s_andn2_b64 vcc, exec, s[0:1]
	s_cbranch_vccnz .LBB223_1236
; %bb.1235:
	global_load_dword v13, v[15:16], off
.LBB223_1236:
	s_mov_b64 s[0:1], 0
.LBB223_1237:
	s_andn2_b64 vcc, exec, s[0:1]
	s_cbranch_vccnz .LBB223_1239
; %bb.1238:
	global_load_ushort v13, v[15:16], off
.LBB223_1239:
	s_cbranch_execnz .LBB223_1245
.LBB223_1240:
	s_cmp_gt_i32 s6, 0
	s_cbranch_scc0 .LBB223_1242
; %bb.1241:
	global_load_sbyte v13, v[15:16], off
	s_mov_b64 s[0:1], 0
	s_branch .LBB223_1243
.LBB223_1242:
	s_mov_b64 s[0:1], -1
                                        ; implicit-def: $vgpr13
.LBB223_1243:
	s_andn2_b64 vcc, exec, s[0:1]
	s_cbranch_vccnz .LBB223_1245
; %bb.1244:
	global_load_ubyte v13, v[15:16], off
.LBB223_1245:
.LBB223_1246:
	s_lshr_b32 s0, s14, 8
	v_mov_b32_e32 v1, s11
	s_and_b32 s16, s0, 0xff
	s_waitcnt vmcnt(0)
	v_add_co_u32_e32 v14, vcc, s10, v11
	s_cmp_lt_i32 s16, 11
	v_addc_co_u32_e32 v15, vcc, 0, v1, vcc
	s_cbranch_scc1 .LBB223_1253
; %bb.1247:
	s_and_b32 s17, 0xffff, s16
	s_cmp_gt_i32 s17, 25
	s_mov_b64 s[6:7], 0
	s_cbranch_scc0 .LBB223_1255
; %bb.1248:
	s_cmp_gt_i32 s17, 28
	s_cbranch_scc0 .LBB223_1256
; %bb.1249:
	s_cmp_gt_i32 s17, 43
	;; [unrolled: 3-line block ×3, first 2 shown]
	s_cbranch_scc0 .LBB223_1259
; %bb.1251:
	s_cmp_eq_u32 s17, 46
	s_mov_b64 s[14:15], 0
	s_cbranch_scc0 .LBB223_1262
; %bb.1252:
	global_load_dword v1, v[14:15], off
	s_mov_b64 s[0:1], 0
	s_mov_b64 s[12:13], -1
	s_waitcnt vmcnt(0)
	v_lshlrev_b32_e32 v1, 16, v1
	v_cvt_i32_f32_e32 v11, v1
	s_branch .LBB223_1263
.LBB223_1253:
	s_mov_b64 s[12:13], 0
                                        ; implicit-def: $vgpr11
	s_cbranch_execnz .LBB223_1324
.LBB223_1254:
	s_andn2_b64 vcc, exec, s[12:13]
	s_cbranch_vccnz .LBB223_2055
	s_branch .LBB223_1371
.LBB223_1255:
	s_mov_b64 s[12:13], 0
	s_mov_b64 s[0:1], 0
                                        ; implicit-def: $vgpr11
	s_cbranch_execnz .LBB223_1290
	s_branch .LBB223_1320
.LBB223_1256:
	s_mov_b64 s[14:15], -1
	s_mov_b64 s[12:13], 0
	s_mov_b64 s[0:1], 0
                                        ; implicit-def: $vgpr11
	s_branch .LBB223_1273
.LBB223_1257:
	s_mov_b64 s[14:15], -1
	s_mov_b64 s[12:13], 0
	s_mov_b64 s[0:1], 0
                                        ; implicit-def: $vgpr11
	s_branch .LBB223_1268
.LBB223_1258:
	s_or_b64 s[2:3], s[28:29], exec
	s_trap 2
	s_cbranch_execz .LBB223_1199
	s_branch .LBB223_1200
.LBB223_1259:
	s_mov_b64 s[14:15], -1
	s_mov_b64 s[12:13], 0
	s_mov_b64 s[0:1], 0
                                        ; implicit-def: $vgpr11
	s_branch .LBB223_1263
.LBB223_1260:
	s_andn2_saveexec_b64 s[16:17], s[16:17]
	s_cbranch_execz .LBB223_995
.LBB223_1261:
	s_mov_b32 s20, 0x42800000
	v_add_f32_e64 v3, |v0|, s20
	v_and_b32_e32 v3, 0xff, v3
	v_cmp_ne_u32_e32 vcc, 0, v3
	s_andn2_b64 s[14:15], s[14:15], exec
	s_and_b64 s[20:21], vcc, exec
	s_or_b64 s[14:15], s[14:15], s[20:21]
	s_or_b64 exec, exec, s[16:17]
	v_mov_b32_e32 v5, 0
	s_and_saveexec_b64 s[16:17], s[14:15]
	s_cbranch_execnz .LBB223_996
	s_branch .LBB223_997
.LBB223_1262:
	s_mov_b64 s[0:1], -1
                                        ; implicit-def: $vgpr11
	s_mov_b64 s[12:13], 0
.LBB223_1263:
	s_and_b64 vcc, exec, s[14:15]
	s_cbranch_vccz .LBB223_1267
; %bb.1264:
	s_cmp_eq_u32 s17, 44
	s_cbranch_scc0 .LBB223_1266
; %bb.1265:
	global_load_ubyte v1, v[14:15], off
	s_mov_b64 s[0:1], 0
	s_mov_b64 s[12:13], -1
	s_waitcnt vmcnt(0)
	v_lshlrev_b32_e32 v3, 23, v1
	v_cvt_i32_f32_e32 v3, v3
	v_cmp_ne_u32_e32 vcc, 0, v1
	v_cndmask_b32_e32 v11, 0, v3, vcc
	s_branch .LBB223_1267
.LBB223_1266:
	s_mov_b64 s[0:1], -1
                                        ; implicit-def: $vgpr11
.LBB223_1267:
	s_mov_b64 s[14:15], 0
.LBB223_1268:
	s_and_b64 vcc, exec, s[14:15]
	s_cbranch_vccz .LBB223_1272
; %bb.1269:
	s_cmp_eq_u32 s17, 29
	s_cbranch_scc0 .LBB223_1271
; %bb.1270:
	global_load_dwordx2 v[11:12], v[14:15], off
	s_mov_b64 s[0:1], 0
	s_mov_b64 s[12:13], -1
	s_branch .LBB223_1272
.LBB223_1271:
	s_mov_b64 s[0:1], -1
                                        ; implicit-def: $vgpr11
.LBB223_1272:
	s_mov_b64 s[14:15], 0
.LBB223_1273:
	s_and_b64 vcc, exec, s[14:15]
	s_cbranch_vccz .LBB223_1289
; %bb.1274:
	s_cmp_lt_i32 s17, 27
	s_cbranch_scc1 .LBB223_1277
; %bb.1275:
	s_cmp_gt_i32 s17, 27
	s_cbranch_scc0 .LBB223_1278
; %bb.1276:
	global_load_dword v11, v[14:15], off
	s_mov_b64 s[12:13], 0
	s_branch .LBB223_1279
.LBB223_1277:
	s_mov_b64 s[12:13], -1
                                        ; implicit-def: $vgpr11
	s_branch .LBB223_1282
.LBB223_1278:
	s_mov_b64 s[12:13], -1
                                        ; implicit-def: $vgpr11
.LBB223_1279:
	s_andn2_b64 vcc, exec, s[12:13]
	s_cbranch_vccnz .LBB223_1281
; %bb.1280:
	global_load_ushort v11, v[14:15], off
.LBB223_1281:
	s_mov_b64 s[12:13], 0
.LBB223_1282:
	s_andn2_b64 vcc, exec, s[12:13]
	s_cbranch_vccnz .LBB223_1288
; %bb.1283:
	global_load_ubyte v1, v[14:15], off
	s_movk_i32 s12, 0x7f
	s_mov_b64 s[14:15], 0
	s_waitcnt vmcnt(0)
	v_cmp_lt_i16_e32 vcc, s12, v1
	s_and_saveexec_b64 s[12:13], vcc
	s_xor_b64 s[12:13], exec, s[12:13]
	s_cbranch_execz .LBB223_1299
; %bb.1284:
	s_movk_i32 s14, 0x80
	v_cmp_ne_u16_e32 vcc, s14, v1
	s_and_b64 s[14:15], vcc, exec
	s_andn2_saveexec_b64 s[12:13], s[12:13]
	s_cbranch_execnz .LBB223_1300
.LBB223_1285:
	s_or_b64 exec, exec, s[12:13]
	v_mov_b32_e32 v11, 0
	s_and_saveexec_b64 s[12:13], s[14:15]
	s_cbranch_execz .LBB223_1287
.LBB223_1286:
	v_lshlrev_b32_e32 v3, 24, v1
	v_and_b32_e32 v1, 0xffff, v1
	v_and_b32_e32 v5, 7, v1
	v_ffbh_u32_e32 v10, v5
	v_min_u32_e32 v10, 32, v10
	v_subrev_u32_e32 v11, 28, v10
	v_bfe_u32 v8, v1, 3, 4
	v_lshlrev_b32_e32 v1, v11, v1
	v_sub_u32_e32 v10, 29, v10
	v_and_b32_e32 v1, 7, v1
	v_cmp_eq_u32_e32 vcc, 0, v8
	v_cndmask_b32_e32 v8, v8, v10, vcc
	v_cndmask_b32_e32 v1, v5, v1, vcc
	v_mov_b32_e32 v5, 0x3b800000
	v_lshlrev_b32_e32 v1, 20, v1
	v_and_b32_e32 v3, 0x80000000, v3
	v_lshl_add_u32 v5, v8, 23, v5
	v_or3_b32 v1, v3, v5, v1
	v_cvt_i32_f32_e32 v11, v1
.LBB223_1287:
	s_or_b64 exec, exec, s[12:13]
.LBB223_1288:
	s_mov_b64 s[12:13], -1
.LBB223_1289:
	s_branch .LBB223_1320
.LBB223_1290:
	s_cmp_gt_i32 s17, 22
	s_cbranch_scc0 .LBB223_1298
; %bb.1291:
	s_cmp_lt_i32 s17, 24
	s_cbranch_scc1 .LBB223_1301
; %bb.1292:
	s_cmp_gt_i32 s17, 24
	s_cbranch_scc0 .LBB223_1302
; %bb.1293:
	global_load_ubyte v1, v[14:15], off
	s_movk_i32 s6, 0x7f
	s_mov_b64 s[12:13], 0
	s_waitcnt vmcnt(0)
	v_cmp_lt_i16_e32 vcc, s6, v1
	s_and_saveexec_b64 s[6:7], vcc
	s_xor_b64 s[6:7], exec, s[6:7]
	s_cbranch_execz .LBB223_1314
; %bb.1294:
	s_movk_i32 s12, 0x80
	v_cmp_ne_u16_e32 vcc, s12, v1
	s_and_b64 s[12:13], vcc, exec
	s_andn2_saveexec_b64 s[6:7], s[6:7]
	s_cbranch_execnz .LBB223_1315
.LBB223_1295:
	s_or_b64 exec, exec, s[6:7]
	v_mov_b32_e32 v11, 0
	s_and_saveexec_b64 s[6:7], s[12:13]
	s_cbranch_execz .LBB223_1297
.LBB223_1296:
	v_lshlrev_b32_e32 v3, 24, v1
	v_and_b32_e32 v1, 0xffff, v1
	v_and_b32_e32 v5, 3, v1
	v_ffbh_u32_e32 v10, v5
	v_min_u32_e32 v10, 32, v10
	v_subrev_u32_e32 v11, 29, v10
	v_bfe_u32 v8, v1, 2, 5
	v_lshlrev_b32_e32 v1, v11, v1
	v_sub_u32_e32 v10, 30, v10
	v_and_b32_e32 v1, 3, v1
	v_cmp_eq_u32_e32 vcc, 0, v8
	v_cndmask_b32_e32 v8, v8, v10, vcc
	v_cndmask_b32_e32 v1, v5, v1, vcc
	v_mov_b32_e32 v5, 0x37800000
	v_lshlrev_b32_e32 v1, 21, v1
	v_and_b32_e32 v3, 0x80000000, v3
	v_lshl_add_u32 v5, v8, 23, v5
	v_or3_b32 v1, v3, v5, v1
	v_cvt_i32_f32_e32 v11, v1
.LBB223_1297:
	s_or_b64 exec, exec, s[6:7]
	s_mov_b64 s[6:7], 0
	s_branch .LBB223_1303
.LBB223_1298:
	s_mov_b64 s[6:7], -1
                                        ; implicit-def: $vgpr11
	s_branch .LBB223_1309
.LBB223_1299:
	s_andn2_saveexec_b64 s[12:13], s[12:13]
	s_cbranch_execz .LBB223_1285
.LBB223_1300:
	v_cmp_ne_u16_e32 vcc, 0, v1
	s_andn2_b64 s[14:15], s[14:15], exec
	s_and_b64 s[18:19], vcc, exec
	s_or_b64 s[14:15], s[14:15], s[18:19]
	s_or_b64 exec, exec, s[12:13]
	v_mov_b32_e32 v11, 0
	s_and_saveexec_b64 s[12:13], s[14:15]
	s_cbranch_execnz .LBB223_1286
	s_branch .LBB223_1287
.LBB223_1301:
	s_mov_b64 s[6:7], -1
                                        ; implicit-def: $vgpr11
	s_branch .LBB223_1306
.LBB223_1302:
	s_mov_b64 s[6:7], -1
                                        ; implicit-def: $vgpr11
.LBB223_1303:
	s_and_b64 vcc, exec, s[6:7]
	s_cbranch_vccz .LBB223_1305
; %bb.1304:
	global_load_ubyte v1, v[14:15], off
	s_mov_b32 s6, 0x7f800000
	s_waitcnt vmcnt(0)
	v_lshlrev_b32_e32 v1, 24, v1
	v_and_b32_e32 v3, 0x7f000000, v1
	v_ffbh_u32_e32 v5, v3
	v_min_u32_e32 v5, 32, v5
	v_sub_u32_e64 v5, v5, 4 clamp
	v_lshlrev_b32_e32 v10, v5, v3
	v_lshlrev_b32_e32 v5, 23, v5
	v_lshrrev_b32_e32 v10, 4, v10
	v_add_u32_e32 v8, 0x1000000, v3
	v_sub_u32_e32 v5, v10, v5
	v_ashrrev_i32_e32 v8, 8, v8
	v_add_u32_e32 v5, 0x3c000000, v5
	v_and_or_b32 v5, v8, s6, v5
	v_cmp_ne_u32_e32 vcc, 0, v3
	v_cndmask_b32_e32 v3, 0, v5, vcc
	s_brev_b32 s6, 1
	v_and_or_b32 v1, v1, s6, v3
	v_cvt_i32_f32_e32 v11, v1
.LBB223_1305:
	s_mov_b64 s[6:7], 0
.LBB223_1306:
	s_andn2_b64 vcc, exec, s[6:7]
	s_cbranch_vccnz .LBB223_1308
; %bb.1307:
	global_load_ubyte v1, v[14:15], off
	s_movk_i32 s6, 0x7f00
	s_brev_b32 s7, 16
	s_waitcnt vmcnt(0)
	v_lshlrev_b16_e32 v3, 8, v1
	v_lshlrev_b32_e32 v1, 25, v1
	v_lshrrev_b32_e32 v5, 4, v1
	v_and_or_b32 v8, v3, s6, 0.5
	v_or_b32_e32 v5, 0x70000000, v5
	v_add_f32_e32 v8, -0.5, v8
	v_mul_f32_e32 v5, 0x7800000, v5
	v_cmp_gt_u32_e32 vcc, s7, v1
	v_bfe_i32 v3, v3, 0, 16
	v_cndmask_b32_e32 v1, v5, v8, vcc
	s_brev_b32 s6, 1
	v_and_or_b32 v1, v3, s6, v1
	v_cvt_i32_f32_e32 v11, v1
.LBB223_1308:
	s_mov_b64 s[6:7], 0
	s_mov_b64 s[12:13], -1
.LBB223_1309:
	s_andn2_b64 vcc, exec, s[6:7]
	s_mov_b64 s[6:7], 0
	s_cbranch_vccnz .LBB223_1320
; %bb.1310:
	s_cmp_gt_i32 s17, 14
	s_cbranch_scc0 .LBB223_1313
; %bb.1311:
	s_cmp_eq_u32 s17, 15
	s_cbranch_scc0 .LBB223_1316
; %bb.1312:
	global_load_ushort v1, v[14:15], off
	s_mov_b64 s[0:1], 0
	s_mov_b64 s[12:13], -1
	s_waitcnt vmcnt(0)
	v_lshlrev_b32_e32 v1, 16, v1
	v_cvt_i32_f32_e32 v11, v1
	s_branch .LBB223_1317
.LBB223_1313:
	s_mov_b64 s[14:15], -1
                                        ; implicit-def: $vgpr11
	s_branch .LBB223_1318
.LBB223_1314:
	s_andn2_saveexec_b64 s[6:7], s[6:7]
	s_cbranch_execz .LBB223_1295
.LBB223_1315:
	v_cmp_ne_u16_e32 vcc, 0, v1
	s_andn2_b64 s[12:13], s[12:13], exec
	s_and_b64 s[14:15], vcc, exec
	s_or_b64 s[12:13], s[12:13], s[14:15]
	s_or_b64 exec, exec, s[6:7]
	v_mov_b32_e32 v11, 0
	s_and_saveexec_b64 s[6:7], s[12:13]
	s_cbranch_execnz .LBB223_1296
	s_branch .LBB223_1297
.LBB223_1316:
	s_mov_b64 s[0:1], -1
                                        ; implicit-def: $vgpr11
.LBB223_1317:
	s_mov_b64 s[14:15], 0
.LBB223_1318:
	s_and_b64 vcc, exec, s[14:15]
	s_cbranch_vccz .LBB223_1320
; %bb.1319:
	s_cmp_lg_u32 s17, 11
	s_mov_b64 s[6:7], -1
	s_cselect_b64 s[0:1], -1, 0
.LBB223_1320:
	s_and_b64 vcc, exec, s[0:1]
	s_cbranch_vccnz .LBB223_1383
; %bb.1321:
	s_andn2_b64 vcc, exec, s[6:7]
	s_cbranch_vccnz .LBB223_1323
.LBB223_1322:
	global_load_ubyte v1, v[14:15], off
	s_mov_b64 s[12:13], -1
	s_waitcnt vmcnt(0)
	v_cmp_ne_u16_e32 vcc, 0, v1
	v_cndmask_b32_e64 v11, 0, 1, vcc
.LBB223_1323:
	s_branch .LBB223_1254
.LBB223_1324:
	s_and_b32 s6, 0xffff, s16
	s_cmp_lt_i32 s6, 5
	s_cbranch_scc1 .LBB223_1329
; %bb.1325:
	s_cmp_lt_i32 s6, 8
	s_cbranch_scc1 .LBB223_1330
; %bb.1326:
	;; [unrolled: 3-line block ×3, first 2 shown]
	s_cmp_gt_i32 s6, 9
	s_cbranch_scc0 .LBB223_1332
; %bb.1328:
	global_load_dwordx2 v[10:11], v[14:15], off
	s_mov_b64 s[0:1], 0
	s_waitcnt vmcnt(0)
	v_cvt_i32_f64_e32 v11, v[10:11]
	s_branch .LBB223_1333
.LBB223_1329:
                                        ; implicit-def: $vgpr11
	s_branch .LBB223_1351
.LBB223_1330:
	s_mov_b64 s[0:1], -1
                                        ; implicit-def: $vgpr11
	s_branch .LBB223_1339
.LBB223_1331:
	s_mov_b64 s[0:1], -1
                                        ; implicit-def: $vgpr11
	s_branch .LBB223_1336
.LBB223_1332:
	s_mov_b64 s[0:1], -1
                                        ; implicit-def: $vgpr11
.LBB223_1333:
	s_andn2_b64 vcc, exec, s[0:1]
	s_cbranch_vccnz .LBB223_1335
; %bb.1334:
	global_load_dword v1, v[14:15], off
	s_waitcnt vmcnt(0)
	v_cvt_i32_f32_e32 v11, v1
.LBB223_1335:
	s_mov_b64 s[0:1], 0
.LBB223_1336:
	s_andn2_b64 vcc, exec, s[0:1]
	s_cbranch_vccnz .LBB223_1338
; %bb.1337:
	global_load_dword v1, v[14:15], off
	s_waitcnt vmcnt(0)
	v_cvt_i16_f16_e32 v11, v1
.LBB223_1338:
	s_mov_b64 s[0:1], 0
.LBB223_1339:
	s_andn2_b64 vcc, exec, s[0:1]
	s_cbranch_vccnz .LBB223_1350
; %bb.1340:
	s_cmp_lt_i32 s6, 6
	s_cbranch_scc1 .LBB223_1343
; %bb.1341:
	s_cmp_gt_i32 s6, 6
	s_cbranch_scc0 .LBB223_1344
; %bb.1342:
	global_load_dwordx2 v[10:11], v[14:15], off
	s_mov_b64 s[0:1], 0
	s_waitcnt vmcnt(0)
	v_cvt_i32_f64_e32 v11, v[10:11]
	s_branch .LBB223_1345
.LBB223_1343:
	s_mov_b64 s[0:1], -1
                                        ; implicit-def: $vgpr11
	s_branch .LBB223_1348
.LBB223_1344:
	s_mov_b64 s[0:1], -1
                                        ; implicit-def: $vgpr11
.LBB223_1345:
	s_andn2_b64 vcc, exec, s[0:1]
	s_cbranch_vccnz .LBB223_1347
; %bb.1346:
	global_load_dword v1, v[14:15], off
	s_waitcnt vmcnt(0)
	v_cvt_i32_f32_e32 v11, v1
.LBB223_1347:
	s_mov_b64 s[0:1], 0
.LBB223_1348:
	s_andn2_b64 vcc, exec, s[0:1]
	s_cbranch_vccnz .LBB223_1350
; %bb.1349:
	global_load_ushort v1, v[14:15], off
	s_waitcnt vmcnt(0)
	v_cvt_i16_f16_e32 v11, v1
.LBB223_1350:
	s_cbranch_execnz .LBB223_1370
.LBB223_1351:
	s_cmp_lt_i32 s6, 2
	s_cbranch_scc1 .LBB223_1355
; %bb.1352:
	s_cmp_lt_i32 s6, 3
	s_cbranch_scc1 .LBB223_1356
; %bb.1353:
	s_cmp_gt_i32 s6, 3
	s_cbranch_scc0 .LBB223_1357
; %bb.1354:
	global_load_dwordx2 v[11:12], v[14:15], off
	s_mov_b64 s[0:1], 0
	s_branch .LBB223_1358
.LBB223_1355:
	s_mov_b64 s[0:1], -1
                                        ; implicit-def: $vgpr11
	s_branch .LBB223_1364
.LBB223_1356:
	s_mov_b64 s[0:1], -1
                                        ; implicit-def: $vgpr11
	s_branch .LBB223_1361
.LBB223_1357:
	s_mov_b64 s[0:1], -1
                                        ; implicit-def: $vgpr11
.LBB223_1358:
	s_andn2_b64 vcc, exec, s[0:1]
	s_cbranch_vccnz .LBB223_1360
; %bb.1359:
	global_load_dword v11, v[14:15], off
.LBB223_1360:
	s_mov_b64 s[0:1], 0
.LBB223_1361:
	s_andn2_b64 vcc, exec, s[0:1]
	s_cbranch_vccnz .LBB223_1363
; %bb.1362:
	global_load_ushort v11, v[14:15], off
.LBB223_1363:
	s_mov_b64 s[0:1], 0
.LBB223_1364:
	s_andn2_b64 vcc, exec, s[0:1]
	s_cbranch_vccnz .LBB223_1370
; %bb.1365:
	s_cmp_gt_i32 s6, 0
	s_cbranch_scc0 .LBB223_1367
; %bb.1366:
	global_load_sbyte v11, v[14:15], off
	s_mov_b64 s[0:1], 0
	s_branch .LBB223_1368
.LBB223_1367:
	s_mov_b64 s[0:1], -1
                                        ; implicit-def: $vgpr11
.LBB223_1368:
	s_andn2_b64 vcc, exec, s[0:1]
	s_cbranch_vccnz .LBB223_1370
; %bb.1369:
	global_load_ubyte v11, v[14:15], off
.LBB223_1370:
.LBB223_1371:
	v_mov_b32_e32 v1, s11
	v_add_co_u32_e32 v14, vcc, s10, v9
	s_cmp_lt_i32 s16, 11
	v_addc_co_u32_e32 v15, vcc, 0, v1, vcc
	s_cbranch_scc1 .LBB223_1378
; %bb.1372:
	s_and_b32 s17, 0xffff, s16
	s_cmp_gt_i32 s17, 25
	s_mov_b64 s[6:7], 0
	s_cbranch_scc0 .LBB223_1380
; %bb.1373:
	s_cmp_gt_i32 s17, 28
	s_cbranch_scc0 .LBB223_1381
; %bb.1374:
	s_cmp_gt_i32 s17, 43
	;; [unrolled: 3-line block ×3, first 2 shown]
	s_cbranch_scc0 .LBB223_1384
; %bb.1376:
	s_cmp_eq_u32 s17, 46
	s_mov_b64 s[14:15], 0
	s_cbranch_scc0 .LBB223_1385
; %bb.1377:
	global_load_dword v1, v[14:15], off
	s_mov_b64 s[0:1], 0
	s_mov_b64 s[12:13], -1
	s_waitcnt vmcnt(0)
	v_lshlrev_b32_e32 v1, 16, v1
	v_cvt_i32_f32_e32 v9, v1
	s_branch .LBB223_1386
.LBB223_1378:
	s_mov_b64 s[12:13], 0
                                        ; implicit-def: $vgpr9
	s_cbranch_execnz .LBB223_1448
.LBB223_1379:
	s_andn2_b64 vcc, exec, s[12:13]
	s_cbranch_vccnz .LBB223_2055
	s_branch .LBB223_1496
.LBB223_1380:
	s_mov_b64 s[14:15], -1
	s_mov_b64 s[12:13], 0
	s_mov_b64 s[0:1], 0
                                        ; implicit-def: $vgpr9
	s_branch .LBB223_1413
.LBB223_1381:
	s_mov_b64 s[14:15], -1
	s_mov_b64 s[12:13], 0
	s_mov_b64 s[0:1], 0
                                        ; implicit-def: $vgpr9
	s_branch .LBB223_1396
.LBB223_1382:
	s_mov_b64 s[14:15], -1
	s_mov_b64 s[12:13], 0
	s_mov_b64 s[0:1], 0
                                        ; implicit-def: $vgpr9
	s_branch .LBB223_1391
.LBB223_1383:
	s_trap 2
	s_or_b64 s[2:3], s[2:3], exec
	s_cbranch_execz .LBB223_1322
	s_branch .LBB223_1323
.LBB223_1384:
	s_mov_b64 s[14:15], -1
	s_mov_b64 s[12:13], 0
	s_mov_b64 s[0:1], 0
                                        ; implicit-def: $vgpr9
	s_branch .LBB223_1386
.LBB223_1385:
	s_mov_b64 s[0:1], -1
                                        ; implicit-def: $vgpr9
	s_mov_b64 s[12:13], 0
.LBB223_1386:
	s_and_b64 vcc, exec, s[14:15]
	s_cbranch_vccz .LBB223_1390
; %bb.1387:
	s_cmp_eq_u32 s17, 44
	s_cbranch_scc0 .LBB223_1389
; %bb.1388:
	global_load_ubyte v1, v[14:15], off
	s_mov_b64 s[0:1], 0
	s_mov_b64 s[12:13], -1
	s_waitcnt vmcnt(0)
	v_lshlrev_b32_e32 v3, 23, v1
	v_cvt_i32_f32_e32 v3, v3
	v_cmp_ne_u32_e32 vcc, 0, v1
	v_cndmask_b32_e32 v9, 0, v3, vcc
	s_branch .LBB223_1390
.LBB223_1389:
	s_mov_b64 s[0:1], -1
                                        ; implicit-def: $vgpr9
.LBB223_1390:
	s_mov_b64 s[14:15], 0
.LBB223_1391:
	s_and_b64 vcc, exec, s[14:15]
	s_cbranch_vccz .LBB223_1395
; %bb.1392:
	s_cmp_eq_u32 s17, 29
	s_cbranch_scc0 .LBB223_1394
; %bb.1393:
	global_load_dwordx2 v[9:10], v[14:15], off
	s_mov_b64 s[0:1], 0
	s_mov_b64 s[12:13], -1
	s_branch .LBB223_1395
.LBB223_1394:
	s_mov_b64 s[0:1], -1
                                        ; implicit-def: $vgpr9
.LBB223_1395:
	s_mov_b64 s[14:15], 0
.LBB223_1396:
	s_and_b64 vcc, exec, s[14:15]
	s_cbranch_vccz .LBB223_1412
; %bb.1397:
	s_cmp_lt_i32 s17, 27
	s_cbranch_scc1 .LBB223_1400
; %bb.1398:
	s_cmp_gt_i32 s17, 27
	s_cbranch_scc0 .LBB223_1401
; %bb.1399:
	global_load_dword v9, v[14:15], off
	s_mov_b64 s[12:13], 0
	s_branch .LBB223_1402
.LBB223_1400:
	s_mov_b64 s[12:13], -1
                                        ; implicit-def: $vgpr9
	s_branch .LBB223_1405
.LBB223_1401:
	s_mov_b64 s[12:13], -1
                                        ; implicit-def: $vgpr9
.LBB223_1402:
	s_andn2_b64 vcc, exec, s[12:13]
	s_cbranch_vccnz .LBB223_1404
; %bb.1403:
	global_load_ushort v9, v[14:15], off
.LBB223_1404:
	s_mov_b64 s[12:13], 0
.LBB223_1405:
	s_andn2_b64 vcc, exec, s[12:13]
	s_cbranch_vccnz .LBB223_1411
; %bb.1406:
	global_load_ubyte v1, v[14:15], off
	s_movk_i32 s12, 0x7f
	s_mov_b64 s[14:15], 0
	s_waitcnt vmcnt(0)
	v_cmp_lt_i16_e32 vcc, s12, v1
	s_and_saveexec_b64 s[12:13], vcc
	s_xor_b64 s[12:13], exec, s[12:13]
	s_cbranch_execz .LBB223_1423
; %bb.1407:
	s_movk_i32 s14, 0x80
	v_cmp_ne_u16_e32 vcc, s14, v1
	s_and_b64 s[14:15], vcc, exec
	s_andn2_saveexec_b64 s[12:13], s[12:13]
	s_cbranch_execnz .LBB223_1424
.LBB223_1408:
	s_or_b64 exec, exec, s[12:13]
	v_mov_b32_e32 v9, 0
	s_and_saveexec_b64 s[12:13], s[14:15]
	s_cbranch_execz .LBB223_1410
.LBB223_1409:
	v_lshlrev_b32_e32 v3, 24, v1
	v_and_b32_e32 v1, 0xffff, v1
	v_and_b32_e32 v5, 7, v1
	v_ffbh_u32_e32 v9, v5
	v_min_u32_e32 v9, 32, v9
	v_subrev_u32_e32 v10, 28, v9
	v_bfe_u32 v8, v1, 3, 4
	v_lshlrev_b32_e32 v1, v10, v1
	v_sub_u32_e32 v9, 29, v9
	v_and_b32_e32 v1, 7, v1
	v_cmp_eq_u32_e32 vcc, 0, v8
	v_cndmask_b32_e32 v8, v8, v9, vcc
	v_cndmask_b32_e32 v1, v5, v1, vcc
	v_mov_b32_e32 v5, 0x3b800000
	v_lshlrev_b32_e32 v1, 20, v1
	v_and_b32_e32 v3, 0x80000000, v3
	v_lshl_add_u32 v5, v8, 23, v5
	v_or3_b32 v1, v3, v5, v1
	v_cvt_i32_f32_e32 v9, v1
.LBB223_1410:
	s_or_b64 exec, exec, s[12:13]
.LBB223_1411:
	s_mov_b64 s[12:13], -1
.LBB223_1412:
	s_mov_b64 s[14:15], 0
.LBB223_1413:
	s_and_b64 vcc, exec, s[14:15]
	s_cbranch_vccz .LBB223_1444
; %bb.1414:
	s_cmp_gt_i32 s17, 22
	s_cbranch_scc0 .LBB223_1422
; %bb.1415:
	s_cmp_lt_i32 s17, 24
	s_cbranch_scc1 .LBB223_1425
; %bb.1416:
	s_cmp_gt_i32 s17, 24
	s_cbranch_scc0 .LBB223_1426
; %bb.1417:
	global_load_ubyte v1, v[14:15], off
	s_movk_i32 s6, 0x7f
	s_mov_b64 s[12:13], 0
	s_waitcnt vmcnt(0)
	v_cmp_lt_i16_e32 vcc, s6, v1
	s_and_saveexec_b64 s[6:7], vcc
	s_xor_b64 s[6:7], exec, s[6:7]
	s_cbranch_execz .LBB223_1438
; %bb.1418:
	s_movk_i32 s12, 0x80
	v_cmp_ne_u16_e32 vcc, s12, v1
	s_and_b64 s[12:13], vcc, exec
	s_andn2_saveexec_b64 s[6:7], s[6:7]
	s_cbranch_execnz .LBB223_1439
.LBB223_1419:
	s_or_b64 exec, exec, s[6:7]
	v_mov_b32_e32 v9, 0
	s_and_saveexec_b64 s[6:7], s[12:13]
	s_cbranch_execz .LBB223_1421
.LBB223_1420:
	v_lshlrev_b32_e32 v3, 24, v1
	v_and_b32_e32 v1, 0xffff, v1
	v_and_b32_e32 v5, 3, v1
	v_ffbh_u32_e32 v9, v5
	v_min_u32_e32 v9, 32, v9
	v_subrev_u32_e32 v10, 29, v9
	v_bfe_u32 v8, v1, 2, 5
	v_lshlrev_b32_e32 v1, v10, v1
	v_sub_u32_e32 v9, 30, v9
	v_and_b32_e32 v1, 3, v1
	v_cmp_eq_u32_e32 vcc, 0, v8
	v_cndmask_b32_e32 v8, v8, v9, vcc
	v_cndmask_b32_e32 v1, v5, v1, vcc
	v_mov_b32_e32 v5, 0x37800000
	v_lshlrev_b32_e32 v1, 21, v1
	v_and_b32_e32 v3, 0x80000000, v3
	v_lshl_add_u32 v5, v8, 23, v5
	v_or3_b32 v1, v3, v5, v1
	v_cvt_i32_f32_e32 v9, v1
.LBB223_1421:
	s_or_b64 exec, exec, s[6:7]
	s_mov_b64 s[6:7], 0
	s_branch .LBB223_1427
.LBB223_1422:
	s_mov_b64 s[6:7], -1
                                        ; implicit-def: $vgpr9
	s_branch .LBB223_1433
.LBB223_1423:
	s_andn2_saveexec_b64 s[12:13], s[12:13]
	s_cbranch_execz .LBB223_1408
.LBB223_1424:
	v_cmp_ne_u16_e32 vcc, 0, v1
	s_andn2_b64 s[14:15], s[14:15], exec
	s_and_b64 s[18:19], vcc, exec
	s_or_b64 s[14:15], s[14:15], s[18:19]
	s_or_b64 exec, exec, s[12:13]
	v_mov_b32_e32 v9, 0
	s_and_saveexec_b64 s[12:13], s[14:15]
	s_cbranch_execnz .LBB223_1409
	s_branch .LBB223_1410
.LBB223_1425:
	s_mov_b64 s[6:7], -1
                                        ; implicit-def: $vgpr9
	s_branch .LBB223_1430
.LBB223_1426:
	s_mov_b64 s[6:7], -1
                                        ; implicit-def: $vgpr9
.LBB223_1427:
	s_and_b64 vcc, exec, s[6:7]
	s_cbranch_vccz .LBB223_1429
; %bb.1428:
	global_load_ubyte v1, v[14:15], off
	s_mov_b32 s6, 0x7f800000
	s_waitcnt vmcnt(0)
	v_lshlrev_b32_e32 v1, 24, v1
	v_and_b32_e32 v3, 0x7f000000, v1
	v_ffbh_u32_e32 v5, v3
	v_min_u32_e32 v5, 32, v5
	v_sub_u32_e64 v5, v5, 4 clamp
	v_lshlrev_b32_e32 v9, v5, v3
	v_lshlrev_b32_e32 v5, 23, v5
	v_lshrrev_b32_e32 v9, 4, v9
	v_add_u32_e32 v8, 0x1000000, v3
	v_sub_u32_e32 v5, v9, v5
	v_ashrrev_i32_e32 v8, 8, v8
	v_add_u32_e32 v5, 0x3c000000, v5
	v_and_or_b32 v5, v8, s6, v5
	v_cmp_ne_u32_e32 vcc, 0, v3
	v_cndmask_b32_e32 v3, 0, v5, vcc
	s_brev_b32 s6, 1
	v_and_or_b32 v1, v1, s6, v3
	v_cvt_i32_f32_e32 v9, v1
.LBB223_1429:
	s_mov_b64 s[6:7], 0
.LBB223_1430:
	s_andn2_b64 vcc, exec, s[6:7]
	s_cbranch_vccnz .LBB223_1432
; %bb.1431:
	global_load_ubyte v1, v[14:15], off
	s_movk_i32 s6, 0x7f00
	s_brev_b32 s7, 16
	s_waitcnt vmcnt(0)
	v_lshlrev_b16_e32 v3, 8, v1
	v_lshlrev_b32_e32 v1, 25, v1
	v_lshrrev_b32_e32 v5, 4, v1
	v_and_or_b32 v8, v3, s6, 0.5
	v_or_b32_e32 v5, 0x70000000, v5
	v_add_f32_e32 v8, -0.5, v8
	v_mul_f32_e32 v5, 0x7800000, v5
	v_cmp_gt_u32_e32 vcc, s7, v1
	v_bfe_i32 v3, v3, 0, 16
	v_cndmask_b32_e32 v1, v5, v8, vcc
	s_brev_b32 s6, 1
	v_and_or_b32 v1, v3, s6, v1
	v_cvt_i32_f32_e32 v9, v1
.LBB223_1432:
	s_mov_b64 s[6:7], 0
	s_mov_b64 s[12:13], -1
.LBB223_1433:
	s_andn2_b64 vcc, exec, s[6:7]
	s_mov_b64 s[6:7], 0
	s_cbranch_vccnz .LBB223_1444
; %bb.1434:
	s_cmp_gt_i32 s17, 14
	s_cbranch_scc0 .LBB223_1437
; %bb.1435:
	s_cmp_eq_u32 s17, 15
	s_cbranch_scc0 .LBB223_1440
; %bb.1436:
	global_load_ushort v1, v[14:15], off
	s_mov_b64 s[0:1], 0
	s_mov_b64 s[12:13], -1
	s_waitcnt vmcnt(0)
	v_lshlrev_b32_e32 v1, 16, v1
	v_cvt_i32_f32_e32 v9, v1
	s_branch .LBB223_1441
.LBB223_1437:
	s_mov_b64 s[14:15], -1
                                        ; implicit-def: $vgpr9
	s_branch .LBB223_1442
.LBB223_1438:
	s_andn2_saveexec_b64 s[6:7], s[6:7]
	s_cbranch_execz .LBB223_1419
.LBB223_1439:
	v_cmp_ne_u16_e32 vcc, 0, v1
	s_andn2_b64 s[12:13], s[12:13], exec
	s_and_b64 s[14:15], vcc, exec
	s_or_b64 s[12:13], s[12:13], s[14:15]
	s_or_b64 exec, exec, s[6:7]
	v_mov_b32_e32 v9, 0
	s_and_saveexec_b64 s[6:7], s[12:13]
	s_cbranch_execnz .LBB223_1420
	s_branch .LBB223_1421
.LBB223_1440:
	s_mov_b64 s[0:1], -1
                                        ; implicit-def: $vgpr9
.LBB223_1441:
	s_mov_b64 s[14:15], 0
.LBB223_1442:
	s_and_b64 vcc, exec, s[14:15]
	s_cbranch_vccz .LBB223_1444
; %bb.1443:
	s_cmp_lg_u32 s17, 11
	s_mov_b64 s[6:7], -1
	s_cselect_b64 s[0:1], -1, 0
.LBB223_1444:
	s_and_b64 vcc, exec, s[0:1]
	s_cbranch_vccnz .LBB223_1507
; %bb.1445:
	s_andn2_b64 vcc, exec, s[6:7]
	s_cbranch_vccnz .LBB223_1447
.LBB223_1446:
	global_load_ubyte v1, v[14:15], off
	s_mov_b64 s[12:13], -1
	s_waitcnt vmcnt(0)
	v_cmp_ne_u16_e32 vcc, 0, v1
	v_cndmask_b32_e64 v9, 0, 1, vcc
.LBB223_1447:
	s_branch .LBB223_1379
.LBB223_1448:
	s_and_b32 s6, 0xffff, s16
	s_cmp_lt_i32 s6, 5
	s_cbranch_scc1 .LBB223_1453
; %bb.1449:
	s_cmp_lt_i32 s6, 8
	s_cbranch_scc1 .LBB223_1454
; %bb.1450:
	;; [unrolled: 3-line block ×3, first 2 shown]
	s_cmp_gt_i32 s6, 9
	s_cbranch_scc0 .LBB223_1456
; %bb.1452:
	global_load_dwordx2 v[8:9], v[14:15], off
	s_mov_b64 s[0:1], 0
	s_waitcnt vmcnt(0)
	v_cvt_i32_f64_e32 v9, v[8:9]
	s_branch .LBB223_1457
.LBB223_1453:
	s_mov_b64 s[0:1], -1
                                        ; implicit-def: $vgpr9
	s_branch .LBB223_1475
.LBB223_1454:
	s_mov_b64 s[0:1], -1
                                        ; implicit-def: $vgpr9
	s_branch .LBB223_1463
.LBB223_1455:
	s_mov_b64 s[0:1], -1
                                        ; implicit-def: $vgpr9
	s_branch .LBB223_1460
.LBB223_1456:
	s_mov_b64 s[0:1], -1
                                        ; implicit-def: $vgpr9
.LBB223_1457:
	s_andn2_b64 vcc, exec, s[0:1]
	s_cbranch_vccnz .LBB223_1459
; %bb.1458:
	global_load_dword v1, v[14:15], off
	s_waitcnt vmcnt(0)
	v_cvt_i32_f32_e32 v9, v1
.LBB223_1459:
	s_mov_b64 s[0:1], 0
.LBB223_1460:
	s_andn2_b64 vcc, exec, s[0:1]
	s_cbranch_vccnz .LBB223_1462
; %bb.1461:
	global_load_dword v1, v[14:15], off
	s_waitcnt vmcnt(0)
	v_cvt_i16_f16_e32 v9, v1
.LBB223_1462:
	s_mov_b64 s[0:1], 0
.LBB223_1463:
	s_andn2_b64 vcc, exec, s[0:1]
	s_cbranch_vccnz .LBB223_1474
; %bb.1464:
	s_cmp_lt_i32 s6, 6
	s_cbranch_scc1 .LBB223_1467
; %bb.1465:
	s_cmp_gt_i32 s6, 6
	s_cbranch_scc0 .LBB223_1468
; %bb.1466:
	global_load_dwordx2 v[8:9], v[14:15], off
	s_mov_b64 s[0:1], 0
	s_waitcnt vmcnt(0)
	v_cvt_i32_f64_e32 v9, v[8:9]
	s_branch .LBB223_1469
.LBB223_1467:
	s_mov_b64 s[0:1], -1
                                        ; implicit-def: $vgpr9
	s_branch .LBB223_1472
.LBB223_1468:
	s_mov_b64 s[0:1], -1
                                        ; implicit-def: $vgpr9
.LBB223_1469:
	s_andn2_b64 vcc, exec, s[0:1]
	s_cbranch_vccnz .LBB223_1471
; %bb.1470:
	global_load_dword v1, v[14:15], off
	s_waitcnt vmcnt(0)
	v_cvt_i32_f32_e32 v9, v1
.LBB223_1471:
	s_mov_b64 s[0:1], 0
.LBB223_1472:
	s_andn2_b64 vcc, exec, s[0:1]
	s_cbranch_vccnz .LBB223_1474
; %bb.1473:
	global_load_ushort v1, v[14:15], off
	s_waitcnt vmcnt(0)
	v_cvt_i16_f16_e32 v9, v1
.LBB223_1474:
	s_mov_b64 s[0:1], 0
.LBB223_1475:
	s_andn2_b64 vcc, exec, s[0:1]
	s_cbranch_vccnz .LBB223_1495
; %bb.1476:
	s_cmp_lt_i32 s6, 2
	s_cbranch_scc1 .LBB223_1480
; %bb.1477:
	s_cmp_lt_i32 s6, 3
	s_cbranch_scc1 .LBB223_1481
; %bb.1478:
	s_cmp_gt_i32 s6, 3
	s_cbranch_scc0 .LBB223_1482
; %bb.1479:
	global_load_dwordx2 v[9:10], v[14:15], off
	s_mov_b64 s[0:1], 0
	s_branch .LBB223_1483
.LBB223_1480:
	s_mov_b64 s[0:1], -1
                                        ; implicit-def: $vgpr9
	s_branch .LBB223_1489
.LBB223_1481:
	s_mov_b64 s[0:1], -1
                                        ; implicit-def: $vgpr9
	s_branch .LBB223_1486
.LBB223_1482:
	s_mov_b64 s[0:1], -1
                                        ; implicit-def: $vgpr9
.LBB223_1483:
	s_andn2_b64 vcc, exec, s[0:1]
	s_cbranch_vccnz .LBB223_1485
; %bb.1484:
	global_load_dword v9, v[14:15], off
.LBB223_1485:
	s_mov_b64 s[0:1], 0
.LBB223_1486:
	s_andn2_b64 vcc, exec, s[0:1]
	s_cbranch_vccnz .LBB223_1488
; %bb.1487:
	global_load_ushort v9, v[14:15], off
.LBB223_1488:
	s_mov_b64 s[0:1], 0
.LBB223_1489:
	s_andn2_b64 vcc, exec, s[0:1]
	s_cbranch_vccnz .LBB223_1495
; %bb.1490:
	s_cmp_gt_i32 s6, 0
	s_cbranch_scc0 .LBB223_1492
; %bb.1491:
	global_load_sbyte v9, v[14:15], off
	s_mov_b64 s[0:1], 0
	s_branch .LBB223_1493
.LBB223_1492:
	s_mov_b64 s[0:1], -1
                                        ; implicit-def: $vgpr9
.LBB223_1493:
	s_andn2_b64 vcc, exec, s[0:1]
	s_cbranch_vccnz .LBB223_1495
; %bb.1494:
	global_load_ubyte v9, v[14:15], off
.LBB223_1495:
.LBB223_1496:
	v_mov_b32_e32 v1, s11
	v_add_co_u32_e32 v14, vcc, s10, v7
	s_cmp_lt_i32 s16, 11
	v_addc_co_u32_e32 v15, vcc, 0, v1, vcc
	s_cbranch_scc1 .LBB223_1503
; %bb.1497:
	s_and_b32 s14, 0xffff, s16
	s_cmp_gt_i32 s14, 25
	s_mov_b64 s[6:7], 0
	s_cbranch_scc0 .LBB223_1504
; %bb.1498:
	s_cmp_gt_i32 s14, 28
	s_cbranch_scc0 .LBB223_1505
; %bb.1499:
	s_cmp_gt_i32 s14, 43
	;; [unrolled: 3-line block ×3, first 2 shown]
	s_cbranch_scc0 .LBB223_1508
; %bb.1501:
	s_cmp_eq_u32 s14, 46
	s_mov_b64 s[12:13], 0
	s_cbranch_scc0 .LBB223_1509
; %bb.1502:
	global_load_dword v1, v[14:15], off
	s_mov_b64 s[0:1], 0
	s_mov_b64 s[10:11], -1
	s_waitcnt vmcnt(0)
	v_lshlrev_b32_e32 v1, 16, v1
	v_cvt_i32_f32_e32 v7, v1
	s_branch .LBB223_1510
.LBB223_1503:
	s_mov_b64 s[0:1], -1
	s_mov_b64 s[10:11], 0
                                        ; implicit-def: $vgpr7
	s_branch .LBB223_1572
.LBB223_1504:
	s_mov_b64 s[12:13], -1
	s_mov_b64 s[10:11], 0
	s_mov_b64 s[0:1], 0
                                        ; implicit-def: $vgpr7
	s_branch .LBB223_1537
.LBB223_1505:
	s_mov_b64 s[12:13], -1
	s_mov_b64 s[10:11], 0
	s_mov_b64 s[0:1], 0
                                        ; implicit-def: $vgpr7
	s_branch .LBB223_1520
.LBB223_1506:
	s_mov_b64 s[12:13], -1
	s_mov_b64 s[10:11], 0
	s_mov_b64 s[0:1], 0
                                        ; implicit-def: $vgpr7
	s_branch .LBB223_1515
.LBB223_1507:
	s_trap 2
	s_or_b64 s[2:3], s[2:3], exec
	s_cbranch_execz .LBB223_1446
	s_branch .LBB223_1447
.LBB223_1508:
	s_mov_b64 s[12:13], -1
	s_mov_b64 s[10:11], 0
	s_mov_b64 s[0:1], 0
                                        ; implicit-def: $vgpr7
	s_branch .LBB223_1510
.LBB223_1509:
	s_mov_b64 s[0:1], -1
                                        ; implicit-def: $vgpr7
	s_mov_b64 s[10:11], 0
.LBB223_1510:
	s_and_b64 vcc, exec, s[12:13]
	s_cbranch_vccz .LBB223_1514
; %bb.1511:
	s_cmp_eq_u32 s14, 44
	s_cbranch_scc0 .LBB223_1513
; %bb.1512:
	global_load_ubyte v1, v[14:15], off
	s_mov_b64 s[0:1], 0
	s_mov_b64 s[10:11], -1
	s_waitcnt vmcnt(0)
	v_lshlrev_b32_e32 v3, 23, v1
	v_cvt_i32_f32_e32 v3, v3
	v_cmp_ne_u32_e32 vcc, 0, v1
	v_cndmask_b32_e32 v7, 0, v3, vcc
	s_branch .LBB223_1514
.LBB223_1513:
	s_mov_b64 s[0:1], -1
                                        ; implicit-def: $vgpr7
.LBB223_1514:
	s_mov_b64 s[12:13], 0
.LBB223_1515:
	s_and_b64 vcc, exec, s[12:13]
	s_cbranch_vccz .LBB223_1519
; %bb.1516:
	s_cmp_eq_u32 s14, 29
	s_cbranch_scc0 .LBB223_1518
; %bb.1517:
	global_load_dwordx2 v[7:8], v[14:15], off
	s_mov_b64 s[0:1], 0
	s_mov_b64 s[10:11], -1
	s_branch .LBB223_1519
.LBB223_1518:
	s_mov_b64 s[0:1], -1
                                        ; implicit-def: $vgpr7
.LBB223_1519:
	s_mov_b64 s[12:13], 0
.LBB223_1520:
	s_and_b64 vcc, exec, s[12:13]
	s_cbranch_vccz .LBB223_1536
; %bb.1521:
	s_cmp_lt_i32 s14, 27
	s_cbranch_scc1 .LBB223_1524
; %bb.1522:
	s_cmp_gt_i32 s14, 27
	s_cbranch_scc0 .LBB223_1525
; %bb.1523:
	global_load_dword v7, v[14:15], off
	s_mov_b64 s[10:11], 0
	s_branch .LBB223_1526
.LBB223_1524:
	s_mov_b64 s[10:11], -1
                                        ; implicit-def: $vgpr7
	s_branch .LBB223_1529
.LBB223_1525:
	s_mov_b64 s[10:11], -1
                                        ; implicit-def: $vgpr7
.LBB223_1526:
	s_andn2_b64 vcc, exec, s[10:11]
	s_cbranch_vccnz .LBB223_1528
; %bb.1527:
	global_load_ushort v7, v[14:15], off
.LBB223_1528:
	s_mov_b64 s[10:11], 0
.LBB223_1529:
	s_andn2_b64 vcc, exec, s[10:11]
	s_cbranch_vccnz .LBB223_1535
; %bb.1530:
	global_load_ubyte v1, v[14:15], off
	s_movk_i32 s10, 0x7f
	s_mov_b64 s[12:13], 0
	s_waitcnt vmcnt(0)
	v_cmp_lt_i16_e32 vcc, s10, v1
	s_and_saveexec_b64 s[10:11], vcc
	s_xor_b64 s[10:11], exec, s[10:11]
	s_cbranch_execz .LBB223_1547
; %bb.1531:
	s_movk_i32 s12, 0x80
	v_cmp_ne_u16_e32 vcc, s12, v1
	s_and_b64 s[12:13], vcc, exec
	s_andn2_saveexec_b64 s[10:11], s[10:11]
	s_cbranch_execnz .LBB223_1548
.LBB223_1532:
	s_or_b64 exec, exec, s[10:11]
	v_mov_b32_e32 v7, 0
	s_and_saveexec_b64 s[10:11], s[12:13]
	s_cbranch_execz .LBB223_1534
.LBB223_1533:
	v_lshlrev_b32_e32 v3, 24, v1
	v_and_b32_e32 v1, 0xffff, v1
	v_and_b32_e32 v5, 7, v1
	v_ffbh_u32_e32 v8, v5
	v_min_u32_e32 v8, 32, v8
	v_subrev_u32_e32 v10, 28, v8
	v_bfe_u32 v7, v1, 3, 4
	v_lshlrev_b32_e32 v1, v10, v1
	v_sub_u32_e32 v8, 29, v8
	v_and_b32_e32 v1, 7, v1
	v_cmp_eq_u32_e32 vcc, 0, v7
	v_cndmask_b32_e32 v7, v7, v8, vcc
	v_cndmask_b32_e32 v1, v5, v1, vcc
	v_mov_b32_e32 v5, 0x3b800000
	v_lshlrev_b32_e32 v1, 20, v1
	v_and_b32_e32 v3, 0x80000000, v3
	v_lshl_add_u32 v5, v7, 23, v5
	v_or3_b32 v1, v3, v5, v1
	v_cvt_i32_f32_e32 v7, v1
.LBB223_1534:
	s_or_b64 exec, exec, s[10:11]
.LBB223_1535:
	s_mov_b64 s[10:11], -1
.LBB223_1536:
	s_mov_b64 s[12:13], 0
.LBB223_1537:
	s_and_b64 vcc, exec, s[12:13]
	s_cbranch_vccz .LBB223_1568
; %bb.1538:
	s_cmp_gt_i32 s14, 22
	s_cbranch_scc0 .LBB223_1546
; %bb.1539:
	s_cmp_lt_i32 s14, 24
	s_cbranch_scc1 .LBB223_1549
; %bb.1540:
	s_cmp_gt_i32 s14, 24
	s_cbranch_scc0 .LBB223_1550
; %bb.1541:
	global_load_ubyte v1, v[14:15], off
	s_movk_i32 s6, 0x7f
	s_mov_b64 s[10:11], 0
	s_waitcnt vmcnt(0)
	v_cmp_lt_i16_e32 vcc, s6, v1
	s_and_saveexec_b64 s[6:7], vcc
	s_xor_b64 s[6:7], exec, s[6:7]
	s_cbranch_execz .LBB223_1562
; %bb.1542:
	s_movk_i32 s10, 0x80
	v_cmp_ne_u16_e32 vcc, s10, v1
	s_and_b64 s[10:11], vcc, exec
	s_andn2_saveexec_b64 s[6:7], s[6:7]
	s_cbranch_execnz .LBB223_1563
.LBB223_1543:
	s_or_b64 exec, exec, s[6:7]
	v_mov_b32_e32 v7, 0
	s_and_saveexec_b64 s[6:7], s[10:11]
	s_cbranch_execz .LBB223_1545
.LBB223_1544:
	v_lshlrev_b32_e32 v3, 24, v1
	v_and_b32_e32 v1, 0xffff, v1
	v_and_b32_e32 v5, 3, v1
	v_ffbh_u32_e32 v8, v5
	v_min_u32_e32 v8, 32, v8
	v_subrev_u32_e32 v10, 29, v8
	v_bfe_u32 v7, v1, 2, 5
	v_lshlrev_b32_e32 v1, v10, v1
	v_sub_u32_e32 v8, 30, v8
	v_and_b32_e32 v1, 3, v1
	v_cmp_eq_u32_e32 vcc, 0, v7
	v_cndmask_b32_e32 v7, v7, v8, vcc
	v_cndmask_b32_e32 v1, v5, v1, vcc
	v_mov_b32_e32 v5, 0x37800000
	v_lshlrev_b32_e32 v1, 21, v1
	v_and_b32_e32 v3, 0x80000000, v3
	v_lshl_add_u32 v5, v7, 23, v5
	v_or3_b32 v1, v3, v5, v1
	v_cvt_i32_f32_e32 v7, v1
.LBB223_1545:
	s_or_b64 exec, exec, s[6:7]
	s_mov_b64 s[6:7], 0
	s_branch .LBB223_1551
.LBB223_1546:
	s_mov_b64 s[6:7], -1
                                        ; implicit-def: $vgpr7
	s_branch .LBB223_1557
.LBB223_1547:
	s_andn2_saveexec_b64 s[10:11], s[10:11]
	s_cbranch_execz .LBB223_1532
.LBB223_1548:
	v_cmp_ne_u16_e32 vcc, 0, v1
	s_andn2_b64 s[12:13], s[12:13], exec
	s_and_b64 s[18:19], vcc, exec
	s_or_b64 s[12:13], s[12:13], s[18:19]
	s_or_b64 exec, exec, s[10:11]
	v_mov_b32_e32 v7, 0
	s_and_saveexec_b64 s[10:11], s[12:13]
	s_cbranch_execnz .LBB223_1533
	s_branch .LBB223_1534
.LBB223_1549:
	s_mov_b64 s[6:7], -1
                                        ; implicit-def: $vgpr7
	s_branch .LBB223_1554
.LBB223_1550:
	s_mov_b64 s[6:7], -1
                                        ; implicit-def: $vgpr7
.LBB223_1551:
	s_and_b64 vcc, exec, s[6:7]
	s_cbranch_vccz .LBB223_1553
; %bb.1552:
	global_load_ubyte v1, v[14:15], off
	s_mov_b32 s6, 0x7f800000
	s_waitcnt vmcnt(0)
	v_lshlrev_b32_e32 v1, 24, v1
	v_and_b32_e32 v3, 0x7f000000, v1
	v_ffbh_u32_e32 v5, v3
	v_min_u32_e32 v5, 32, v5
	v_sub_u32_e64 v5, v5, 4 clamp
	v_lshlrev_b32_e32 v8, v5, v3
	v_lshlrev_b32_e32 v5, 23, v5
	v_lshrrev_b32_e32 v8, 4, v8
	v_add_u32_e32 v7, 0x1000000, v3
	v_sub_u32_e32 v5, v8, v5
	v_ashrrev_i32_e32 v7, 8, v7
	v_add_u32_e32 v5, 0x3c000000, v5
	v_and_or_b32 v5, v7, s6, v5
	v_cmp_ne_u32_e32 vcc, 0, v3
	v_cndmask_b32_e32 v3, 0, v5, vcc
	s_brev_b32 s6, 1
	v_and_or_b32 v1, v1, s6, v3
	v_cvt_i32_f32_e32 v7, v1
.LBB223_1553:
	s_mov_b64 s[6:7], 0
.LBB223_1554:
	s_andn2_b64 vcc, exec, s[6:7]
	s_cbranch_vccnz .LBB223_1556
; %bb.1555:
	global_load_ubyte v1, v[14:15], off
	s_movk_i32 s6, 0x7f00
	s_brev_b32 s7, 16
	s_waitcnt vmcnt(0)
	v_lshlrev_b16_e32 v3, 8, v1
	v_lshlrev_b32_e32 v1, 25, v1
	v_lshrrev_b32_e32 v5, 4, v1
	v_and_or_b32 v7, v3, s6, 0.5
	v_or_b32_e32 v5, 0x70000000, v5
	v_add_f32_e32 v7, -0.5, v7
	v_mul_f32_e32 v5, 0x7800000, v5
	v_cmp_gt_u32_e32 vcc, s7, v1
	v_bfe_i32 v3, v3, 0, 16
	v_cndmask_b32_e32 v1, v5, v7, vcc
	s_brev_b32 s6, 1
	v_and_or_b32 v1, v3, s6, v1
	v_cvt_i32_f32_e32 v7, v1
.LBB223_1556:
	s_mov_b64 s[6:7], 0
	s_mov_b64 s[10:11], -1
.LBB223_1557:
	s_andn2_b64 vcc, exec, s[6:7]
	s_mov_b64 s[6:7], 0
	s_cbranch_vccnz .LBB223_1568
; %bb.1558:
	s_cmp_gt_i32 s14, 14
	s_cbranch_scc0 .LBB223_1561
; %bb.1559:
	s_cmp_eq_u32 s14, 15
	s_cbranch_scc0 .LBB223_1564
; %bb.1560:
	global_load_ushort v1, v[14:15], off
	s_mov_b64 s[0:1], 0
	s_mov_b64 s[10:11], -1
	s_waitcnt vmcnt(0)
	v_lshlrev_b32_e32 v1, 16, v1
	v_cvt_i32_f32_e32 v7, v1
	s_branch .LBB223_1565
.LBB223_1561:
	s_mov_b64 s[12:13], -1
                                        ; implicit-def: $vgpr7
	s_branch .LBB223_1566
.LBB223_1562:
	s_andn2_saveexec_b64 s[6:7], s[6:7]
	s_cbranch_execz .LBB223_1543
.LBB223_1563:
	v_cmp_ne_u16_e32 vcc, 0, v1
	s_andn2_b64 s[10:11], s[10:11], exec
	s_and_b64 s[12:13], vcc, exec
	s_or_b64 s[10:11], s[10:11], s[12:13]
	s_or_b64 exec, exec, s[6:7]
	v_mov_b32_e32 v7, 0
	s_and_saveexec_b64 s[6:7], s[10:11]
	s_cbranch_execnz .LBB223_1544
	s_branch .LBB223_1545
.LBB223_1564:
	s_mov_b64 s[0:1], -1
                                        ; implicit-def: $vgpr7
.LBB223_1565:
	s_mov_b64 s[12:13], 0
.LBB223_1566:
	s_and_b64 vcc, exec, s[12:13]
	s_cbranch_vccz .LBB223_1568
; %bb.1567:
	s_cmp_lg_u32 s14, 11
	s_mov_b64 s[6:7], -1
	s_cselect_b64 s[0:1], -1, 0
.LBB223_1568:
	s_and_b64 vcc, exec, s[0:1]
	s_cbranch_vccnz .LBB223_2101
; %bb.1569:
	s_andn2_b64 vcc, exec, s[6:7]
	s_cbranch_vccnz .LBB223_1571
.LBB223_1570:
	global_load_ubyte v1, v[14:15], off
	s_mov_b64 s[10:11], -1
	s_waitcnt vmcnt(0)
	v_cmp_ne_u16_e32 vcc, 0, v1
	v_cndmask_b32_e64 v7, 0, 1, vcc
.LBB223_1571:
	s_mov_b64 s[0:1], 0
.LBB223_1572:
	s_and_b64 vcc, exec, s[0:1]
	s_cbranch_vccz .LBB223_1621
; %bb.1573:
	s_and_b32 s6, 0xffff, s16
	s_cmp_lt_i32 s6, 5
	s_cbranch_scc1 .LBB223_1578
; %bb.1574:
	s_cmp_lt_i32 s6, 8
	s_cbranch_scc1 .LBB223_1579
; %bb.1575:
	;; [unrolled: 3-line block ×3, first 2 shown]
	s_cmp_gt_i32 s6, 9
	s_cbranch_scc0 .LBB223_1581
; %bb.1577:
	global_load_dwordx2 v[7:8], v[14:15], off
	s_mov_b64 s[0:1], 0
	s_waitcnt vmcnt(0)
	v_cvt_i32_f64_e32 v7, v[7:8]
	s_branch .LBB223_1582
.LBB223_1578:
	s_mov_b64 s[0:1], -1
                                        ; implicit-def: $vgpr7
	s_branch .LBB223_1600
.LBB223_1579:
	s_mov_b64 s[0:1], -1
                                        ; implicit-def: $vgpr7
	s_branch .LBB223_1588
.LBB223_1580:
	s_mov_b64 s[0:1], -1
                                        ; implicit-def: $vgpr7
	s_branch .LBB223_1585
.LBB223_1581:
	s_mov_b64 s[0:1], -1
                                        ; implicit-def: $vgpr7
.LBB223_1582:
	s_andn2_b64 vcc, exec, s[0:1]
	s_cbranch_vccnz .LBB223_1584
; %bb.1583:
	global_load_dword v1, v[14:15], off
	s_waitcnt vmcnt(0)
	v_cvt_i32_f32_e32 v7, v1
.LBB223_1584:
	s_mov_b64 s[0:1], 0
.LBB223_1585:
	s_andn2_b64 vcc, exec, s[0:1]
	s_cbranch_vccnz .LBB223_1587
; %bb.1586:
	global_load_dword v1, v[14:15], off
	s_waitcnt vmcnt(0)
	v_cvt_i16_f16_e32 v7, v1
.LBB223_1587:
	s_mov_b64 s[0:1], 0
.LBB223_1588:
	s_andn2_b64 vcc, exec, s[0:1]
	s_cbranch_vccnz .LBB223_1599
; %bb.1589:
	s_cmp_lt_i32 s6, 6
	s_cbranch_scc1 .LBB223_1592
; %bb.1590:
	s_cmp_gt_i32 s6, 6
	s_cbranch_scc0 .LBB223_1593
; %bb.1591:
	global_load_dwordx2 v[7:8], v[14:15], off
	s_mov_b64 s[0:1], 0
	s_waitcnt vmcnt(0)
	v_cvt_i32_f64_e32 v7, v[7:8]
	s_branch .LBB223_1594
.LBB223_1592:
	s_mov_b64 s[0:1], -1
                                        ; implicit-def: $vgpr7
	s_branch .LBB223_1597
.LBB223_1593:
	s_mov_b64 s[0:1], -1
                                        ; implicit-def: $vgpr7
.LBB223_1594:
	s_andn2_b64 vcc, exec, s[0:1]
	s_cbranch_vccnz .LBB223_1596
; %bb.1595:
	global_load_dword v1, v[14:15], off
	s_waitcnt vmcnt(0)
	v_cvt_i32_f32_e32 v7, v1
.LBB223_1596:
	s_mov_b64 s[0:1], 0
.LBB223_1597:
	s_andn2_b64 vcc, exec, s[0:1]
	s_cbranch_vccnz .LBB223_1599
; %bb.1598:
	global_load_ushort v1, v[14:15], off
	s_waitcnt vmcnt(0)
	v_cvt_i16_f16_e32 v7, v1
.LBB223_1599:
	s_mov_b64 s[0:1], 0
.LBB223_1600:
	s_andn2_b64 vcc, exec, s[0:1]
	s_cbranch_vccnz .LBB223_1620
; %bb.1601:
	s_cmp_lt_i32 s6, 2
	s_cbranch_scc1 .LBB223_1605
; %bb.1602:
	s_cmp_lt_i32 s6, 3
	s_cbranch_scc1 .LBB223_1606
; %bb.1603:
	s_cmp_gt_i32 s6, 3
	s_cbranch_scc0 .LBB223_1607
; %bb.1604:
	global_load_dwordx2 v[7:8], v[14:15], off
	s_mov_b64 s[0:1], 0
	s_branch .LBB223_1608
.LBB223_1605:
	s_mov_b64 s[0:1], -1
                                        ; implicit-def: $vgpr7
	s_branch .LBB223_1614
.LBB223_1606:
	s_mov_b64 s[0:1], -1
                                        ; implicit-def: $vgpr7
	s_branch .LBB223_1611
.LBB223_1607:
	s_mov_b64 s[0:1], -1
                                        ; implicit-def: $vgpr7
.LBB223_1608:
	s_andn2_b64 vcc, exec, s[0:1]
	s_cbranch_vccnz .LBB223_1610
; %bb.1609:
	global_load_dword v7, v[14:15], off
.LBB223_1610:
	s_mov_b64 s[0:1], 0
.LBB223_1611:
	s_andn2_b64 vcc, exec, s[0:1]
	s_cbranch_vccnz .LBB223_1613
; %bb.1612:
	global_load_ushort v7, v[14:15], off
.LBB223_1613:
	s_mov_b64 s[0:1], 0
.LBB223_1614:
	s_andn2_b64 vcc, exec, s[0:1]
	s_cbranch_vccnz .LBB223_1620
; %bb.1615:
	s_cmp_gt_i32 s6, 0
	s_cbranch_scc0 .LBB223_1617
; %bb.1616:
	global_load_sbyte v7, v[14:15], off
	s_mov_b64 s[0:1], 0
	s_branch .LBB223_1618
.LBB223_1617:
	s_mov_b64 s[0:1], -1
                                        ; implicit-def: $vgpr7
.LBB223_1618:
	s_andn2_b64 vcc, exec, s[0:1]
	s_cbranch_vccnz .LBB223_1620
; %bb.1619:
	global_load_ubyte v7, v[14:15], off
.LBB223_1620:
	s_mov_b64 s[10:11], -1
.LBB223_1621:
	s_andn2_b64 vcc, exec, s[10:11]
	s_cbranch_vccnz .LBB223_2055
; %bb.1622:
	s_load_dword s0, s[4:5], 0x160
	s_load_dword s1, s[34:35], 0x15c
	v_cmp_lt_u16_e32 vcc, 14, v13
	s_waitcnt lgkmcnt(0)
	s_lshr_b32 s0, s0, 16
	s_sext_i32_i16 s15, s0
	s_lshr_b32 s16, s15, 15
	v_ashrrev_i32_sdwa v1, v13, s15 dst_sel:DWORD dst_unused:UNUSED_PAD src0_sel:WORD_0 src1_sel:DWORD
	v_mov_b32_e32 v3, s16
	s_and_b32 s14, s1, 0xff
	v_cndmask_b32_e32 v1, v1, v3, vcc
	v_mov_b32_e32 v3, s9
	v_add_co_u32_e32 v5, vcc, s8, v6
	s_cmp_lt_i32 s14, 11
	v_addc_co_u32_e32 v6, vcc, 0, v3, vcc
	s_cbranch_scc1 .LBB223_1700
; %bb.1623:
	s_and_b32 s17, 0xffff, s14
	s_mov_b64 s[10:11], -1
	s_mov_b64 s[4:5], 0
	s_cmp_gt_i32 s17, 25
	s_mov_b64 s[6:7], 0
	s_mov_b64 s[0:1], 0
	s_cbranch_scc0 .LBB223_1656
; %bb.1624:
	s_cmp_gt_i32 s17, 28
	s_cbranch_scc0 .LBB223_1639
; %bb.1625:
	s_cmp_gt_i32 s17, 43
	;; [unrolled: 3-line block ×3, first 2 shown]
	s_cbranch_scc0 .LBB223_1629
; %bb.1627:
	s_mov_b64 s[0:1], -1
	s_mov_b64 s[10:11], 0
	s_cmp_eq_u32 s17, 46
	s_cbranch_scc0 .LBB223_1629
; %bb.1628:
	v_cvt_f32_i32_sdwa v3, sext(v1) dst_sel:DWORD dst_unused:UNUSED_PAD src0_sel:WORD_0
	s_movk_i32 s6, 0x7fff
	s_mov_b64 s[0:1], 0
	s_waitcnt vmcnt(0)
	v_bfe_u32 v8, v3, 16, 1
	v_add3_u32 v3, v3, v8, s6
	v_lshrrev_b32_e32 v3, 16, v3
	global_store_dword v[5:6], v3, off
	s_mov_b64 s[6:7], -1
.LBB223_1629:
	s_and_b64 vcc, exec, s[10:11]
	s_cbranch_vccz .LBB223_1634
; %bb.1630:
	s_cmp_eq_u32 s17, 44
	s_mov_b64 s[0:1], -1
	s_cbranch_scc0 .LBB223_1634
; %bb.1631:
	v_cvt_f32_i32_sdwa v3, sext(v1) dst_sel:DWORD dst_unused:UNUSED_PAD src0_sel:WORD_0
	s_movk_i32 s0, 0xff
	s_waitcnt vmcnt(0)
	v_mov_b32_e32 v10, 0xff
	v_bfe_u32 v8, v3, 23, 8
	v_cmp_ne_u32_e32 vcc, s0, v8
	s_and_saveexec_b64 s[6:7], vcc
; %bb.1632:
	s_mov_b32 s0, 0x3fffff
	v_lshrrev_b32_e32 v10, 23, v3
	v_and_b32_e32 v12, 0x400000, v3
	v_and_or_b32 v3, v3, s0, v8
	v_cmp_ne_u32_e32 vcc, 0, v12
	v_cmp_ne_u32_e64 s[0:1], 0, v3
	s_and_b64 s[0:1], vcc, s[0:1]
	v_cndmask_b32_e64 v3, 0, 1, s[0:1]
	v_add_u32_e32 v10, v10, v3
; %bb.1633:
	s_or_b64 exec, exec, s[6:7]
	s_mov_b64 s[0:1], 0
	s_mov_b64 s[6:7], -1
	global_store_byte v[5:6], v10, off
.LBB223_1634:
	s_mov_b64 s[10:11], 0
.LBB223_1635:
	s_and_b64 vcc, exec, s[10:11]
	s_cbranch_vccz .LBB223_1638
; %bb.1636:
	s_cmp_eq_u32 s17, 29
	s_mov_b64 s[0:1], -1
	s_cbranch_scc0 .LBB223_1638
; %bb.1637:
	s_waitcnt vmcnt(0)
	v_bfe_i32 v12, v1, 0, 16
	v_ashrrev_i32_e32 v13, 31, v12
	global_store_dwordx2 v[5:6], v[12:13], off
	s_mov_b64 s[0:1], 0
	s_mov_b64 s[6:7], -1
.LBB223_1638:
	s_mov_b64 s[10:11], 0
.LBB223_1639:
	s_and_b64 vcc, exec, s[10:11]
	s_cbranch_vccz .LBB223_1655
; %bb.1640:
	s_cmp_lt_i32 s17, 27
	s_mov_b64 s[6:7], -1
	s_cbranch_scc1 .LBB223_1646
; %bb.1641:
	s_cmp_gt_i32 s17, 27
	s_cbranch_scc0 .LBB223_1643
; %bb.1642:
	v_bfe_i32 v3, v1, 0, 16
	s_mov_b64 s[6:7], 0
	global_store_dword v[5:6], v3, off
.LBB223_1643:
	s_andn2_b64 vcc, exec, s[6:7]
	s_cbranch_vccnz .LBB223_1645
; %bb.1644:
	global_store_short v[5:6], v1, off
.LBB223_1645:
	s_mov_b64 s[6:7], 0
.LBB223_1646:
	s_andn2_b64 vcc, exec, s[6:7]
	s_cbranch_vccnz .LBB223_1654
; %bb.1647:
	v_cvt_f32_i32_sdwa v3, sext(v1) dst_sel:DWORD dst_unused:UNUSED_PAD src0_sel:WORD_0
	s_mov_b32 s6, 0x43800000
	s_waitcnt vmcnt(0)
	v_mov_b32_e32 v10, 0x80
	v_and_b32_e32 v8, 0x7fffffff, v3
	v_cmp_gt_u32_e32 vcc, s6, v8
	s_and_saveexec_b64 s[6:7], vcc
	s_cbranch_execz .LBB223_1653
; %bb.1648:
	s_mov_b32 s10, 0x3bffffff
	v_cmp_lt_u32_e32 vcc, s10, v8
	s_mov_b64 s[10:11], 0
                                        ; implicit-def: $vgpr8
	s_and_saveexec_b64 s[12:13], vcc
	s_xor_b64 s[12:13], exec, s[12:13]
	s_cbranch_execz .LBB223_2102
; %bb.1649:
	v_bfe_u32 v8, v3, 20, 1
	s_mov_b32 s18, 0x487ffff
	v_add3_u32 v8, v3, v8, s18
	s_mov_b64 s[10:11], exec
	v_lshrrev_b32_e32 v8, 20, v8
	s_andn2_saveexec_b64 s[12:13], s[12:13]
	s_cbranch_execnz .LBB223_2103
.LBB223_1650:
	s_or_b64 exec, exec, s[12:13]
	v_mov_b32_e32 v10, 0
	s_and_saveexec_b64 s[12:13], s[10:11]
.LBB223_1651:
	v_lshrrev_b32_e32 v3, 24, v3
	s_movk_i32 s10, 0x80
	v_and_or_b32 v10, v3, s10, v8
.LBB223_1652:
	s_or_b64 exec, exec, s[12:13]
.LBB223_1653:
	s_or_b64 exec, exec, s[6:7]
	global_store_byte v[5:6], v10, off
.LBB223_1654:
	s_mov_b64 s[6:7], -1
.LBB223_1655:
	s_mov_b64 s[10:11], 0
.LBB223_1656:
	s_and_b64 vcc, exec, s[10:11]
	s_cbranch_vccz .LBB223_1696
; %bb.1657:
	s_cmp_gt_i32 s17, 22
	s_mov_b64 s[4:5], -1
	s_cbranch_scc0 .LBB223_1689
; %bb.1658:
	s_cmp_lt_i32 s17, 24
	s_cbranch_scc1 .LBB223_1678
; %bb.1659:
	s_cmp_gt_i32 s17, 24
	s_cbranch_scc0 .LBB223_1667
; %bb.1660:
	v_cvt_f32_i32_sdwa v3, sext(v1) dst_sel:DWORD dst_unused:UNUSED_PAD src0_sel:WORD_0
	s_mov_b32 s4, 0x47800000
	s_waitcnt vmcnt(0)
	v_mov_b32_e32 v10, 0x80
	v_and_b32_e32 v8, 0x7fffffff, v3
	v_cmp_gt_u32_e32 vcc, s4, v8
	s_and_saveexec_b64 s[4:5], vcc
	s_cbranch_execz .LBB223_1666
; %bb.1661:
	s_mov_b32 s6, 0x37ffffff
	v_cmp_lt_u32_e32 vcc, s6, v8
	s_mov_b64 s[6:7], 0
                                        ; implicit-def: $vgpr8
	s_and_saveexec_b64 s[10:11], vcc
	s_xor_b64 s[10:11], exec, s[10:11]
	s_cbranch_execz .LBB223_2105
; %bb.1662:
	v_bfe_u32 v8, v3, 21, 1
	s_mov_b32 s12, 0x88fffff
	v_add3_u32 v8, v3, v8, s12
	s_mov_b64 s[6:7], exec
	v_lshrrev_b32_e32 v8, 21, v8
	s_andn2_saveexec_b64 s[10:11], s[10:11]
	s_cbranch_execnz .LBB223_2106
.LBB223_1663:
	s_or_b64 exec, exec, s[10:11]
	v_mov_b32_e32 v10, 0
	s_and_saveexec_b64 s[10:11], s[6:7]
.LBB223_1664:
	v_lshrrev_b32_e32 v3, 24, v3
	s_movk_i32 s6, 0x80
	v_and_or_b32 v10, v3, s6, v8
.LBB223_1665:
	s_or_b64 exec, exec, s[10:11]
.LBB223_1666:
	s_or_b64 exec, exec, s[4:5]
	s_mov_b64 s[4:5], 0
	global_store_byte v[5:6], v10, off
.LBB223_1667:
	s_and_b64 vcc, exec, s[4:5]
	s_cbranch_vccz .LBB223_1677
; %bb.1668:
	v_cvt_f32_i32_sdwa v3, sext(v1) dst_sel:DWORD dst_unused:UNUSED_PAD src0_sel:WORD_0
	s_mov_b32 s4, 0x43f00000
                                        ; implicit-def: $vgpr8
	s_waitcnt vmcnt(0)
	v_and_b32_e32 v10, 0x7fffffff, v3
	v_cmp_gt_u32_e32 vcc, s4, v10
	s_and_saveexec_b64 s[4:5], vcc
	s_xor_b64 s[4:5], exec, s[4:5]
	s_cbranch_execz .LBB223_1674
; %bb.1669:
	s_mov_b32 s6, 0x3c7fffff
	v_cmp_lt_u32_e32 vcc, s6, v10
                                        ; implicit-def: $vgpr8
	s_and_saveexec_b64 s[6:7], vcc
	s_xor_b64 s[6:7], exec, s[6:7]
; %bb.1670:
	v_bfe_u32 v8, v3, 20, 1
	s_mov_b32 s10, 0x407ffff
	v_add3_u32 v8, v3, v8, s10
	v_lshrrev_b32_e32 v10, 20, v8
	v_and_b32_e32 v8, 0xff00000, v8
	s_mov_b32 s10, 0x7f00000
	v_mov_b32_e32 v12, 0x7e
	v_cmp_ne_u32_e32 vcc, s10, v8
	v_cndmask_b32_e32 v8, v12, v10, vcc
; %bb.1671:
	s_andn2_saveexec_b64 s[6:7], s[6:7]
; %bb.1672:
	s_mov_b32 s10, 0x46800000
	v_add_f32_e64 v8, |v3|, s10
; %bb.1673:
	s_or_b64 exec, exec, s[6:7]
                                        ; implicit-def: $vgpr10
.LBB223_1674:
	s_andn2_saveexec_b64 s[4:5], s[4:5]
; %bb.1675:
	s_mov_b32 s6, 0x7f800000
	v_mov_b32_e32 v8, 0x7e
	v_mov_b32_e32 v12, 0x7f
	v_cmp_lt_u32_e32 vcc, s6, v10
	v_cndmask_b32_e32 v8, v8, v12, vcc
; %bb.1676:
	s_or_b64 exec, exec, s[4:5]
	v_lshrrev_b32_e32 v3, 24, v3
	s_movk_i32 s4, 0x80
	v_and_or_b32 v3, v3, s4, v8
	global_store_byte v[5:6], v3, off
.LBB223_1677:
	s_mov_b64 s[4:5], 0
.LBB223_1678:
	s_andn2_b64 vcc, exec, s[4:5]
	s_cbranch_vccnz .LBB223_1688
; %bb.1679:
	v_cvt_f32_i32_sdwa v3, sext(v1) dst_sel:DWORD dst_unused:UNUSED_PAD src0_sel:WORD_0
	s_mov_b32 s4, 0x47800000
                                        ; implicit-def: $vgpr8
	s_waitcnt vmcnt(0)
	v_and_b32_e32 v10, 0x7fffffff, v3
	v_cmp_gt_u32_e32 vcc, s4, v10
	s_and_saveexec_b64 s[4:5], vcc
	s_xor_b64 s[4:5], exec, s[4:5]
	s_cbranch_execz .LBB223_1685
; %bb.1680:
	s_mov_b32 s6, 0x387fffff
	v_cmp_lt_u32_e32 vcc, s6, v10
                                        ; implicit-def: $vgpr8
	s_and_saveexec_b64 s[6:7], vcc
	s_xor_b64 s[6:7], exec, s[6:7]
; %bb.1681:
	v_bfe_u32 v8, v3, 21, 1
	s_mov_b32 s10, 0x80fffff
	v_add3_u32 v8, v3, v8, s10
	v_lshrrev_b32_e32 v8, 21, v8
; %bb.1682:
	s_andn2_saveexec_b64 s[6:7], s[6:7]
; %bb.1683:
	s_mov_b32 s10, 0x43000000
	v_add_f32_e64 v8, |v3|, s10
; %bb.1684:
	s_or_b64 exec, exec, s[6:7]
                                        ; implicit-def: $vgpr10
.LBB223_1685:
	s_andn2_saveexec_b64 s[4:5], s[4:5]
; %bb.1686:
	s_mov_b32 s6, 0x7f800000
	v_mov_b32_e32 v8, 0x7c
	v_mov_b32_e32 v12, 0x7f
	v_cmp_lt_u32_e32 vcc, s6, v10
	v_cndmask_b32_e32 v8, v8, v12, vcc
; %bb.1687:
	s_or_b64 exec, exec, s[4:5]
	v_lshrrev_b32_e32 v3, 24, v3
	s_movk_i32 s4, 0x80
	v_and_or_b32 v3, v3, s4, v8
	global_store_byte v[5:6], v3, off
.LBB223_1688:
	s_mov_b64 s[4:5], 0
	s_mov_b64 s[6:7], -1
.LBB223_1689:
	s_andn2_b64 vcc, exec, s[4:5]
	s_mov_b64 s[4:5], 0
	s_cbranch_vccnz .LBB223_1696
; %bb.1690:
	s_cmp_gt_i32 s17, 14
	s_mov_b64 s[10:11], -1
	s_cbranch_scc0 .LBB223_1694
; %bb.1691:
	s_cmp_eq_u32 s17, 15
	s_mov_b64 s[0:1], -1
	s_cbranch_scc0 .LBB223_1693
; %bb.1692:
	v_cvt_f32_i32_sdwa v3, sext(v1) dst_sel:DWORD dst_unused:UNUSED_PAD src0_sel:WORD_0
	s_movk_i32 s4, 0x7fff
	s_mov_b64 s[0:1], 0
	s_mov_b64 s[6:7], -1
	s_waitcnt vmcnt(0)
	v_bfe_u32 v8, v3, 16, 1
	v_add3_u32 v3, v3, v8, s4
	global_store_short_d16_hi v[5:6], v3, off
.LBB223_1693:
	s_mov_b64 s[10:11], 0
.LBB223_1694:
	s_mov_b64 s[4:5], 0
	s_and_b64 vcc, exec, s[10:11]
	s_cbranch_vccz .LBB223_1696
; %bb.1695:
	s_cmp_lg_u32 s17, 11
	s_mov_b64 s[4:5], -1
	s_cselect_b64 s[0:1], -1, 0
.LBB223_1696:
	s_and_b64 vcc, exec, s[0:1]
	s_cbranch_vccnz .LBB223_2104
; %bb.1697:
	s_andn2_b64 vcc, exec, s[4:5]
	s_cbranch_vccnz .LBB223_1699
.LBB223_1698:
	v_cmp_ne_u16_e32 vcc, 0, v1
	v_cndmask_b32_e64 v3, 0, 1, vcc
	s_mov_b64 s[6:7], -1
	global_store_byte v[5:6], v3, off
.LBB223_1699:
	s_mov_b64 s[0:1], 0
	s_branch .LBB223_1701
.LBB223_1700:
	s_mov_b64 s[0:1], -1
	s_mov_b64 s[6:7], 0
.LBB223_1701:
	s_and_b64 vcc, exec, s[0:1]
	s_cbranch_vccz .LBB223_1740
; %bb.1702:
	s_and_b32 s4, 0xffff, s14
	s_cmp_lt_i32 s4, 5
	s_mov_b64 s[0:1], -1
	s_cbranch_scc1 .LBB223_1723
; %bb.1703:
	s_cmp_lt_i32 s4, 8
	s_cbranch_scc1 .LBB223_1713
; %bb.1704:
	s_cmp_lt_i32 s4, 9
	s_cbranch_scc1 .LBB223_1710
; %bb.1705:
	s_cmp_gt_i32 s4, 9
	s_cbranch_scc0 .LBB223_1707
; %bb.1706:
	v_bfe_i32 v3, v1, 0, 16
	s_waitcnt vmcnt(0)
	v_cvt_f64_i32_e32 v[12:13], v3
	v_mov_b32_e32 v14, 0
	v_mov_b32_e32 v15, v14
	s_mov_b64 s[0:1], 0
	global_store_dwordx4 v[5:6], v[12:15], off
.LBB223_1707:
	s_andn2_b64 vcc, exec, s[0:1]
	s_cbranch_vccnz .LBB223_1709
; %bb.1708:
	s_waitcnt vmcnt(0)
	v_cvt_f32_i32_sdwa v12, sext(v1) dst_sel:DWORD dst_unused:UNUSED_PAD src0_sel:WORD_0
	v_mov_b32_e32 v13, 0
	global_store_dwordx2 v[5:6], v[12:13], off
.LBB223_1709:
	s_mov_b64 s[0:1], 0
.LBB223_1710:
	s_andn2_b64 vcc, exec, s[0:1]
	s_cbranch_vccnz .LBB223_1712
; %bb.1711:
	v_cvt_f16_i16_e32 v3, v1
	global_store_dword v[5:6], v3, off
.LBB223_1712:
	s_mov_b64 s[0:1], 0
.LBB223_1713:
	s_andn2_b64 vcc, exec, s[0:1]
	s_cbranch_vccnz .LBB223_1722
; %bb.1714:
	s_cmp_lt_i32 s4, 6
	s_mov_b64 s[0:1], -1
	s_cbranch_scc1 .LBB223_1720
; %bb.1715:
	s_cmp_gt_i32 s4, 6
	s_cbranch_scc0 .LBB223_1717
; %bb.1716:
	v_bfe_i32 v3, v1, 0, 16
	s_waitcnt vmcnt(0)
	v_cvt_f64_i32_e32 v[12:13], v3
	s_mov_b64 s[0:1], 0
	global_store_dwordx2 v[5:6], v[12:13], off
.LBB223_1717:
	s_andn2_b64 vcc, exec, s[0:1]
	s_cbranch_vccnz .LBB223_1719
; %bb.1718:
	v_cvt_f32_i32_sdwa v3, sext(v1) dst_sel:DWORD dst_unused:UNUSED_PAD src0_sel:WORD_0
	global_store_dword v[5:6], v3, off
.LBB223_1719:
	s_mov_b64 s[0:1], 0
.LBB223_1720:
	s_andn2_b64 vcc, exec, s[0:1]
	s_cbranch_vccnz .LBB223_1722
; %bb.1721:
	v_cvt_f16_i16_e32 v3, v1
	global_store_short v[5:6], v3, off
.LBB223_1722:
	s_mov_b64 s[0:1], 0
.LBB223_1723:
	s_andn2_b64 vcc, exec, s[0:1]
	s_cbranch_vccnz .LBB223_1739
; %bb.1724:
	s_cmp_lt_i32 s4, 2
	s_mov_b64 s[0:1], -1
	s_cbranch_scc1 .LBB223_1734
; %bb.1725:
	s_cmp_lt_i32 s4, 3
	s_cbranch_scc1 .LBB223_1731
; %bb.1726:
	s_cmp_gt_i32 s4, 3
	s_waitcnt vmcnt(0)
	v_bfe_i32 v12, v1, 0, 16
	s_cbranch_scc0 .LBB223_1728
; %bb.1727:
	v_ashrrev_i32_e32 v13, 31, v12
	global_store_dwordx2 v[5:6], v[12:13], off
	s_mov_b64 s[0:1], 0
.LBB223_1728:
	s_andn2_b64 vcc, exec, s[0:1]
	s_cbranch_vccnz .LBB223_1730
; %bb.1729:
	global_store_dword v[5:6], v12, off
.LBB223_1730:
	s_mov_b64 s[0:1], 0
.LBB223_1731:
	s_andn2_b64 vcc, exec, s[0:1]
	s_cbranch_vccnz .LBB223_1733
; %bb.1732:
	global_store_short v[5:6], v1, off
.LBB223_1733:
	s_mov_b64 s[0:1], 0
.LBB223_1734:
	s_andn2_b64 vcc, exec, s[0:1]
	s_cbranch_vccnz .LBB223_1739
; %bb.1735:
	s_cmp_gt_i32 s4, 0
	s_mov_b64 s[0:1], -1
	s_cbranch_scc0 .LBB223_1737
; %bb.1736:
	global_store_byte v[5:6], v1, off
	s_mov_b64 s[0:1], 0
.LBB223_1737:
	s_andn2_b64 vcc, exec, s[0:1]
	s_cbranch_vccnz .LBB223_1739
; %bb.1738:
	global_store_byte v[5:6], v1, off
.LBB223_1739:
	s_mov_b64 s[6:7], -1
.LBB223_1740:
	s_andn2_b64 vcc, exec, s[6:7]
	s_cbranch_vccnz .LBB223_2055
; %bb.1741:
	s_waitcnt vmcnt(0)
	v_ashrrev_i32_sdwa v1, v11, s15 dst_sel:DWORD dst_unused:UNUSED_PAD src0_sel:WORD_0 src1_sel:DWORD
	v_mov_b32_e32 v3, s16
	v_cmp_lt_u16_e32 vcc, 14, v11
	v_cndmask_b32_e32 v1, v1, v3, vcc
	v_mov_b32_e32 v5, s9
	s_and_b32 s17, 0xffff, s14
	v_add_co_u32_e32 v3, vcc, s8, v4
	s_cmp_lt_i32 s17, 11
	v_addc_co_u32_e32 v4, vcc, 0, v5, vcc
	s_cbranch_scc1 .LBB223_1819
; %bb.1742:
	s_mov_b64 s[10:11], -1
	s_mov_b64 s[4:5], 0
	s_cmp_gt_i32 s17, 25
	s_mov_b64 s[6:7], 0
	s_mov_b64 s[0:1], 0
	s_cbranch_scc0 .LBB223_1775
; %bb.1743:
	s_cmp_gt_i32 s17, 28
	s_cbranch_scc0 .LBB223_1758
; %bb.1744:
	s_cmp_gt_i32 s17, 43
	;; [unrolled: 3-line block ×3, first 2 shown]
	s_cbranch_scc0 .LBB223_1748
; %bb.1746:
	s_mov_b64 s[0:1], -1
	s_mov_b64 s[10:11], 0
	s_cmp_eq_u32 s17, 46
	s_cbranch_scc0 .LBB223_1748
; %bb.1747:
	v_cvt_f32_i32_sdwa v5, sext(v1) dst_sel:DWORD dst_unused:UNUSED_PAD src0_sel:WORD_0
	s_movk_i32 s6, 0x7fff
	s_mov_b64 s[0:1], 0
	v_bfe_u32 v6, v5, 16, 1
	v_add3_u32 v5, v5, v6, s6
	v_lshrrev_b32_e32 v5, 16, v5
	global_store_dword v[3:4], v5, off
	s_mov_b64 s[6:7], -1
.LBB223_1748:
	s_and_b64 vcc, exec, s[10:11]
	s_cbranch_vccz .LBB223_1753
; %bb.1749:
	s_cmp_eq_u32 s17, 44
	s_mov_b64 s[0:1], -1
	s_cbranch_scc0 .LBB223_1753
; %bb.1750:
	v_cvt_f32_i32_sdwa v5, sext(v1) dst_sel:DWORD dst_unused:UNUSED_PAD src0_sel:WORD_0
	s_movk_i32 s0, 0xff
	v_mov_b32_e32 v8, 0xff
	v_bfe_u32 v6, v5, 23, 8
	v_cmp_ne_u32_e32 vcc, s0, v6
	s_and_saveexec_b64 s[6:7], vcc
; %bb.1751:
	s_mov_b32 s0, 0x3fffff
	v_lshrrev_b32_e32 v8, 23, v5
	v_and_b32_e32 v10, 0x400000, v5
	v_and_or_b32 v5, v5, s0, v6
	v_cmp_ne_u32_e32 vcc, 0, v10
	v_cmp_ne_u32_e64 s[0:1], 0, v5
	s_and_b64 s[0:1], vcc, s[0:1]
	v_cndmask_b32_e64 v5, 0, 1, s[0:1]
	v_add_u32_e32 v8, v8, v5
; %bb.1752:
	s_or_b64 exec, exec, s[6:7]
	s_mov_b64 s[0:1], 0
	s_mov_b64 s[6:7], -1
	global_store_byte v[3:4], v8, off
.LBB223_1753:
	s_mov_b64 s[10:11], 0
.LBB223_1754:
	s_and_b64 vcc, exec, s[10:11]
	s_cbranch_vccz .LBB223_1757
; %bb.1755:
	s_cmp_eq_u32 s17, 29
	s_mov_b64 s[0:1], -1
	s_cbranch_scc0 .LBB223_1757
; %bb.1756:
	v_bfe_i32 v5, v1, 0, 16
	v_ashrrev_i32_e32 v6, 31, v5
	global_store_dwordx2 v[3:4], v[5:6], off
	s_mov_b64 s[0:1], 0
	s_mov_b64 s[6:7], -1
.LBB223_1757:
	s_mov_b64 s[10:11], 0
.LBB223_1758:
	s_and_b64 vcc, exec, s[10:11]
	s_cbranch_vccz .LBB223_1774
; %bb.1759:
	s_cmp_lt_i32 s17, 27
	s_mov_b64 s[6:7], -1
	s_cbranch_scc1 .LBB223_1765
; %bb.1760:
	s_cmp_gt_i32 s17, 27
	s_cbranch_scc0 .LBB223_1762
; %bb.1761:
	v_bfe_i32 v5, v1, 0, 16
	s_mov_b64 s[6:7], 0
	global_store_dword v[3:4], v5, off
.LBB223_1762:
	s_andn2_b64 vcc, exec, s[6:7]
	s_cbranch_vccnz .LBB223_1764
; %bb.1763:
	global_store_short v[3:4], v1, off
.LBB223_1764:
	s_mov_b64 s[6:7], 0
.LBB223_1765:
	s_andn2_b64 vcc, exec, s[6:7]
	s_cbranch_vccnz .LBB223_1773
; %bb.1766:
	v_cvt_f32_i32_sdwa v5, sext(v1) dst_sel:DWORD dst_unused:UNUSED_PAD src0_sel:WORD_0
	s_mov_b32 s6, 0x43800000
	v_mov_b32_e32 v8, 0x80
	v_and_b32_e32 v6, 0x7fffffff, v5
	v_cmp_gt_u32_e32 vcc, s6, v6
	s_and_saveexec_b64 s[6:7], vcc
	s_cbranch_execz .LBB223_1772
; %bb.1767:
	s_mov_b32 s10, 0x3bffffff
	v_cmp_lt_u32_e32 vcc, s10, v6
	s_mov_b64 s[10:11], 0
                                        ; implicit-def: $vgpr6
	s_and_saveexec_b64 s[12:13], vcc
	s_xor_b64 s[12:13], exec, s[12:13]
	s_cbranch_execz .LBB223_2107
; %bb.1768:
	v_bfe_u32 v6, v5, 20, 1
	s_mov_b32 s18, 0x487ffff
	v_add3_u32 v6, v5, v6, s18
	s_mov_b64 s[10:11], exec
	v_lshrrev_b32_e32 v6, 20, v6
	s_andn2_saveexec_b64 s[12:13], s[12:13]
	s_cbranch_execnz .LBB223_2108
.LBB223_1769:
	s_or_b64 exec, exec, s[12:13]
	v_mov_b32_e32 v8, 0
	s_and_saveexec_b64 s[12:13], s[10:11]
.LBB223_1770:
	v_lshrrev_b32_e32 v5, 24, v5
	s_movk_i32 s10, 0x80
	v_and_or_b32 v8, v5, s10, v6
.LBB223_1771:
	s_or_b64 exec, exec, s[12:13]
.LBB223_1772:
	s_or_b64 exec, exec, s[6:7]
	global_store_byte v[3:4], v8, off
.LBB223_1773:
	s_mov_b64 s[6:7], -1
.LBB223_1774:
	s_mov_b64 s[10:11], 0
.LBB223_1775:
	s_and_b64 vcc, exec, s[10:11]
	s_cbranch_vccz .LBB223_1815
; %bb.1776:
	s_cmp_gt_i32 s17, 22
	s_mov_b64 s[4:5], -1
	s_cbranch_scc0 .LBB223_1808
; %bb.1777:
	s_cmp_lt_i32 s17, 24
	s_cbranch_scc1 .LBB223_1797
; %bb.1778:
	s_cmp_gt_i32 s17, 24
	s_cbranch_scc0 .LBB223_1786
; %bb.1779:
	v_cvt_f32_i32_sdwa v5, sext(v1) dst_sel:DWORD dst_unused:UNUSED_PAD src0_sel:WORD_0
	s_mov_b32 s4, 0x47800000
	v_mov_b32_e32 v8, 0x80
	v_and_b32_e32 v6, 0x7fffffff, v5
	v_cmp_gt_u32_e32 vcc, s4, v6
	s_and_saveexec_b64 s[4:5], vcc
	s_cbranch_execz .LBB223_1785
; %bb.1780:
	s_mov_b32 s6, 0x37ffffff
	v_cmp_lt_u32_e32 vcc, s6, v6
	s_mov_b64 s[6:7], 0
                                        ; implicit-def: $vgpr6
	s_and_saveexec_b64 s[10:11], vcc
	s_xor_b64 s[10:11], exec, s[10:11]
	s_cbranch_execz .LBB223_2110
; %bb.1781:
	v_bfe_u32 v6, v5, 21, 1
	s_mov_b32 s12, 0x88fffff
	v_add3_u32 v6, v5, v6, s12
	s_mov_b64 s[6:7], exec
	v_lshrrev_b32_e32 v6, 21, v6
	s_andn2_saveexec_b64 s[10:11], s[10:11]
	s_cbranch_execnz .LBB223_2111
.LBB223_1782:
	s_or_b64 exec, exec, s[10:11]
	v_mov_b32_e32 v8, 0
	s_and_saveexec_b64 s[10:11], s[6:7]
.LBB223_1783:
	v_lshrrev_b32_e32 v5, 24, v5
	s_movk_i32 s6, 0x80
	v_and_or_b32 v8, v5, s6, v6
.LBB223_1784:
	s_or_b64 exec, exec, s[10:11]
.LBB223_1785:
	s_or_b64 exec, exec, s[4:5]
	s_mov_b64 s[4:5], 0
	global_store_byte v[3:4], v8, off
.LBB223_1786:
	s_and_b64 vcc, exec, s[4:5]
	s_cbranch_vccz .LBB223_1796
; %bb.1787:
	v_cvt_f32_i32_sdwa v5, sext(v1) dst_sel:DWORD dst_unused:UNUSED_PAD src0_sel:WORD_0
	s_mov_b32 s4, 0x43f00000
                                        ; implicit-def: $vgpr6
	v_and_b32_e32 v8, 0x7fffffff, v5
	v_cmp_gt_u32_e32 vcc, s4, v8
	s_and_saveexec_b64 s[4:5], vcc
	s_xor_b64 s[4:5], exec, s[4:5]
	s_cbranch_execz .LBB223_1793
; %bb.1788:
	s_mov_b32 s6, 0x3c7fffff
	v_cmp_lt_u32_e32 vcc, s6, v8
                                        ; implicit-def: $vgpr6
	s_and_saveexec_b64 s[6:7], vcc
	s_xor_b64 s[6:7], exec, s[6:7]
; %bb.1789:
	v_bfe_u32 v6, v5, 20, 1
	s_mov_b32 s10, 0x407ffff
	v_add3_u32 v6, v5, v6, s10
	v_lshrrev_b32_e32 v8, 20, v6
	v_and_b32_e32 v6, 0xff00000, v6
	s_mov_b32 s10, 0x7f00000
	v_mov_b32_e32 v10, 0x7e
	v_cmp_ne_u32_e32 vcc, s10, v6
	v_cndmask_b32_e32 v6, v10, v8, vcc
; %bb.1790:
	s_andn2_saveexec_b64 s[6:7], s[6:7]
; %bb.1791:
	s_mov_b32 s10, 0x46800000
	v_add_f32_e64 v6, |v5|, s10
; %bb.1792:
	s_or_b64 exec, exec, s[6:7]
                                        ; implicit-def: $vgpr8
.LBB223_1793:
	s_andn2_saveexec_b64 s[4:5], s[4:5]
; %bb.1794:
	s_mov_b32 s6, 0x7f800000
	v_mov_b32_e32 v6, 0x7e
	v_mov_b32_e32 v10, 0x7f
	v_cmp_lt_u32_e32 vcc, s6, v8
	v_cndmask_b32_e32 v6, v6, v10, vcc
; %bb.1795:
	s_or_b64 exec, exec, s[4:5]
	v_lshrrev_b32_e32 v5, 24, v5
	s_movk_i32 s4, 0x80
	v_and_or_b32 v5, v5, s4, v6
	global_store_byte v[3:4], v5, off
.LBB223_1796:
	s_mov_b64 s[4:5], 0
.LBB223_1797:
	s_andn2_b64 vcc, exec, s[4:5]
	s_cbranch_vccnz .LBB223_1807
; %bb.1798:
	v_cvt_f32_i32_sdwa v5, sext(v1) dst_sel:DWORD dst_unused:UNUSED_PAD src0_sel:WORD_0
	s_mov_b32 s4, 0x47800000
                                        ; implicit-def: $vgpr6
	v_and_b32_e32 v8, 0x7fffffff, v5
	v_cmp_gt_u32_e32 vcc, s4, v8
	s_and_saveexec_b64 s[4:5], vcc
	s_xor_b64 s[4:5], exec, s[4:5]
	s_cbranch_execz .LBB223_1804
; %bb.1799:
	s_mov_b32 s6, 0x387fffff
	v_cmp_lt_u32_e32 vcc, s6, v8
                                        ; implicit-def: $vgpr6
	s_and_saveexec_b64 s[6:7], vcc
	s_xor_b64 s[6:7], exec, s[6:7]
; %bb.1800:
	v_bfe_u32 v6, v5, 21, 1
	s_mov_b32 s10, 0x80fffff
	v_add3_u32 v6, v5, v6, s10
	v_lshrrev_b32_e32 v6, 21, v6
; %bb.1801:
	s_andn2_saveexec_b64 s[6:7], s[6:7]
; %bb.1802:
	s_mov_b32 s10, 0x43000000
	v_add_f32_e64 v6, |v5|, s10
; %bb.1803:
	s_or_b64 exec, exec, s[6:7]
                                        ; implicit-def: $vgpr8
.LBB223_1804:
	s_andn2_saveexec_b64 s[4:5], s[4:5]
; %bb.1805:
	s_mov_b32 s6, 0x7f800000
	v_mov_b32_e32 v6, 0x7c
	v_mov_b32_e32 v10, 0x7f
	v_cmp_lt_u32_e32 vcc, s6, v8
	v_cndmask_b32_e32 v6, v6, v10, vcc
; %bb.1806:
	s_or_b64 exec, exec, s[4:5]
	v_lshrrev_b32_e32 v5, 24, v5
	s_movk_i32 s4, 0x80
	v_and_or_b32 v5, v5, s4, v6
	global_store_byte v[3:4], v5, off
.LBB223_1807:
	s_mov_b64 s[4:5], 0
	s_mov_b64 s[6:7], -1
.LBB223_1808:
	s_andn2_b64 vcc, exec, s[4:5]
	s_mov_b64 s[4:5], 0
	s_cbranch_vccnz .LBB223_1815
; %bb.1809:
	s_cmp_gt_i32 s17, 14
	s_mov_b64 s[10:11], -1
	s_cbranch_scc0 .LBB223_1813
; %bb.1810:
	s_cmp_eq_u32 s17, 15
	s_mov_b64 s[0:1], -1
	s_cbranch_scc0 .LBB223_1812
; %bb.1811:
	v_cvt_f32_i32_sdwa v5, sext(v1) dst_sel:DWORD dst_unused:UNUSED_PAD src0_sel:WORD_0
	s_movk_i32 s4, 0x7fff
	s_mov_b64 s[0:1], 0
	s_mov_b64 s[6:7], -1
	v_bfe_u32 v6, v5, 16, 1
	v_add3_u32 v5, v5, v6, s4
	global_store_short_d16_hi v[3:4], v5, off
.LBB223_1812:
	s_mov_b64 s[10:11], 0
.LBB223_1813:
	s_mov_b64 s[4:5], 0
	s_and_b64 vcc, exec, s[10:11]
	s_cbranch_vccz .LBB223_1815
; %bb.1814:
	s_cmp_lg_u32 s17, 11
	s_mov_b64 s[4:5], -1
	s_cselect_b64 s[0:1], -1, 0
.LBB223_1815:
	s_and_b64 vcc, exec, s[0:1]
	s_cbranch_vccnz .LBB223_2109
; %bb.1816:
	s_andn2_b64 vcc, exec, s[4:5]
	s_cbranch_vccnz .LBB223_1818
.LBB223_1817:
	v_cmp_ne_u16_e32 vcc, 0, v1
	v_cndmask_b32_e64 v5, 0, 1, vcc
	s_mov_b64 s[6:7], -1
	global_store_byte v[3:4], v5, off
.LBB223_1818:
	s_mov_b64 s[0:1], 0
	s_branch .LBB223_1820
.LBB223_1819:
	s_mov_b64 s[0:1], -1
	s_mov_b64 s[6:7], 0
.LBB223_1820:
	s_and_b64 vcc, exec, s[0:1]
	s_cbranch_vccz .LBB223_1859
; %bb.1821:
	s_cmp_lt_i32 s17, 5
	s_mov_b64 s[0:1], -1
	s_cbranch_scc1 .LBB223_1842
; %bb.1822:
	s_cmp_lt_i32 s17, 8
	s_cbranch_scc1 .LBB223_1832
; %bb.1823:
	s_cmp_lt_i32 s17, 9
	s_cbranch_scc1 .LBB223_1829
; %bb.1824:
	s_cmp_gt_i32 s17, 9
	s_cbranch_scc0 .LBB223_1826
; %bb.1825:
	v_bfe_i32 v5, v1, 0, 16
	v_cvt_f64_i32_e32 v[10:11], v5
	v_mov_b32_e32 v12, 0
	v_mov_b32_e32 v13, v12
	s_mov_b64 s[0:1], 0
	global_store_dwordx4 v[3:4], v[10:13], off
.LBB223_1826:
	s_andn2_b64 vcc, exec, s[0:1]
	s_cbranch_vccnz .LBB223_1828
; %bb.1827:
	v_cvt_f32_i32_sdwa v5, sext(v1) dst_sel:DWORD dst_unused:UNUSED_PAD src0_sel:WORD_0
	v_mov_b32_e32 v6, 0
	global_store_dwordx2 v[3:4], v[5:6], off
.LBB223_1828:
	s_mov_b64 s[0:1], 0
.LBB223_1829:
	s_andn2_b64 vcc, exec, s[0:1]
	s_cbranch_vccnz .LBB223_1831
; %bb.1830:
	v_cvt_f16_i16_e32 v5, v1
	global_store_dword v[3:4], v5, off
.LBB223_1831:
	s_mov_b64 s[0:1], 0
.LBB223_1832:
	s_andn2_b64 vcc, exec, s[0:1]
	s_cbranch_vccnz .LBB223_1841
; %bb.1833:
	s_cmp_lt_i32 s17, 6
	s_mov_b64 s[0:1], -1
	s_cbranch_scc1 .LBB223_1839
; %bb.1834:
	s_cmp_gt_i32 s17, 6
	s_cbranch_scc0 .LBB223_1836
; %bb.1835:
	v_bfe_i32 v5, v1, 0, 16
	v_cvt_f64_i32_e32 v[5:6], v5
	s_mov_b64 s[0:1], 0
	global_store_dwordx2 v[3:4], v[5:6], off
.LBB223_1836:
	s_andn2_b64 vcc, exec, s[0:1]
	s_cbranch_vccnz .LBB223_1838
; %bb.1837:
	v_cvt_f32_i32_sdwa v5, sext(v1) dst_sel:DWORD dst_unused:UNUSED_PAD src0_sel:WORD_0
	global_store_dword v[3:4], v5, off
.LBB223_1838:
	s_mov_b64 s[0:1], 0
.LBB223_1839:
	s_andn2_b64 vcc, exec, s[0:1]
	s_cbranch_vccnz .LBB223_1841
; %bb.1840:
	v_cvt_f16_i16_e32 v5, v1
	global_store_short v[3:4], v5, off
.LBB223_1841:
	s_mov_b64 s[0:1], 0
.LBB223_1842:
	s_andn2_b64 vcc, exec, s[0:1]
	s_cbranch_vccnz .LBB223_1858
; %bb.1843:
	s_cmp_lt_i32 s17, 2
	s_mov_b64 s[0:1], -1
	s_cbranch_scc1 .LBB223_1853
; %bb.1844:
	s_cmp_lt_i32 s17, 3
	s_cbranch_scc1 .LBB223_1850
; %bb.1845:
	s_cmp_gt_i32 s17, 3
	s_cbranch_scc0 .LBB223_1847
; %bb.1846:
	v_bfe_i32 v5, v1, 0, 16
	v_ashrrev_i32_e32 v6, 31, v5
	global_store_dwordx2 v[3:4], v[5:6], off
	s_mov_b64 s[0:1], 0
.LBB223_1847:
	s_andn2_b64 vcc, exec, s[0:1]
	s_cbranch_vccnz .LBB223_1849
; %bb.1848:
	v_bfe_i32 v5, v1, 0, 16
	global_store_dword v[3:4], v5, off
.LBB223_1849:
	s_mov_b64 s[0:1], 0
.LBB223_1850:
	s_andn2_b64 vcc, exec, s[0:1]
	s_cbranch_vccnz .LBB223_1852
; %bb.1851:
	global_store_short v[3:4], v1, off
.LBB223_1852:
	s_mov_b64 s[0:1], 0
.LBB223_1853:
	s_andn2_b64 vcc, exec, s[0:1]
	s_cbranch_vccnz .LBB223_1858
; %bb.1854:
	s_cmp_gt_i32 s17, 0
	s_mov_b64 s[0:1], -1
	s_cbranch_scc0 .LBB223_1856
; %bb.1855:
	global_store_byte v[3:4], v1, off
	s_mov_b64 s[0:1], 0
.LBB223_1856:
	s_andn2_b64 vcc, exec, s[0:1]
	s_cbranch_vccnz .LBB223_1858
; %bb.1857:
	global_store_byte v[3:4], v1, off
.LBB223_1858:
	s_mov_b64 s[6:7], -1
.LBB223_1859:
	s_andn2_b64 vcc, exec, s[6:7]
	s_cbranch_vccnz .LBB223_2055
; %bb.1860:
	v_ashrrev_i32_sdwa v1, v9, s15 dst_sel:DWORD dst_unused:UNUSED_PAD src0_sel:WORD_0 src1_sel:DWORD
	v_mov_b32_e32 v3, s16
	v_cmp_lt_u16_e32 vcc, 14, v9
	v_cndmask_b32_e32 v5, v1, v3, vcc
	v_mov_b32_e32 v3, s9
	v_add_co_u32_e32 v1, vcc, s8, v2
	s_cmp_lt_i32 s17, 11
	v_addc_co_u32_e32 v2, vcc, 0, v3, vcc
	s_cbranch_scc1 .LBB223_1938
; %bb.1861:
	s_mov_b64 s[10:11], -1
	s_mov_b64 s[4:5], 0
	s_cmp_gt_i32 s17, 25
	s_mov_b64 s[6:7], 0
	s_mov_b64 s[0:1], 0
	s_cbranch_scc0 .LBB223_1894
; %bb.1862:
	s_cmp_gt_i32 s17, 28
	s_cbranch_scc0 .LBB223_1877
; %bb.1863:
	s_cmp_gt_i32 s17, 43
	;; [unrolled: 3-line block ×3, first 2 shown]
	s_cbranch_scc0 .LBB223_1867
; %bb.1865:
	s_mov_b64 s[0:1], -1
	s_mov_b64 s[10:11], 0
	s_cmp_eq_u32 s17, 46
	s_cbranch_scc0 .LBB223_1867
; %bb.1866:
	v_cvt_f32_i32_sdwa v3, sext(v5) dst_sel:DWORD dst_unused:UNUSED_PAD src0_sel:WORD_0
	s_movk_i32 s6, 0x7fff
	s_mov_b64 s[0:1], 0
	v_bfe_u32 v4, v3, 16, 1
	v_add3_u32 v3, v3, v4, s6
	v_lshrrev_b32_e32 v3, 16, v3
	global_store_dword v[1:2], v3, off
	s_mov_b64 s[6:7], -1
.LBB223_1867:
	s_and_b64 vcc, exec, s[10:11]
	s_cbranch_vccz .LBB223_1872
; %bb.1868:
	s_cmp_eq_u32 s17, 44
	s_mov_b64 s[0:1], -1
	s_cbranch_scc0 .LBB223_1872
; %bb.1869:
	v_cvt_f32_i32_sdwa v3, sext(v5) dst_sel:DWORD dst_unused:UNUSED_PAD src0_sel:WORD_0
	s_movk_i32 s0, 0xff
	v_mov_b32_e32 v6, 0xff
	v_bfe_u32 v4, v3, 23, 8
	v_cmp_ne_u32_e32 vcc, s0, v4
	s_and_saveexec_b64 s[6:7], vcc
; %bb.1870:
	s_mov_b32 s0, 0x3fffff
	v_lshrrev_b32_e32 v6, 23, v3
	v_and_b32_e32 v8, 0x400000, v3
	v_and_or_b32 v3, v3, s0, v4
	v_cmp_ne_u32_e32 vcc, 0, v8
	v_cmp_ne_u32_e64 s[0:1], 0, v3
	s_and_b64 s[0:1], vcc, s[0:1]
	v_cndmask_b32_e64 v3, 0, 1, s[0:1]
	v_add_u32_e32 v6, v6, v3
; %bb.1871:
	s_or_b64 exec, exec, s[6:7]
	s_mov_b64 s[0:1], 0
	s_mov_b64 s[6:7], -1
	global_store_byte v[1:2], v6, off
.LBB223_1872:
	s_mov_b64 s[10:11], 0
.LBB223_1873:
	s_and_b64 vcc, exec, s[10:11]
	s_cbranch_vccz .LBB223_1876
; %bb.1874:
	s_cmp_eq_u32 s17, 29
	s_mov_b64 s[0:1], -1
	s_cbranch_scc0 .LBB223_1876
; %bb.1875:
	v_bfe_i32 v3, v5, 0, 16
	v_ashrrev_i32_e32 v4, 31, v3
	global_store_dwordx2 v[1:2], v[3:4], off
	s_mov_b64 s[0:1], 0
	s_mov_b64 s[6:7], -1
.LBB223_1876:
	s_mov_b64 s[10:11], 0
.LBB223_1877:
	s_and_b64 vcc, exec, s[10:11]
	s_cbranch_vccz .LBB223_1893
; %bb.1878:
	s_cmp_lt_i32 s17, 27
	s_mov_b64 s[6:7], -1
	s_cbranch_scc1 .LBB223_1884
; %bb.1879:
	s_cmp_gt_i32 s17, 27
	s_cbranch_scc0 .LBB223_1881
; %bb.1880:
	v_bfe_i32 v3, v5, 0, 16
	s_mov_b64 s[6:7], 0
	global_store_dword v[1:2], v3, off
.LBB223_1881:
	s_andn2_b64 vcc, exec, s[6:7]
	s_cbranch_vccnz .LBB223_1883
; %bb.1882:
	global_store_short v[1:2], v5, off
.LBB223_1883:
	s_mov_b64 s[6:7], 0
.LBB223_1884:
	s_andn2_b64 vcc, exec, s[6:7]
	s_cbranch_vccnz .LBB223_1892
; %bb.1885:
	v_cvt_f32_i32_sdwa v3, sext(v5) dst_sel:DWORD dst_unused:UNUSED_PAD src0_sel:WORD_0
	s_mov_b32 s6, 0x43800000
	v_mov_b32_e32 v6, 0x80
	v_and_b32_e32 v4, 0x7fffffff, v3
	v_cmp_gt_u32_e32 vcc, s6, v4
	s_and_saveexec_b64 s[6:7], vcc
	s_cbranch_execz .LBB223_1891
; %bb.1886:
	s_mov_b32 s10, 0x3bffffff
	v_cmp_lt_u32_e32 vcc, s10, v4
	s_mov_b64 s[10:11], 0
                                        ; implicit-def: $vgpr4
	s_and_saveexec_b64 s[12:13], vcc
	s_xor_b64 s[12:13], exec, s[12:13]
	s_cbranch_execz .LBB223_2112
; %bb.1887:
	v_bfe_u32 v4, v3, 20, 1
	s_mov_b32 s18, 0x487ffff
	v_add3_u32 v4, v3, v4, s18
	s_mov_b64 s[10:11], exec
	v_lshrrev_b32_e32 v4, 20, v4
	s_andn2_saveexec_b64 s[12:13], s[12:13]
	s_cbranch_execnz .LBB223_2113
.LBB223_1888:
	s_or_b64 exec, exec, s[12:13]
	v_mov_b32_e32 v6, 0
	s_and_saveexec_b64 s[12:13], s[10:11]
.LBB223_1889:
	v_lshrrev_b32_e32 v3, 24, v3
	s_movk_i32 s10, 0x80
	v_and_or_b32 v6, v3, s10, v4
.LBB223_1890:
	s_or_b64 exec, exec, s[12:13]
.LBB223_1891:
	s_or_b64 exec, exec, s[6:7]
	global_store_byte v[1:2], v6, off
.LBB223_1892:
	s_mov_b64 s[6:7], -1
.LBB223_1893:
	s_mov_b64 s[10:11], 0
.LBB223_1894:
	s_and_b64 vcc, exec, s[10:11]
	s_cbranch_vccz .LBB223_1934
; %bb.1895:
	s_cmp_gt_i32 s17, 22
	s_mov_b64 s[4:5], -1
	s_cbranch_scc0 .LBB223_1927
; %bb.1896:
	s_cmp_lt_i32 s17, 24
	s_cbranch_scc1 .LBB223_1916
; %bb.1897:
	s_cmp_gt_i32 s17, 24
	s_cbranch_scc0 .LBB223_1905
; %bb.1898:
	v_cvt_f32_i32_sdwa v3, sext(v5) dst_sel:DWORD dst_unused:UNUSED_PAD src0_sel:WORD_0
	s_mov_b32 s4, 0x47800000
	v_mov_b32_e32 v6, 0x80
	v_and_b32_e32 v4, 0x7fffffff, v3
	v_cmp_gt_u32_e32 vcc, s4, v4
	s_and_saveexec_b64 s[4:5], vcc
	s_cbranch_execz .LBB223_1904
; %bb.1899:
	s_mov_b32 s6, 0x37ffffff
	v_cmp_lt_u32_e32 vcc, s6, v4
	s_mov_b64 s[6:7], 0
                                        ; implicit-def: $vgpr4
	s_and_saveexec_b64 s[10:11], vcc
	s_xor_b64 s[10:11], exec, s[10:11]
	s_cbranch_execz .LBB223_2115
; %bb.1900:
	v_bfe_u32 v4, v3, 21, 1
	s_mov_b32 s12, 0x88fffff
	v_add3_u32 v4, v3, v4, s12
	s_mov_b64 s[6:7], exec
	v_lshrrev_b32_e32 v4, 21, v4
	s_andn2_saveexec_b64 s[10:11], s[10:11]
	s_cbranch_execnz .LBB223_2116
.LBB223_1901:
	s_or_b64 exec, exec, s[10:11]
	v_mov_b32_e32 v6, 0
	s_and_saveexec_b64 s[10:11], s[6:7]
.LBB223_1902:
	v_lshrrev_b32_e32 v3, 24, v3
	s_movk_i32 s6, 0x80
	v_and_or_b32 v6, v3, s6, v4
.LBB223_1903:
	s_or_b64 exec, exec, s[10:11]
.LBB223_1904:
	s_or_b64 exec, exec, s[4:5]
	s_mov_b64 s[4:5], 0
	global_store_byte v[1:2], v6, off
.LBB223_1905:
	s_and_b64 vcc, exec, s[4:5]
	s_cbranch_vccz .LBB223_1915
; %bb.1906:
	v_cvt_f32_i32_sdwa v3, sext(v5) dst_sel:DWORD dst_unused:UNUSED_PAD src0_sel:WORD_0
	s_mov_b32 s4, 0x43f00000
                                        ; implicit-def: $vgpr4
	v_and_b32_e32 v6, 0x7fffffff, v3
	v_cmp_gt_u32_e32 vcc, s4, v6
	s_and_saveexec_b64 s[4:5], vcc
	s_xor_b64 s[4:5], exec, s[4:5]
	s_cbranch_execz .LBB223_1912
; %bb.1907:
	s_mov_b32 s6, 0x3c7fffff
	v_cmp_lt_u32_e32 vcc, s6, v6
                                        ; implicit-def: $vgpr4
	s_and_saveexec_b64 s[6:7], vcc
	s_xor_b64 s[6:7], exec, s[6:7]
; %bb.1908:
	v_bfe_u32 v4, v3, 20, 1
	s_mov_b32 s10, 0x407ffff
	v_add3_u32 v4, v3, v4, s10
	v_lshrrev_b32_e32 v6, 20, v4
	v_and_b32_e32 v4, 0xff00000, v4
	s_mov_b32 s10, 0x7f00000
	v_mov_b32_e32 v8, 0x7e
	v_cmp_ne_u32_e32 vcc, s10, v4
	v_cndmask_b32_e32 v4, v8, v6, vcc
; %bb.1909:
	s_andn2_saveexec_b64 s[6:7], s[6:7]
; %bb.1910:
	s_mov_b32 s10, 0x46800000
	v_add_f32_e64 v4, |v3|, s10
; %bb.1911:
	s_or_b64 exec, exec, s[6:7]
                                        ; implicit-def: $vgpr6
.LBB223_1912:
	s_andn2_saveexec_b64 s[4:5], s[4:5]
; %bb.1913:
	s_mov_b32 s6, 0x7f800000
	v_mov_b32_e32 v4, 0x7e
	v_mov_b32_e32 v8, 0x7f
	v_cmp_lt_u32_e32 vcc, s6, v6
	v_cndmask_b32_e32 v4, v4, v8, vcc
; %bb.1914:
	s_or_b64 exec, exec, s[4:5]
	v_lshrrev_b32_e32 v3, 24, v3
	s_movk_i32 s4, 0x80
	v_and_or_b32 v3, v3, s4, v4
	global_store_byte v[1:2], v3, off
.LBB223_1915:
	s_mov_b64 s[4:5], 0
.LBB223_1916:
	s_andn2_b64 vcc, exec, s[4:5]
	s_cbranch_vccnz .LBB223_1926
; %bb.1917:
	v_cvt_f32_i32_sdwa v3, sext(v5) dst_sel:DWORD dst_unused:UNUSED_PAD src0_sel:WORD_0
	s_mov_b32 s4, 0x47800000
                                        ; implicit-def: $vgpr4
	v_and_b32_e32 v6, 0x7fffffff, v3
	v_cmp_gt_u32_e32 vcc, s4, v6
	s_and_saveexec_b64 s[4:5], vcc
	s_xor_b64 s[4:5], exec, s[4:5]
	s_cbranch_execz .LBB223_1923
; %bb.1918:
	s_mov_b32 s6, 0x387fffff
	v_cmp_lt_u32_e32 vcc, s6, v6
                                        ; implicit-def: $vgpr4
	s_and_saveexec_b64 s[6:7], vcc
	s_xor_b64 s[6:7], exec, s[6:7]
; %bb.1919:
	v_bfe_u32 v4, v3, 21, 1
	s_mov_b32 s10, 0x80fffff
	v_add3_u32 v4, v3, v4, s10
	v_lshrrev_b32_e32 v4, 21, v4
; %bb.1920:
	s_andn2_saveexec_b64 s[6:7], s[6:7]
; %bb.1921:
	s_mov_b32 s10, 0x43000000
	v_add_f32_e64 v4, |v3|, s10
; %bb.1922:
	s_or_b64 exec, exec, s[6:7]
                                        ; implicit-def: $vgpr6
.LBB223_1923:
	s_andn2_saveexec_b64 s[4:5], s[4:5]
; %bb.1924:
	s_mov_b32 s6, 0x7f800000
	v_mov_b32_e32 v4, 0x7c
	v_mov_b32_e32 v8, 0x7f
	v_cmp_lt_u32_e32 vcc, s6, v6
	v_cndmask_b32_e32 v4, v4, v8, vcc
; %bb.1925:
	s_or_b64 exec, exec, s[4:5]
	v_lshrrev_b32_e32 v3, 24, v3
	s_movk_i32 s4, 0x80
	v_and_or_b32 v3, v3, s4, v4
	global_store_byte v[1:2], v3, off
.LBB223_1926:
	s_mov_b64 s[4:5], 0
	s_mov_b64 s[6:7], -1
.LBB223_1927:
	s_andn2_b64 vcc, exec, s[4:5]
	s_mov_b64 s[4:5], 0
	s_cbranch_vccnz .LBB223_1934
; %bb.1928:
	s_cmp_gt_i32 s17, 14
	s_mov_b64 s[10:11], -1
	s_cbranch_scc0 .LBB223_1932
; %bb.1929:
	s_cmp_eq_u32 s17, 15
	s_mov_b64 s[0:1], -1
	s_cbranch_scc0 .LBB223_1931
; %bb.1930:
	v_cvt_f32_i32_sdwa v3, sext(v5) dst_sel:DWORD dst_unused:UNUSED_PAD src0_sel:WORD_0
	s_movk_i32 s4, 0x7fff
	s_mov_b64 s[0:1], 0
	s_mov_b64 s[6:7], -1
	v_bfe_u32 v4, v3, 16, 1
	v_add3_u32 v3, v3, v4, s4
	global_store_short_d16_hi v[1:2], v3, off
.LBB223_1931:
	s_mov_b64 s[10:11], 0
.LBB223_1932:
	s_mov_b64 s[4:5], 0
	s_and_b64 vcc, exec, s[10:11]
	s_cbranch_vccz .LBB223_1934
; %bb.1933:
	s_cmp_lg_u32 s17, 11
	s_mov_b64 s[4:5], -1
	s_cselect_b64 s[0:1], -1, 0
.LBB223_1934:
	s_and_b64 vcc, exec, s[0:1]
	s_cbranch_vccnz .LBB223_2114
; %bb.1935:
	s_andn2_b64 vcc, exec, s[4:5]
	s_cbranch_vccnz .LBB223_1937
.LBB223_1936:
	v_cmp_ne_u16_e32 vcc, 0, v5
	v_cndmask_b32_e64 v3, 0, 1, vcc
	s_mov_b64 s[6:7], -1
	global_store_byte v[1:2], v3, off
.LBB223_1937:
	s_mov_b64 s[0:1], 0
	s_branch .LBB223_1939
.LBB223_1938:
	s_mov_b64 s[0:1], -1
	s_mov_b64 s[6:7], 0
.LBB223_1939:
	s_and_b64 vcc, exec, s[0:1]
	s_cbranch_vccz .LBB223_1978
; %bb.1940:
	s_cmp_lt_i32 s17, 5
	s_mov_b64 s[0:1], -1
	s_cbranch_scc1 .LBB223_1961
; %bb.1941:
	s_cmp_lt_i32 s17, 8
	s_cbranch_scc1 .LBB223_1951
; %bb.1942:
	s_cmp_lt_i32 s17, 9
	s_cbranch_scc1 .LBB223_1948
; %bb.1943:
	s_cmp_gt_i32 s17, 9
	s_cbranch_scc0 .LBB223_1945
; %bb.1944:
	v_bfe_i32 v3, v5, 0, 16
	v_cvt_f64_i32_e32 v[8:9], v3
	v_mov_b32_e32 v10, 0
	v_mov_b32_e32 v11, v10
	s_mov_b64 s[0:1], 0
	global_store_dwordx4 v[1:2], v[8:11], off
.LBB223_1945:
	s_andn2_b64 vcc, exec, s[0:1]
	s_cbranch_vccnz .LBB223_1947
; %bb.1946:
	v_cvt_f32_i32_sdwa v3, sext(v5) dst_sel:DWORD dst_unused:UNUSED_PAD src0_sel:WORD_0
	v_mov_b32_e32 v4, 0
	global_store_dwordx2 v[1:2], v[3:4], off
.LBB223_1947:
	s_mov_b64 s[0:1], 0
.LBB223_1948:
	s_andn2_b64 vcc, exec, s[0:1]
	s_cbranch_vccnz .LBB223_1950
; %bb.1949:
	v_cvt_f16_i16_e32 v3, v5
	global_store_dword v[1:2], v3, off
.LBB223_1950:
	s_mov_b64 s[0:1], 0
.LBB223_1951:
	s_andn2_b64 vcc, exec, s[0:1]
	s_cbranch_vccnz .LBB223_1960
; %bb.1952:
	s_cmp_lt_i32 s17, 6
	s_mov_b64 s[0:1], -1
	s_cbranch_scc1 .LBB223_1958
; %bb.1953:
	s_cmp_gt_i32 s17, 6
	s_cbranch_scc0 .LBB223_1955
; %bb.1954:
	v_bfe_i32 v3, v5, 0, 16
	v_cvt_f64_i32_e32 v[3:4], v3
	s_mov_b64 s[0:1], 0
	global_store_dwordx2 v[1:2], v[3:4], off
.LBB223_1955:
	s_andn2_b64 vcc, exec, s[0:1]
	s_cbranch_vccnz .LBB223_1957
; %bb.1956:
	v_cvt_f32_i32_sdwa v3, sext(v5) dst_sel:DWORD dst_unused:UNUSED_PAD src0_sel:WORD_0
	global_store_dword v[1:2], v3, off
.LBB223_1957:
	s_mov_b64 s[0:1], 0
.LBB223_1958:
	s_andn2_b64 vcc, exec, s[0:1]
	s_cbranch_vccnz .LBB223_1960
; %bb.1959:
	v_cvt_f16_i16_e32 v3, v5
	global_store_short v[1:2], v3, off
.LBB223_1960:
	s_mov_b64 s[0:1], 0
.LBB223_1961:
	s_andn2_b64 vcc, exec, s[0:1]
	s_cbranch_vccnz .LBB223_1977
; %bb.1962:
	s_cmp_lt_i32 s17, 2
	s_mov_b64 s[0:1], -1
	s_cbranch_scc1 .LBB223_1972
; %bb.1963:
	s_cmp_lt_i32 s17, 3
	s_cbranch_scc1 .LBB223_1969
; %bb.1964:
	s_cmp_gt_i32 s17, 3
	v_bfe_i32 v3, v5, 0, 16
	s_cbranch_scc0 .LBB223_1966
; %bb.1965:
	v_ashrrev_i32_e32 v4, 31, v3
	global_store_dwordx2 v[1:2], v[3:4], off
	s_mov_b64 s[0:1], 0
.LBB223_1966:
	s_andn2_b64 vcc, exec, s[0:1]
	s_cbranch_vccnz .LBB223_1968
; %bb.1967:
	global_store_dword v[1:2], v3, off
.LBB223_1968:
	s_mov_b64 s[0:1], 0
.LBB223_1969:
	s_andn2_b64 vcc, exec, s[0:1]
	s_cbranch_vccnz .LBB223_1971
; %bb.1970:
	global_store_short v[1:2], v5, off
.LBB223_1971:
	s_mov_b64 s[0:1], 0
.LBB223_1972:
	s_andn2_b64 vcc, exec, s[0:1]
	s_cbranch_vccnz .LBB223_1977
; %bb.1973:
	s_cmp_gt_i32 s17, 0
	s_mov_b64 s[0:1], -1
	s_cbranch_scc0 .LBB223_1975
; %bb.1974:
	global_store_byte v[1:2], v5, off
	s_mov_b64 s[0:1], 0
.LBB223_1975:
	s_andn2_b64 vcc, exec, s[0:1]
	s_cbranch_vccnz .LBB223_1977
; %bb.1976:
	global_store_byte v[1:2], v5, off
.LBB223_1977:
	s_mov_b64 s[6:7], -1
.LBB223_1978:
	s_andn2_b64 vcc, exec, s[6:7]
	s_cbranch_vccnz .LBB223_2055
; %bb.1979:
	v_ashrrev_i32_sdwa v1, v7, s15 dst_sel:DWORD dst_unused:UNUSED_PAD src0_sel:WORD_0 src1_sel:DWORD
	v_mov_b32_e32 v2, s16
	v_cmp_lt_u16_e32 vcc, 14, v7
	v_cndmask_b32_e32 v2, v1, v2, vcc
	v_mov_b32_e32 v1, s9
	v_add_co_u32_e32 v0, vcc, s8, v0
	s_cmp_lt_i32 s17, 11
	v_addc_co_u32_e32 v1, vcc, 0, v1, vcc
	s_cbranch_scc1 .LBB223_2100
; %bb.1980:
	s_mov_b64 s[6:7], -1
	s_mov_b64 s[4:5], 0
	s_cmp_gt_i32 s17, 25
	s_mov_b64 s[0:1], 0
	s_cbranch_scc0 .LBB223_2013
; %bb.1981:
	s_cmp_gt_i32 s17, 28
	s_cbranch_scc0 .LBB223_1997
; %bb.1982:
	s_cmp_gt_i32 s17, 43
	;; [unrolled: 3-line block ×3, first 2 shown]
	s_cbranch_scc0 .LBB223_1987
; %bb.1984:
	s_cmp_eq_u32 s17, 46
	s_mov_b64 s[0:1], -1
	s_cbranch_scc0 .LBB223_1986
; %bb.1985:
	v_cvt_f32_i32_sdwa v3, sext(v2) dst_sel:DWORD dst_unused:UNUSED_PAD src0_sel:WORD_0
	s_movk_i32 s0, 0x7fff
	v_bfe_u32 v4, v3, 16, 1
	v_add3_u32 v3, v3, v4, s0
	v_lshrrev_b32_e32 v3, 16, v3
	global_store_dword v[0:1], v3, off
	s_mov_b64 s[0:1], 0
.LBB223_1986:
	s_mov_b64 s[6:7], 0
.LBB223_1987:
	s_and_b64 vcc, exec, s[6:7]
	s_cbranch_vccz .LBB223_1992
; %bb.1988:
	s_cmp_eq_u32 s17, 44
	s_mov_b64 s[0:1], -1
	s_cbranch_scc0 .LBB223_1992
; %bb.1989:
	v_cvt_f32_i32_sdwa v3, sext(v2) dst_sel:DWORD dst_unused:UNUSED_PAD src0_sel:WORD_0
	s_movk_i32 s0, 0xff
	v_mov_b32_e32 v5, 0xff
	v_bfe_u32 v4, v3, 23, 8
	v_cmp_ne_u32_e32 vcc, s0, v4
	s_and_saveexec_b64 s[6:7], vcc
; %bb.1990:
	s_mov_b32 s0, 0x3fffff
	v_lshrrev_b32_e32 v5, 23, v3
	v_and_b32_e32 v6, 0x400000, v3
	v_and_or_b32 v3, v3, s0, v4
	v_cmp_ne_u32_e32 vcc, 0, v6
	v_cmp_ne_u32_e64 s[0:1], 0, v3
	s_and_b64 s[0:1], vcc, s[0:1]
	v_cndmask_b32_e64 v3, 0, 1, s[0:1]
	v_add_u32_e32 v5, v5, v3
; %bb.1991:
	s_or_b64 exec, exec, s[6:7]
	s_mov_b64 s[0:1], 0
	global_store_byte v[0:1], v5, off
.LBB223_1992:
	s_mov_b64 s[6:7], 0
.LBB223_1993:
	s_and_b64 vcc, exec, s[6:7]
	s_cbranch_vccz .LBB223_1996
; %bb.1994:
	s_cmp_eq_u32 s17, 29
	s_mov_b64 s[0:1], -1
	s_cbranch_scc0 .LBB223_1996
; %bb.1995:
	v_bfe_i32 v3, v2, 0, 16
	v_ashrrev_i32_e32 v4, 31, v3
	global_store_dwordx2 v[0:1], v[3:4], off
	s_mov_b64 s[0:1], 0
.LBB223_1996:
	s_mov_b64 s[6:7], 0
.LBB223_1997:
	s_and_b64 vcc, exec, s[6:7]
	s_cbranch_vccz .LBB223_2012
; %bb.1998:
	s_cmp_lt_i32 s17, 27
	s_mov_b64 s[6:7], -1
	s_cbranch_scc1 .LBB223_2004
; %bb.1999:
	s_cmp_gt_i32 s17, 27
	s_cbranch_scc0 .LBB223_2001
; %bb.2000:
	v_bfe_i32 v3, v2, 0, 16
	global_store_dword v[0:1], v3, off
	s_mov_b64 s[6:7], 0
.LBB223_2001:
	s_andn2_b64 vcc, exec, s[6:7]
	s_cbranch_vccnz .LBB223_2003
; %bb.2002:
	global_store_short v[0:1], v2, off
.LBB223_2003:
	s_mov_b64 s[6:7], 0
.LBB223_2004:
	s_andn2_b64 vcc, exec, s[6:7]
	s_cbranch_vccnz .LBB223_2012
; %bb.2005:
	v_cvt_f32_i32_sdwa v3, sext(v2) dst_sel:DWORD dst_unused:UNUSED_PAD src0_sel:WORD_0
	s_mov_b32 s6, 0x43800000
	v_mov_b32_e32 v5, 0x80
	v_and_b32_e32 v4, 0x7fffffff, v3
	v_cmp_gt_u32_e32 vcc, s6, v4
	s_and_saveexec_b64 s[6:7], vcc
	s_cbranch_execz .LBB223_2011
; %bb.2006:
	s_mov_b32 s8, 0x3bffffff
	v_cmp_lt_u32_e32 vcc, s8, v4
	s_mov_b64 s[8:9], 0
                                        ; implicit-def: $vgpr4
	s_and_saveexec_b64 s[10:11], vcc
	s_xor_b64 s[10:11], exec, s[10:11]
	s_cbranch_execz .LBB223_2117
; %bb.2007:
	v_bfe_u32 v4, v3, 20, 1
	s_mov_b32 s12, 0x487ffff
	v_add3_u32 v4, v3, v4, s12
	s_mov_b64 s[8:9], exec
	v_lshrrev_b32_e32 v4, 20, v4
	s_andn2_saveexec_b64 s[10:11], s[10:11]
	s_cbranch_execnz .LBB223_2118
.LBB223_2008:
	s_or_b64 exec, exec, s[10:11]
	v_mov_b32_e32 v5, 0
	s_and_saveexec_b64 s[10:11], s[8:9]
.LBB223_2009:
	v_lshrrev_b32_e32 v3, 24, v3
	s_movk_i32 s8, 0x80
	v_and_or_b32 v5, v3, s8, v4
.LBB223_2010:
	s_or_b64 exec, exec, s[10:11]
.LBB223_2011:
	s_or_b64 exec, exec, s[6:7]
	global_store_byte v[0:1], v5, off
.LBB223_2012:
	s_mov_b64 s[6:7], 0
.LBB223_2013:
	s_and_b64 vcc, exec, s[6:7]
	s_cbranch_vccz .LBB223_2053
; %bb.2014:
	s_cmp_gt_i32 s17, 22
	s_mov_b64 s[4:5], -1
	s_cbranch_scc0 .LBB223_2046
; %bb.2015:
	s_cmp_lt_i32 s17, 24
	s_cbranch_scc1 .LBB223_2035
; %bb.2016:
	s_cmp_gt_i32 s17, 24
	s_cbranch_scc0 .LBB223_2024
; %bb.2017:
	v_cvt_f32_i32_sdwa v3, sext(v2) dst_sel:DWORD dst_unused:UNUSED_PAD src0_sel:WORD_0
	s_mov_b32 s4, 0x47800000
	v_mov_b32_e32 v5, 0x80
	v_and_b32_e32 v4, 0x7fffffff, v3
	v_cmp_gt_u32_e32 vcc, s4, v4
	s_and_saveexec_b64 s[4:5], vcc
	s_cbranch_execz .LBB223_2023
; %bb.2018:
	s_mov_b32 s6, 0x37ffffff
	v_cmp_lt_u32_e32 vcc, s6, v4
	s_mov_b64 s[6:7], 0
                                        ; implicit-def: $vgpr4
	s_and_saveexec_b64 s[8:9], vcc
	s_xor_b64 s[8:9], exec, s[8:9]
	s_cbranch_execz .LBB223_2120
; %bb.2019:
	v_bfe_u32 v4, v3, 21, 1
	s_mov_b32 s10, 0x88fffff
	v_add3_u32 v4, v3, v4, s10
	s_mov_b64 s[6:7], exec
	v_lshrrev_b32_e32 v4, 21, v4
	s_andn2_saveexec_b64 s[8:9], s[8:9]
	s_cbranch_execnz .LBB223_2121
.LBB223_2020:
	s_or_b64 exec, exec, s[8:9]
	v_mov_b32_e32 v5, 0
	s_and_saveexec_b64 s[8:9], s[6:7]
.LBB223_2021:
	v_lshrrev_b32_e32 v3, 24, v3
	s_movk_i32 s6, 0x80
	v_and_or_b32 v5, v3, s6, v4
.LBB223_2022:
	s_or_b64 exec, exec, s[8:9]
.LBB223_2023:
	s_or_b64 exec, exec, s[4:5]
	s_mov_b64 s[4:5], 0
	global_store_byte v[0:1], v5, off
.LBB223_2024:
	s_and_b64 vcc, exec, s[4:5]
	s_cbranch_vccz .LBB223_2034
; %bb.2025:
	v_cvt_f32_i32_sdwa v3, sext(v2) dst_sel:DWORD dst_unused:UNUSED_PAD src0_sel:WORD_0
	s_mov_b32 s4, 0x43f00000
                                        ; implicit-def: $vgpr4
	v_and_b32_e32 v5, 0x7fffffff, v3
	v_cmp_gt_u32_e32 vcc, s4, v5
	s_and_saveexec_b64 s[4:5], vcc
	s_xor_b64 s[4:5], exec, s[4:5]
	s_cbranch_execz .LBB223_2031
; %bb.2026:
	s_mov_b32 s6, 0x3c7fffff
	v_cmp_lt_u32_e32 vcc, s6, v5
                                        ; implicit-def: $vgpr4
	s_and_saveexec_b64 s[6:7], vcc
	s_xor_b64 s[6:7], exec, s[6:7]
; %bb.2027:
	v_bfe_u32 v4, v3, 20, 1
	s_mov_b32 s8, 0x407ffff
	v_add3_u32 v4, v3, v4, s8
	v_lshrrev_b32_e32 v5, 20, v4
	v_and_b32_e32 v4, 0xff00000, v4
	s_mov_b32 s8, 0x7f00000
	v_mov_b32_e32 v6, 0x7e
	v_cmp_ne_u32_e32 vcc, s8, v4
	v_cndmask_b32_e32 v4, v6, v5, vcc
; %bb.2028:
	s_andn2_saveexec_b64 s[6:7], s[6:7]
; %bb.2029:
	s_mov_b32 s8, 0x46800000
	v_add_f32_e64 v4, |v3|, s8
; %bb.2030:
	s_or_b64 exec, exec, s[6:7]
                                        ; implicit-def: $vgpr5
.LBB223_2031:
	s_andn2_saveexec_b64 s[4:5], s[4:5]
; %bb.2032:
	s_mov_b32 s6, 0x7f800000
	v_mov_b32_e32 v4, 0x7e
	v_mov_b32_e32 v6, 0x7f
	v_cmp_lt_u32_e32 vcc, s6, v5
	v_cndmask_b32_e32 v4, v4, v6, vcc
; %bb.2033:
	s_or_b64 exec, exec, s[4:5]
	v_lshrrev_b32_e32 v3, 24, v3
	s_movk_i32 s4, 0x80
	v_and_or_b32 v3, v3, s4, v4
	global_store_byte v[0:1], v3, off
.LBB223_2034:
	s_mov_b64 s[4:5], 0
.LBB223_2035:
	s_andn2_b64 vcc, exec, s[4:5]
	s_cbranch_vccnz .LBB223_2045
; %bb.2036:
	v_cvt_f32_i32_sdwa v3, sext(v2) dst_sel:DWORD dst_unused:UNUSED_PAD src0_sel:WORD_0
	s_mov_b32 s4, 0x47800000
                                        ; implicit-def: $vgpr4
	v_and_b32_e32 v5, 0x7fffffff, v3
	v_cmp_gt_u32_e32 vcc, s4, v5
	s_and_saveexec_b64 s[4:5], vcc
	s_xor_b64 s[4:5], exec, s[4:5]
	s_cbranch_execz .LBB223_2042
; %bb.2037:
	s_mov_b32 s6, 0x387fffff
	v_cmp_lt_u32_e32 vcc, s6, v5
                                        ; implicit-def: $vgpr4
	s_and_saveexec_b64 s[6:7], vcc
	s_xor_b64 s[6:7], exec, s[6:7]
; %bb.2038:
	v_bfe_u32 v4, v3, 21, 1
	s_mov_b32 s8, 0x80fffff
	v_add3_u32 v4, v3, v4, s8
	v_lshrrev_b32_e32 v4, 21, v4
; %bb.2039:
	s_andn2_saveexec_b64 s[6:7], s[6:7]
; %bb.2040:
	s_mov_b32 s8, 0x43000000
	v_add_f32_e64 v4, |v3|, s8
; %bb.2041:
	s_or_b64 exec, exec, s[6:7]
                                        ; implicit-def: $vgpr5
.LBB223_2042:
	s_andn2_saveexec_b64 s[4:5], s[4:5]
; %bb.2043:
	s_mov_b32 s6, 0x7f800000
	v_mov_b32_e32 v4, 0x7c
	v_mov_b32_e32 v6, 0x7f
	v_cmp_lt_u32_e32 vcc, s6, v5
	v_cndmask_b32_e32 v4, v4, v6, vcc
; %bb.2044:
	s_or_b64 exec, exec, s[4:5]
	v_lshrrev_b32_e32 v3, 24, v3
	s_movk_i32 s4, 0x80
	v_and_or_b32 v3, v3, s4, v4
	global_store_byte v[0:1], v3, off
.LBB223_2045:
	s_mov_b64 s[4:5], 0
.LBB223_2046:
	s_andn2_b64 vcc, exec, s[4:5]
	s_mov_b64 s[4:5], 0
	s_cbranch_vccnz .LBB223_2053
; %bb.2047:
	s_cmp_gt_i32 s17, 14
	s_mov_b64 s[6:7], -1
	s_cbranch_scc0 .LBB223_2051
; %bb.2048:
	s_cmp_eq_u32 s17, 15
	s_mov_b64 s[0:1], -1
	s_cbranch_scc0 .LBB223_2050
; %bb.2049:
	v_cvt_f32_i32_sdwa v3, sext(v2) dst_sel:DWORD dst_unused:UNUSED_PAD src0_sel:WORD_0
	s_movk_i32 s0, 0x7fff
	v_bfe_u32 v4, v3, 16, 1
	v_add3_u32 v3, v3, v4, s0
	global_store_short_d16_hi v[0:1], v3, off
	s_mov_b64 s[0:1], 0
.LBB223_2050:
	s_mov_b64 s[6:7], 0
.LBB223_2051:
	s_and_b64 vcc, exec, s[6:7]
	s_cbranch_vccz .LBB223_2053
; %bb.2052:
	s_cmp_lg_u32 s17, 11
	s_mov_b64 s[4:5], -1
	s_cselect_b64 s[0:1], -1, 0
.LBB223_2053:
	s_and_b64 vcc, exec, s[0:1]
	s_cbranch_vccnz .LBB223_2119
.LBB223_2054:
	s_mov_b64 s[0:1], 0
	s_branch .LBB223_2056
.LBB223_2055:
	s_mov_b64 s[0:1], 0
	s_mov_b64 s[4:5], 0
                                        ; implicit-def: $vgpr0_vgpr1
                                        ; implicit-def: $sgpr14
                                        ; implicit-def: $vgpr2
.LBB223_2056:
	s_and_b64 s[6:7], s[4:5], exec
	s_andn2_b64 s[4:5], s[28:29], exec
	s_and_b64 s[2:3], s[2:3], exec
	s_and_b64 s[0:1], s[0:1], exec
	s_or_b64 s[28:29], s[4:5], s[2:3]
.LBB223_2057:
	s_or_b64 exec, exec, s[30:31]
	s_and_saveexec_b64 s[2:3], s[28:29]
	s_cbranch_execz .LBB223_2060
; %bb.2058:
	; divergent unreachable
	s_or_b64 exec, exec, s[2:3]
	s_and_saveexec_b64 s[2:3], s[6:7]
	s_xor_b64 s[2:3], exec, s[2:3]
	s_cbranch_execnz .LBB223_2061
.LBB223_2059:
	s_or_b64 exec, exec, s[2:3]
	s_and_saveexec_b64 s[2:3], s[0:1]
	s_cbranch_execnz .LBB223_2062
	s_branch .LBB223_2099
.LBB223_2060:
	s_or_b64 exec, exec, s[2:3]
	s_and_saveexec_b64 s[2:3], s[6:7]
	s_xor_b64 s[2:3], exec, s[2:3]
	s_cbranch_execz .LBB223_2059
.LBB223_2061:
	v_cmp_ne_u16_e32 vcc, 0, v2
	s_waitcnt vmcnt(0)
	v_cndmask_b32_e64 v3, 0, 1, vcc
	global_store_byte v[0:1], v3, off
	s_or_b64 exec, exec, s[2:3]
	s_and_saveexec_b64 s[2:3], s[0:1]
	s_cbranch_execz .LBB223_2099
.LBB223_2062:
	s_sext_i32_i16 s2, s14
	s_cmp_lt_i32 s2, 5
	s_mov_b64 s[0:1], -1
	s_cbranch_scc1 .LBB223_2083
; %bb.2063:
	s_cmp_lt_i32 s2, 8
	s_cbranch_scc1 .LBB223_2073
; %bb.2064:
	s_cmp_lt_i32 s2, 9
	s_cbranch_scc1 .LBB223_2070
; %bb.2065:
	s_cmp_gt_i32 s2, 9
	s_cbranch_scc0 .LBB223_2067
; %bb.2066:
	s_waitcnt vmcnt(0)
	v_bfe_i32 v3, v2, 0, 16
	v_cvt_f64_i32_e32 v[3:4], v3
	v_mov_b32_e32 v5, 0
	v_mov_b32_e32 v6, v5
	s_mov_b64 s[0:1], 0
	global_store_dwordx4 v[0:1], v[3:6], off
.LBB223_2067:
	s_andn2_b64 vcc, exec, s[0:1]
	s_cbranch_vccnz .LBB223_2069
; %bb.2068:
	s_waitcnt vmcnt(0)
	v_cvt_f32_i32_sdwa v3, sext(v2) dst_sel:DWORD dst_unused:UNUSED_PAD src0_sel:WORD_0
	v_mov_b32_e32 v4, 0
	global_store_dwordx2 v[0:1], v[3:4], off
.LBB223_2069:
	s_mov_b64 s[0:1], 0
.LBB223_2070:
	s_andn2_b64 vcc, exec, s[0:1]
	s_cbranch_vccnz .LBB223_2072
; %bb.2071:
	s_waitcnt vmcnt(0)
	v_cvt_f16_i16_e32 v3, v2
	global_store_dword v[0:1], v3, off
.LBB223_2072:
	s_mov_b64 s[0:1], 0
.LBB223_2073:
	s_andn2_b64 vcc, exec, s[0:1]
	s_cbranch_vccnz .LBB223_2082
; %bb.2074:
	s_sext_i32_i16 s2, s14
	s_cmp_lt_i32 s2, 6
	s_mov_b64 s[0:1], -1
	s_cbranch_scc1 .LBB223_2080
; %bb.2075:
	s_cmp_gt_i32 s2, 6
	s_cbranch_scc0 .LBB223_2077
; %bb.2076:
	s_waitcnt vmcnt(0)
	v_bfe_i32 v3, v2, 0, 16
	v_cvt_f64_i32_e32 v[3:4], v3
	s_mov_b64 s[0:1], 0
	global_store_dwordx2 v[0:1], v[3:4], off
.LBB223_2077:
	s_andn2_b64 vcc, exec, s[0:1]
	s_cbranch_vccnz .LBB223_2079
; %bb.2078:
	s_waitcnt vmcnt(0)
	v_cvt_f32_i32_sdwa v3, sext(v2) dst_sel:DWORD dst_unused:UNUSED_PAD src0_sel:WORD_0
	global_store_dword v[0:1], v3, off
.LBB223_2079:
	s_mov_b64 s[0:1], 0
.LBB223_2080:
	s_andn2_b64 vcc, exec, s[0:1]
	s_cbranch_vccnz .LBB223_2082
; %bb.2081:
	s_waitcnt vmcnt(0)
	v_cvt_f16_i16_e32 v3, v2
	global_store_short v[0:1], v3, off
.LBB223_2082:
	s_mov_b64 s[0:1], 0
.LBB223_2083:
	s_andn2_b64 vcc, exec, s[0:1]
	s_cbranch_vccnz .LBB223_2099
; %bb.2084:
	s_sext_i32_i16 s2, s14
	s_cmp_lt_i32 s2, 2
	s_mov_b64 s[0:1], -1
	s_cbranch_scc1 .LBB223_2094
; %bb.2085:
	s_cmp_lt_i32 s2, 3
	s_cbranch_scc1 .LBB223_2091
; %bb.2086:
	s_cmp_gt_i32 s2, 3
	s_cbranch_scc0 .LBB223_2088
; %bb.2087:
	s_waitcnt vmcnt(0)
	v_bfe_i32 v3, v2, 0, 16
	v_ashrrev_i32_e32 v4, 31, v3
	global_store_dwordx2 v[0:1], v[3:4], off
	s_mov_b64 s[0:1], 0
.LBB223_2088:
	s_andn2_b64 vcc, exec, s[0:1]
	s_cbranch_vccnz .LBB223_2090
; %bb.2089:
	s_waitcnt vmcnt(0)
	v_bfe_i32 v3, v2, 0, 16
	global_store_dword v[0:1], v3, off
.LBB223_2090:
	s_mov_b64 s[0:1], 0
.LBB223_2091:
	s_andn2_b64 vcc, exec, s[0:1]
	s_cbranch_vccnz .LBB223_2093
; %bb.2092:
	global_store_short v[0:1], v2, off
.LBB223_2093:
	s_mov_b64 s[0:1], 0
.LBB223_2094:
	s_andn2_b64 vcc, exec, s[0:1]
	s_cbranch_vccnz .LBB223_2099
; %bb.2095:
	s_sext_i32_i16 s0, s14
	s_cmp_gt_i32 s0, 0
	s_mov_b64 s[0:1], -1
	s_cbranch_scc0 .LBB223_2097
; %bb.2096:
	global_store_byte v[0:1], v2, off
	s_mov_b64 s[0:1], 0
.LBB223_2097:
	s_andn2_b64 vcc, exec, s[0:1]
	s_cbranch_vccnz .LBB223_2099
; %bb.2098:
	global_store_byte v[0:1], v2, off
	s_endpgm
.LBB223_2099:
	s_endpgm
.LBB223_2100:
	s_mov_b64 s[4:5], 0
	s_mov_b64 s[0:1], -1
	s_branch .LBB223_2056
.LBB223_2101:
	s_trap 2
	s_or_b64 s[2:3], s[2:3], exec
	s_cbranch_execz .LBB223_1570
	s_branch .LBB223_1571
.LBB223_2102:
	s_andn2_saveexec_b64 s[12:13], s[12:13]
	s_cbranch_execz .LBB223_1650
.LBB223_2103:
	s_mov_b32 s18, 0x46000000
	v_add_f32_e64 v8, |v3|, s18
	v_and_b32_e32 v8, 0xff, v8
	v_cmp_ne_u32_e32 vcc, 0, v8
	s_andn2_b64 s[10:11], s[10:11], exec
	s_and_b64 s[18:19], vcc, exec
	s_or_b64 s[10:11], s[10:11], s[18:19]
	s_or_b64 exec, exec, s[12:13]
	v_mov_b32_e32 v10, 0
	s_and_saveexec_b64 s[12:13], s[10:11]
	s_cbranch_execnz .LBB223_1651
	s_branch .LBB223_1652
.LBB223_2104:
	s_trap 2
	s_or_b64 s[2:3], s[2:3], exec
	s_cbranch_execz .LBB223_1698
	s_branch .LBB223_1699
.LBB223_2105:
	s_andn2_saveexec_b64 s[10:11], s[10:11]
	s_cbranch_execz .LBB223_1663
.LBB223_2106:
	s_mov_b32 s12, 0x42800000
	v_add_f32_e64 v8, |v3|, s12
	v_and_b32_e32 v8, 0xff, v8
	v_cmp_ne_u32_e32 vcc, 0, v8
	s_andn2_b64 s[6:7], s[6:7], exec
	s_and_b64 s[12:13], vcc, exec
	s_or_b64 s[6:7], s[6:7], s[12:13]
	s_or_b64 exec, exec, s[10:11]
	v_mov_b32_e32 v10, 0
	s_and_saveexec_b64 s[10:11], s[6:7]
	s_cbranch_execnz .LBB223_1664
	s_branch .LBB223_1665
.LBB223_2107:
	s_andn2_saveexec_b64 s[12:13], s[12:13]
	s_cbranch_execz .LBB223_1769
.LBB223_2108:
	s_mov_b32 s18, 0x46000000
	v_add_f32_e64 v6, |v5|, s18
	v_and_b32_e32 v6, 0xff, v6
	v_cmp_ne_u32_e32 vcc, 0, v6
	s_andn2_b64 s[10:11], s[10:11], exec
	s_and_b64 s[18:19], vcc, exec
	s_or_b64 s[10:11], s[10:11], s[18:19]
	s_or_b64 exec, exec, s[12:13]
	v_mov_b32_e32 v8, 0
	s_and_saveexec_b64 s[12:13], s[10:11]
	s_cbranch_execnz .LBB223_1770
	s_branch .LBB223_1771
.LBB223_2109:
	s_trap 2
	s_or_b64 s[2:3], s[2:3], exec
	s_cbranch_execz .LBB223_1817
	s_branch .LBB223_1818
.LBB223_2110:
	s_andn2_saveexec_b64 s[10:11], s[10:11]
	s_cbranch_execz .LBB223_1782
.LBB223_2111:
	s_mov_b32 s12, 0x42800000
	v_add_f32_e64 v6, |v5|, s12
	v_and_b32_e32 v6, 0xff, v6
	v_cmp_ne_u32_e32 vcc, 0, v6
	s_andn2_b64 s[6:7], s[6:7], exec
	s_and_b64 s[12:13], vcc, exec
	s_or_b64 s[6:7], s[6:7], s[12:13]
	s_or_b64 exec, exec, s[10:11]
	v_mov_b32_e32 v8, 0
	s_and_saveexec_b64 s[10:11], s[6:7]
	s_cbranch_execnz .LBB223_1783
	s_branch .LBB223_1784
.LBB223_2112:
	s_andn2_saveexec_b64 s[12:13], s[12:13]
	s_cbranch_execz .LBB223_1888
.LBB223_2113:
	s_mov_b32 s18, 0x46000000
	v_add_f32_e64 v4, |v3|, s18
	v_and_b32_e32 v4, 0xff, v4
	v_cmp_ne_u32_e32 vcc, 0, v4
	s_andn2_b64 s[10:11], s[10:11], exec
	s_and_b64 s[18:19], vcc, exec
	s_or_b64 s[10:11], s[10:11], s[18:19]
	s_or_b64 exec, exec, s[12:13]
	v_mov_b32_e32 v6, 0
	s_and_saveexec_b64 s[12:13], s[10:11]
	s_cbranch_execnz .LBB223_1889
	s_branch .LBB223_1890
.LBB223_2114:
	s_trap 2
	s_or_b64 s[2:3], s[2:3], exec
	s_cbranch_execz .LBB223_1936
	s_branch .LBB223_1937
.LBB223_2115:
	s_andn2_saveexec_b64 s[10:11], s[10:11]
	s_cbranch_execz .LBB223_1901
.LBB223_2116:
	s_mov_b32 s12, 0x42800000
	v_add_f32_e64 v4, |v3|, s12
	v_and_b32_e32 v4, 0xff, v4
	v_cmp_ne_u32_e32 vcc, 0, v4
	s_andn2_b64 s[6:7], s[6:7], exec
	s_and_b64 s[12:13], vcc, exec
	s_or_b64 s[6:7], s[6:7], s[12:13]
	s_or_b64 exec, exec, s[10:11]
	v_mov_b32_e32 v6, 0
	s_and_saveexec_b64 s[10:11], s[6:7]
	s_cbranch_execnz .LBB223_1902
	s_branch .LBB223_1903
.LBB223_2117:
	s_andn2_saveexec_b64 s[10:11], s[10:11]
	s_cbranch_execz .LBB223_2008
.LBB223_2118:
	s_mov_b32 s12, 0x46000000
	v_add_f32_e64 v4, |v3|, s12
	v_and_b32_e32 v4, 0xff, v4
	v_cmp_ne_u32_e32 vcc, 0, v4
	s_andn2_b64 s[8:9], s[8:9], exec
	s_and_b64 s[12:13], vcc, exec
	s_or_b64 s[8:9], s[8:9], s[12:13]
	s_or_b64 exec, exec, s[10:11]
	v_mov_b32_e32 v5, 0
	s_and_saveexec_b64 s[10:11], s[8:9]
	s_cbranch_execnz .LBB223_2009
	s_branch .LBB223_2010
.LBB223_2119:
	s_mov_b64 s[4:5], 0
	s_or_b64 s[2:3], s[2:3], exec
	s_trap 2
	s_branch .LBB223_2054
.LBB223_2120:
	s_andn2_saveexec_b64 s[8:9], s[8:9]
	s_cbranch_execz .LBB223_2020
.LBB223_2121:
	s_mov_b32 s10, 0x42800000
	v_add_f32_e64 v4, |v3|, s10
	v_and_b32_e32 v4, 0xff, v4
	v_cmp_ne_u32_e32 vcc, 0, v4
	s_andn2_b64 s[6:7], s[6:7], exec
	s_and_b64 s[10:11], vcc, exec
	s_or_b64 s[6:7], s[6:7], s[10:11]
	s_or_b64 exec, exec, s[8:9]
	v_mov_b32_e32 v5, 0
	s_and_saveexec_b64 s[8:9], s[6:7]
	s_cbranch_execnz .LBB223_2021
	s_branch .LBB223_2022
	.section	.rodata,"a",@progbits
	.p2align	6, 0x0
	.amdhsa_kernel _ZN2at6native32elementwise_kernel_manual_unrollILi128ELi4EZNS0_15gpu_kernel_implINS0_13AUnaryFunctorIsssZZZNS0_18rshift_kernel_cudaERNS_18TensorIteratorBaseEENKUlvE_clEvENKUlvE3_clEvEUlssE_EEEEvS5_RKT_EUlibE0_EEviT1_
		.amdhsa_group_segment_fixed_size 0
		.amdhsa_private_segment_fixed_size 0
		.amdhsa_kernarg_size 360
		.amdhsa_user_sgpr_count 6
		.amdhsa_user_sgpr_private_segment_buffer 1
		.amdhsa_user_sgpr_dispatch_ptr 0
		.amdhsa_user_sgpr_queue_ptr 0
		.amdhsa_user_sgpr_kernarg_segment_ptr 1
		.amdhsa_user_sgpr_dispatch_id 0
		.amdhsa_user_sgpr_flat_scratch_init 0
		.amdhsa_user_sgpr_private_segment_size 0
		.amdhsa_uses_dynamic_stack 0
		.amdhsa_system_sgpr_private_segment_wavefront_offset 0
		.amdhsa_system_sgpr_workgroup_id_x 1
		.amdhsa_system_sgpr_workgroup_id_y 0
		.amdhsa_system_sgpr_workgroup_id_z 0
		.amdhsa_system_sgpr_workgroup_info 0
		.amdhsa_system_vgpr_workitem_id 0
		.amdhsa_next_free_vgpr 18
		.amdhsa_next_free_sgpr 80
		.amdhsa_reserve_vcc 1
		.amdhsa_reserve_flat_scratch 0
		.amdhsa_float_round_mode_32 0
		.amdhsa_float_round_mode_16_64 0
		.amdhsa_float_denorm_mode_32 3
		.amdhsa_float_denorm_mode_16_64 3
		.amdhsa_dx10_clamp 1
		.amdhsa_ieee_mode 1
		.amdhsa_fp16_overflow 0
		.amdhsa_exception_fp_ieee_invalid_op 0
		.amdhsa_exception_fp_denorm_src 0
		.amdhsa_exception_fp_ieee_div_zero 0
		.amdhsa_exception_fp_ieee_overflow 0
		.amdhsa_exception_fp_ieee_underflow 0
		.amdhsa_exception_fp_ieee_inexact 0
		.amdhsa_exception_int_div_zero 0
	.end_amdhsa_kernel
	.section	.text._ZN2at6native32elementwise_kernel_manual_unrollILi128ELi4EZNS0_15gpu_kernel_implINS0_13AUnaryFunctorIsssZZZNS0_18rshift_kernel_cudaERNS_18TensorIteratorBaseEENKUlvE_clEvENKUlvE3_clEvEUlssE_EEEEvS5_RKT_EUlibE0_EEviT1_,"axG",@progbits,_ZN2at6native32elementwise_kernel_manual_unrollILi128ELi4EZNS0_15gpu_kernel_implINS0_13AUnaryFunctorIsssZZZNS0_18rshift_kernel_cudaERNS_18TensorIteratorBaseEENKUlvE_clEvENKUlvE3_clEvEUlssE_EEEEvS5_RKT_EUlibE0_EEviT1_,comdat
.Lfunc_end223:
	.size	_ZN2at6native32elementwise_kernel_manual_unrollILi128ELi4EZNS0_15gpu_kernel_implINS0_13AUnaryFunctorIsssZZZNS0_18rshift_kernel_cudaERNS_18TensorIteratorBaseEENKUlvE_clEvENKUlvE3_clEvEUlssE_EEEEvS5_RKT_EUlibE0_EEviT1_, .Lfunc_end223-_ZN2at6native32elementwise_kernel_manual_unrollILi128ELi4EZNS0_15gpu_kernel_implINS0_13AUnaryFunctorIsssZZZNS0_18rshift_kernel_cudaERNS_18TensorIteratorBaseEENKUlvE_clEvENKUlvE3_clEvEUlssE_EEEEvS5_RKT_EUlibE0_EEviT1_
                                        ; -- End function
	.set _ZN2at6native32elementwise_kernel_manual_unrollILi128ELi4EZNS0_15gpu_kernel_implINS0_13AUnaryFunctorIsssZZZNS0_18rshift_kernel_cudaERNS_18TensorIteratorBaseEENKUlvE_clEvENKUlvE3_clEvEUlssE_EEEEvS5_RKT_EUlibE0_EEviT1_.num_vgpr, 18
	.set _ZN2at6native32elementwise_kernel_manual_unrollILi128ELi4EZNS0_15gpu_kernel_implINS0_13AUnaryFunctorIsssZZZNS0_18rshift_kernel_cudaERNS_18TensorIteratorBaseEENKUlvE_clEvENKUlvE3_clEvEUlssE_EEEEvS5_RKT_EUlibE0_EEviT1_.num_agpr, 0
	.set _ZN2at6native32elementwise_kernel_manual_unrollILi128ELi4EZNS0_15gpu_kernel_implINS0_13AUnaryFunctorIsssZZZNS0_18rshift_kernel_cudaERNS_18TensorIteratorBaseEENKUlvE_clEvENKUlvE3_clEvEUlssE_EEEEvS5_RKT_EUlibE0_EEviT1_.numbered_sgpr, 80
	.set _ZN2at6native32elementwise_kernel_manual_unrollILi128ELi4EZNS0_15gpu_kernel_implINS0_13AUnaryFunctorIsssZZZNS0_18rshift_kernel_cudaERNS_18TensorIteratorBaseEENKUlvE_clEvENKUlvE3_clEvEUlssE_EEEEvS5_RKT_EUlibE0_EEviT1_.num_named_barrier, 0
	.set _ZN2at6native32elementwise_kernel_manual_unrollILi128ELi4EZNS0_15gpu_kernel_implINS0_13AUnaryFunctorIsssZZZNS0_18rshift_kernel_cudaERNS_18TensorIteratorBaseEENKUlvE_clEvENKUlvE3_clEvEUlssE_EEEEvS5_RKT_EUlibE0_EEviT1_.private_seg_size, 0
	.set _ZN2at6native32elementwise_kernel_manual_unrollILi128ELi4EZNS0_15gpu_kernel_implINS0_13AUnaryFunctorIsssZZZNS0_18rshift_kernel_cudaERNS_18TensorIteratorBaseEENKUlvE_clEvENKUlvE3_clEvEUlssE_EEEEvS5_RKT_EUlibE0_EEviT1_.uses_vcc, 1
	.set _ZN2at6native32elementwise_kernel_manual_unrollILi128ELi4EZNS0_15gpu_kernel_implINS0_13AUnaryFunctorIsssZZZNS0_18rshift_kernel_cudaERNS_18TensorIteratorBaseEENKUlvE_clEvENKUlvE3_clEvEUlssE_EEEEvS5_RKT_EUlibE0_EEviT1_.uses_flat_scratch, 0
	.set _ZN2at6native32elementwise_kernel_manual_unrollILi128ELi4EZNS0_15gpu_kernel_implINS0_13AUnaryFunctorIsssZZZNS0_18rshift_kernel_cudaERNS_18TensorIteratorBaseEENKUlvE_clEvENKUlvE3_clEvEUlssE_EEEEvS5_RKT_EUlibE0_EEviT1_.has_dyn_sized_stack, 0
	.set _ZN2at6native32elementwise_kernel_manual_unrollILi128ELi4EZNS0_15gpu_kernel_implINS0_13AUnaryFunctorIsssZZZNS0_18rshift_kernel_cudaERNS_18TensorIteratorBaseEENKUlvE_clEvENKUlvE3_clEvEUlssE_EEEEvS5_RKT_EUlibE0_EEviT1_.has_recursion, 0
	.set _ZN2at6native32elementwise_kernel_manual_unrollILi128ELi4EZNS0_15gpu_kernel_implINS0_13AUnaryFunctorIsssZZZNS0_18rshift_kernel_cudaERNS_18TensorIteratorBaseEENKUlvE_clEvENKUlvE3_clEvEUlssE_EEEEvS5_RKT_EUlibE0_EEviT1_.has_indirect_call, 0
	.section	.AMDGPU.csdata,"",@progbits
; Kernel info:
; codeLenInByte = 35292
; TotalNumSgprs: 84
; NumVgprs: 18
; ScratchSize: 0
; MemoryBound: 1
; FloatMode: 240
; IeeeMode: 1
; LDSByteSize: 0 bytes/workgroup (compile time only)
; SGPRBlocks: 10
; VGPRBlocks: 4
; NumSGPRsForWavesPerEU: 84
; NumVGPRsForWavesPerEU: 18
; Occupancy: 9
; WaveLimiterHint : 1
; COMPUTE_PGM_RSRC2:SCRATCH_EN: 0
; COMPUTE_PGM_RSRC2:USER_SGPR: 6
; COMPUTE_PGM_RSRC2:TRAP_HANDLER: 0
; COMPUTE_PGM_RSRC2:TGID_X_EN: 1
; COMPUTE_PGM_RSRC2:TGID_Y_EN: 0
; COMPUTE_PGM_RSRC2:TGID_Z_EN: 0
; COMPUTE_PGM_RSRC2:TIDIG_COMP_CNT: 0
	.section	.text._ZN2at6native29vectorized_elementwise_kernelILi16ENS0_13BUnaryFunctorIsssZZZNS0_18rshift_kernel_cudaERNS_18TensorIteratorBaseEENKUlvE_clEvENKUlvE3_clEvEUlssE_EESt5arrayIPcLm2EEEEviT0_T1_,"axG",@progbits,_ZN2at6native29vectorized_elementwise_kernelILi16ENS0_13BUnaryFunctorIsssZZZNS0_18rshift_kernel_cudaERNS_18TensorIteratorBaseEENKUlvE_clEvENKUlvE3_clEvEUlssE_EESt5arrayIPcLm2EEEEviT0_T1_,comdat
	.globl	_ZN2at6native29vectorized_elementwise_kernelILi16ENS0_13BUnaryFunctorIsssZZZNS0_18rshift_kernel_cudaERNS_18TensorIteratorBaseEENKUlvE_clEvENKUlvE3_clEvEUlssE_EESt5arrayIPcLm2EEEEviT0_T1_ ; -- Begin function _ZN2at6native29vectorized_elementwise_kernelILi16ENS0_13BUnaryFunctorIsssZZZNS0_18rshift_kernel_cudaERNS_18TensorIteratorBaseEENKUlvE_clEvENKUlvE3_clEvEUlssE_EESt5arrayIPcLm2EEEEviT0_T1_
	.p2align	8
	.type	_ZN2at6native29vectorized_elementwise_kernelILi16ENS0_13BUnaryFunctorIsssZZZNS0_18rshift_kernel_cudaERNS_18TensorIteratorBaseEENKUlvE_clEvENKUlvE3_clEvEUlssE_EESt5arrayIPcLm2EEEEviT0_T1_,@function
_ZN2at6native29vectorized_elementwise_kernelILi16ENS0_13BUnaryFunctorIsssZZZNS0_18rshift_kernel_cudaERNS_18TensorIteratorBaseEENKUlvE_clEvENKUlvE3_clEvEUlssE_EESt5arrayIPcLm2EEEEviT0_T1_: ; @_ZN2at6native29vectorized_elementwise_kernelILi16ENS0_13BUnaryFunctorIsssZZZNS0_18rshift_kernel_cudaERNS_18TensorIteratorBaseEENKUlvE_clEvENKUlvE3_clEvEUlssE_EESt5arrayIPcLm2EEEEviT0_T1_
; %bb.0:
	s_load_dwordx2 s[2:3], s[4:5], 0x0
	s_load_dwordx4 s[8:11], s[4:5], 0x8
	s_lshl_b32 s4, s6, 11
	s_mov_b64 s[0:1], -1
	s_waitcnt lgkmcnt(0)
	s_sub_i32 s12, s2, s4
	s_lshr_b32 s13, s3, 16
	s_cmpk_gt_i32 s12, 0x7ff
	s_cbranch_scc0 .LBB224_2
; %bb.1:
	s_ashr_i32 s5, s4, 31
	s_lshl_b64 s[0:1], s[4:5], 1
	s_add_u32 s6, s10, s0
	s_addc_u32 s7, s11, s1
	v_lshlrev_b32_e32 v5, 4, v0
	global_load_dwordx4 v[1:4], v5, s[6:7]
	s_cmp_gt_u32 s3, 0xeffff
	s_cselect_b64 vcc, -1, 0
	s_mov_b32 s2, 0x5040100
	s_add_u32 s0, s8, s0
	s_addc_u32 s1, s9, s1
	s_waitcnt vmcnt(0)
	v_pk_ashrrev_i16 v6, 15, v1 op_sel_hi:[0,1]
	v_ashrrev_i32_sdwa v7, s13, sext(v1) dst_sel:DWORD dst_unused:UNUSED_PAD src0_sel:DWORD src1_sel:WORD_0
	v_pk_ashrrev_i16 v8, 15, v2 op_sel_hi:[0,1]
	v_ashrrev_i32_sdwa v9, s13, sext(v2) dst_sel:DWORD dst_unused:UNUSED_PAD src0_sel:DWORD src1_sel:WORD_0
	v_ashrrev_i32_sdwa v1, s13, sext(v1) dst_sel:DWORD dst_unused:UNUSED_PAD src0_sel:DWORD src1_sel:WORD_1
	v_ashrrev_i32_sdwa v2, s13, sext(v2) dst_sel:DWORD dst_unused:UNUSED_PAD src0_sel:DWORD src1_sel:WORD_1
	v_pk_ashrrev_i16 v10, 15, v4 op_sel_hi:[0,1]
	v_pk_ashrrev_i16 v11, 15, v3 op_sel_hi:[0,1]
	v_ashrrev_i32_sdwa v12, s13, sext(v3) dst_sel:DWORD dst_unused:UNUSED_PAD src0_sel:DWORD src1_sel:WORD_0
	v_ashrrev_i32_sdwa v3, s13, sext(v3) dst_sel:DWORD dst_unused:UNUSED_PAD src0_sel:DWORD src1_sel:WORD_1
	v_ashrrev_i32_sdwa v13, s13, sext(v4) dst_sel:DWORD dst_unused:UNUSED_PAD src0_sel:DWORD src1_sel:WORD_0
	v_ashrrev_i32_sdwa v4, s13, sext(v4) dst_sel:DWORD dst_unused:UNUSED_PAD src0_sel:DWORD src1_sel:WORD_1
	v_cndmask_b32_e32 v7, v7, v6, vcc
	v_lshrrev_b32_e32 v6, 16, v6
	v_cndmask_b32_e32 v9, v9, v8, vcc
	v_lshrrev_b32_e32 v8, 16, v8
	v_cndmask_b32_e32 v12, v12, v11, vcc
	v_cndmask_b32_e32 v13, v13, v10, vcc
	;; [unrolled: 1-line block ×4, first 2 shown]
	v_cndmask_b32_sdwa v3, v3, v11, vcc dst_sel:DWORD dst_unused:UNUSED_PAD src0_sel:DWORD src1_sel:WORD_1
	v_cndmask_b32_sdwa v4, v4, v10, vcc dst_sel:DWORD dst_unused:UNUSED_PAD src0_sel:DWORD src1_sel:WORD_1
	v_perm_b32 v3, v3, v12, s2
	v_perm_b32 v2, v2, v9, s2
	;; [unrolled: 1-line block ×4, first 2 shown]
	global_store_dwordx4 v5, v[1:4], s[0:1]
	s_mov_b64 s[0:1], 0
.LBB224_2:
	s_andn2_b64 vcc, exec, s[0:1]
	s_cbranch_vccnz .LBB224_28
; %bb.3:
	v_cmp_gt_i32_e32 vcc, s12, v0
	v_mov_b32_e32 v3, 0
	v_or_b32_e32 v1, s4, v0
	v_mov_b32_e32 v2, 0
	v_mov_b32_e32 v4, v0
	s_and_saveexec_b64 s[6:7], vcc
	s_cbranch_execz .LBB224_5
; %bb.4:
	v_mov_b32_e32 v2, 0
	v_lshlrev_b64 v[4:5], 1, v[1:2]
	v_mov_b32_e32 v2, s11
	v_add_co_u32_e64 v4, s[0:1], s10, v4
	v_addc_co_u32_e64 v5, s[0:1], v2, v5, s[0:1]
	global_load_ushort v2, v[4:5], off
	v_or_b32_e32 v4, 0x100, v0
.LBB224_5:
	s_or_b64 exec, exec, s[6:7]
	v_cmp_gt_i32_e64 s[0:1], s12, v4
	s_and_saveexec_b64 s[6:7], s[0:1]
	s_cbranch_execz .LBB224_7
; %bb.6:
	v_add_u32_e32 v5, s4, v4
	v_mov_b32_e32 v6, 0
	v_lshlrev_b64 v[5:6], 1, v[5:6]
	v_mov_b32_e32 v3, s11
	v_add_co_u32_e64 v5, s[0:1], s10, v5
	v_addc_co_u32_e64 v6, s[0:1], v3, v6, s[0:1]
	global_load_ushort v3, v[5:6], off
	v_add_u32_e32 v4, 0x100, v4
.LBB224_7:
	s_or_b64 exec, exec, s[6:7]
	v_cmp_gt_i32_e64 s[0:1], s12, v4
	v_mov_b32_e32 v5, 0
	v_mov_b32_e32 v6, 0
	s_and_saveexec_b64 s[6:7], s[0:1]
	s_cbranch_execz .LBB224_9
; %bb.8:
	v_add_u32_e32 v6, s4, v4
	v_mov_b32_e32 v7, 0
	v_lshlrev_b64 v[6:7], 1, v[6:7]
	v_mov_b32_e32 v8, s11
	v_add_co_u32_e64 v6, s[0:1], s10, v6
	v_addc_co_u32_e64 v7, s[0:1], v8, v7, s[0:1]
	global_load_ushort v6, v[6:7], off
	v_add_u32_e32 v4, 0x100, v4
.LBB224_9:
	s_or_b64 exec, exec, s[6:7]
	v_cmp_gt_i32_e64 s[0:1], s12, v4
	s_and_saveexec_b64 s[6:7], s[0:1]
	s_cbranch_execz .LBB224_11
; %bb.10:
	v_add_u32_e32 v7, s4, v4
	v_mov_b32_e32 v8, 0
	v_lshlrev_b64 v[7:8], 1, v[7:8]
	v_mov_b32_e32 v5, s11
	v_add_co_u32_e64 v7, s[0:1], s10, v7
	v_addc_co_u32_e64 v8, s[0:1], v5, v8, s[0:1]
	global_load_ushort v5, v[7:8], off
	v_add_u32_e32 v4, 0x100, v4
.LBB224_11:
	s_or_b64 exec, exec, s[6:7]
	v_cmp_gt_i32_e64 s[0:1], s12, v4
	v_mov_b32_e32 v7, 0
	v_mov_b32_e32 v8, 0
	s_and_saveexec_b64 s[6:7], s[0:1]
	s_cbranch_execz .LBB224_13
; %bb.12:
	v_add_u32_e32 v8, s4, v4
	v_mov_b32_e32 v9, 0
	v_lshlrev_b64 v[8:9], 1, v[8:9]
	v_mov_b32_e32 v10, s11
	v_add_co_u32_e64 v8, s[0:1], s10, v8
	v_addc_co_u32_e64 v9, s[0:1], v10, v9, s[0:1]
	global_load_ushort v8, v[8:9], off
	v_add_u32_e32 v4, 0x100, v4
.LBB224_13:
	;; [unrolled: 30-line block ×3, first 2 shown]
	s_or_b64 exec, exec, s[6:7]
	v_cmp_gt_i32_e64 s[0:1], s12, v4
	s_and_saveexec_b64 s[6:7], s[0:1]
	s_cbranch_execz .LBB224_19
; %bb.18:
	v_add_u32_e32 v11, s4, v4
	v_mov_b32_e32 v12, 0
	v_lshlrev_b64 v[11:12], 1, v[11:12]
	v_mov_b32_e32 v4, s11
	v_add_co_u32_e64 v11, s[0:1], s10, v11
	v_addc_co_u32_e64 v12, s[0:1], v4, v12, s[0:1]
	global_load_ushort v9, v[11:12], off
.LBB224_19:
	s_or_b64 exec, exec, s[6:7]
	s_cmp_gt_u32 s3, 0xeffff
	s_waitcnt vmcnt(0)
	v_ashrrev_i16_e32 v4, 15, v2
	v_ashrrev_i32_sdwa v2, s13, sext(v2) dst_sel:DWORD dst_unused:UNUSED_PAD src0_sel:DWORD src1_sel:WORD_0
	s_cselect_b64 s[0:1], -1, 0
	v_cndmask_b32_e64 v4, v2, v4, s[0:1]
	v_mov_b32_e32 v2, 0
	v_ashrrev_i16_e32 v11, 15, v3
	v_ashrrev_i32_sdwa v3, s13, sext(v3) dst_sel:DWORD dst_unused:UNUSED_PAD src0_sel:DWORD src1_sel:WORD_0
	v_cndmask_b32_sdwa v4, v2, v4, vcc dst_sel:DWORD dst_unused:UNUSED_PAD src0_sel:DWORD src1_sel:WORD_0
	v_or_b32_e32 v12, 0x100, v0
	v_cndmask_b32_e64 v3, v3, v11, s[0:1]
	s_mov_b32 s5, 0x5040100
	v_perm_b32 v3, v3, v4, s5
	v_cmp_gt_i32_e64 s[2:3], s12, v12
	v_cndmask_b32_e64 v11, v4, v3, s[2:3]
	v_ashrrev_i16_e32 v4, 15, v6
	v_ashrrev_i32_sdwa v6, s13, sext(v6) dst_sel:DWORD dst_unused:UNUSED_PAD src0_sel:DWORD src1_sel:WORD_0
	v_or_b32_e32 v3, 0x200, v0
	v_cndmask_b32_e64 v4, v6, v4, s[0:1]
	v_and_b32_e32 v4, 0xffff, v4
	v_cmp_gt_i32_e64 s[2:3], s12, v3
	v_ashrrev_i16_e32 v6, 15, v5
	v_ashrrev_i32_sdwa v5, s13, sext(v5) dst_sel:DWORD dst_unused:UNUSED_PAD src0_sel:DWORD src1_sel:WORD_0
	v_cndmask_b32_e64 v3, 0, v4, s[2:3]
	v_or_b32_e32 v4, 0x300, v0
	v_cndmask_b32_e64 v5, v5, v6, s[0:1]
	v_perm_b32 v5, v5, v3, s5
	v_cmp_gt_i32_e64 s[2:3], s12, v4
	v_ashrrev_i16_e32 v4, 15, v8
	v_ashrrev_i32_sdwa v6, s13, sext(v8) dst_sel:DWORD dst_unused:UNUSED_PAD src0_sel:DWORD src1_sel:WORD_0
	v_cndmask_b32_e64 v5, v3, v5, s[2:3]
	v_or_b32_e32 v3, 0x400, v0
	v_cndmask_b32_e64 v4, v6, v4, s[0:1]
	v_and_b32_e32 v4, 0xffff, v4
	v_cmp_gt_i32_e64 s[2:3], s12, v3
	v_ashrrev_i16_e32 v6, 15, v7
	v_ashrrev_i32_sdwa v7, s13, sext(v7) dst_sel:DWORD dst_unused:UNUSED_PAD src0_sel:DWORD src1_sel:WORD_0
	v_cndmask_b32_e64 v3, 0, v4, s[2:3]
	v_or_b32_e32 v4, 0x500, v0
	v_cndmask_b32_e64 v6, v7, v6, s[0:1]
	v_perm_b32 v6, v6, v3, s5
	v_cmp_gt_i32_e64 s[2:3], s12, v4
	v_cndmask_b32_e64 v4, v3, v6, s[2:3]
	v_ashrrev_i16_e32 v6, 15, v10
	v_ashrrev_i32_sdwa v7, s13, sext(v10) dst_sel:DWORD dst_unused:UNUSED_PAD src0_sel:DWORD src1_sel:WORD_0
	v_or_b32_e32 v3, 0x600, v0
	v_cndmask_b32_e64 v6, v7, v6, s[0:1]
	v_and_b32_e32 v6, 0xffff, v6
	v_cmp_gt_i32_e64 s[2:3], s12, v3
	v_ashrrev_i16_e32 v7, 15, v9
	v_ashrrev_i32_sdwa v8, s13, sext(v9) dst_sel:DWORD dst_unused:UNUSED_PAD src0_sel:DWORD src1_sel:WORD_0
	v_cndmask_b32_e64 v3, 0, v6, s[2:3]
	v_or_b32_e32 v6, 0x700, v0
	v_cndmask_b32_e64 v7, v8, v7, s[0:1]
	v_perm_b32 v7, v7, v3, s5
	v_cmp_gt_i32_e64 s[0:1], s12, v6
	v_cndmask_b32_e64 v3, v3, v7, s[0:1]
	s_and_saveexec_b64 s[0:1], vcc
	s_cbranch_execnz .LBB224_29
; %bb.20:
	s_or_b64 exec, exec, s[0:1]
	v_cmp_gt_i32_e32 vcc, s12, v0
	s_and_saveexec_b64 s[0:1], vcc
	s_cbranch_execnz .LBB224_30
.LBB224_21:
	s_or_b64 exec, exec, s[0:1]
	v_cmp_gt_i32_e32 vcc, s12, v0
	s_and_saveexec_b64 s[0:1], vcc
	s_cbranch_execnz .LBB224_31
.LBB224_22:
	s_or_b64 exec, exec, s[0:1]
	v_cmp_gt_i32_e32 vcc, s12, v0
	s_and_saveexec_b64 s[0:1], vcc
	s_cbranch_execnz .LBB224_32
.LBB224_23:
	s_or_b64 exec, exec, s[0:1]
	v_cmp_gt_i32_e32 vcc, s12, v0
	s_and_saveexec_b64 s[0:1], vcc
	s_cbranch_execnz .LBB224_33
.LBB224_24:
	s_or_b64 exec, exec, s[0:1]
	v_cmp_gt_i32_e32 vcc, s12, v0
	s_and_saveexec_b64 s[0:1], vcc
	s_cbranch_execnz .LBB224_34
.LBB224_25:
	s_or_b64 exec, exec, s[0:1]
	v_cmp_gt_i32_e32 vcc, s12, v0
	s_and_saveexec_b64 s[0:1], vcc
	s_cbranch_execnz .LBB224_35
.LBB224_26:
	s_or_b64 exec, exec, s[0:1]
	v_cmp_gt_i32_e32 vcc, s12, v0
	s_and_saveexec_b64 s[0:1], vcc
	s_cbranch_execz .LBB224_28
.LBB224_27:
	v_add_u32_e32 v0, s4, v0
	v_mov_b32_e32 v1, 0
	v_lshlrev_b64 v[0:1], 1, v[0:1]
	v_mov_b32_e32 v2, s9
	v_add_co_u32_e32 v0, vcc, s8, v0
	v_addc_co_u32_e32 v1, vcc, v2, v1, vcc
	global_store_short_d16_hi v[0:1], v3, off
.LBB224_28:
	s_endpgm
.LBB224_29:
	v_lshlrev_b64 v[0:1], 1, v[1:2]
	v_mov_b32_e32 v2, s9
	v_add_co_u32_e32 v0, vcc, s8, v0
	v_addc_co_u32_e32 v1, vcc, v2, v1, vcc
	global_store_short v[0:1], v11, off
	v_mov_b32_e32 v0, v12
	s_or_b64 exec, exec, s[0:1]
	v_cmp_gt_i32_e32 vcc, s12, v0
	s_and_saveexec_b64 s[0:1], vcc
	s_cbranch_execz .LBB224_21
.LBB224_30:
	v_add_u32_e32 v1, s4, v0
	v_mov_b32_e32 v2, 0
	v_lshlrev_b64 v[1:2], 1, v[1:2]
	v_mov_b32_e32 v6, s9
	v_add_co_u32_e32 v1, vcc, s8, v1
	v_addc_co_u32_e32 v2, vcc, v6, v2, vcc
	v_add_u32_e32 v0, 0x100, v0
	global_store_short_d16_hi v[1:2], v11, off
	s_or_b64 exec, exec, s[0:1]
	v_cmp_gt_i32_e32 vcc, s12, v0
	s_and_saveexec_b64 s[0:1], vcc
	s_cbranch_execz .LBB224_22
.LBB224_31:
	v_add_u32_e32 v1, s4, v0
	v_mov_b32_e32 v2, 0
	v_lshlrev_b64 v[1:2], 1, v[1:2]
	v_mov_b32_e32 v6, s9
	v_add_co_u32_e32 v1, vcc, s8, v1
	v_addc_co_u32_e32 v2, vcc, v6, v2, vcc
	v_add_u32_e32 v0, 0x100, v0
	global_store_short v[1:2], v5, off
	s_or_b64 exec, exec, s[0:1]
	v_cmp_gt_i32_e32 vcc, s12, v0
	s_and_saveexec_b64 s[0:1], vcc
	s_cbranch_execz .LBB224_23
.LBB224_32:
	v_add_u32_e32 v1, s4, v0
	v_mov_b32_e32 v2, 0
	v_lshlrev_b64 v[1:2], 1, v[1:2]
	v_mov_b32_e32 v6, s9
	v_add_co_u32_e32 v1, vcc, s8, v1
	v_addc_co_u32_e32 v2, vcc, v6, v2, vcc
	v_add_u32_e32 v0, 0x100, v0
	global_store_short_d16_hi v[1:2], v5, off
	s_or_b64 exec, exec, s[0:1]
	v_cmp_gt_i32_e32 vcc, s12, v0
	s_and_saveexec_b64 s[0:1], vcc
	s_cbranch_execz .LBB224_24
.LBB224_33:
	v_add_u32_e32 v1, s4, v0
	v_mov_b32_e32 v2, 0
	v_lshlrev_b64 v[1:2], 1, v[1:2]
	v_mov_b32_e32 v5, s9
	v_add_co_u32_e32 v1, vcc, s8, v1
	v_addc_co_u32_e32 v2, vcc, v5, v2, vcc
	v_add_u32_e32 v0, 0x100, v0
	global_store_short v[1:2], v4, off
	s_or_b64 exec, exec, s[0:1]
	v_cmp_gt_i32_e32 vcc, s12, v0
	s_and_saveexec_b64 s[0:1], vcc
	s_cbranch_execz .LBB224_25
.LBB224_34:
	v_add_u32_e32 v1, s4, v0
	v_mov_b32_e32 v2, 0
	v_lshlrev_b64 v[1:2], 1, v[1:2]
	v_mov_b32_e32 v5, s9
	v_add_co_u32_e32 v1, vcc, s8, v1
	v_addc_co_u32_e32 v2, vcc, v5, v2, vcc
	v_add_u32_e32 v0, 0x100, v0
	global_store_short_d16_hi v[1:2], v4, off
	s_or_b64 exec, exec, s[0:1]
	v_cmp_gt_i32_e32 vcc, s12, v0
	s_and_saveexec_b64 s[0:1], vcc
	s_cbranch_execz .LBB224_26
.LBB224_35:
	v_add_u32_e32 v1, s4, v0
	v_mov_b32_e32 v2, 0
	v_lshlrev_b64 v[1:2], 1, v[1:2]
	v_mov_b32_e32 v4, s9
	v_add_co_u32_e32 v1, vcc, s8, v1
	v_addc_co_u32_e32 v2, vcc, v4, v2, vcc
	v_add_u32_e32 v0, 0x100, v0
	global_store_short v[1:2], v3, off
	s_or_b64 exec, exec, s[0:1]
	v_cmp_gt_i32_e32 vcc, s12, v0
	s_and_saveexec_b64 s[0:1], vcc
	s_cbranch_execnz .LBB224_27
	s_branch .LBB224_28
	.section	.rodata,"a",@progbits
	.p2align	6, 0x0
	.amdhsa_kernel _ZN2at6native29vectorized_elementwise_kernelILi16ENS0_13BUnaryFunctorIsssZZZNS0_18rshift_kernel_cudaERNS_18TensorIteratorBaseEENKUlvE_clEvENKUlvE3_clEvEUlssE_EESt5arrayIPcLm2EEEEviT0_T1_
		.amdhsa_group_segment_fixed_size 0
		.amdhsa_private_segment_fixed_size 0
		.amdhsa_kernarg_size 24
		.amdhsa_user_sgpr_count 6
		.amdhsa_user_sgpr_private_segment_buffer 1
		.amdhsa_user_sgpr_dispatch_ptr 0
		.amdhsa_user_sgpr_queue_ptr 0
		.amdhsa_user_sgpr_kernarg_segment_ptr 1
		.amdhsa_user_sgpr_dispatch_id 0
		.amdhsa_user_sgpr_flat_scratch_init 0
		.amdhsa_user_sgpr_private_segment_size 0
		.amdhsa_uses_dynamic_stack 0
		.amdhsa_system_sgpr_private_segment_wavefront_offset 0
		.amdhsa_system_sgpr_workgroup_id_x 1
		.amdhsa_system_sgpr_workgroup_id_y 0
		.amdhsa_system_sgpr_workgroup_id_z 0
		.amdhsa_system_sgpr_workgroup_info 0
		.amdhsa_system_vgpr_workitem_id 0
		.amdhsa_next_free_vgpr 14
		.amdhsa_next_free_sgpr 14
		.amdhsa_reserve_vcc 1
		.amdhsa_reserve_flat_scratch 0
		.amdhsa_float_round_mode_32 0
		.amdhsa_float_round_mode_16_64 0
		.amdhsa_float_denorm_mode_32 3
		.amdhsa_float_denorm_mode_16_64 3
		.amdhsa_dx10_clamp 1
		.amdhsa_ieee_mode 1
		.amdhsa_fp16_overflow 0
		.amdhsa_exception_fp_ieee_invalid_op 0
		.amdhsa_exception_fp_denorm_src 0
		.amdhsa_exception_fp_ieee_div_zero 0
		.amdhsa_exception_fp_ieee_overflow 0
		.amdhsa_exception_fp_ieee_underflow 0
		.amdhsa_exception_fp_ieee_inexact 0
		.amdhsa_exception_int_div_zero 0
	.end_amdhsa_kernel
	.section	.text._ZN2at6native29vectorized_elementwise_kernelILi16ENS0_13BUnaryFunctorIsssZZZNS0_18rshift_kernel_cudaERNS_18TensorIteratorBaseEENKUlvE_clEvENKUlvE3_clEvEUlssE_EESt5arrayIPcLm2EEEEviT0_T1_,"axG",@progbits,_ZN2at6native29vectorized_elementwise_kernelILi16ENS0_13BUnaryFunctorIsssZZZNS0_18rshift_kernel_cudaERNS_18TensorIteratorBaseEENKUlvE_clEvENKUlvE3_clEvEUlssE_EESt5arrayIPcLm2EEEEviT0_T1_,comdat
.Lfunc_end224:
	.size	_ZN2at6native29vectorized_elementwise_kernelILi16ENS0_13BUnaryFunctorIsssZZZNS0_18rshift_kernel_cudaERNS_18TensorIteratorBaseEENKUlvE_clEvENKUlvE3_clEvEUlssE_EESt5arrayIPcLm2EEEEviT0_T1_, .Lfunc_end224-_ZN2at6native29vectorized_elementwise_kernelILi16ENS0_13BUnaryFunctorIsssZZZNS0_18rshift_kernel_cudaERNS_18TensorIteratorBaseEENKUlvE_clEvENKUlvE3_clEvEUlssE_EESt5arrayIPcLm2EEEEviT0_T1_
                                        ; -- End function
	.set _ZN2at6native29vectorized_elementwise_kernelILi16ENS0_13BUnaryFunctorIsssZZZNS0_18rshift_kernel_cudaERNS_18TensorIteratorBaseEENKUlvE_clEvENKUlvE3_clEvEUlssE_EESt5arrayIPcLm2EEEEviT0_T1_.num_vgpr, 14
	.set _ZN2at6native29vectorized_elementwise_kernelILi16ENS0_13BUnaryFunctorIsssZZZNS0_18rshift_kernel_cudaERNS_18TensorIteratorBaseEENKUlvE_clEvENKUlvE3_clEvEUlssE_EESt5arrayIPcLm2EEEEviT0_T1_.num_agpr, 0
	.set _ZN2at6native29vectorized_elementwise_kernelILi16ENS0_13BUnaryFunctorIsssZZZNS0_18rshift_kernel_cudaERNS_18TensorIteratorBaseEENKUlvE_clEvENKUlvE3_clEvEUlssE_EESt5arrayIPcLm2EEEEviT0_T1_.numbered_sgpr, 14
	.set _ZN2at6native29vectorized_elementwise_kernelILi16ENS0_13BUnaryFunctorIsssZZZNS0_18rshift_kernel_cudaERNS_18TensorIteratorBaseEENKUlvE_clEvENKUlvE3_clEvEUlssE_EESt5arrayIPcLm2EEEEviT0_T1_.num_named_barrier, 0
	.set _ZN2at6native29vectorized_elementwise_kernelILi16ENS0_13BUnaryFunctorIsssZZZNS0_18rshift_kernel_cudaERNS_18TensorIteratorBaseEENKUlvE_clEvENKUlvE3_clEvEUlssE_EESt5arrayIPcLm2EEEEviT0_T1_.private_seg_size, 0
	.set _ZN2at6native29vectorized_elementwise_kernelILi16ENS0_13BUnaryFunctorIsssZZZNS0_18rshift_kernel_cudaERNS_18TensorIteratorBaseEENKUlvE_clEvENKUlvE3_clEvEUlssE_EESt5arrayIPcLm2EEEEviT0_T1_.uses_vcc, 1
	.set _ZN2at6native29vectorized_elementwise_kernelILi16ENS0_13BUnaryFunctorIsssZZZNS0_18rshift_kernel_cudaERNS_18TensorIteratorBaseEENKUlvE_clEvENKUlvE3_clEvEUlssE_EESt5arrayIPcLm2EEEEviT0_T1_.uses_flat_scratch, 0
	.set _ZN2at6native29vectorized_elementwise_kernelILi16ENS0_13BUnaryFunctorIsssZZZNS0_18rshift_kernel_cudaERNS_18TensorIteratorBaseEENKUlvE_clEvENKUlvE3_clEvEUlssE_EESt5arrayIPcLm2EEEEviT0_T1_.has_dyn_sized_stack, 0
	.set _ZN2at6native29vectorized_elementwise_kernelILi16ENS0_13BUnaryFunctorIsssZZZNS0_18rshift_kernel_cudaERNS_18TensorIteratorBaseEENKUlvE_clEvENKUlvE3_clEvEUlssE_EESt5arrayIPcLm2EEEEviT0_T1_.has_recursion, 0
	.set _ZN2at6native29vectorized_elementwise_kernelILi16ENS0_13BUnaryFunctorIsssZZZNS0_18rshift_kernel_cudaERNS_18TensorIteratorBaseEENKUlvE_clEvENKUlvE3_clEvEUlssE_EESt5arrayIPcLm2EEEEviT0_T1_.has_indirect_call, 0
	.section	.AMDGPU.csdata,"",@progbits
; Kernel info:
; codeLenInByte = 1892
; TotalNumSgprs: 18
; NumVgprs: 14
; ScratchSize: 0
; MemoryBound: 0
; FloatMode: 240
; IeeeMode: 1
; LDSByteSize: 0 bytes/workgroup (compile time only)
; SGPRBlocks: 2
; VGPRBlocks: 3
; NumSGPRsForWavesPerEU: 18
; NumVGPRsForWavesPerEU: 14
; Occupancy: 10
; WaveLimiterHint : 0
; COMPUTE_PGM_RSRC2:SCRATCH_EN: 0
; COMPUTE_PGM_RSRC2:USER_SGPR: 6
; COMPUTE_PGM_RSRC2:TRAP_HANDLER: 0
; COMPUTE_PGM_RSRC2:TGID_X_EN: 1
; COMPUTE_PGM_RSRC2:TGID_Y_EN: 0
; COMPUTE_PGM_RSRC2:TGID_Z_EN: 0
; COMPUTE_PGM_RSRC2:TIDIG_COMP_CNT: 0
	.section	.text._ZN2at6native29vectorized_elementwise_kernelILi8ENS0_13BUnaryFunctorIsssZZZNS0_18rshift_kernel_cudaERNS_18TensorIteratorBaseEENKUlvE_clEvENKUlvE3_clEvEUlssE_EESt5arrayIPcLm2EEEEviT0_T1_,"axG",@progbits,_ZN2at6native29vectorized_elementwise_kernelILi8ENS0_13BUnaryFunctorIsssZZZNS0_18rshift_kernel_cudaERNS_18TensorIteratorBaseEENKUlvE_clEvENKUlvE3_clEvEUlssE_EESt5arrayIPcLm2EEEEviT0_T1_,comdat
	.globl	_ZN2at6native29vectorized_elementwise_kernelILi8ENS0_13BUnaryFunctorIsssZZZNS0_18rshift_kernel_cudaERNS_18TensorIteratorBaseEENKUlvE_clEvENKUlvE3_clEvEUlssE_EESt5arrayIPcLm2EEEEviT0_T1_ ; -- Begin function _ZN2at6native29vectorized_elementwise_kernelILi8ENS0_13BUnaryFunctorIsssZZZNS0_18rshift_kernel_cudaERNS_18TensorIteratorBaseEENKUlvE_clEvENKUlvE3_clEvEUlssE_EESt5arrayIPcLm2EEEEviT0_T1_
	.p2align	8
	.type	_ZN2at6native29vectorized_elementwise_kernelILi8ENS0_13BUnaryFunctorIsssZZZNS0_18rshift_kernel_cudaERNS_18TensorIteratorBaseEENKUlvE_clEvENKUlvE3_clEvEUlssE_EESt5arrayIPcLm2EEEEviT0_T1_,@function
_ZN2at6native29vectorized_elementwise_kernelILi8ENS0_13BUnaryFunctorIsssZZZNS0_18rshift_kernel_cudaERNS_18TensorIteratorBaseEENKUlvE_clEvENKUlvE3_clEvEUlssE_EESt5arrayIPcLm2EEEEviT0_T1_: ; @_ZN2at6native29vectorized_elementwise_kernelILi8ENS0_13BUnaryFunctorIsssZZZNS0_18rshift_kernel_cudaERNS_18TensorIteratorBaseEENKUlvE_clEvENKUlvE3_clEvEUlssE_EESt5arrayIPcLm2EEEEviT0_T1_
; %bb.0:
	s_load_dwordx2 s[2:3], s[4:5], 0x0
	s_load_dwordx4 s[8:11], s[4:5], 0x8
	s_lshl_b32 s4, s6, 11
	s_mov_b64 s[0:1], -1
	s_waitcnt lgkmcnt(0)
	s_sub_i32 s12, s2, s4
	s_lshr_b32 s13, s3, 16
	s_cmpk_gt_i32 s12, 0x7ff
	s_cbranch_scc0 .LBB225_2
; %bb.1:
	s_ashr_i32 s5, s4, 31
	s_lshl_b64 s[0:1], s[4:5], 1
	s_add_u32 s6, s10, s0
	s_addc_u32 s7, s11, s1
	v_lshlrev_b32_e32 v5, 4, v0
	global_load_dwordx4 v[1:4], v5, s[6:7]
	s_cmp_gt_u32 s3, 0xeffff
	s_cselect_b64 vcc, -1, 0
	s_mov_b32 s2, 0x5040100
	s_add_u32 s0, s8, s0
	s_addc_u32 s1, s9, s1
	s_waitcnt vmcnt(0)
	v_pk_ashrrev_i16 v6, 15, v1 op_sel_hi:[0,1]
	v_ashrrev_i32_sdwa v7, s13, sext(v1) dst_sel:DWORD dst_unused:UNUSED_PAD src0_sel:DWORD src1_sel:WORD_0
	v_pk_ashrrev_i16 v8, 15, v2 op_sel_hi:[0,1]
	v_ashrrev_i32_sdwa v9, s13, sext(v2) dst_sel:DWORD dst_unused:UNUSED_PAD src0_sel:DWORD src1_sel:WORD_0
	v_ashrrev_i32_sdwa v1, s13, sext(v1) dst_sel:DWORD dst_unused:UNUSED_PAD src0_sel:DWORD src1_sel:WORD_1
	v_ashrrev_i32_sdwa v2, s13, sext(v2) dst_sel:DWORD dst_unused:UNUSED_PAD src0_sel:DWORD src1_sel:WORD_1
	v_pk_ashrrev_i16 v10, 15, v4 op_sel_hi:[0,1]
	v_pk_ashrrev_i16 v11, 15, v3 op_sel_hi:[0,1]
	v_ashrrev_i32_sdwa v12, s13, sext(v3) dst_sel:DWORD dst_unused:UNUSED_PAD src0_sel:DWORD src1_sel:WORD_0
	v_ashrrev_i32_sdwa v3, s13, sext(v3) dst_sel:DWORD dst_unused:UNUSED_PAD src0_sel:DWORD src1_sel:WORD_1
	v_ashrrev_i32_sdwa v13, s13, sext(v4) dst_sel:DWORD dst_unused:UNUSED_PAD src0_sel:DWORD src1_sel:WORD_0
	v_ashrrev_i32_sdwa v4, s13, sext(v4) dst_sel:DWORD dst_unused:UNUSED_PAD src0_sel:DWORD src1_sel:WORD_1
	v_cndmask_b32_e32 v7, v7, v6, vcc
	v_lshrrev_b32_e32 v6, 16, v6
	v_cndmask_b32_e32 v9, v9, v8, vcc
	v_lshrrev_b32_e32 v8, 16, v8
	v_cndmask_b32_e32 v12, v12, v11, vcc
	v_cndmask_b32_e32 v13, v13, v10, vcc
	;; [unrolled: 1-line block ×4, first 2 shown]
	v_cndmask_b32_sdwa v3, v3, v11, vcc dst_sel:DWORD dst_unused:UNUSED_PAD src0_sel:DWORD src1_sel:WORD_1
	v_cndmask_b32_sdwa v4, v4, v10, vcc dst_sel:DWORD dst_unused:UNUSED_PAD src0_sel:DWORD src1_sel:WORD_1
	v_perm_b32 v3, v3, v12, s2
	v_perm_b32 v2, v2, v9, s2
	;; [unrolled: 1-line block ×4, first 2 shown]
	global_store_dwordx4 v5, v[1:4], s[0:1]
	s_mov_b64 s[0:1], 0
.LBB225_2:
	s_andn2_b64 vcc, exec, s[0:1]
	s_cbranch_vccnz .LBB225_28
; %bb.3:
	v_cmp_gt_i32_e32 vcc, s12, v0
	v_mov_b32_e32 v3, 0
	v_or_b32_e32 v1, s4, v0
	v_mov_b32_e32 v2, 0
	v_mov_b32_e32 v4, v0
	s_and_saveexec_b64 s[6:7], vcc
	s_cbranch_execz .LBB225_5
; %bb.4:
	v_mov_b32_e32 v2, 0
	v_lshlrev_b64 v[4:5], 1, v[1:2]
	v_mov_b32_e32 v2, s11
	v_add_co_u32_e64 v4, s[0:1], s10, v4
	v_addc_co_u32_e64 v5, s[0:1], v2, v5, s[0:1]
	global_load_ushort v2, v[4:5], off
	v_or_b32_e32 v4, 0x100, v0
.LBB225_5:
	s_or_b64 exec, exec, s[6:7]
	v_cmp_gt_i32_e64 s[0:1], s12, v4
	s_and_saveexec_b64 s[6:7], s[0:1]
	s_cbranch_execz .LBB225_7
; %bb.6:
	v_add_u32_e32 v5, s4, v4
	v_mov_b32_e32 v6, 0
	v_lshlrev_b64 v[5:6], 1, v[5:6]
	v_mov_b32_e32 v3, s11
	v_add_co_u32_e64 v5, s[0:1], s10, v5
	v_addc_co_u32_e64 v6, s[0:1], v3, v6, s[0:1]
	global_load_ushort v3, v[5:6], off
	v_add_u32_e32 v4, 0x100, v4
.LBB225_7:
	s_or_b64 exec, exec, s[6:7]
	v_cmp_gt_i32_e64 s[0:1], s12, v4
	v_mov_b32_e32 v5, 0
	v_mov_b32_e32 v6, 0
	s_and_saveexec_b64 s[6:7], s[0:1]
	s_cbranch_execz .LBB225_9
; %bb.8:
	v_add_u32_e32 v6, s4, v4
	v_mov_b32_e32 v7, 0
	v_lshlrev_b64 v[6:7], 1, v[6:7]
	v_mov_b32_e32 v8, s11
	v_add_co_u32_e64 v6, s[0:1], s10, v6
	v_addc_co_u32_e64 v7, s[0:1], v8, v7, s[0:1]
	global_load_ushort v6, v[6:7], off
	v_add_u32_e32 v4, 0x100, v4
.LBB225_9:
	s_or_b64 exec, exec, s[6:7]
	v_cmp_gt_i32_e64 s[0:1], s12, v4
	s_and_saveexec_b64 s[6:7], s[0:1]
	s_cbranch_execz .LBB225_11
; %bb.10:
	v_add_u32_e32 v7, s4, v4
	v_mov_b32_e32 v8, 0
	v_lshlrev_b64 v[7:8], 1, v[7:8]
	v_mov_b32_e32 v5, s11
	v_add_co_u32_e64 v7, s[0:1], s10, v7
	v_addc_co_u32_e64 v8, s[0:1], v5, v8, s[0:1]
	global_load_ushort v5, v[7:8], off
	v_add_u32_e32 v4, 0x100, v4
.LBB225_11:
	s_or_b64 exec, exec, s[6:7]
	v_cmp_gt_i32_e64 s[0:1], s12, v4
	v_mov_b32_e32 v7, 0
	v_mov_b32_e32 v8, 0
	s_and_saveexec_b64 s[6:7], s[0:1]
	s_cbranch_execz .LBB225_13
; %bb.12:
	v_add_u32_e32 v8, s4, v4
	v_mov_b32_e32 v9, 0
	v_lshlrev_b64 v[8:9], 1, v[8:9]
	v_mov_b32_e32 v10, s11
	v_add_co_u32_e64 v8, s[0:1], s10, v8
	v_addc_co_u32_e64 v9, s[0:1], v10, v9, s[0:1]
	global_load_ushort v8, v[8:9], off
	v_add_u32_e32 v4, 0x100, v4
.LBB225_13:
	;; [unrolled: 30-line block ×3, first 2 shown]
	s_or_b64 exec, exec, s[6:7]
	v_cmp_gt_i32_e64 s[0:1], s12, v4
	s_and_saveexec_b64 s[6:7], s[0:1]
	s_cbranch_execz .LBB225_19
; %bb.18:
	v_add_u32_e32 v11, s4, v4
	v_mov_b32_e32 v12, 0
	v_lshlrev_b64 v[11:12], 1, v[11:12]
	v_mov_b32_e32 v4, s11
	v_add_co_u32_e64 v11, s[0:1], s10, v11
	v_addc_co_u32_e64 v12, s[0:1], v4, v12, s[0:1]
	global_load_ushort v9, v[11:12], off
.LBB225_19:
	s_or_b64 exec, exec, s[6:7]
	s_cmp_gt_u32 s3, 0xeffff
	s_waitcnt vmcnt(0)
	v_ashrrev_i16_e32 v4, 15, v2
	v_ashrrev_i32_sdwa v2, s13, sext(v2) dst_sel:DWORD dst_unused:UNUSED_PAD src0_sel:DWORD src1_sel:WORD_0
	s_cselect_b64 s[0:1], -1, 0
	v_cndmask_b32_e64 v4, v2, v4, s[0:1]
	v_mov_b32_e32 v2, 0
	v_ashrrev_i16_e32 v11, 15, v3
	v_ashrrev_i32_sdwa v3, s13, sext(v3) dst_sel:DWORD dst_unused:UNUSED_PAD src0_sel:DWORD src1_sel:WORD_0
	v_cndmask_b32_sdwa v4, v2, v4, vcc dst_sel:DWORD dst_unused:UNUSED_PAD src0_sel:DWORD src1_sel:WORD_0
	v_or_b32_e32 v12, 0x100, v0
	v_cndmask_b32_e64 v3, v3, v11, s[0:1]
	s_mov_b32 s5, 0x5040100
	v_perm_b32 v3, v3, v4, s5
	v_cmp_gt_i32_e64 s[2:3], s12, v12
	v_cndmask_b32_e64 v11, v4, v3, s[2:3]
	v_ashrrev_i16_e32 v4, 15, v6
	v_ashrrev_i32_sdwa v6, s13, sext(v6) dst_sel:DWORD dst_unused:UNUSED_PAD src0_sel:DWORD src1_sel:WORD_0
	v_or_b32_e32 v3, 0x200, v0
	v_cndmask_b32_e64 v4, v6, v4, s[0:1]
	v_and_b32_e32 v4, 0xffff, v4
	v_cmp_gt_i32_e64 s[2:3], s12, v3
	v_ashrrev_i16_e32 v6, 15, v5
	v_ashrrev_i32_sdwa v5, s13, sext(v5) dst_sel:DWORD dst_unused:UNUSED_PAD src0_sel:DWORD src1_sel:WORD_0
	v_cndmask_b32_e64 v3, 0, v4, s[2:3]
	v_or_b32_e32 v4, 0x300, v0
	v_cndmask_b32_e64 v5, v5, v6, s[0:1]
	v_perm_b32 v5, v5, v3, s5
	v_cmp_gt_i32_e64 s[2:3], s12, v4
	v_ashrrev_i16_e32 v4, 15, v8
	v_ashrrev_i32_sdwa v6, s13, sext(v8) dst_sel:DWORD dst_unused:UNUSED_PAD src0_sel:DWORD src1_sel:WORD_0
	v_cndmask_b32_e64 v5, v3, v5, s[2:3]
	v_or_b32_e32 v3, 0x400, v0
	v_cndmask_b32_e64 v4, v6, v4, s[0:1]
	v_and_b32_e32 v4, 0xffff, v4
	v_cmp_gt_i32_e64 s[2:3], s12, v3
	v_ashrrev_i16_e32 v6, 15, v7
	v_ashrrev_i32_sdwa v7, s13, sext(v7) dst_sel:DWORD dst_unused:UNUSED_PAD src0_sel:DWORD src1_sel:WORD_0
	v_cndmask_b32_e64 v3, 0, v4, s[2:3]
	v_or_b32_e32 v4, 0x500, v0
	v_cndmask_b32_e64 v6, v7, v6, s[0:1]
	v_perm_b32 v6, v6, v3, s5
	v_cmp_gt_i32_e64 s[2:3], s12, v4
	v_cndmask_b32_e64 v4, v3, v6, s[2:3]
	v_ashrrev_i16_e32 v6, 15, v10
	v_ashrrev_i32_sdwa v7, s13, sext(v10) dst_sel:DWORD dst_unused:UNUSED_PAD src0_sel:DWORD src1_sel:WORD_0
	v_or_b32_e32 v3, 0x600, v0
	v_cndmask_b32_e64 v6, v7, v6, s[0:1]
	v_and_b32_e32 v6, 0xffff, v6
	v_cmp_gt_i32_e64 s[2:3], s12, v3
	v_ashrrev_i16_e32 v7, 15, v9
	v_ashrrev_i32_sdwa v8, s13, sext(v9) dst_sel:DWORD dst_unused:UNUSED_PAD src0_sel:DWORD src1_sel:WORD_0
	v_cndmask_b32_e64 v3, 0, v6, s[2:3]
	v_or_b32_e32 v6, 0x700, v0
	v_cndmask_b32_e64 v7, v8, v7, s[0:1]
	v_perm_b32 v7, v7, v3, s5
	v_cmp_gt_i32_e64 s[0:1], s12, v6
	v_cndmask_b32_e64 v3, v3, v7, s[0:1]
	s_and_saveexec_b64 s[0:1], vcc
	s_cbranch_execnz .LBB225_29
; %bb.20:
	s_or_b64 exec, exec, s[0:1]
	v_cmp_gt_i32_e32 vcc, s12, v0
	s_and_saveexec_b64 s[0:1], vcc
	s_cbranch_execnz .LBB225_30
.LBB225_21:
	s_or_b64 exec, exec, s[0:1]
	v_cmp_gt_i32_e32 vcc, s12, v0
	s_and_saveexec_b64 s[0:1], vcc
	s_cbranch_execnz .LBB225_31
.LBB225_22:
	s_or_b64 exec, exec, s[0:1]
	v_cmp_gt_i32_e32 vcc, s12, v0
	s_and_saveexec_b64 s[0:1], vcc
	s_cbranch_execnz .LBB225_32
.LBB225_23:
	s_or_b64 exec, exec, s[0:1]
	v_cmp_gt_i32_e32 vcc, s12, v0
	s_and_saveexec_b64 s[0:1], vcc
	s_cbranch_execnz .LBB225_33
.LBB225_24:
	s_or_b64 exec, exec, s[0:1]
	v_cmp_gt_i32_e32 vcc, s12, v0
	s_and_saveexec_b64 s[0:1], vcc
	s_cbranch_execnz .LBB225_34
.LBB225_25:
	s_or_b64 exec, exec, s[0:1]
	v_cmp_gt_i32_e32 vcc, s12, v0
	s_and_saveexec_b64 s[0:1], vcc
	s_cbranch_execnz .LBB225_35
.LBB225_26:
	s_or_b64 exec, exec, s[0:1]
	v_cmp_gt_i32_e32 vcc, s12, v0
	s_and_saveexec_b64 s[0:1], vcc
	s_cbranch_execz .LBB225_28
.LBB225_27:
	v_add_u32_e32 v0, s4, v0
	v_mov_b32_e32 v1, 0
	v_lshlrev_b64 v[0:1], 1, v[0:1]
	v_mov_b32_e32 v2, s9
	v_add_co_u32_e32 v0, vcc, s8, v0
	v_addc_co_u32_e32 v1, vcc, v2, v1, vcc
	global_store_short_d16_hi v[0:1], v3, off
.LBB225_28:
	s_endpgm
.LBB225_29:
	v_lshlrev_b64 v[0:1], 1, v[1:2]
	v_mov_b32_e32 v2, s9
	v_add_co_u32_e32 v0, vcc, s8, v0
	v_addc_co_u32_e32 v1, vcc, v2, v1, vcc
	global_store_short v[0:1], v11, off
	v_mov_b32_e32 v0, v12
	s_or_b64 exec, exec, s[0:1]
	v_cmp_gt_i32_e32 vcc, s12, v0
	s_and_saveexec_b64 s[0:1], vcc
	s_cbranch_execz .LBB225_21
.LBB225_30:
	v_add_u32_e32 v1, s4, v0
	v_mov_b32_e32 v2, 0
	v_lshlrev_b64 v[1:2], 1, v[1:2]
	v_mov_b32_e32 v6, s9
	v_add_co_u32_e32 v1, vcc, s8, v1
	v_addc_co_u32_e32 v2, vcc, v6, v2, vcc
	v_add_u32_e32 v0, 0x100, v0
	global_store_short_d16_hi v[1:2], v11, off
	s_or_b64 exec, exec, s[0:1]
	v_cmp_gt_i32_e32 vcc, s12, v0
	s_and_saveexec_b64 s[0:1], vcc
	s_cbranch_execz .LBB225_22
.LBB225_31:
	v_add_u32_e32 v1, s4, v0
	v_mov_b32_e32 v2, 0
	v_lshlrev_b64 v[1:2], 1, v[1:2]
	v_mov_b32_e32 v6, s9
	v_add_co_u32_e32 v1, vcc, s8, v1
	v_addc_co_u32_e32 v2, vcc, v6, v2, vcc
	v_add_u32_e32 v0, 0x100, v0
	global_store_short v[1:2], v5, off
	s_or_b64 exec, exec, s[0:1]
	v_cmp_gt_i32_e32 vcc, s12, v0
	s_and_saveexec_b64 s[0:1], vcc
	s_cbranch_execz .LBB225_23
.LBB225_32:
	v_add_u32_e32 v1, s4, v0
	v_mov_b32_e32 v2, 0
	v_lshlrev_b64 v[1:2], 1, v[1:2]
	v_mov_b32_e32 v6, s9
	v_add_co_u32_e32 v1, vcc, s8, v1
	v_addc_co_u32_e32 v2, vcc, v6, v2, vcc
	v_add_u32_e32 v0, 0x100, v0
	global_store_short_d16_hi v[1:2], v5, off
	s_or_b64 exec, exec, s[0:1]
	v_cmp_gt_i32_e32 vcc, s12, v0
	s_and_saveexec_b64 s[0:1], vcc
	s_cbranch_execz .LBB225_24
.LBB225_33:
	v_add_u32_e32 v1, s4, v0
	v_mov_b32_e32 v2, 0
	v_lshlrev_b64 v[1:2], 1, v[1:2]
	v_mov_b32_e32 v5, s9
	v_add_co_u32_e32 v1, vcc, s8, v1
	v_addc_co_u32_e32 v2, vcc, v5, v2, vcc
	v_add_u32_e32 v0, 0x100, v0
	global_store_short v[1:2], v4, off
	s_or_b64 exec, exec, s[0:1]
	v_cmp_gt_i32_e32 vcc, s12, v0
	s_and_saveexec_b64 s[0:1], vcc
	s_cbranch_execz .LBB225_25
.LBB225_34:
	v_add_u32_e32 v1, s4, v0
	v_mov_b32_e32 v2, 0
	v_lshlrev_b64 v[1:2], 1, v[1:2]
	v_mov_b32_e32 v5, s9
	v_add_co_u32_e32 v1, vcc, s8, v1
	v_addc_co_u32_e32 v2, vcc, v5, v2, vcc
	v_add_u32_e32 v0, 0x100, v0
	global_store_short_d16_hi v[1:2], v4, off
	s_or_b64 exec, exec, s[0:1]
	v_cmp_gt_i32_e32 vcc, s12, v0
	s_and_saveexec_b64 s[0:1], vcc
	s_cbranch_execz .LBB225_26
.LBB225_35:
	v_add_u32_e32 v1, s4, v0
	v_mov_b32_e32 v2, 0
	v_lshlrev_b64 v[1:2], 1, v[1:2]
	v_mov_b32_e32 v4, s9
	v_add_co_u32_e32 v1, vcc, s8, v1
	v_addc_co_u32_e32 v2, vcc, v4, v2, vcc
	v_add_u32_e32 v0, 0x100, v0
	global_store_short v[1:2], v3, off
	s_or_b64 exec, exec, s[0:1]
	v_cmp_gt_i32_e32 vcc, s12, v0
	s_and_saveexec_b64 s[0:1], vcc
	s_cbranch_execnz .LBB225_27
	s_branch .LBB225_28
	.section	.rodata,"a",@progbits
	.p2align	6, 0x0
	.amdhsa_kernel _ZN2at6native29vectorized_elementwise_kernelILi8ENS0_13BUnaryFunctorIsssZZZNS0_18rshift_kernel_cudaERNS_18TensorIteratorBaseEENKUlvE_clEvENKUlvE3_clEvEUlssE_EESt5arrayIPcLm2EEEEviT0_T1_
		.amdhsa_group_segment_fixed_size 0
		.amdhsa_private_segment_fixed_size 0
		.amdhsa_kernarg_size 24
		.amdhsa_user_sgpr_count 6
		.amdhsa_user_sgpr_private_segment_buffer 1
		.amdhsa_user_sgpr_dispatch_ptr 0
		.amdhsa_user_sgpr_queue_ptr 0
		.amdhsa_user_sgpr_kernarg_segment_ptr 1
		.amdhsa_user_sgpr_dispatch_id 0
		.amdhsa_user_sgpr_flat_scratch_init 0
		.amdhsa_user_sgpr_private_segment_size 0
		.amdhsa_uses_dynamic_stack 0
		.amdhsa_system_sgpr_private_segment_wavefront_offset 0
		.amdhsa_system_sgpr_workgroup_id_x 1
		.amdhsa_system_sgpr_workgroup_id_y 0
		.amdhsa_system_sgpr_workgroup_id_z 0
		.amdhsa_system_sgpr_workgroup_info 0
		.amdhsa_system_vgpr_workitem_id 0
		.amdhsa_next_free_vgpr 14
		.amdhsa_next_free_sgpr 14
		.amdhsa_reserve_vcc 1
		.amdhsa_reserve_flat_scratch 0
		.amdhsa_float_round_mode_32 0
		.amdhsa_float_round_mode_16_64 0
		.amdhsa_float_denorm_mode_32 3
		.amdhsa_float_denorm_mode_16_64 3
		.amdhsa_dx10_clamp 1
		.amdhsa_ieee_mode 1
		.amdhsa_fp16_overflow 0
		.amdhsa_exception_fp_ieee_invalid_op 0
		.amdhsa_exception_fp_denorm_src 0
		.amdhsa_exception_fp_ieee_div_zero 0
		.amdhsa_exception_fp_ieee_overflow 0
		.amdhsa_exception_fp_ieee_underflow 0
		.amdhsa_exception_fp_ieee_inexact 0
		.amdhsa_exception_int_div_zero 0
	.end_amdhsa_kernel
	.section	.text._ZN2at6native29vectorized_elementwise_kernelILi8ENS0_13BUnaryFunctorIsssZZZNS0_18rshift_kernel_cudaERNS_18TensorIteratorBaseEENKUlvE_clEvENKUlvE3_clEvEUlssE_EESt5arrayIPcLm2EEEEviT0_T1_,"axG",@progbits,_ZN2at6native29vectorized_elementwise_kernelILi8ENS0_13BUnaryFunctorIsssZZZNS0_18rshift_kernel_cudaERNS_18TensorIteratorBaseEENKUlvE_clEvENKUlvE3_clEvEUlssE_EESt5arrayIPcLm2EEEEviT0_T1_,comdat
.Lfunc_end225:
	.size	_ZN2at6native29vectorized_elementwise_kernelILi8ENS0_13BUnaryFunctorIsssZZZNS0_18rshift_kernel_cudaERNS_18TensorIteratorBaseEENKUlvE_clEvENKUlvE3_clEvEUlssE_EESt5arrayIPcLm2EEEEviT0_T1_, .Lfunc_end225-_ZN2at6native29vectorized_elementwise_kernelILi8ENS0_13BUnaryFunctorIsssZZZNS0_18rshift_kernel_cudaERNS_18TensorIteratorBaseEENKUlvE_clEvENKUlvE3_clEvEUlssE_EESt5arrayIPcLm2EEEEviT0_T1_
                                        ; -- End function
	.set _ZN2at6native29vectorized_elementwise_kernelILi8ENS0_13BUnaryFunctorIsssZZZNS0_18rshift_kernel_cudaERNS_18TensorIteratorBaseEENKUlvE_clEvENKUlvE3_clEvEUlssE_EESt5arrayIPcLm2EEEEviT0_T1_.num_vgpr, 14
	.set _ZN2at6native29vectorized_elementwise_kernelILi8ENS0_13BUnaryFunctorIsssZZZNS0_18rshift_kernel_cudaERNS_18TensorIteratorBaseEENKUlvE_clEvENKUlvE3_clEvEUlssE_EESt5arrayIPcLm2EEEEviT0_T1_.num_agpr, 0
	.set _ZN2at6native29vectorized_elementwise_kernelILi8ENS0_13BUnaryFunctorIsssZZZNS0_18rshift_kernel_cudaERNS_18TensorIteratorBaseEENKUlvE_clEvENKUlvE3_clEvEUlssE_EESt5arrayIPcLm2EEEEviT0_T1_.numbered_sgpr, 14
	.set _ZN2at6native29vectorized_elementwise_kernelILi8ENS0_13BUnaryFunctorIsssZZZNS0_18rshift_kernel_cudaERNS_18TensorIteratorBaseEENKUlvE_clEvENKUlvE3_clEvEUlssE_EESt5arrayIPcLm2EEEEviT0_T1_.num_named_barrier, 0
	.set _ZN2at6native29vectorized_elementwise_kernelILi8ENS0_13BUnaryFunctorIsssZZZNS0_18rshift_kernel_cudaERNS_18TensorIteratorBaseEENKUlvE_clEvENKUlvE3_clEvEUlssE_EESt5arrayIPcLm2EEEEviT0_T1_.private_seg_size, 0
	.set _ZN2at6native29vectorized_elementwise_kernelILi8ENS0_13BUnaryFunctorIsssZZZNS0_18rshift_kernel_cudaERNS_18TensorIteratorBaseEENKUlvE_clEvENKUlvE3_clEvEUlssE_EESt5arrayIPcLm2EEEEviT0_T1_.uses_vcc, 1
	.set _ZN2at6native29vectorized_elementwise_kernelILi8ENS0_13BUnaryFunctorIsssZZZNS0_18rshift_kernel_cudaERNS_18TensorIteratorBaseEENKUlvE_clEvENKUlvE3_clEvEUlssE_EESt5arrayIPcLm2EEEEviT0_T1_.uses_flat_scratch, 0
	.set _ZN2at6native29vectorized_elementwise_kernelILi8ENS0_13BUnaryFunctorIsssZZZNS0_18rshift_kernel_cudaERNS_18TensorIteratorBaseEENKUlvE_clEvENKUlvE3_clEvEUlssE_EESt5arrayIPcLm2EEEEviT0_T1_.has_dyn_sized_stack, 0
	.set _ZN2at6native29vectorized_elementwise_kernelILi8ENS0_13BUnaryFunctorIsssZZZNS0_18rshift_kernel_cudaERNS_18TensorIteratorBaseEENKUlvE_clEvENKUlvE3_clEvEUlssE_EESt5arrayIPcLm2EEEEviT0_T1_.has_recursion, 0
	.set _ZN2at6native29vectorized_elementwise_kernelILi8ENS0_13BUnaryFunctorIsssZZZNS0_18rshift_kernel_cudaERNS_18TensorIteratorBaseEENKUlvE_clEvENKUlvE3_clEvEUlssE_EESt5arrayIPcLm2EEEEviT0_T1_.has_indirect_call, 0
	.section	.AMDGPU.csdata,"",@progbits
; Kernel info:
; codeLenInByte = 1892
; TotalNumSgprs: 18
; NumVgprs: 14
; ScratchSize: 0
; MemoryBound: 0
; FloatMode: 240
; IeeeMode: 1
; LDSByteSize: 0 bytes/workgroup (compile time only)
; SGPRBlocks: 2
; VGPRBlocks: 3
; NumSGPRsForWavesPerEU: 18
; NumVGPRsForWavesPerEU: 14
; Occupancy: 10
; WaveLimiterHint : 0
; COMPUTE_PGM_RSRC2:SCRATCH_EN: 0
; COMPUTE_PGM_RSRC2:USER_SGPR: 6
; COMPUTE_PGM_RSRC2:TRAP_HANDLER: 0
; COMPUTE_PGM_RSRC2:TGID_X_EN: 1
; COMPUTE_PGM_RSRC2:TGID_Y_EN: 0
; COMPUTE_PGM_RSRC2:TGID_Z_EN: 0
; COMPUTE_PGM_RSRC2:TIDIG_COMP_CNT: 0
	.section	.text._ZN2at6native29vectorized_elementwise_kernelILi4ENS0_13BUnaryFunctorIsssZZZNS0_18rshift_kernel_cudaERNS_18TensorIteratorBaseEENKUlvE_clEvENKUlvE3_clEvEUlssE_EESt5arrayIPcLm2EEEEviT0_T1_,"axG",@progbits,_ZN2at6native29vectorized_elementwise_kernelILi4ENS0_13BUnaryFunctorIsssZZZNS0_18rshift_kernel_cudaERNS_18TensorIteratorBaseEENKUlvE_clEvENKUlvE3_clEvEUlssE_EESt5arrayIPcLm2EEEEviT0_T1_,comdat
	.globl	_ZN2at6native29vectorized_elementwise_kernelILi4ENS0_13BUnaryFunctorIsssZZZNS0_18rshift_kernel_cudaERNS_18TensorIteratorBaseEENKUlvE_clEvENKUlvE3_clEvEUlssE_EESt5arrayIPcLm2EEEEviT0_T1_ ; -- Begin function _ZN2at6native29vectorized_elementwise_kernelILi4ENS0_13BUnaryFunctorIsssZZZNS0_18rshift_kernel_cudaERNS_18TensorIteratorBaseEENKUlvE_clEvENKUlvE3_clEvEUlssE_EESt5arrayIPcLm2EEEEviT0_T1_
	.p2align	8
	.type	_ZN2at6native29vectorized_elementwise_kernelILi4ENS0_13BUnaryFunctorIsssZZZNS0_18rshift_kernel_cudaERNS_18TensorIteratorBaseEENKUlvE_clEvENKUlvE3_clEvEUlssE_EESt5arrayIPcLm2EEEEviT0_T1_,@function
_ZN2at6native29vectorized_elementwise_kernelILi4ENS0_13BUnaryFunctorIsssZZZNS0_18rshift_kernel_cudaERNS_18TensorIteratorBaseEENKUlvE_clEvENKUlvE3_clEvEUlssE_EESt5arrayIPcLm2EEEEviT0_T1_: ; @_ZN2at6native29vectorized_elementwise_kernelILi4ENS0_13BUnaryFunctorIsssZZZNS0_18rshift_kernel_cudaERNS_18TensorIteratorBaseEENKUlvE_clEvENKUlvE3_clEvEUlssE_EESt5arrayIPcLm2EEEEviT0_T1_
; %bb.0:
	s_load_dwordx2 s[2:3], s[4:5], 0x0
	s_load_dwordx4 s[8:11], s[4:5], 0x8
	s_lshl_b32 s4, s6, 11
	s_mov_b64 s[0:1], -1
	s_waitcnt lgkmcnt(0)
	s_sub_i32 s12, s2, s4
	s_lshr_b32 s13, s3, 16
	s_cmpk_gt_i32 s12, 0x7ff
	s_cbranch_scc0 .LBB226_2
; %bb.1:
	s_ashr_i32 s5, s4, 31
	s_lshl_b64 s[0:1], s[4:5], 1
	s_add_u32 s6, s10, s0
	s_addc_u32 s7, s11, s1
	v_lshlrev_b32_e32 v5, 3, v0
	global_load_dwordx2 v[1:2], v5, s[6:7]
	global_load_dwordx2 v[3:4], v5, s[6:7] offset:2048
	v_mov_b32_e32 v6, 15
	s_cmp_gt_u32 s3, 0xeffff
	s_cselect_b64 vcc, -1, 0
	s_mov_b32 s2, 0x5040100
	s_add_u32 s0, s8, s0
	s_addc_u32 s1, s9, s1
	s_waitcnt vmcnt(1)
	v_ashrrev_i16_e32 v7, 15, v1
	v_ashrrev_i32_sdwa v8, s13, sext(v1) dst_sel:DWORD dst_unused:UNUSED_PAD src0_sel:DWORD src1_sel:WORD_0
	v_ashrrev_i16_sdwa v9, v6, v1 dst_sel:DWORD dst_unused:UNUSED_PAD src0_sel:DWORD src1_sel:WORD_1
	v_ashrrev_i32_sdwa v1, s13, sext(v1) dst_sel:DWORD dst_unused:UNUSED_PAD src0_sel:DWORD src1_sel:WORD_1
	v_ashrrev_i16_e32 v10, 15, v2
	v_ashrrev_i32_sdwa v11, s13, sext(v2) dst_sel:DWORD dst_unused:UNUSED_PAD src0_sel:DWORD src1_sel:WORD_0
	v_ashrrev_i16_sdwa v12, v6, v2 dst_sel:DWORD dst_unused:UNUSED_PAD src0_sel:DWORD src1_sel:WORD_1
	v_ashrrev_i32_sdwa v2, s13, sext(v2) dst_sel:DWORD dst_unused:UNUSED_PAD src0_sel:DWORD src1_sel:WORD_1
	s_waitcnt vmcnt(0)
	v_ashrrev_i16_e32 v13, 15, v3
	v_ashrrev_i32_sdwa v14, s13, sext(v3) dst_sel:DWORD dst_unused:UNUSED_PAD src0_sel:DWORD src1_sel:WORD_0
	v_ashrrev_i16_sdwa v15, v6, v3 dst_sel:DWORD dst_unused:UNUSED_PAD src0_sel:DWORD src1_sel:WORD_1
	v_ashrrev_i32_sdwa v3, s13, sext(v3) dst_sel:DWORD dst_unused:UNUSED_PAD src0_sel:DWORD src1_sel:WORD_1
	v_ashrrev_i16_e32 v16, 15, v4
	v_ashrrev_i32_sdwa v17, s13, sext(v4) dst_sel:DWORD dst_unused:UNUSED_PAD src0_sel:DWORD src1_sel:WORD_0
	v_ashrrev_i16_sdwa v6, v6, v4 dst_sel:DWORD dst_unused:UNUSED_PAD src0_sel:DWORD src1_sel:WORD_1
	v_ashrrev_i32_sdwa v4, s13, sext(v4) dst_sel:DWORD dst_unused:UNUSED_PAD src0_sel:DWORD src1_sel:WORD_1
	v_cndmask_b32_e32 v7, v8, v7, vcc
	v_cndmask_b32_e32 v8, v1, v9, vcc
	;; [unrolled: 1-line block ×8, first 2 shown]
	v_perm_b32 v2, v4, v2, s2
	v_perm_b32 v1, v3, v1, s2
	;; [unrolled: 1-line block ×4, first 2 shown]
	global_store_dwordx2 v5, v[3:4], s[0:1]
	global_store_dwordx2 v5, v[1:2], s[0:1] offset:2048
	s_mov_b64 s[0:1], 0
.LBB226_2:
	s_andn2_b64 vcc, exec, s[0:1]
	s_cbranch_vccnz .LBB226_28
; %bb.3:
	v_cmp_gt_i32_e32 vcc, s12, v0
	v_mov_b32_e32 v3, 0
	v_or_b32_e32 v1, s4, v0
	v_mov_b32_e32 v2, 0
	v_mov_b32_e32 v4, v0
	s_and_saveexec_b64 s[6:7], vcc
	s_cbranch_execz .LBB226_5
; %bb.4:
	v_mov_b32_e32 v2, 0
	v_lshlrev_b64 v[4:5], 1, v[1:2]
	v_mov_b32_e32 v2, s11
	v_add_co_u32_e64 v4, s[0:1], s10, v4
	v_addc_co_u32_e64 v5, s[0:1], v2, v5, s[0:1]
	global_load_ushort v2, v[4:5], off
	v_or_b32_e32 v4, 0x100, v0
.LBB226_5:
	s_or_b64 exec, exec, s[6:7]
	v_cmp_gt_i32_e64 s[0:1], s12, v4
	s_and_saveexec_b64 s[6:7], s[0:1]
	s_cbranch_execz .LBB226_7
; %bb.6:
	v_add_u32_e32 v5, s4, v4
	v_mov_b32_e32 v6, 0
	v_lshlrev_b64 v[5:6], 1, v[5:6]
	v_mov_b32_e32 v3, s11
	v_add_co_u32_e64 v5, s[0:1], s10, v5
	v_addc_co_u32_e64 v6, s[0:1], v3, v6, s[0:1]
	global_load_ushort v3, v[5:6], off
	v_add_u32_e32 v4, 0x100, v4
.LBB226_7:
	s_or_b64 exec, exec, s[6:7]
	v_cmp_gt_i32_e64 s[0:1], s12, v4
	v_mov_b32_e32 v5, 0
	v_mov_b32_e32 v6, 0
	s_and_saveexec_b64 s[6:7], s[0:1]
	s_cbranch_execz .LBB226_9
; %bb.8:
	v_add_u32_e32 v6, s4, v4
	v_mov_b32_e32 v7, 0
	v_lshlrev_b64 v[6:7], 1, v[6:7]
	v_mov_b32_e32 v8, s11
	v_add_co_u32_e64 v6, s[0:1], s10, v6
	v_addc_co_u32_e64 v7, s[0:1], v8, v7, s[0:1]
	global_load_ushort v6, v[6:7], off
	v_add_u32_e32 v4, 0x100, v4
.LBB226_9:
	s_or_b64 exec, exec, s[6:7]
	v_cmp_gt_i32_e64 s[0:1], s12, v4
	s_and_saveexec_b64 s[6:7], s[0:1]
	s_cbranch_execz .LBB226_11
; %bb.10:
	v_add_u32_e32 v7, s4, v4
	v_mov_b32_e32 v8, 0
	v_lshlrev_b64 v[7:8], 1, v[7:8]
	v_mov_b32_e32 v5, s11
	v_add_co_u32_e64 v7, s[0:1], s10, v7
	v_addc_co_u32_e64 v8, s[0:1], v5, v8, s[0:1]
	global_load_ushort v5, v[7:8], off
	v_add_u32_e32 v4, 0x100, v4
.LBB226_11:
	s_or_b64 exec, exec, s[6:7]
	v_cmp_gt_i32_e64 s[0:1], s12, v4
	v_mov_b32_e32 v7, 0
	v_mov_b32_e32 v8, 0
	s_and_saveexec_b64 s[6:7], s[0:1]
	s_cbranch_execz .LBB226_13
; %bb.12:
	v_add_u32_e32 v8, s4, v4
	v_mov_b32_e32 v9, 0
	v_lshlrev_b64 v[8:9], 1, v[8:9]
	v_mov_b32_e32 v10, s11
	v_add_co_u32_e64 v8, s[0:1], s10, v8
	v_addc_co_u32_e64 v9, s[0:1], v10, v9, s[0:1]
	global_load_ushort v8, v[8:9], off
	v_add_u32_e32 v4, 0x100, v4
.LBB226_13:
	;; [unrolled: 30-line block ×3, first 2 shown]
	s_or_b64 exec, exec, s[6:7]
	v_cmp_gt_i32_e64 s[0:1], s12, v4
	s_and_saveexec_b64 s[6:7], s[0:1]
	s_cbranch_execz .LBB226_19
; %bb.18:
	v_add_u32_e32 v11, s4, v4
	v_mov_b32_e32 v12, 0
	v_lshlrev_b64 v[11:12], 1, v[11:12]
	v_mov_b32_e32 v4, s11
	v_add_co_u32_e64 v11, s[0:1], s10, v11
	v_addc_co_u32_e64 v12, s[0:1], v4, v12, s[0:1]
	global_load_ushort v9, v[11:12], off
.LBB226_19:
	s_or_b64 exec, exec, s[6:7]
	s_cmp_gt_u32 s3, 0xeffff
	s_waitcnt vmcnt(0)
	v_ashrrev_i16_e32 v4, 15, v2
	v_ashrrev_i32_sdwa v2, s13, sext(v2) dst_sel:DWORD dst_unused:UNUSED_PAD src0_sel:DWORD src1_sel:WORD_0
	s_cselect_b64 s[0:1], -1, 0
	v_cndmask_b32_e64 v4, v2, v4, s[0:1]
	v_mov_b32_e32 v2, 0
	v_ashrrev_i16_e32 v11, 15, v3
	v_ashrrev_i32_sdwa v3, s13, sext(v3) dst_sel:DWORD dst_unused:UNUSED_PAD src0_sel:DWORD src1_sel:WORD_0
	v_cndmask_b32_sdwa v4, v2, v4, vcc dst_sel:DWORD dst_unused:UNUSED_PAD src0_sel:DWORD src1_sel:WORD_0
	v_or_b32_e32 v12, 0x100, v0
	v_cndmask_b32_e64 v3, v3, v11, s[0:1]
	s_mov_b32 s5, 0x5040100
	v_perm_b32 v3, v3, v4, s5
	v_cmp_gt_i32_e64 s[2:3], s12, v12
	v_cndmask_b32_e64 v11, v4, v3, s[2:3]
	v_ashrrev_i16_e32 v4, 15, v6
	v_ashrrev_i32_sdwa v6, s13, sext(v6) dst_sel:DWORD dst_unused:UNUSED_PAD src0_sel:DWORD src1_sel:WORD_0
	v_or_b32_e32 v3, 0x200, v0
	v_cndmask_b32_e64 v4, v6, v4, s[0:1]
	v_and_b32_e32 v4, 0xffff, v4
	v_cmp_gt_i32_e64 s[2:3], s12, v3
	v_ashrrev_i16_e32 v6, 15, v5
	v_ashrrev_i32_sdwa v5, s13, sext(v5) dst_sel:DWORD dst_unused:UNUSED_PAD src0_sel:DWORD src1_sel:WORD_0
	v_cndmask_b32_e64 v3, 0, v4, s[2:3]
	v_or_b32_e32 v4, 0x300, v0
	v_cndmask_b32_e64 v5, v5, v6, s[0:1]
	v_perm_b32 v5, v5, v3, s5
	v_cmp_gt_i32_e64 s[2:3], s12, v4
	v_ashrrev_i16_e32 v4, 15, v8
	v_ashrrev_i32_sdwa v6, s13, sext(v8) dst_sel:DWORD dst_unused:UNUSED_PAD src0_sel:DWORD src1_sel:WORD_0
	v_cndmask_b32_e64 v5, v3, v5, s[2:3]
	v_or_b32_e32 v3, 0x400, v0
	v_cndmask_b32_e64 v4, v6, v4, s[0:1]
	v_and_b32_e32 v4, 0xffff, v4
	v_cmp_gt_i32_e64 s[2:3], s12, v3
	v_ashrrev_i16_e32 v6, 15, v7
	v_ashrrev_i32_sdwa v7, s13, sext(v7) dst_sel:DWORD dst_unused:UNUSED_PAD src0_sel:DWORD src1_sel:WORD_0
	v_cndmask_b32_e64 v3, 0, v4, s[2:3]
	v_or_b32_e32 v4, 0x500, v0
	v_cndmask_b32_e64 v6, v7, v6, s[0:1]
	v_perm_b32 v6, v6, v3, s5
	v_cmp_gt_i32_e64 s[2:3], s12, v4
	v_cndmask_b32_e64 v4, v3, v6, s[2:3]
	v_ashrrev_i16_e32 v6, 15, v10
	v_ashrrev_i32_sdwa v7, s13, sext(v10) dst_sel:DWORD dst_unused:UNUSED_PAD src0_sel:DWORD src1_sel:WORD_0
	v_or_b32_e32 v3, 0x600, v0
	v_cndmask_b32_e64 v6, v7, v6, s[0:1]
	v_and_b32_e32 v6, 0xffff, v6
	v_cmp_gt_i32_e64 s[2:3], s12, v3
	v_ashrrev_i16_e32 v7, 15, v9
	v_ashrrev_i32_sdwa v8, s13, sext(v9) dst_sel:DWORD dst_unused:UNUSED_PAD src0_sel:DWORD src1_sel:WORD_0
	v_cndmask_b32_e64 v3, 0, v6, s[2:3]
	v_or_b32_e32 v6, 0x700, v0
	v_cndmask_b32_e64 v7, v8, v7, s[0:1]
	v_perm_b32 v7, v7, v3, s5
	v_cmp_gt_i32_e64 s[0:1], s12, v6
	v_cndmask_b32_e64 v3, v3, v7, s[0:1]
	s_and_saveexec_b64 s[0:1], vcc
	s_cbranch_execnz .LBB226_29
; %bb.20:
	s_or_b64 exec, exec, s[0:1]
	v_cmp_gt_i32_e32 vcc, s12, v0
	s_and_saveexec_b64 s[0:1], vcc
	s_cbranch_execnz .LBB226_30
.LBB226_21:
	s_or_b64 exec, exec, s[0:1]
	v_cmp_gt_i32_e32 vcc, s12, v0
	s_and_saveexec_b64 s[0:1], vcc
	s_cbranch_execnz .LBB226_31
.LBB226_22:
	s_or_b64 exec, exec, s[0:1]
	v_cmp_gt_i32_e32 vcc, s12, v0
	s_and_saveexec_b64 s[0:1], vcc
	s_cbranch_execnz .LBB226_32
.LBB226_23:
	s_or_b64 exec, exec, s[0:1]
	v_cmp_gt_i32_e32 vcc, s12, v0
	s_and_saveexec_b64 s[0:1], vcc
	s_cbranch_execnz .LBB226_33
.LBB226_24:
	s_or_b64 exec, exec, s[0:1]
	v_cmp_gt_i32_e32 vcc, s12, v0
	s_and_saveexec_b64 s[0:1], vcc
	s_cbranch_execnz .LBB226_34
.LBB226_25:
	s_or_b64 exec, exec, s[0:1]
	v_cmp_gt_i32_e32 vcc, s12, v0
	s_and_saveexec_b64 s[0:1], vcc
	s_cbranch_execnz .LBB226_35
.LBB226_26:
	s_or_b64 exec, exec, s[0:1]
	v_cmp_gt_i32_e32 vcc, s12, v0
	s_and_saveexec_b64 s[0:1], vcc
	s_cbranch_execz .LBB226_28
.LBB226_27:
	v_add_u32_e32 v0, s4, v0
	v_mov_b32_e32 v1, 0
	v_lshlrev_b64 v[0:1], 1, v[0:1]
	v_mov_b32_e32 v2, s9
	v_add_co_u32_e32 v0, vcc, s8, v0
	v_addc_co_u32_e32 v1, vcc, v2, v1, vcc
	global_store_short_d16_hi v[0:1], v3, off
.LBB226_28:
	s_endpgm
.LBB226_29:
	v_lshlrev_b64 v[0:1], 1, v[1:2]
	v_mov_b32_e32 v2, s9
	v_add_co_u32_e32 v0, vcc, s8, v0
	v_addc_co_u32_e32 v1, vcc, v2, v1, vcc
	global_store_short v[0:1], v11, off
	v_mov_b32_e32 v0, v12
	s_or_b64 exec, exec, s[0:1]
	v_cmp_gt_i32_e32 vcc, s12, v0
	s_and_saveexec_b64 s[0:1], vcc
	s_cbranch_execz .LBB226_21
.LBB226_30:
	v_add_u32_e32 v1, s4, v0
	v_mov_b32_e32 v2, 0
	v_lshlrev_b64 v[1:2], 1, v[1:2]
	v_mov_b32_e32 v6, s9
	v_add_co_u32_e32 v1, vcc, s8, v1
	v_addc_co_u32_e32 v2, vcc, v6, v2, vcc
	v_add_u32_e32 v0, 0x100, v0
	global_store_short_d16_hi v[1:2], v11, off
	s_or_b64 exec, exec, s[0:1]
	v_cmp_gt_i32_e32 vcc, s12, v0
	s_and_saveexec_b64 s[0:1], vcc
	s_cbranch_execz .LBB226_22
.LBB226_31:
	v_add_u32_e32 v1, s4, v0
	v_mov_b32_e32 v2, 0
	v_lshlrev_b64 v[1:2], 1, v[1:2]
	v_mov_b32_e32 v6, s9
	v_add_co_u32_e32 v1, vcc, s8, v1
	v_addc_co_u32_e32 v2, vcc, v6, v2, vcc
	v_add_u32_e32 v0, 0x100, v0
	global_store_short v[1:2], v5, off
	s_or_b64 exec, exec, s[0:1]
	v_cmp_gt_i32_e32 vcc, s12, v0
	s_and_saveexec_b64 s[0:1], vcc
	s_cbranch_execz .LBB226_23
.LBB226_32:
	v_add_u32_e32 v1, s4, v0
	v_mov_b32_e32 v2, 0
	v_lshlrev_b64 v[1:2], 1, v[1:2]
	v_mov_b32_e32 v6, s9
	v_add_co_u32_e32 v1, vcc, s8, v1
	v_addc_co_u32_e32 v2, vcc, v6, v2, vcc
	v_add_u32_e32 v0, 0x100, v0
	global_store_short_d16_hi v[1:2], v5, off
	s_or_b64 exec, exec, s[0:1]
	v_cmp_gt_i32_e32 vcc, s12, v0
	s_and_saveexec_b64 s[0:1], vcc
	s_cbranch_execz .LBB226_24
.LBB226_33:
	v_add_u32_e32 v1, s4, v0
	v_mov_b32_e32 v2, 0
	v_lshlrev_b64 v[1:2], 1, v[1:2]
	v_mov_b32_e32 v5, s9
	v_add_co_u32_e32 v1, vcc, s8, v1
	v_addc_co_u32_e32 v2, vcc, v5, v2, vcc
	v_add_u32_e32 v0, 0x100, v0
	global_store_short v[1:2], v4, off
	s_or_b64 exec, exec, s[0:1]
	v_cmp_gt_i32_e32 vcc, s12, v0
	s_and_saveexec_b64 s[0:1], vcc
	s_cbranch_execz .LBB226_25
.LBB226_34:
	v_add_u32_e32 v1, s4, v0
	v_mov_b32_e32 v2, 0
	v_lshlrev_b64 v[1:2], 1, v[1:2]
	v_mov_b32_e32 v5, s9
	v_add_co_u32_e32 v1, vcc, s8, v1
	v_addc_co_u32_e32 v2, vcc, v5, v2, vcc
	v_add_u32_e32 v0, 0x100, v0
	global_store_short_d16_hi v[1:2], v4, off
	s_or_b64 exec, exec, s[0:1]
	v_cmp_gt_i32_e32 vcc, s12, v0
	s_and_saveexec_b64 s[0:1], vcc
	s_cbranch_execz .LBB226_26
.LBB226_35:
	v_add_u32_e32 v1, s4, v0
	v_mov_b32_e32 v2, 0
	v_lshlrev_b64 v[1:2], 1, v[1:2]
	v_mov_b32_e32 v4, s9
	v_add_co_u32_e32 v1, vcc, s8, v1
	v_addc_co_u32_e32 v2, vcc, v4, v2, vcc
	v_add_u32_e32 v0, 0x100, v0
	global_store_short v[1:2], v3, off
	s_or_b64 exec, exec, s[0:1]
	v_cmp_gt_i32_e32 vcc, s12, v0
	s_and_saveexec_b64 s[0:1], vcc
	s_cbranch_execnz .LBB226_27
	s_branch .LBB226_28
	.section	.rodata,"a",@progbits
	.p2align	6, 0x0
	.amdhsa_kernel _ZN2at6native29vectorized_elementwise_kernelILi4ENS0_13BUnaryFunctorIsssZZZNS0_18rshift_kernel_cudaERNS_18TensorIteratorBaseEENKUlvE_clEvENKUlvE3_clEvEUlssE_EESt5arrayIPcLm2EEEEviT0_T1_
		.amdhsa_group_segment_fixed_size 0
		.amdhsa_private_segment_fixed_size 0
		.amdhsa_kernarg_size 24
		.amdhsa_user_sgpr_count 6
		.amdhsa_user_sgpr_private_segment_buffer 1
		.amdhsa_user_sgpr_dispatch_ptr 0
		.amdhsa_user_sgpr_queue_ptr 0
		.amdhsa_user_sgpr_kernarg_segment_ptr 1
		.amdhsa_user_sgpr_dispatch_id 0
		.amdhsa_user_sgpr_flat_scratch_init 0
		.amdhsa_user_sgpr_private_segment_size 0
		.amdhsa_uses_dynamic_stack 0
		.amdhsa_system_sgpr_private_segment_wavefront_offset 0
		.amdhsa_system_sgpr_workgroup_id_x 1
		.amdhsa_system_sgpr_workgroup_id_y 0
		.amdhsa_system_sgpr_workgroup_id_z 0
		.amdhsa_system_sgpr_workgroup_info 0
		.amdhsa_system_vgpr_workitem_id 0
		.amdhsa_next_free_vgpr 18
		.amdhsa_next_free_sgpr 14
		.amdhsa_reserve_vcc 1
		.amdhsa_reserve_flat_scratch 0
		.amdhsa_float_round_mode_32 0
		.amdhsa_float_round_mode_16_64 0
		.amdhsa_float_denorm_mode_32 3
		.amdhsa_float_denorm_mode_16_64 3
		.amdhsa_dx10_clamp 1
		.amdhsa_ieee_mode 1
		.amdhsa_fp16_overflow 0
		.amdhsa_exception_fp_ieee_invalid_op 0
		.amdhsa_exception_fp_denorm_src 0
		.amdhsa_exception_fp_ieee_div_zero 0
		.amdhsa_exception_fp_ieee_overflow 0
		.amdhsa_exception_fp_ieee_underflow 0
		.amdhsa_exception_fp_ieee_inexact 0
		.amdhsa_exception_int_div_zero 0
	.end_amdhsa_kernel
	.section	.text._ZN2at6native29vectorized_elementwise_kernelILi4ENS0_13BUnaryFunctorIsssZZZNS0_18rshift_kernel_cudaERNS_18TensorIteratorBaseEENKUlvE_clEvENKUlvE3_clEvEUlssE_EESt5arrayIPcLm2EEEEviT0_T1_,"axG",@progbits,_ZN2at6native29vectorized_elementwise_kernelILi4ENS0_13BUnaryFunctorIsssZZZNS0_18rshift_kernel_cudaERNS_18TensorIteratorBaseEENKUlvE_clEvENKUlvE3_clEvEUlssE_EESt5arrayIPcLm2EEEEviT0_T1_,comdat
.Lfunc_end226:
	.size	_ZN2at6native29vectorized_elementwise_kernelILi4ENS0_13BUnaryFunctorIsssZZZNS0_18rshift_kernel_cudaERNS_18TensorIteratorBaseEENKUlvE_clEvENKUlvE3_clEvEUlssE_EESt5arrayIPcLm2EEEEviT0_T1_, .Lfunc_end226-_ZN2at6native29vectorized_elementwise_kernelILi4ENS0_13BUnaryFunctorIsssZZZNS0_18rshift_kernel_cudaERNS_18TensorIteratorBaseEENKUlvE_clEvENKUlvE3_clEvEUlssE_EESt5arrayIPcLm2EEEEviT0_T1_
                                        ; -- End function
	.set _ZN2at6native29vectorized_elementwise_kernelILi4ENS0_13BUnaryFunctorIsssZZZNS0_18rshift_kernel_cudaERNS_18TensorIteratorBaseEENKUlvE_clEvENKUlvE3_clEvEUlssE_EESt5arrayIPcLm2EEEEviT0_T1_.num_vgpr, 18
	.set _ZN2at6native29vectorized_elementwise_kernelILi4ENS0_13BUnaryFunctorIsssZZZNS0_18rshift_kernel_cudaERNS_18TensorIteratorBaseEENKUlvE_clEvENKUlvE3_clEvEUlssE_EESt5arrayIPcLm2EEEEviT0_T1_.num_agpr, 0
	.set _ZN2at6native29vectorized_elementwise_kernelILi4ENS0_13BUnaryFunctorIsssZZZNS0_18rshift_kernel_cudaERNS_18TensorIteratorBaseEENKUlvE_clEvENKUlvE3_clEvEUlssE_EESt5arrayIPcLm2EEEEviT0_T1_.numbered_sgpr, 14
	.set _ZN2at6native29vectorized_elementwise_kernelILi4ENS0_13BUnaryFunctorIsssZZZNS0_18rshift_kernel_cudaERNS_18TensorIteratorBaseEENKUlvE_clEvENKUlvE3_clEvEUlssE_EESt5arrayIPcLm2EEEEviT0_T1_.num_named_barrier, 0
	.set _ZN2at6native29vectorized_elementwise_kernelILi4ENS0_13BUnaryFunctorIsssZZZNS0_18rshift_kernel_cudaERNS_18TensorIteratorBaseEENKUlvE_clEvENKUlvE3_clEvEUlssE_EESt5arrayIPcLm2EEEEviT0_T1_.private_seg_size, 0
	.set _ZN2at6native29vectorized_elementwise_kernelILi4ENS0_13BUnaryFunctorIsssZZZNS0_18rshift_kernel_cudaERNS_18TensorIteratorBaseEENKUlvE_clEvENKUlvE3_clEvEUlssE_EESt5arrayIPcLm2EEEEviT0_T1_.uses_vcc, 1
	.set _ZN2at6native29vectorized_elementwise_kernelILi4ENS0_13BUnaryFunctorIsssZZZNS0_18rshift_kernel_cudaERNS_18TensorIteratorBaseEENKUlvE_clEvENKUlvE3_clEvEUlssE_EESt5arrayIPcLm2EEEEviT0_T1_.uses_flat_scratch, 0
	.set _ZN2at6native29vectorized_elementwise_kernelILi4ENS0_13BUnaryFunctorIsssZZZNS0_18rshift_kernel_cudaERNS_18TensorIteratorBaseEENKUlvE_clEvENKUlvE3_clEvEUlssE_EESt5arrayIPcLm2EEEEviT0_T1_.has_dyn_sized_stack, 0
	.set _ZN2at6native29vectorized_elementwise_kernelILi4ENS0_13BUnaryFunctorIsssZZZNS0_18rshift_kernel_cudaERNS_18TensorIteratorBaseEENKUlvE_clEvENKUlvE3_clEvEUlssE_EESt5arrayIPcLm2EEEEviT0_T1_.has_recursion, 0
	.set _ZN2at6native29vectorized_elementwise_kernelILi4ENS0_13BUnaryFunctorIsssZZZNS0_18rshift_kernel_cudaERNS_18TensorIteratorBaseEENKUlvE_clEvENKUlvE3_clEvEUlssE_EESt5arrayIPcLm2EEEEviT0_T1_.has_indirect_call, 0
	.section	.AMDGPU.csdata,"",@progbits
; Kernel info:
; codeLenInByte = 1916
; TotalNumSgprs: 18
; NumVgprs: 18
; ScratchSize: 0
; MemoryBound: 0
; FloatMode: 240
; IeeeMode: 1
; LDSByteSize: 0 bytes/workgroup (compile time only)
; SGPRBlocks: 2
; VGPRBlocks: 4
; NumSGPRsForWavesPerEU: 18
; NumVGPRsForWavesPerEU: 18
; Occupancy: 10
; WaveLimiterHint : 1
; COMPUTE_PGM_RSRC2:SCRATCH_EN: 0
; COMPUTE_PGM_RSRC2:USER_SGPR: 6
; COMPUTE_PGM_RSRC2:TRAP_HANDLER: 0
; COMPUTE_PGM_RSRC2:TGID_X_EN: 1
; COMPUTE_PGM_RSRC2:TGID_Y_EN: 0
; COMPUTE_PGM_RSRC2:TGID_Z_EN: 0
; COMPUTE_PGM_RSRC2:TIDIG_COMP_CNT: 0
	.section	.text._ZN2at6native29vectorized_elementwise_kernelILi2ENS0_13BUnaryFunctorIsssZZZNS0_18rshift_kernel_cudaERNS_18TensorIteratorBaseEENKUlvE_clEvENKUlvE3_clEvEUlssE_EESt5arrayIPcLm2EEEEviT0_T1_,"axG",@progbits,_ZN2at6native29vectorized_elementwise_kernelILi2ENS0_13BUnaryFunctorIsssZZZNS0_18rshift_kernel_cudaERNS_18TensorIteratorBaseEENKUlvE_clEvENKUlvE3_clEvEUlssE_EESt5arrayIPcLm2EEEEviT0_T1_,comdat
	.globl	_ZN2at6native29vectorized_elementwise_kernelILi2ENS0_13BUnaryFunctorIsssZZZNS0_18rshift_kernel_cudaERNS_18TensorIteratorBaseEENKUlvE_clEvENKUlvE3_clEvEUlssE_EESt5arrayIPcLm2EEEEviT0_T1_ ; -- Begin function _ZN2at6native29vectorized_elementwise_kernelILi2ENS0_13BUnaryFunctorIsssZZZNS0_18rshift_kernel_cudaERNS_18TensorIteratorBaseEENKUlvE_clEvENKUlvE3_clEvEUlssE_EESt5arrayIPcLm2EEEEviT0_T1_
	.p2align	8
	.type	_ZN2at6native29vectorized_elementwise_kernelILi2ENS0_13BUnaryFunctorIsssZZZNS0_18rshift_kernel_cudaERNS_18TensorIteratorBaseEENKUlvE_clEvENKUlvE3_clEvEUlssE_EESt5arrayIPcLm2EEEEviT0_T1_,@function
_ZN2at6native29vectorized_elementwise_kernelILi2ENS0_13BUnaryFunctorIsssZZZNS0_18rshift_kernel_cudaERNS_18TensorIteratorBaseEENKUlvE_clEvENKUlvE3_clEvEUlssE_EESt5arrayIPcLm2EEEEviT0_T1_: ; @_ZN2at6native29vectorized_elementwise_kernelILi2ENS0_13BUnaryFunctorIsssZZZNS0_18rshift_kernel_cudaERNS_18TensorIteratorBaseEENKUlvE_clEvENKUlvE3_clEvEUlssE_EESt5arrayIPcLm2EEEEviT0_T1_
; %bb.0:
	s_load_dwordx2 s[2:3], s[4:5], 0x0
	s_load_dwordx4 s[8:11], s[4:5], 0x8
	s_lshl_b32 s4, s6, 11
	s_mov_b64 s[0:1], -1
	s_waitcnt lgkmcnt(0)
	s_sub_i32 s12, s2, s4
	s_lshr_b32 s13, s3, 16
	s_cmpk_gt_i32 s12, 0x7ff
	s_cbranch_scc0 .LBB227_2
; %bb.1:
	s_ashr_i32 s5, s4, 31
	s_lshl_b64 s[0:1], s[4:5], 1
	s_add_u32 s6, s10, s0
	s_addc_u32 s7, s11, s1
	v_lshlrev_b32_e32 v1, 2, v0
	global_load_dword v2, v1, s[6:7]
	global_load_dword v3, v1, s[6:7] offset:1024
	global_load_dword v4, v1, s[6:7] offset:2048
	;; [unrolled: 1-line block ×3, first 2 shown]
	v_mov_b32_e32 v6, 15
	s_cmp_gt_u32 s3, 0xeffff
	s_cselect_b64 vcc, -1, 0
	s_mov_b32 s2, 0x5040100
	s_add_u32 s0, s8, s0
	s_addc_u32 s1, s9, s1
	s_waitcnt vmcnt(3)
	v_ashrrev_i16_e32 v7, 15, v2
	v_ashrrev_i32_sdwa v8, s13, sext(v2) dst_sel:DWORD dst_unused:UNUSED_PAD src0_sel:DWORD src1_sel:WORD_0
	v_ashrrev_i16_sdwa v9, v6, v2 dst_sel:DWORD dst_unused:UNUSED_PAD src0_sel:DWORD src1_sel:WORD_1
	v_ashrrev_i32_sdwa v2, s13, sext(v2) dst_sel:DWORD dst_unused:UNUSED_PAD src0_sel:DWORD src1_sel:WORD_1
	s_waitcnt vmcnt(2)
	v_ashrrev_i16_e32 v10, 15, v3
	v_ashrrev_i32_sdwa v11, s13, sext(v3) dst_sel:DWORD dst_unused:UNUSED_PAD src0_sel:DWORD src1_sel:WORD_0
	v_ashrrev_i16_sdwa v12, v6, v3 dst_sel:DWORD dst_unused:UNUSED_PAD src0_sel:DWORD src1_sel:WORD_1
	v_ashrrev_i32_sdwa v3, s13, sext(v3) dst_sel:DWORD dst_unused:UNUSED_PAD src0_sel:DWORD src1_sel:WORD_1
	;; [unrolled: 5-line block ×4, first 2 shown]
	v_cndmask_b32_e32 v7, v8, v7, vcc
	v_cndmask_b32_e32 v2, v2, v9, vcc
	;; [unrolled: 1-line block ×8, first 2 shown]
	v_perm_b32 v2, v2, v7, s2
	v_perm_b32 v5, v5, v10, s2
	;; [unrolled: 1-line block ×4, first 2 shown]
	global_store_dword v1, v2, s[0:1]
	global_store_dword v1, v3, s[0:1] offset:1024
	global_store_dword v1, v4, s[0:1] offset:2048
	;; [unrolled: 1-line block ×3, first 2 shown]
	s_mov_b64 s[0:1], 0
.LBB227_2:
	s_andn2_b64 vcc, exec, s[0:1]
	s_cbranch_vccnz .LBB227_28
; %bb.3:
	v_cmp_gt_i32_e32 vcc, s12, v0
	v_mov_b32_e32 v3, 0
	v_or_b32_e32 v1, s4, v0
	v_mov_b32_e32 v2, 0
	v_mov_b32_e32 v4, v0
	s_and_saveexec_b64 s[6:7], vcc
	s_cbranch_execz .LBB227_5
; %bb.4:
	v_mov_b32_e32 v2, 0
	v_lshlrev_b64 v[4:5], 1, v[1:2]
	v_mov_b32_e32 v2, s11
	v_add_co_u32_e64 v4, s[0:1], s10, v4
	v_addc_co_u32_e64 v5, s[0:1], v2, v5, s[0:1]
	global_load_ushort v2, v[4:5], off
	v_or_b32_e32 v4, 0x100, v0
.LBB227_5:
	s_or_b64 exec, exec, s[6:7]
	v_cmp_gt_i32_e64 s[0:1], s12, v4
	s_and_saveexec_b64 s[6:7], s[0:1]
	s_cbranch_execz .LBB227_7
; %bb.6:
	v_add_u32_e32 v5, s4, v4
	v_mov_b32_e32 v6, 0
	v_lshlrev_b64 v[5:6], 1, v[5:6]
	v_mov_b32_e32 v3, s11
	v_add_co_u32_e64 v5, s[0:1], s10, v5
	v_addc_co_u32_e64 v6, s[0:1], v3, v6, s[0:1]
	global_load_ushort v3, v[5:6], off
	v_add_u32_e32 v4, 0x100, v4
.LBB227_7:
	s_or_b64 exec, exec, s[6:7]
	v_cmp_gt_i32_e64 s[0:1], s12, v4
	v_mov_b32_e32 v5, 0
	v_mov_b32_e32 v6, 0
	s_and_saveexec_b64 s[6:7], s[0:1]
	s_cbranch_execz .LBB227_9
; %bb.8:
	v_add_u32_e32 v6, s4, v4
	v_mov_b32_e32 v7, 0
	v_lshlrev_b64 v[6:7], 1, v[6:7]
	v_mov_b32_e32 v8, s11
	v_add_co_u32_e64 v6, s[0:1], s10, v6
	v_addc_co_u32_e64 v7, s[0:1], v8, v7, s[0:1]
	global_load_ushort v6, v[6:7], off
	v_add_u32_e32 v4, 0x100, v4
.LBB227_9:
	s_or_b64 exec, exec, s[6:7]
	v_cmp_gt_i32_e64 s[0:1], s12, v4
	s_and_saveexec_b64 s[6:7], s[0:1]
	s_cbranch_execz .LBB227_11
; %bb.10:
	v_add_u32_e32 v7, s4, v4
	v_mov_b32_e32 v8, 0
	v_lshlrev_b64 v[7:8], 1, v[7:8]
	v_mov_b32_e32 v5, s11
	v_add_co_u32_e64 v7, s[0:1], s10, v7
	v_addc_co_u32_e64 v8, s[0:1], v5, v8, s[0:1]
	global_load_ushort v5, v[7:8], off
	v_add_u32_e32 v4, 0x100, v4
.LBB227_11:
	s_or_b64 exec, exec, s[6:7]
	v_cmp_gt_i32_e64 s[0:1], s12, v4
	v_mov_b32_e32 v7, 0
	v_mov_b32_e32 v8, 0
	s_and_saveexec_b64 s[6:7], s[0:1]
	s_cbranch_execz .LBB227_13
; %bb.12:
	v_add_u32_e32 v8, s4, v4
	v_mov_b32_e32 v9, 0
	v_lshlrev_b64 v[8:9], 1, v[8:9]
	v_mov_b32_e32 v10, s11
	v_add_co_u32_e64 v8, s[0:1], s10, v8
	v_addc_co_u32_e64 v9, s[0:1], v10, v9, s[0:1]
	global_load_ushort v8, v[8:9], off
	v_add_u32_e32 v4, 0x100, v4
.LBB227_13:
	;; [unrolled: 30-line block ×3, first 2 shown]
	s_or_b64 exec, exec, s[6:7]
	v_cmp_gt_i32_e64 s[0:1], s12, v4
	s_and_saveexec_b64 s[6:7], s[0:1]
	s_cbranch_execz .LBB227_19
; %bb.18:
	v_add_u32_e32 v11, s4, v4
	v_mov_b32_e32 v12, 0
	v_lshlrev_b64 v[11:12], 1, v[11:12]
	v_mov_b32_e32 v4, s11
	v_add_co_u32_e64 v11, s[0:1], s10, v11
	v_addc_co_u32_e64 v12, s[0:1], v4, v12, s[0:1]
	global_load_ushort v9, v[11:12], off
.LBB227_19:
	s_or_b64 exec, exec, s[6:7]
	s_cmp_gt_u32 s3, 0xeffff
	s_waitcnt vmcnt(0)
	v_ashrrev_i16_e32 v4, 15, v2
	v_ashrrev_i32_sdwa v2, s13, sext(v2) dst_sel:DWORD dst_unused:UNUSED_PAD src0_sel:DWORD src1_sel:WORD_0
	s_cselect_b64 s[0:1], -1, 0
	v_cndmask_b32_e64 v4, v2, v4, s[0:1]
	v_mov_b32_e32 v2, 0
	v_ashrrev_i16_e32 v11, 15, v3
	v_ashrrev_i32_sdwa v3, s13, sext(v3) dst_sel:DWORD dst_unused:UNUSED_PAD src0_sel:DWORD src1_sel:WORD_0
	v_cndmask_b32_sdwa v4, v2, v4, vcc dst_sel:DWORD dst_unused:UNUSED_PAD src0_sel:DWORD src1_sel:WORD_0
	v_or_b32_e32 v12, 0x100, v0
	v_cndmask_b32_e64 v3, v3, v11, s[0:1]
	s_mov_b32 s5, 0x5040100
	v_perm_b32 v3, v3, v4, s5
	v_cmp_gt_i32_e64 s[2:3], s12, v12
	v_cndmask_b32_e64 v11, v4, v3, s[2:3]
	v_ashrrev_i16_e32 v4, 15, v6
	v_ashrrev_i32_sdwa v6, s13, sext(v6) dst_sel:DWORD dst_unused:UNUSED_PAD src0_sel:DWORD src1_sel:WORD_0
	v_or_b32_e32 v3, 0x200, v0
	v_cndmask_b32_e64 v4, v6, v4, s[0:1]
	v_and_b32_e32 v4, 0xffff, v4
	v_cmp_gt_i32_e64 s[2:3], s12, v3
	v_ashrrev_i16_e32 v6, 15, v5
	v_ashrrev_i32_sdwa v5, s13, sext(v5) dst_sel:DWORD dst_unused:UNUSED_PAD src0_sel:DWORD src1_sel:WORD_0
	v_cndmask_b32_e64 v3, 0, v4, s[2:3]
	v_or_b32_e32 v4, 0x300, v0
	v_cndmask_b32_e64 v5, v5, v6, s[0:1]
	v_perm_b32 v5, v5, v3, s5
	v_cmp_gt_i32_e64 s[2:3], s12, v4
	v_ashrrev_i16_e32 v4, 15, v8
	v_ashrrev_i32_sdwa v6, s13, sext(v8) dst_sel:DWORD dst_unused:UNUSED_PAD src0_sel:DWORD src1_sel:WORD_0
	v_cndmask_b32_e64 v5, v3, v5, s[2:3]
	v_or_b32_e32 v3, 0x400, v0
	v_cndmask_b32_e64 v4, v6, v4, s[0:1]
	v_and_b32_e32 v4, 0xffff, v4
	v_cmp_gt_i32_e64 s[2:3], s12, v3
	v_ashrrev_i16_e32 v6, 15, v7
	v_ashrrev_i32_sdwa v7, s13, sext(v7) dst_sel:DWORD dst_unused:UNUSED_PAD src0_sel:DWORD src1_sel:WORD_0
	v_cndmask_b32_e64 v3, 0, v4, s[2:3]
	v_or_b32_e32 v4, 0x500, v0
	v_cndmask_b32_e64 v6, v7, v6, s[0:1]
	v_perm_b32 v6, v6, v3, s5
	v_cmp_gt_i32_e64 s[2:3], s12, v4
	v_cndmask_b32_e64 v4, v3, v6, s[2:3]
	v_ashrrev_i16_e32 v6, 15, v10
	v_ashrrev_i32_sdwa v7, s13, sext(v10) dst_sel:DWORD dst_unused:UNUSED_PAD src0_sel:DWORD src1_sel:WORD_0
	v_or_b32_e32 v3, 0x600, v0
	v_cndmask_b32_e64 v6, v7, v6, s[0:1]
	v_and_b32_e32 v6, 0xffff, v6
	v_cmp_gt_i32_e64 s[2:3], s12, v3
	v_ashrrev_i16_e32 v7, 15, v9
	v_ashrrev_i32_sdwa v8, s13, sext(v9) dst_sel:DWORD dst_unused:UNUSED_PAD src0_sel:DWORD src1_sel:WORD_0
	v_cndmask_b32_e64 v3, 0, v6, s[2:3]
	v_or_b32_e32 v6, 0x700, v0
	v_cndmask_b32_e64 v7, v8, v7, s[0:1]
	v_perm_b32 v7, v7, v3, s5
	v_cmp_gt_i32_e64 s[0:1], s12, v6
	v_cndmask_b32_e64 v3, v3, v7, s[0:1]
	s_and_saveexec_b64 s[0:1], vcc
	s_cbranch_execnz .LBB227_29
; %bb.20:
	s_or_b64 exec, exec, s[0:1]
	v_cmp_gt_i32_e32 vcc, s12, v0
	s_and_saveexec_b64 s[0:1], vcc
	s_cbranch_execnz .LBB227_30
.LBB227_21:
	s_or_b64 exec, exec, s[0:1]
	v_cmp_gt_i32_e32 vcc, s12, v0
	s_and_saveexec_b64 s[0:1], vcc
	s_cbranch_execnz .LBB227_31
.LBB227_22:
	s_or_b64 exec, exec, s[0:1]
	v_cmp_gt_i32_e32 vcc, s12, v0
	s_and_saveexec_b64 s[0:1], vcc
	s_cbranch_execnz .LBB227_32
.LBB227_23:
	s_or_b64 exec, exec, s[0:1]
	v_cmp_gt_i32_e32 vcc, s12, v0
	s_and_saveexec_b64 s[0:1], vcc
	s_cbranch_execnz .LBB227_33
.LBB227_24:
	s_or_b64 exec, exec, s[0:1]
	v_cmp_gt_i32_e32 vcc, s12, v0
	s_and_saveexec_b64 s[0:1], vcc
	s_cbranch_execnz .LBB227_34
.LBB227_25:
	s_or_b64 exec, exec, s[0:1]
	v_cmp_gt_i32_e32 vcc, s12, v0
	s_and_saveexec_b64 s[0:1], vcc
	s_cbranch_execnz .LBB227_35
.LBB227_26:
	s_or_b64 exec, exec, s[0:1]
	v_cmp_gt_i32_e32 vcc, s12, v0
	s_and_saveexec_b64 s[0:1], vcc
	s_cbranch_execz .LBB227_28
.LBB227_27:
	v_add_u32_e32 v0, s4, v0
	v_mov_b32_e32 v1, 0
	v_lshlrev_b64 v[0:1], 1, v[0:1]
	v_mov_b32_e32 v2, s9
	v_add_co_u32_e32 v0, vcc, s8, v0
	v_addc_co_u32_e32 v1, vcc, v2, v1, vcc
	global_store_short_d16_hi v[0:1], v3, off
.LBB227_28:
	s_endpgm
.LBB227_29:
	v_lshlrev_b64 v[0:1], 1, v[1:2]
	v_mov_b32_e32 v2, s9
	v_add_co_u32_e32 v0, vcc, s8, v0
	v_addc_co_u32_e32 v1, vcc, v2, v1, vcc
	global_store_short v[0:1], v11, off
	v_mov_b32_e32 v0, v12
	s_or_b64 exec, exec, s[0:1]
	v_cmp_gt_i32_e32 vcc, s12, v0
	s_and_saveexec_b64 s[0:1], vcc
	s_cbranch_execz .LBB227_21
.LBB227_30:
	v_add_u32_e32 v1, s4, v0
	v_mov_b32_e32 v2, 0
	v_lshlrev_b64 v[1:2], 1, v[1:2]
	v_mov_b32_e32 v6, s9
	v_add_co_u32_e32 v1, vcc, s8, v1
	v_addc_co_u32_e32 v2, vcc, v6, v2, vcc
	v_add_u32_e32 v0, 0x100, v0
	global_store_short_d16_hi v[1:2], v11, off
	s_or_b64 exec, exec, s[0:1]
	v_cmp_gt_i32_e32 vcc, s12, v0
	s_and_saveexec_b64 s[0:1], vcc
	s_cbranch_execz .LBB227_22
.LBB227_31:
	v_add_u32_e32 v1, s4, v0
	v_mov_b32_e32 v2, 0
	v_lshlrev_b64 v[1:2], 1, v[1:2]
	v_mov_b32_e32 v6, s9
	v_add_co_u32_e32 v1, vcc, s8, v1
	v_addc_co_u32_e32 v2, vcc, v6, v2, vcc
	v_add_u32_e32 v0, 0x100, v0
	global_store_short v[1:2], v5, off
	s_or_b64 exec, exec, s[0:1]
	v_cmp_gt_i32_e32 vcc, s12, v0
	s_and_saveexec_b64 s[0:1], vcc
	s_cbranch_execz .LBB227_23
.LBB227_32:
	v_add_u32_e32 v1, s4, v0
	v_mov_b32_e32 v2, 0
	v_lshlrev_b64 v[1:2], 1, v[1:2]
	v_mov_b32_e32 v6, s9
	v_add_co_u32_e32 v1, vcc, s8, v1
	v_addc_co_u32_e32 v2, vcc, v6, v2, vcc
	v_add_u32_e32 v0, 0x100, v0
	global_store_short_d16_hi v[1:2], v5, off
	s_or_b64 exec, exec, s[0:1]
	v_cmp_gt_i32_e32 vcc, s12, v0
	s_and_saveexec_b64 s[0:1], vcc
	s_cbranch_execz .LBB227_24
.LBB227_33:
	v_add_u32_e32 v1, s4, v0
	v_mov_b32_e32 v2, 0
	v_lshlrev_b64 v[1:2], 1, v[1:2]
	v_mov_b32_e32 v5, s9
	v_add_co_u32_e32 v1, vcc, s8, v1
	v_addc_co_u32_e32 v2, vcc, v5, v2, vcc
	v_add_u32_e32 v0, 0x100, v0
	global_store_short v[1:2], v4, off
	s_or_b64 exec, exec, s[0:1]
	v_cmp_gt_i32_e32 vcc, s12, v0
	s_and_saveexec_b64 s[0:1], vcc
	s_cbranch_execz .LBB227_25
.LBB227_34:
	v_add_u32_e32 v1, s4, v0
	v_mov_b32_e32 v2, 0
	v_lshlrev_b64 v[1:2], 1, v[1:2]
	v_mov_b32_e32 v5, s9
	v_add_co_u32_e32 v1, vcc, s8, v1
	v_addc_co_u32_e32 v2, vcc, v5, v2, vcc
	v_add_u32_e32 v0, 0x100, v0
	global_store_short_d16_hi v[1:2], v4, off
	s_or_b64 exec, exec, s[0:1]
	v_cmp_gt_i32_e32 vcc, s12, v0
	s_and_saveexec_b64 s[0:1], vcc
	s_cbranch_execz .LBB227_26
.LBB227_35:
	v_add_u32_e32 v1, s4, v0
	v_mov_b32_e32 v2, 0
	v_lshlrev_b64 v[1:2], 1, v[1:2]
	v_mov_b32_e32 v4, s9
	v_add_co_u32_e32 v1, vcc, s8, v1
	v_addc_co_u32_e32 v2, vcc, v4, v2, vcc
	v_add_u32_e32 v0, 0x100, v0
	global_store_short v[1:2], v3, off
	s_or_b64 exec, exec, s[0:1]
	v_cmp_gt_i32_e32 vcc, s12, v0
	s_and_saveexec_b64 s[0:1], vcc
	s_cbranch_execnz .LBB227_27
	s_branch .LBB227_28
	.section	.rodata,"a",@progbits
	.p2align	6, 0x0
	.amdhsa_kernel _ZN2at6native29vectorized_elementwise_kernelILi2ENS0_13BUnaryFunctorIsssZZZNS0_18rshift_kernel_cudaERNS_18TensorIteratorBaseEENKUlvE_clEvENKUlvE3_clEvEUlssE_EESt5arrayIPcLm2EEEEviT0_T1_
		.amdhsa_group_segment_fixed_size 0
		.amdhsa_private_segment_fixed_size 0
		.amdhsa_kernarg_size 24
		.amdhsa_user_sgpr_count 6
		.amdhsa_user_sgpr_private_segment_buffer 1
		.amdhsa_user_sgpr_dispatch_ptr 0
		.amdhsa_user_sgpr_queue_ptr 0
		.amdhsa_user_sgpr_kernarg_segment_ptr 1
		.amdhsa_user_sgpr_dispatch_id 0
		.amdhsa_user_sgpr_flat_scratch_init 0
		.amdhsa_user_sgpr_private_segment_size 0
		.amdhsa_uses_dynamic_stack 0
		.amdhsa_system_sgpr_private_segment_wavefront_offset 0
		.amdhsa_system_sgpr_workgroup_id_x 1
		.amdhsa_system_sgpr_workgroup_id_y 0
		.amdhsa_system_sgpr_workgroup_id_z 0
		.amdhsa_system_sgpr_workgroup_info 0
		.amdhsa_system_vgpr_workitem_id 0
		.amdhsa_next_free_vgpr 18
		.amdhsa_next_free_sgpr 14
		.amdhsa_reserve_vcc 1
		.amdhsa_reserve_flat_scratch 0
		.amdhsa_float_round_mode_32 0
		.amdhsa_float_round_mode_16_64 0
		.amdhsa_float_denorm_mode_32 3
		.amdhsa_float_denorm_mode_16_64 3
		.amdhsa_dx10_clamp 1
		.amdhsa_ieee_mode 1
		.amdhsa_fp16_overflow 0
		.amdhsa_exception_fp_ieee_invalid_op 0
		.amdhsa_exception_fp_denorm_src 0
		.amdhsa_exception_fp_ieee_div_zero 0
		.amdhsa_exception_fp_ieee_overflow 0
		.amdhsa_exception_fp_ieee_underflow 0
		.amdhsa_exception_fp_ieee_inexact 0
		.amdhsa_exception_int_div_zero 0
	.end_amdhsa_kernel
	.section	.text._ZN2at6native29vectorized_elementwise_kernelILi2ENS0_13BUnaryFunctorIsssZZZNS0_18rshift_kernel_cudaERNS_18TensorIteratorBaseEENKUlvE_clEvENKUlvE3_clEvEUlssE_EESt5arrayIPcLm2EEEEviT0_T1_,"axG",@progbits,_ZN2at6native29vectorized_elementwise_kernelILi2ENS0_13BUnaryFunctorIsssZZZNS0_18rshift_kernel_cudaERNS_18TensorIteratorBaseEENKUlvE_clEvENKUlvE3_clEvEUlssE_EESt5arrayIPcLm2EEEEviT0_T1_,comdat
.Lfunc_end227:
	.size	_ZN2at6native29vectorized_elementwise_kernelILi2ENS0_13BUnaryFunctorIsssZZZNS0_18rshift_kernel_cudaERNS_18TensorIteratorBaseEENKUlvE_clEvENKUlvE3_clEvEUlssE_EESt5arrayIPcLm2EEEEviT0_T1_, .Lfunc_end227-_ZN2at6native29vectorized_elementwise_kernelILi2ENS0_13BUnaryFunctorIsssZZZNS0_18rshift_kernel_cudaERNS_18TensorIteratorBaseEENKUlvE_clEvENKUlvE3_clEvEUlssE_EESt5arrayIPcLm2EEEEviT0_T1_
                                        ; -- End function
	.set _ZN2at6native29vectorized_elementwise_kernelILi2ENS0_13BUnaryFunctorIsssZZZNS0_18rshift_kernel_cudaERNS_18TensorIteratorBaseEENKUlvE_clEvENKUlvE3_clEvEUlssE_EESt5arrayIPcLm2EEEEviT0_T1_.num_vgpr, 18
	.set _ZN2at6native29vectorized_elementwise_kernelILi2ENS0_13BUnaryFunctorIsssZZZNS0_18rshift_kernel_cudaERNS_18TensorIteratorBaseEENKUlvE_clEvENKUlvE3_clEvEUlssE_EESt5arrayIPcLm2EEEEviT0_T1_.num_agpr, 0
	.set _ZN2at6native29vectorized_elementwise_kernelILi2ENS0_13BUnaryFunctorIsssZZZNS0_18rshift_kernel_cudaERNS_18TensorIteratorBaseEENKUlvE_clEvENKUlvE3_clEvEUlssE_EESt5arrayIPcLm2EEEEviT0_T1_.numbered_sgpr, 14
	.set _ZN2at6native29vectorized_elementwise_kernelILi2ENS0_13BUnaryFunctorIsssZZZNS0_18rshift_kernel_cudaERNS_18TensorIteratorBaseEENKUlvE_clEvENKUlvE3_clEvEUlssE_EESt5arrayIPcLm2EEEEviT0_T1_.num_named_barrier, 0
	.set _ZN2at6native29vectorized_elementwise_kernelILi2ENS0_13BUnaryFunctorIsssZZZNS0_18rshift_kernel_cudaERNS_18TensorIteratorBaseEENKUlvE_clEvENKUlvE3_clEvEUlssE_EESt5arrayIPcLm2EEEEviT0_T1_.private_seg_size, 0
	.set _ZN2at6native29vectorized_elementwise_kernelILi2ENS0_13BUnaryFunctorIsssZZZNS0_18rshift_kernel_cudaERNS_18TensorIteratorBaseEENKUlvE_clEvENKUlvE3_clEvEUlssE_EESt5arrayIPcLm2EEEEviT0_T1_.uses_vcc, 1
	.set _ZN2at6native29vectorized_elementwise_kernelILi2ENS0_13BUnaryFunctorIsssZZZNS0_18rshift_kernel_cudaERNS_18TensorIteratorBaseEENKUlvE_clEvENKUlvE3_clEvEUlssE_EESt5arrayIPcLm2EEEEviT0_T1_.uses_flat_scratch, 0
	.set _ZN2at6native29vectorized_elementwise_kernelILi2ENS0_13BUnaryFunctorIsssZZZNS0_18rshift_kernel_cudaERNS_18TensorIteratorBaseEENKUlvE_clEvENKUlvE3_clEvEUlssE_EESt5arrayIPcLm2EEEEviT0_T1_.has_dyn_sized_stack, 0
	.set _ZN2at6native29vectorized_elementwise_kernelILi2ENS0_13BUnaryFunctorIsssZZZNS0_18rshift_kernel_cudaERNS_18TensorIteratorBaseEENKUlvE_clEvENKUlvE3_clEvEUlssE_EESt5arrayIPcLm2EEEEviT0_T1_.has_recursion, 0
	.set _ZN2at6native29vectorized_elementwise_kernelILi2ENS0_13BUnaryFunctorIsssZZZNS0_18rshift_kernel_cudaERNS_18TensorIteratorBaseEENKUlvE_clEvENKUlvE3_clEvEUlssE_EESt5arrayIPcLm2EEEEviT0_T1_.has_indirect_call, 0
	.section	.AMDGPU.csdata,"",@progbits
; Kernel info:
; codeLenInByte = 1956
; TotalNumSgprs: 18
; NumVgprs: 18
; ScratchSize: 0
; MemoryBound: 0
; FloatMode: 240
; IeeeMode: 1
; LDSByteSize: 0 bytes/workgroup (compile time only)
; SGPRBlocks: 2
; VGPRBlocks: 4
; NumSGPRsForWavesPerEU: 18
; NumVGPRsForWavesPerEU: 18
; Occupancy: 10
; WaveLimiterHint : 1
; COMPUTE_PGM_RSRC2:SCRATCH_EN: 0
; COMPUTE_PGM_RSRC2:USER_SGPR: 6
; COMPUTE_PGM_RSRC2:TRAP_HANDLER: 0
; COMPUTE_PGM_RSRC2:TGID_X_EN: 1
; COMPUTE_PGM_RSRC2:TGID_Y_EN: 0
; COMPUTE_PGM_RSRC2:TGID_Z_EN: 0
; COMPUTE_PGM_RSRC2:TIDIG_COMP_CNT: 0
	.section	.text._ZN2at6native27unrolled_elementwise_kernelINS0_13BUnaryFunctorIsssZZZNS0_18rshift_kernel_cudaERNS_18TensorIteratorBaseEENKUlvE_clEvENKUlvE3_clEvEUlssE_EESt5arrayIPcLm2EELi4E23TrivialOffsetCalculatorILi1EjESD_NS0_6memory15LoadWithoutCastENSE_16StoreWithoutCastEEEviT_T0_T2_T3_T4_T5_,"axG",@progbits,_ZN2at6native27unrolled_elementwise_kernelINS0_13BUnaryFunctorIsssZZZNS0_18rshift_kernel_cudaERNS_18TensorIteratorBaseEENKUlvE_clEvENKUlvE3_clEvEUlssE_EESt5arrayIPcLm2EELi4E23TrivialOffsetCalculatorILi1EjESD_NS0_6memory15LoadWithoutCastENSE_16StoreWithoutCastEEEviT_T0_T2_T3_T4_T5_,comdat
	.globl	_ZN2at6native27unrolled_elementwise_kernelINS0_13BUnaryFunctorIsssZZZNS0_18rshift_kernel_cudaERNS_18TensorIteratorBaseEENKUlvE_clEvENKUlvE3_clEvEUlssE_EESt5arrayIPcLm2EELi4E23TrivialOffsetCalculatorILi1EjESD_NS0_6memory15LoadWithoutCastENSE_16StoreWithoutCastEEEviT_T0_T2_T3_T4_T5_ ; -- Begin function _ZN2at6native27unrolled_elementwise_kernelINS0_13BUnaryFunctorIsssZZZNS0_18rshift_kernel_cudaERNS_18TensorIteratorBaseEENKUlvE_clEvENKUlvE3_clEvEUlssE_EESt5arrayIPcLm2EELi4E23TrivialOffsetCalculatorILi1EjESD_NS0_6memory15LoadWithoutCastENSE_16StoreWithoutCastEEEviT_T0_T2_T3_T4_T5_
	.p2align	8
	.type	_ZN2at6native27unrolled_elementwise_kernelINS0_13BUnaryFunctorIsssZZZNS0_18rshift_kernel_cudaERNS_18TensorIteratorBaseEENKUlvE_clEvENKUlvE3_clEvEUlssE_EESt5arrayIPcLm2EELi4E23TrivialOffsetCalculatorILi1EjESD_NS0_6memory15LoadWithoutCastENSE_16StoreWithoutCastEEEviT_T0_T2_T3_T4_T5_,@function
_ZN2at6native27unrolled_elementwise_kernelINS0_13BUnaryFunctorIsssZZZNS0_18rshift_kernel_cudaERNS_18TensorIteratorBaseEENKUlvE_clEvENKUlvE3_clEvEUlssE_EESt5arrayIPcLm2EELi4E23TrivialOffsetCalculatorILi1EjESD_NS0_6memory15LoadWithoutCastENSE_16StoreWithoutCastEEEviT_T0_T2_T3_T4_T5_: ; @_ZN2at6native27unrolled_elementwise_kernelINS0_13BUnaryFunctorIsssZZZNS0_18rshift_kernel_cudaERNS_18TensorIteratorBaseEENKUlvE_clEvENKUlvE3_clEvEUlssE_EESt5arrayIPcLm2EELi4E23TrivialOffsetCalculatorILi1EjESD_NS0_6memory15LoadWithoutCastENSE_16StoreWithoutCastEEEviT_T0_T2_T3_T4_T5_
; %bb.0:
	s_load_dwordx2 s[2:3], s[4:5], 0x0
	s_load_dwordx4 s[8:11], s[4:5], 0x8
	s_lshl_b32 s6, s6, 10
	v_mov_b32_e32 v3, 0
	v_or_b32_e32 v1, s6, v0
	s_waitcnt lgkmcnt(0)
	s_sub_i32 s7, s2, s6
	v_cmp_gt_i32_e32 vcc, s7, v0
	v_mov_b32_e32 v2, 0
	v_mov_b32_e32 v4, v0
	s_and_saveexec_b64 s[4:5], vcc
	s_cbranch_execz .LBB228_2
; %bb.1:
	v_mov_b32_e32 v2, 0
	v_lshlrev_b64 v[4:5], 1, v[1:2]
	v_mov_b32_e32 v2, s11
	v_add_co_u32_e64 v4, s[0:1], s10, v4
	v_addc_co_u32_e64 v5, s[0:1], v2, v5, s[0:1]
	global_load_ushort v2, v[4:5], off
	v_or_b32_e32 v4, 0x100, v0
.LBB228_2:
	s_or_b64 exec, exec, s[4:5]
	v_cmp_gt_i32_e64 s[0:1], s7, v4
	s_and_saveexec_b64 s[4:5], s[0:1]
	s_cbranch_execz .LBB228_4
; %bb.3:
	v_add_u32_e32 v5, s6, v4
	v_mov_b32_e32 v6, 0
	v_lshlrev_b64 v[5:6], 1, v[5:6]
	v_mov_b32_e32 v3, s11
	v_add_co_u32_e64 v5, s[0:1], s10, v5
	v_addc_co_u32_e64 v6, s[0:1], v3, v6, s[0:1]
	global_load_ushort v3, v[5:6], off
	v_add_u32_e32 v4, 0x100, v4
.LBB228_4:
	s_or_b64 exec, exec, s[4:5]
	v_cmp_gt_i32_e64 s[0:1], s7, v4
	v_mov_b32_e32 v5, 0
	v_mov_b32_e32 v6, 0
	s_and_saveexec_b64 s[4:5], s[0:1]
	s_cbranch_execz .LBB228_6
; %bb.5:
	v_add_u32_e32 v6, s6, v4
	v_mov_b32_e32 v7, 0
	v_lshlrev_b64 v[6:7], 1, v[6:7]
	v_mov_b32_e32 v8, s11
	v_add_co_u32_e64 v6, s[0:1], s10, v6
	v_addc_co_u32_e64 v7, s[0:1], v8, v7, s[0:1]
	global_load_ushort v6, v[6:7], off
	v_add_u32_e32 v4, 0x100, v4
.LBB228_6:
	s_or_b64 exec, exec, s[4:5]
	v_cmp_gt_i32_e64 s[0:1], s7, v4
	s_and_saveexec_b64 s[4:5], s[0:1]
	s_cbranch_execz .LBB228_8
; %bb.7:
	v_add_u32_e32 v4, s6, v4
	v_mov_b32_e32 v5, 0
	v_lshlrev_b64 v[4:5], 1, v[4:5]
	v_mov_b32_e32 v7, s11
	v_add_co_u32_e64 v4, s[0:1], s10, v4
	v_addc_co_u32_e64 v5, s[0:1], v7, v5, s[0:1]
	global_load_ushort v5, v[4:5], off
.LBB228_8:
	s_or_b64 exec, exec, s[4:5]
	s_lshr_b32 s4, s3, 16
	s_cmp_gt_u32 s3, 0xeffff
	s_waitcnt vmcnt(0)
	v_ashrrev_i16_e32 v4, 15, v2
	v_ashrrev_i32_sdwa v2, s4, sext(v2) dst_sel:DWORD dst_unused:UNUSED_PAD src0_sel:DWORD src1_sel:WORD_0
	s_cselect_b64 s[0:1], -1, 0
	v_cndmask_b32_e64 v2, v2, v4, s[0:1]
	v_and_b32_e32 v2, 0xffff, v2
	v_ashrrev_i16_e32 v4, 15, v3
	v_ashrrev_i32_sdwa v3, s4, sext(v3) dst_sel:DWORD dst_unused:UNUSED_PAD src0_sel:DWORD src1_sel:WORD_0
	v_cndmask_b32_e32 v2, 0, v2, vcc
	v_or_b32_e32 v7, 0x100, v0
	v_cndmask_b32_e64 v3, v3, v4, s[0:1]
	s_mov_b32 s5, 0x5040100
	v_perm_b32 v3, v3, v2, s5
	v_cmp_gt_i32_e64 s[2:3], s7, v7
	v_cndmask_b32_e64 v4, v2, v3, s[2:3]
	v_ashrrev_i16_e32 v3, 15, v6
	v_ashrrev_i32_sdwa v6, s4, sext(v6) dst_sel:DWORD dst_unused:UNUSED_PAD src0_sel:DWORD src1_sel:WORD_0
	v_or_b32_e32 v2, 0x200, v0
	v_cndmask_b32_e64 v3, v6, v3, s[0:1]
	v_and_b32_e32 v3, 0xffff, v3
	v_cmp_gt_i32_e64 s[2:3], s7, v2
	v_ashrrev_i16_e32 v6, 15, v5
	v_ashrrev_i32_sdwa v5, s4, sext(v5) dst_sel:DWORD dst_unused:UNUSED_PAD src0_sel:DWORD src1_sel:WORD_0
	v_cndmask_b32_e64 v2, 0, v3, s[2:3]
	v_or_b32_e32 v3, 0x300, v0
	v_cndmask_b32_e64 v5, v5, v6, s[0:1]
	v_perm_b32 v5, v5, v2, s5
	v_cmp_gt_i32_e64 s[0:1], s7, v3
	v_cndmask_b32_e64 v3, v2, v5, s[0:1]
	s_and_saveexec_b64 s[0:1], vcc
	s_cbranch_execnz .LBB228_13
; %bb.9:
	s_or_b64 exec, exec, s[0:1]
	v_cmp_gt_i32_e32 vcc, s7, v0
	s_and_saveexec_b64 s[0:1], vcc
	s_cbranch_execnz .LBB228_14
.LBB228_10:
	s_or_b64 exec, exec, s[0:1]
	v_cmp_gt_i32_e32 vcc, s7, v0
	s_and_saveexec_b64 s[0:1], vcc
	s_cbranch_execnz .LBB228_15
.LBB228_11:
	s_or_b64 exec, exec, s[0:1]
	v_cmp_gt_i32_e32 vcc, s7, v0
	s_and_saveexec_b64 s[0:1], vcc
	s_cbranch_execnz .LBB228_16
.LBB228_12:
	s_endpgm
.LBB228_13:
	v_mov_b32_e32 v2, 0
	v_lshlrev_b64 v[0:1], 1, v[1:2]
	v_mov_b32_e32 v2, s9
	v_add_co_u32_e32 v0, vcc, s8, v0
	v_addc_co_u32_e32 v1, vcc, v2, v1, vcc
	global_store_short v[0:1], v4, off
	v_mov_b32_e32 v0, v7
	s_or_b64 exec, exec, s[0:1]
	v_cmp_gt_i32_e32 vcc, s7, v0
	s_and_saveexec_b64 s[0:1], vcc
	s_cbranch_execz .LBB228_10
.LBB228_14:
	v_add_u32_e32 v2, 0x100, v0
	v_add_u32_e32 v0, s6, v0
	v_mov_b32_e32 v1, 0
	v_lshlrev_b64 v[0:1], 1, v[0:1]
	v_mov_b32_e32 v5, s9
	v_add_co_u32_e32 v0, vcc, s8, v0
	v_addc_co_u32_e32 v1, vcc, v5, v1, vcc
	global_store_short_d16_hi v[0:1], v4, off
	v_mov_b32_e32 v0, v2
	s_or_b64 exec, exec, s[0:1]
	v_cmp_gt_i32_e32 vcc, s7, v0
	s_and_saveexec_b64 s[0:1], vcc
	s_cbranch_execz .LBB228_11
.LBB228_15:
	v_add_u32_e32 v2, 0x100, v0
	v_add_u32_e32 v0, s6, v0
	v_mov_b32_e32 v1, 0
	v_lshlrev_b64 v[0:1], 1, v[0:1]
	v_mov_b32_e32 v4, s9
	v_add_co_u32_e32 v0, vcc, s8, v0
	v_addc_co_u32_e32 v1, vcc, v4, v1, vcc
	global_store_short v[0:1], v3, off
	v_mov_b32_e32 v0, v2
	s_or_b64 exec, exec, s[0:1]
	v_cmp_gt_i32_e32 vcc, s7, v0
	s_and_saveexec_b64 s[0:1], vcc
	s_cbranch_execz .LBB228_12
.LBB228_16:
	v_add_u32_e32 v0, s6, v0
	v_mov_b32_e32 v1, 0
	v_lshlrev_b64 v[0:1], 1, v[0:1]
	v_mov_b32_e32 v2, s9
	v_add_co_u32_e32 v0, vcc, s8, v0
	v_addc_co_u32_e32 v1, vcc, v2, v1, vcc
	global_store_short_d16_hi v[0:1], v3, off
	s_endpgm
	.section	.rodata,"a",@progbits
	.p2align	6, 0x0
	.amdhsa_kernel _ZN2at6native27unrolled_elementwise_kernelINS0_13BUnaryFunctorIsssZZZNS0_18rshift_kernel_cudaERNS_18TensorIteratorBaseEENKUlvE_clEvENKUlvE3_clEvEUlssE_EESt5arrayIPcLm2EELi4E23TrivialOffsetCalculatorILi1EjESD_NS0_6memory15LoadWithoutCastENSE_16StoreWithoutCastEEEviT_T0_T2_T3_T4_T5_
		.amdhsa_group_segment_fixed_size 0
		.amdhsa_private_segment_fixed_size 0
		.amdhsa_kernarg_size 28
		.amdhsa_user_sgpr_count 6
		.amdhsa_user_sgpr_private_segment_buffer 1
		.amdhsa_user_sgpr_dispatch_ptr 0
		.amdhsa_user_sgpr_queue_ptr 0
		.amdhsa_user_sgpr_kernarg_segment_ptr 1
		.amdhsa_user_sgpr_dispatch_id 0
		.amdhsa_user_sgpr_flat_scratch_init 0
		.amdhsa_user_sgpr_private_segment_size 0
		.amdhsa_uses_dynamic_stack 0
		.amdhsa_system_sgpr_private_segment_wavefront_offset 0
		.amdhsa_system_sgpr_workgroup_id_x 1
		.amdhsa_system_sgpr_workgroup_id_y 0
		.amdhsa_system_sgpr_workgroup_id_z 0
		.amdhsa_system_sgpr_workgroup_info 0
		.amdhsa_system_vgpr_workitem_id 0
		.amdhsa_next_free_vgpr 9
		.amdhsa_next_free_sgpr 12
		.amdhsa_reserve_vcc 1
		.amdhsa_reserve_flat_scratch 0
		.amdhsa_float_round_mode_32 0
		.amdhsa_float_round_mode_16_64 0
		.amdhsa_float_denorm_mode_32 3
		.amdhsa_float_denorm_mode_16_64 3
		.amdhsa_dx10_clamp 1
		.amdhsa_ieee_mode 1
		.amdhsa_fp16_overflow 0
		.amdhsa_exception_fp_ieee_invalid_op 0
		.amdhsa_exception_fp_denorm_src 0
		.amdhsa_exception_fp_ieee_div_zero 0
		.amdhsa_exception_fp_ieee_overflow 0
		.amdhsa_exception_fp_ieee_underflow 0
		.amdhsa_exception_fp_ieee_inexact 0
		.amdhsa_exception_int_div_zero 0
	.end_amdhsa_kernel
	.section	.text._ZN2at6native27unrolled_elementwise_kernelINS0_13BUnaryFunctorIsssZZZNS0_18rshift_kernel_cudaERNS_18TensorIteratorBaseEENKUlvE_clEvENKUlvE3_clEvEUlssE_EESt5arrayIPcLm2EELi4E23TrivialOffsetCalculatorILi1EjESD_NS0_6memory15LoadWithoutCastENSE_16StoreWithoutCastEEEviT_T0_T2_T3_T4_T5_,"axG",@progbits,_ZN2at6native27unrolled_elementwise_kernelINS0_13BUnaryFunctorIsssZZZNS0_18rshift_kernel_cudaERNS_18TensorIteratorBaseEENKUlvE_clEvENKUlvE3_clEvEUlssE_EESt5arrayIPcLm2EELi4E23TrivialOffsetCalculatorILi1EjESD_NS0_6memory15LoadWithoutCastENSE_16StoreWithoutCastEEEviT_T0_T2_T3_T4_T5_,comdat
.Lfunc_end228:
	.size	_ZN2at6native27unrolled_elementwise_kernelINS0_13BUnaryFunctorIsssZZZNS0_18rshift_kernel_cudaERNS_18TensorIteratorBaseEENKUlvE_clEvENKUlvE3_clEvEUlssE_EESt5arrayIPcLm2EELi4E23TrivialOffsetCalculatorILi1EjESD_NS0_6memory15LoadWithoutCastENSE_16StoreWithoutCastEEEviT_T0_T2_T3_T4_T5_, .Lfunc_end228-_ZN2at6native27unrolled_elementwise_kernelINS0_13BUnaryFunctorIsssZZZNS0_18rshift_kernel_cudaERNS_18TensorIteratorBaseEENKUlvE_clEvENKUlvE3_clEvEUlssE_EESt5arrayIPcLm2EELi4E23TrivialOffsetCalculatorILi1EjESD_NS0_6memory15LoadWithoutCastENSE_16StoreWithoutCastEEEviT_T0_T2_T3_T4_T5_
                                        ; -- End function
	.set _ZN2at6native27unrolled_elementwise_kernelINS0_13BUnaryFunctorIsssZZZNS0_18rshift_kernel_cudaERNS_18TensorIteratorBaseEENKUlvE_clEvENKUlvE3_clEvEUlssE_EESt5arrayIPcLm2EELi4E23TrivialOffsetCalculatorILi1EjESD_NS0_6memory15LoadWithoutCastENSE_16StoreWithoutCastEEEviT_T0_T2_T3_T4_T5_.num_vgpr, 9
	.set _ZN2at6native27unrolled_elementwise_kernelINS0_13BUnaryFunctorIsssZZZNS0_18rshift_kernel_cudaERNS_18TensorIteratorBaseEENKUlvE_clEvENKUlvE3_clEvEUlssE_EESt5arrayIPcLm2EELi4E23TrivialOffsetCalculatorILi1EjESD_NS0_6memory15LoadWithoutCastENSE_16StoreWithoutCastEEEviT_T0_T2_T3_T4_T5_.num_agpr, 0
	.set _ZN2at6native27unrolled_elementwise_kernelINS0_13BUnaryFunctorIsssZZZNS0_18rshift_kernel_cudaERNS_18TensorIteratorBaseEENKUlvE_clEvENKUlvE3_clEvEUlssE_EESt5arrayIPcLm2EELi4E23TrivialOffsetCalculatorILi1EjESD_NS0_6memory15LoadWithoutCastENSE_16StoreWithoutCastEEEviT_T0_T2_T3_T4_T5_.numbered_sgpr, 12
	.set _ZN2at6native27unrolled_elementwise_kernelINS0_13BUnaryFunctorIsssZZZNS0_18rshift_kernel_cudaERNS_18TensorIteratorBaseEENKUlvE_clEvENKUlvE3_clEvEUlssE_EESt5arrayIPcLm2EELi4E23TrivialOffsetCalculatorILi1EjESD_NS0_6memory15LoadWithoutCastENSE_16StoreWithoutCastEEEviT_T0_T2_T3_T4_T5_.num_named_barrier, 0
	.set _ZN2at6native27unrolled_elementwise_kernelINS0_13BUnaryFunctorIsssZZZNS0_18rshift_kernel_cudaERNS_18TensorIteratorBaseEENKUlvE_clEvENKUlvE3_clEvEUlssE_EESt5arrayIPcLm2EELi4E23TrivialOffsetCalculatorILi1EjESD_NS0_6memory15LoadWithoutCastENSE_16StoreWithoutCastEEEviT_T0_T2_T3_T4_T5_.private_seg_size, 0
	.set _ZN2at6native27unrolled_elementwise_kernelINS0_13BUnaryFunctorIsssZZZNS0_18rshift_kernel_cudaERNS_18TensorIteratorBaseEENKUlvE_clEvENKUlvE3_clEvEUlssE_EESt5arrayIPcLm2EELi4E23TrivialOffsetCalculatorILi1EjESD_NS0_6memory15LoadWithoutCastENSE_16StoreWithoutCastEEEviT_T0_T2_T3_T4_T5_.uses_vcc, 1
	.set _ZN2at6native27unrolled_elementwise_kernelINS0_13BUnaryFunctorIsssZZZNS0_18rshift_kernel_cudaERNS_18TensorIteratorBaseEENKUlvE_clEvENKUlvE3_clEvEUlssE_EESt5arrayIPcLm2EELi4E23TrivialOffsetCalculatorILi1EjESD_NS0_6memory15LoadWithoutCastENSE_16StoreWithoutCastEEEviT_T0_T2_T3_T4_T5_.uses_flat_scratch, 0
	.set _ZN2at6native27unrolled_elementwise_kernelINS0_13BUnaryFunctorIsssZZZNS0_18rshift_kernel_cudaERNS_18TensorIteratorBaseEENKUlvE_clEvENKUlvE3_clEvEUlssE_EESt5arrayIPcLm2EELi4E23TrivialOffsetCalculatorILi1EjESD_NS0_6memory15LoadWithoutCastENSE_16StoreWithoutCastEEEviT_T0_T2_T3_T4_T5_.has_dyn_sized_stack, 0
	.set _ZN2at6native27unrolled_elementwise_kernelINS0_13BUnaryFunctorIsssZZZNS0_18rshift_kernel_cudaERNS_18TensorIteratorBaseEENKUlvE_clEvENKUlvE3_clEvEUlssE_EESt5arrayIPcLm2EELi4E23TrivialOffsetCalculatorILi1EjESD_NS0_6memory15LoadWithoutCastENSE_16StoreWithoutCastEEEviT_T0_T2_T3_T4_T5_.has_recursion, 0
	.set _ZN2at6native27unrolled_elementwise_kernelINS0_13BUnaryFunctorIsssZZZNS0_18rshift_kernel_cudaERNS_18TensorIteratorBaseEENKUlvE_clEvENKUlvE3_clEvEUlssE_EESt5arrayIPcLm2EELi4E23TrivialOffsetCalculatorILi1EjESD_NS0_6memory15LoadWithoutCastENSE_16StoreWithoutCastEEEviT_T0_T2_T3_T4_T5_.has_indirect_call, 0
	.section	.AMDGPU.csdata,"",@progbits
; Kernel info:
; codeLenInByte = 820
; TotalNumSgprs: 16
; NumVgprs: 9
; ScratchSize: 0
; MemoryBound: 0
; FloatMode: 240
; IeeeMode: 1
; LDSByteSize: 0 bytes/workgroup (compile time only)
; SGPRBlocks: 1
; VGPRBlocks: 2
; NumSGPRsForWavesPerEU: 16
; NumVGPRsForWavesPerEU: 9
; Occupancy: 10
; WaveLimiterHint : 0
; COMPUTE_PGM_RSRC2:SCRATCH_EN: 0
; COMPUTE_PGM_RSRC2:USER_SGPR: 6
; COMPUTE_PGM_RSRC2:TRAP_HANDLER: 0
; COMPUTE_PGM_RSRC2:TGID_X_EN: 1
; COMPUTE_PGM_RSRC2:TGID_Y_EN: 0
; COMPUTE_PGM_RSRC2:TGID_Z_EN: 0
; COMPUTE_PGM_RSRC2:TIDIG_COMP_CNT: 0
	.section	.text._ZN2at6native32elementwise_kernel_manual_unrollILi128ELi8EZNS0_22gpu_kernel_impl_nocastINS0_13BUnaryFunctorIsssZZZNS0_18rshift_kernel_cudaERNS_18TensorIteratorBaseEENKUlvE_clEvENKUlvE3_clEvEUlssE_EEEEvS5_RKT_EUlibE_EEviT1_,"axG",@progbits,_ZN2at6native32elementwise_kernel_manual_unrollILi128ELi8EZNS0_22gpu_kernel_impl_nocastINS0_13BUnaryFunctorIsssZZZNS0_18rshift_kernel_cudaERNS_18TensorIteratorBaseEENKUlvE_clEvENKUlvE3_clEvEUlssE_EEEEvS5_RKT_EUlibE_EEviT1_,comdat
	.globl	_ZN2at6native32elementwise_kernel_manual_unrollILi128ELi8EZNS0_22gpu_kernel_impl_nocastINS0_13BUnaryFunctorIsssZZZNS0_18rshift_kernel_cudaERNS_18TensorIteratorBaseEENKUlvE_clEvENKUlvE3_clEvEUlssE_EEEEvS5_RKT_EUlibE_EEviT1_ ; -- Begin function _ZN2at6native32elementwise_kernel_manual_unrollILi128ELi8EZNS0_22gpu_kernel_impl_nocastINS0_13BUnaryFunctorIsssZZZNS0_18rshift_kernel_cudaERNS_18TensorIteratorBaseEENKUlvE_clEvENKUlvE3_clEvEUlssE_EEEEvS5_RKT_EUlibE_EEviT1_
	.p2align	8
	.type	_ZN2at6native32elementwise_kernel_manual_unrollILi128ELi8EZNS0_22gpu_kernel_impl_nocastINS0_13BUnaryFunctorIsssZZZNS0_18rshift_kernel_cudaERNS_18TensorIteratorBaseEENKUlvE_clEvENKUlvE3_clEvEUlssE_EEEEvS5_RKT_EUlibE_EEviT1_,@function
_ZN2at6native32elementwise_kernel_manual_unrollILi128ELi8EZNS0_22gpu_kernel_impl_nocastINS0_13BUnaryFunctorIsssZZZNS0_18rshift_kernel_cudaERNS_18TensorIteratorBaseEENKUlvE_clEvENKUlvE3_clEvEUlssE_EEEEvS5_RKT_EUlibE_EEviT1_: ; @_ZN2at6native32elementwise_kernel_manual_unrollILi128ELi8EZNS0_22gpu_kernel_impl_nocastINS0_13BUnaryFunctorIsssZZZNS0_18rshift_kernel_cudaERNS_18TensorIteratorBaseEENKUlvE_clEvENKUlvE3_clEvEUlssE_EEEEvS5_RKT_EUlibE_EEviT1_
; %bb.0:
	s_load_dword s60, s[4:5], 0x0
	s_load_dword s33, s[4:5], 0x8
	s_add_u32 s34, s4, 8
	s_addc_u32 s35, s5, 0
	v_lshl_or_b32 v19, s6, 10, v0
	v_or_b32_e32 v25, 0x380, v19
	s_waitcnt lgkmcnt(0)
	s_add_i32 s58, s33, -1
	s_cmp_gt_u32 s58, 1
	v_cmp_le_i32_e32 vcc, s60, v25
	s_cselect_b64 s[2:3], -1, 0
	s_and_saveexec_b64 s[0:1], vcc
	s_xor_b64 s[6:7], exec, s[0:1]
	s_cbranch_execz .LBB229_7
; %bb.1:
	s_load_dwordx4 s[28:31], s[34:35], 0x4
	s_load_dwordx2 s[44:45], s[34:35], 0x14
	s_load_dword s0, s[4:5], 0x160
	s_cmp_lg_u32 s33, 0
	s_cselect_b64 s[50:51], -1, 0
	s_add_u32 s48, s34, 0xc4
	s_addc_u32 s49, s35, 0
	s_min_u32 s61, s58, 15
	s_load_dwordx4 s[36:39], s[34:35], 0xc4
	s_load_dwordx4 s[24:27], s[34:35], 0x148
	s_cmp_gt_u32 s33, 1
	s_cselect_b64 s[46:47], -1, 0
	s_waitcnt lgkmcnt(0)
	s_lshr_b32 s59, s0, 16
	s_cmp_gt_u32 s59, 14
	s_cselect_b64 s[0:1], -1, 0
	v_cmp_gt_i32_e32 vcc, s60, v19
	s_and_saveexec_b64 s[52:53], vcc
	s_cbranch_execz .LBB229_14
; %bb.2:
	s_andn2_b64 vcc, exec, s[2:3]
	s_cbranch_vccnz .LBB229_21
; %bb.3:
	s_andn2_b64 vcc, exec, s[50:51]
	s_cbranch_vccnz .LBB229_129
; %bb.4:
	s_add_i32 s63, s61, 1
	s_cmp_eq_u32 s58, 2
	s_cbranch_scc1 .LBB229_131
; %bb.5:
	s_and_b32 s62, s63, 28
	v_mov_b32_e32 v2, 0
	s_mov_b32 s64, 0
	s_mov_b64 s[54:55], s[34:35]
	s_mov_b64 s[56:57], s[48:49]
	v_mov_b32_e32 v0, 0
	v_mov_b32_e32 v1, v19
.LBB229_6:                              ; =>This Inner Loop Header: Depth=1
	s_load_dwordx8 s[16:23], s[54:55], 0x4
	s_load_dwordx4 s[40:43], s[54:55], 0x24
	s_load_dwordx8 s[8:15], s[56:57], 0x0
	s_add_u32 s54, s54, 48
	s_addc_u32 s55, s55, 0
	s_waitcnt lgkmcnt(0)
	v_mul_hi_u32 v3, s17, v1
	s_add_i32 s64, s64, 4
	s_add_u32 s56, s56, 32
	s_addc_u32 s57, s57, 0
	v_add_u32_e32 v3, v1, v3
	v_lshrrev_b32_e32 v3, s18, v3
	v_mul_lo_u32 v4, v3, s16
	v_mul_hi_u32 v5, s20, v3
	s_cmp_lg_u32 s62, s64
	v_sub_u32_e32 v1, v1, v4
	v_add_u32_e32 v4, v3, v5
	v_mul_lo_u32 v5, v1, s8
	v_mul_lo_u32 v6, v1, s9
	v_lshrrev_b32_e32 v1, s21, v4
	v_mul_lo_u32 v4, v1, s19
	v_mul_hi_u32 v7, s23, v1
	v_sub_u32_e32 v3, v3, v4
	v_add_u32_e32 v4, v1, v7
	v_lshrrev_b32_e32 v4, s40, v4
	v_mul_hi_u32 v8, s42, v4
	v_mul_lo_u32 v9, v4, s22
	v_mul_lo_u32 v7, v3, s10
	;; [unrolled: 1-line block ×3, first 2 shown]
	v_sub_u32_e32 v9, v1, v9
	v_add_u32_e32 v1, v4, v8
	v_lshrrev_b32_e32 v1, s43, v1
	v_mul_lo_u32 v8, v1, s41
	v_mul_lo_u32 v10, v9, s12
	;; [unrolled: 1-line block ×3, first 2 shown]
	v_add3_u32 v0, v5, v0, v7
	v_sub_u32_e32 v4, v4, v8
	v_mul_lo_u32 v8, v4, s14
	v_mul_lo_u32 v4, v4, s15
	v_add3_u32 v2, v6, v2, v3
	v_add3_u32 v0, v10, v0, v8
	;; [unrolled: 1-line block ×3, first 2 shown]
	s_cbranch_scc1 .LBB229_6
	s_branch .LBB229_132
.LBB229_7:
	s_andn2_saveexec_b64 s[0:1], s[6:7]
	s_cbranch_execz .LBB229_221
.LBB229_8:
	v_cndmask_b32_e64 v0, 0, 1, s[2:3]
	v_cmp_ne_u32_e64 s[0:1], 1, v0
	s_andn2_b64 vcc, exec, s[2:3]
	s_cbranch_vccnz .LBB229_20
; %bb.9:
	s_cmp_lg_u32 s33, 0
	s_mov_b32 s28, 0
	s_cbranch_scc0 .LBB229_23
; %bb.10:
	s_min_u32 s29, s58, 15
	s_add_i32 s29, s29, 1
	s_cmp_eq_u32 s58, 2
	s_cbranch_scc1 .LBB229_24
; %bb.11:
	s_and_b32 s28, s29, 28
	s_add_u32 s2, s34, 0xc4
	s_addc_u32 s3, s35, 0
	v_mov_b32_e32 v2, 0
	s_mov_b32 s30, 0
	s_mov_b64 s[6:7], s[34:35]
	v_mov_b32_e32 v0, 0
	v_mov_b32_e32 v1, v19
.LBB229_12:                             ; =>This Inner Loop Header: Depth=1
	s_load_dwordx8 s[16:23], s[6:7], 0x4
	s_load_dwordx4 s[24:27], s[6:7], 0x24
	s_load_dwordx8 s[8:15], s[2:3], 0x0
	s_add_u32 s6, s6, 48
	s_addc_u32 s7, s7, 0
	s_waitcnt lgkmcnt(0)
	v_mul_hi_u32 v3, s17, v1
	s_add_i32 s30, s30, 4
	s_add_u32 s2, s2, 32
	s_addc_u32 s3, s3, 0
	v_add_u32_e32 v3, v1, v3
	v_lshrrev_b32_e32 v3, s18, v3
	v_mul_lo_u32 v4, v3, s16
	v_mul_hi_u32 v5, s20, v3
	s_cmp_lg_u32 s28, s30
	v_sub_u32_e32 v1, v1, v4
	v_add_u32_e32 v4, v3, v5
	v_mul_lo_u32 v5, v1, s8
	v_mul_lo_u32 v6, v1, s9
	v_lshrrev_b32_e32 v1, s21, v4
	v_mul_lo_u32 v4, v1, s19
	v_mul_hi_u32 v7, s23, v1
	v_sub_u32_e32 v3, v3, v4
	v_add_u32_e32 v4, v1, v7
	v_lshrrev_b32_e32 v4, s24, v4
	v_mul_hi_u32 v8, s26, v4
	v_mul_lo_u32 v9, v4, s22
	v_mul_lo_u32 v7, v3, s10
	;; [unrolled: 1-line block ×3, first 2 shown]
	v_sub_u32_e32 v9, v1, v9
	v_add_u32_e32 v1, v4, v8
	v_lshrrev_b32_e32 v1, s27, v1
	v_mul_lo_u32 v8, v1, s25
	v_mul_lo_u32 v10, v9, s12
	;; [unrolled: 1-line block ×3, first 2 shown]
	v_add3_u32 v0, v5, v0, v7
	v_sub_u32_e32 v4, v4, v8
	v_mul_lo_u32 v8, v4, s14
	v_mul_lo_u32 v4, v4, s15
	v_add3_u32 v2, v6, v2, v3
	v_add3_u32 v0, v10, v0, v8
	;; [unrolled: 1-line block ×3, first 2 shown]
	s_cbranch_scc1 .LBB229_12
; %bb.13:
	s_and_b32 s8, s29, 3
	s_cmp_eq_u32 s8, 0
	s_cbranch_scc0 .LBB229_25
	s_branch .LBB229_27
.LBB229_14:
	s_or_b64 exec, exec, s[52:53]
	v_cmp_gt_i32_e32 vcc, s60, v19
	s_and_saveexec_b64 s[52:53], vcc
	s_cbranch_execz .LBB229_139
.LBB229_15:
	s_andn2_b64 vcc, exec, s[2:3]
	s_cbranch_vccnz .LBB229_22
; %bb.16:
	s_andn2_b64 vcc, exec, s[50:51]
	s_cbranch_vccnz .LBB229_130
; %bb.17:
	s_add_i32 s63, s61, 1
	s_cmp_eq_u32 s58, 2
	s_cbranch_scc1 .LBB229_147
; %bb.18:
	s_and_b32 s62, s63, 28
	v_mov_b32_e32 v2, 0
	s_mov_b32 s64, 0
	s_mov_b64 s[54:55], s[34:35]
	s_mov_b64 s[56:57], s[48:49]
	v_mov_b32_e32 v0, 0
	v_mov_b32_e32 v1, v19
.LBB229_19:                             ; =>This Inner Loop Header: Depth=1
	s_load_dwordx8 s[16:23], s[54:55], 0x4
	s_load_dwordx4 s[40:43], s[54:55], 0x24
	s_load_dwordx8 s[8:15], s[56:57], 0x0
	s_add_u32 s54, s54, 48
	s_addc_u32 s55, s55, 0
	s_waitcnt lgkmcnt(0)
	v_mul_hi_u32 v3, s17, v1
	s_add_i32 s64, s64, 4
	s_add_u32 s56, s56, 32
	s_addc_u32 s57, s57, 0
	v_add_u32_e32 v3, v1, v3
	v_lshrrev_b32_e32 v3, s18, v3
	v_mul_lo_u32 v4, v3, s16
	v_mul_hi_u32 v5, s20, v3
	s_cmp_eq_u32 s62, s64
	v_sub_u32_e32 v1, v1, v4
	v_add_u32_e32 v4, v3, v5
	v_mul_lo_u32 v5, v1, s8
	v_mul_lo_u32 v6, v1, s9
	v_lshrrev_b32_e32 v1, s21, v4
	v_mul_lo_u32 v4, v1, s19
	v_mul_hi_u32 v7, s23, v1
	v_sub_u32_e32 v3, v3, v4
	v_add_u32_e32 v4, v1, v7
	v_lshrrev_b32_e32 v4, s40, v4
	v_mul_hi_u32 v8, s42, v4
	v_mul_lo_u32 v9, v4, s22
	v_mul_lo_u32 v7, v3, s10
	;; [unrolled: 1-line block ×3, first 2 shown]
	v_sub_u32_e32 v9, v1, v9
	v_add_u32_e32 v1, v4, v8
	v_lshrrev_b32_e32 v1, s43, v1
	v_mul_lo_u32 v8, v1, s41
	v_mul_lo_u32 v10, v9, s12
	v_mul_lo_u32 v9, v9, s13
	v_add3_u32 v0, v5, v0, v7
	v_sub_u32_e32 v4, v4, v8
	v_mul_lo_u32 v8, v4, s14
	v_mul_lo_u32 v4, v4, s15
	v_add3_u32 v2, v6, v2, v3
	v_add3_u32 v0, v10, v0, v8
	;; [unrolled: 1-line block ×3, first 2 shown]
	s_cbranch_scc0 .LBB229_19
	s_branch .LBB229_148
.LBB229_20:
                                        ; implicit-def: $vgpr0
                                        ; implicit-def: $vgpr2
	s_branch .LBB229_28
.LBB229_21:
                                        ; implicit-def: $vgpr0
                                        ; implicit-def: $vgpr2
	s_branch .LBB229_136
.LBB229_22:
                                        ; implicit-def: $vgpr0
                                        ; implicit-def: $vgpr2
	s_branch .LBB229_152
.LBB229_23:
	v_mov_b32_e32 v0, 0
	v_mov_b32_e32 v2, 0
	s_branch .LBB229_27
.LBB229_24:
	v_mov_b32_e32 v0, 0
	v_mov_b32_e32 v2, 0
	;; [unrolled: 1-line block ×3, first 2 shown]
	s_and_b32 s8, s29, 3
	s_cmp_eq_u32 s8, 0
	s_cbranch_scc1 .LBB229_27
.LBB229_25:
	s_lshl_b32 s2, s28, 3
	s_add_u32 s2, s34, s2
	s_addc_u32 s3, s35, 0
	s_add_u32 s2, s2, 0xc4
	s_addc_u32 s3, s3, 0
	s_mul_i32 s6, s28, 12
	s_add_u32 s6, s34, s6
	s_addc_u32 s7, s35, 0
.LBB229_26:                             ; =>This Inner Loop Header: Depth=1
	s_load_dwordx2 s[10:11], s[6:7], 0x4
	s_load_dword s9, s[6:7], 0xc
	s_load_dwordx2 s[12:13], s[2:3], 0x0
	s_add_u32 s6, s6, 12
	s_addc_u32 s7, s7, 0
	s_waitcnt lgkmcnt(0)
	v_mul_hi_u32 v4, s11, v1
	s_add_u32 s2, s2, 8
	s_addc_u32 s3, s3, 0
	s_add_i32 s8, s8, -1
	v_add_u32_e32 v4, v1, v4
	v_lshrrev_b32_e32 v4, s9, v4
	v_mul_lo_u32 v5, v4, s10
	s_cmp_lg_u32 s8, 0
	v_sub_u32_e32 v5, v1, v5
	v_mad_u64_u32 v[0:1], s[10:11], v5, s12, v[0:1]
	v_mad_u64_u32 v[2:3], s[10:11], v5, s13, v[2:3]
	v_mov_b32_e32 v1, v4
	s_cbranch_scc1 .LBB229_26
.LBB229_27:
	s_cbranch_execnz .LBB229_30
.LBB229_28:
	s_load_dwordx4 s[8:11], s[34:35], 0x4
	s_load_dwordx2 s[2:3], s[34:35], 0xc4
	s_cmp_lt_u32 s33, 2
	s_waitcnt lgkmcnt(0)
	v_mul_hi_u32 v0, s9, v19
	v_add_u32_e32 v0, v19, v0
	v_lshrrev_b32_e32 v1, s10, v0
	v_mul_lo_u32 v0, v1, s8
	v_sub_u32_e32 v2, v19, v0
	v_mul_lo_u32 v0, v2, s2
	v_mul_lo_u32 v2, v2, s3
	s_cbranch_scc1 .LBB229_30
; %bb.29:
	s_load_dwordx4 s[8:11], s[34:35], 0x10
	s_load_dwordx2 s[2:3], s[34:35], 0xcc
	s_waitcnt lgkmcnt(0)
	v_mul_hi_u32 v3, s9, v1
	v_add_u32_e32 v3, v1, v3
	v_lshrrev_b32_e32 v3, s10, v3
	v_mul_lo_u32 v3, v3, s8
	v_sub_u32_e32 v3, v1, v3
	v_mad_u64_u32 v[0:1], s[6:7], v3, s2, v[0:1]
	v_mad_u64_u32 v[2:3], s[2:3], v3, s3, v[2:3]
.LBB229_30:
	s_and_b64 vcc, exec, s[0:1]
	v_add_u32_e32 v1, 0x80, v19
	s_cbranch_vccnz .LBB229_36
; %bb.31:
	s_cmp_lg_u32 s33, 0
	s_mov_b32 s28, 0
	s_cbranch_scc0 .LBB229_37
; %bb.32:
	s_min_u32 s29, s58, 15
	s_add_i32 s29, s29, 1
	s_cmp_eq_u32 s58, 2
	s_cbranch_scc1 .LBB229_38
; %bb.33:
	s_and_b32 s28, s29, 28
	s_add_u32 s2, s34, 0xc4
	s_addc_u32 s3, s35, 0
	v_mov_b32_e32 v5, 0
	s_mov_b32 s30, 0
	s_mov_b64 s[6:7], s[34:35]
	v_mov_b32_e32 v3, 0
	v_mov_b32_e32 v4, v1
.LBB229_34:                             ; =>This Inner Loop Header: Depth=1
	s_load_dwordx8 s[16:23], s[6:7], 0x4
	s_load_dwordx4 s[24:27], s[6:7], 0x24
	s_load_dwordx8 s[8:15], s[2:3], 0x0
	s_add_u32 s6, s6, 48
	s_addc_u32 s7, s7, 0
	s_waitcnt lgkmcnt(0)
	v_mul_hi_u32 v6, s17, v4
	s_add_i32 s30, s30, 4
	s_add_u32 s2, s2, 32
	s_addc_u32 s3, s3, 0
	v_add_u32_e32 v6, v4, v6
	v_lshrrev_b32_e32 v6, s18, v6
	v_mul_lo_u32 v7, v6, s16
	v_mul_hi_u32 v8, s20, v6
	s_cmp_lg_u32 s28, s30
	v_sub_u32_e32 v4, v4, v7
	v_add_u32_e32 v7, v6, v8
	v_mul_lo_u32 v8, v4, s8
	v_mul_lo_u32 v9, v4, s9
	v_lshrrev_b32_e32 v4, s21, v7
	v_mul_lo_u32 v7, v4, s19
	v_mul_hi_u32 v10, s23, v4
	v_sub_u32_e32 v6, v6, v7
	v_add_u32_e32 v7, v4, v10
	v_lshrrev_b32_e32 v7, s24, v7
	v_mul_hi_u32 v11, s26, v7
	v_mul_lo_u32 v12, v7, s22
	v_mul_lo_u32 v10, v6, s10
	;; [unrolled: 1-line block ×3, first 2 shown]
	v_sub_u32_e32 v12, v4, v12
	v_add_u32_e32 v4, v7, v11
	v_lshrrev_b32_e32 v4, s27, v4
	v_mul_lo_u32 v11, v4, s25
	v_mul_lo_u32 v13, v12, s12
	;; [unrolled: 1-line block ×3, first 2 shown]
	v_add3_u32 v3, v8, v3, v10
	v_sub_u32_e32 v7, v7, v11
	v_mul_lo_u32 v11, v7, s14
	v_mul_lo_u32 v7, v7, s15
	v_add3_u32 v5, v9, v5, v6
	v_add3_u32 v3, v13, v3, v11
	;; [unrolled: 1-line block ×3, first 2 shown]
	s_cbranch_scc1 .LBB229_34
; %bb.35:
	s_and_b32 s8, s29, 3
	s_cmp_eq_u32 s8, 0
	s_cbranch_scc0 .LBB229_39
	s_branch .LBB229_41
.LBB229_36:
                                        ; implicit-def: $vgpr3
                                        ; implicit-def: $vgpr5
	s_branch .LBB229_42
.LBB229_37:
	v_mov_b32_e32 v3, 0
	v_mov_b32_e32 v5, 0
	s_branch .LBB229_41
.LBB229_38:
	v_mov_b32_e32 v3, 0
	v_mov_b32_e32 v5, 0
	;; [unrolled: 1-line block ×3, first 2 shown]
	s_and_b32 s8, s29, 3
	s_cmp_eq_u32 s8, 0
	s_cbranch_scc1 .LBB229_41
.LBB229_39:
	s_lshl_b32 s2, s28, 3
	s_add_u32 s2, s34, s2
	s_addc_u32 s3, s35, 0
	s_add_u32 s2, s2, 0xc4
	s_addc_u32 s3, s3, 0
	s_mul_i32 s6, s28, 12
	s_add_u32 s6, s34, s6
	s_addc_u32 s7, s35, 0
.LBB229_40:                             ; =>This Inner Loop Header: Depth=1
	s_load_dwordx2 s[10:11], s[6:7], 0x4
	s_load_dword s9, s[6:7], 0xc
	s_load_dwordx2 s[12:13], s[2:3], 0x0
	s_add_u32 s6, s6, 12
	s_addc_u32 s7, s7, 0
	s_waitcnt lgkmcnt(0)
	v_mul_hi_u32 v7, s11, v4
	s_add_u32 s2, s2, 8
	s_addc_u32 s3, s3, 0
	s_add_i32 s8, s8, -1
	v_add_u32_e32 v7, v4, v7
	v_lshrrev_b32_e32 v7, s9, v7
	v_mul_lo_u32 v8, v7, s10
	s_cmp_lg_u32 s8, 0
	v_sub_u32_e32 v8, v4, v8
	v_mad_u64_u32 v[3:4], s[10:11], v8, s12, v[3:4]
	v_mad_u64_u32 v[5:6], s[10:11], v8, s13, v[5:6]
	v_mov_b32_e32 v4, v7
	s_cbranch_scc1 .LBB229_40
.LBB229_41:
	s_cbranch_execnz .LBB229_44
.LBB229_42:
	s_load_dwordx4 s[8:11], s[34:35], 0x4
	s_load_dwordx2 s[2:3], s[34:35], 0xc4
	s_cmp_lt_u32 s33, 2
	s_waitcnt lgkmcnt(0)
	v_mul_hi_u32 v3, s9, v1
	v_add_u32_e32 v3, v1, v3
	v_lshrrev_b32_e32 v4, s10, v3
	v_mul_lo_u32 v3, v4, s8
	v_sub_u32_e32 v1, v1, v3
	v_mul_lo_u32 v3, v1, s2
	v_mul_lo_u32 v5, v1, s3
	s_cbranch_scc1 .LBB229_44
; %bb.43:
	s_load_dwordx4 s[8:11], s[34:35], 0x10
	s_load_dwordx2 s[2:3], s[34:35], 0xcc
	s_waitcnt lgkmcnt(0)
	v_mul_hi_u32 v1, s9, v4
	v_add_u32_e32 v1, v4, v1
	v_lshrrev_b32_e32 v1, s10, v1
	v_mul_lo_u32 v1, v1, s8
	v_sub_u32_e32 v1, v4, v1
	v_mad_u64_u32 v[3:4], s[6:7], v1, s2, v[3:4]
	v_mad_u64_u32 v[5:6], s[2:3], v1, s3, v[5:6]
.LBB229_44:
	s_and_b64 vcc, exec, s[0:1]
	v_add_u32_e32 v1, 0x100, v19
	s_cbranch_vccnz .LBB229_50
; %bb.45:
	s_cmp_lg_u32 s33, 0
	s_mov_b32 s28, 0
	s_cbranch_scc0 .LBB229_51
; %bb.46:
	s_min_u32 s29, s58, 15
	s_add_i32 s29, s29, 1
	s_cmp_eq_u32 s58, 2
	s_cbranch_scc1 .LBB229_52
; %bb.47:
	s_and_b32 s28, s29, 28
	s_add_u32 s2, s34, 0xc4
	s_addc_u32 s3, s35, 0
	v_mov_b32_e32 v8, 0
	s_mov_b32 s30, 0
	s_mov_b64 s[6:7], s[34:35]
	v_mov_b32_e32 v6, 0
	v_mov_b32_e32 v4, v1
.LBB229_48:                             ; =>This Inner Loop Header: Depth=1
	s_load_dwordx8 s[16:23], s[6:7], 0x4
	s_load_dwordx4 s[24:27], s[6:7], 0x24
	s_load_dwordx8 s[8:15], s[2:3], 0x0
	s_add_u32 s6, s6, 48
	s_addc_u32 s7, s7, 0
	s_waitcnt lgkmcnt(0)
	v_mul_hi_u32 v7, s17, v4
	s_add_i32 s30, s30, 4
	s_add_u32 s2, s2, 32
	s_addc_u32 s3, s3, 0
	v_add_u32_e32 v7, v4, v7
	v_lshrrev_b32_e32 v7, s18, v7
	v_mul_lo_u32 v9, v7, s16
	v_mul_hi_u32 v10, s20, v7
	s_cmp_lg_u32 s28, s30
	v_sub_u32_e32 v4, v4, v9
	v_add_u32_e32 v9, v7, v10
	v_mul_lo_u32 v10, v4, s8
	v_mul_lo_u32 v11, v4, s9
	v_lshrrev_b32_e32 v4, s21, v9
	v_mul_lo_u32 v9, v4, s19
	v_mul_hi_u32 v12, s23, v4
	v_sub_u32_e32 v7, v7, v9
	v_add_u32_e32 v9, v4, v12
	v_lshrrev_b32_e32 v9, s24, v9
	v_mul_hi_u32 v13, s26, v9
	v_mul_lo_u32 v14, v9, s22
	v_mul_lo_u32 v12, v7, s10
	;; [unrolled: 1-line block ×3, first 2 shown]
	v_sub_u32_e32 v14, v4, v14
	v_add_u32_e32 v4, v9, v13
	v_lshrrev_b32_e32 v4, s27, v4
	v_mul_lo_u32 v13, v4, s25
	v_mul_lo_u32 v15, v14, s12
	;; [unrolled: 1-line block ×3, first 2 shown]
	v_add3_u32 v6, v10, v6, v12
	v_sub_u32_e32 v9, v9, v13
	v_mul_lo_u32 v13, v9, s14
	v_mul_lo_u32 v9, v9, s15
	v_add3_u32 v7, v11, v8, v7
	v_add3_u32 v6, v15, v6, v13
	v_add3_u32 v8, v14, v7, v9
	s_cbranch_scc1 .LBB229_48
; %bb.49:
	s_and_b32 s8, s29, 3
	s_cmp_eq_u32 s8, 0
	s_cbranch_scc0 .LBB229_53
	s_branch .LBB229_55
.LBB229_50:
                                        ; implicit-def: $vgpr6
                                        ; implicit-def: $vgpr8
	s_branch .LBB229_56
.LBB229_51:
	v_mov_b32_e32 v6, 0
	v_mov_b32_e32 v8, 0
	s_branch .LBB229_55
.LBB229_52:
	v_mov_b32_e32 v6, 0
	v_mov_b32_e32 v8, 0
	;; [unrolled: 1-line block ×3, first 2 shown]
	s_and_b32 s8, s29, 3
	s_cmp_eq_u32 s8, 0
	s_cbranch_scc1 .LBB229_55
.LBB229_53:
	s_lshl_b32 s2, s28, 3
	s_add_u32 s2, s34, s2
	s_addc_u32 s3, s35, 0
	s_add_u32 s2, s2, 0xc4
	s_addc_u32 s3, s3, 0
	s_mul_i32 s6, s28, 12
	s_add_u32 s6, s34, s6
	s_addc_u32 s7, s35, 0
.LBB229_54:                             ; =>This Inner Loop Header: Depth=1
	s_load_dwordx2 s[10:11], s[6:7], 0x4
	s_load_dword s9, s[6:7], 0xc
	s_load_dwordx2 s[12:13], s[2:3], 0x0
	s_add_u32 s6, s6, 12
	s_addc_u32 s7, s7, 0
	s_waitcnt lgkmcnt(0)
	v_mul_hi_u32 v7, s11, v4
	s_add_u32 s2, s2, 8
	s_addc_u32 s3, s3, 0
	s_add_i32 s8, s8, -1
	v_add_u32_e32 v7, v4, v7
	v_lshrrev_b32_e32 v10, s9, v7
	v_mul_lo_u32 v7, v10, s10
	s_cmp_lg_u32 s8, 0
	v_sub_u32_e32 v4, v4, v7
	v_mad_u64_u32 v[6:7], s[10:11], v4, s12, v[6:7]
	v_mad_u64_u32 v[8:9], s[10:11], v4, s13, v[8:9]
	v_mov_b32_e32 v4, v10
	s_cbranch_scc1 .LBB229_54
.LBB229_55:
	s_cbranch_execnz .LBB229_58
.LBB229_56:
	s_load_dwordx4 s[8:11], s[34:35], 0x4
	s_load_dwordx2 s[2:3], s[34:35], 0xc4
	s_cmp_lt_u32 s33, 2
	s_waitcnt lgkmcnt(0)
	v_mul_hi_u32 v4, s9, v1
	v_add_u32_e32 v4, v1, v4
	v_lshrrev_b32_e32 v4, s10, v4
	v_mul_lo_u32 v6, v4, s8
	v_sub_u32_e32 v1, v1, v6
	v_mul_lo_u32 v6, v1, s2
	v_mul_lo_u32 v8, v1, s3
	s_cbranch_scc1 .LBB229_58
; %bb.57:
	s_load_dwordx4 s[8:11], s[34:35], 0x10
	s_load_dwordx2 s[2:3], s[34:35], 0xcc
	s_waitcnt lgkmcnt(0)
	v_mul_hi_u32 v1, s9, v4
	v_add_u32_e32 v1, v4, v1
	v_lshrrev_b32_e32 v1, s10, v1
	v_mul_lo_u32 v1, v1, s8
	v_sub_u32_e32 v1, v4, v1
	v_mad_u64_u32 v[6:7], s[6:7], v1, s2, v[6:7]
	v_mad_u64_u32 v[8:9], s[2:3], v1, s3, v[8:9]
.LBB229_58:
	s_and_b64 vcc, exec, s[0:1]
	v_add_u32_e32 v1, 0x180, v19
	s_cbranch_vccnz .LBB229_64
; %bb.59:
	s_cmp_lg_u32 s33, 0
	s_mov_b32 s28, 0
	s_cbranch_scc0 .LBB229_65
; %bb.60:
	s_min_u32 s29, s58, 15
	s_add_i32 s29, s29, 1
	s_cmp_eq_u32 s58, 2
	s_cbranch_scc1 .LBB229_66
; %bb.61:
	s_and_b32 s28, s29, 28
	s_add_u32 s2, s34, 0xc4
	s_addc_u32 s3, s35, 0
	v_mov_b32_e32 v11, 0
	s_mov_b32 s30, 0
	s_mov_b64 s[6:7], s[34:35]
	v_mov_b32_e32 v9, 0
	v_mov_b32_e32 v4, v1
.LBB229_62:                             ; =>This Inner Loop Header: Depth=1
	s_load_dwordx8 s[16:23], s[6:7], 0x4
	s_load_dwordx4 s[24:27], s[6:7], 0x24
	s_load_dwordx8 s[8:15], s[2:3], 0x0
	s_add_u32 s6, s6, 48
	s_addc_u32 s7, s7, 0
	s_waitcnt lgkmcnt(0)
	v_mul_hi_u32 v7, s17, v4
	s_add_i32 s30, s30, 4
	s_add_u32 s2, s2, 32
	s_addc_u32 s3, s3, 0
	v_add_u32_e32 v7, v4, v7
	v_lshrrev_b32_e32 v7, s18, v7
	v_mul_lo_u32 v10, v7, s16
	v_mul_hi_u32 v12, s20, v7
	s_cmp_lg_u32 s28, s30
	v_sub_u32_e32 v4, v4, v10
	v_add_u32_e32 v10, v7, v12
	v_mul_lo_u32 v12, v4, s8
	v_mul_lo_u32 v13, v4, s9
	v_lshrrev_b32_e32 v4, s21, v10
	v_mul_lo_u32 v10, v4, s19
	v_mul_hi_u32 v14, s23, v4
	v_sub_u32_e32 v7, v7, v10
	v_add_u32_e32 v10, v4, v14
	v_lshrrev_b32_e32 v10, s24, v10
	v_mul_hi_u32 v15, s26, v10
	v_mul_lo_u32 v16, v10, s22
	v_mul_lo_u32 v14, v7, s10
	;; [unrolled: 1-line block ×3, first 2 shown]
	v_sub_u32_e32 v16, v4, v16
	v_add_u32_e32 v4, v10, v15
	v_lshrrev_b32_e32 v4, s27, v4
	v_mul_lo_u32 v15, v4, s25
	v_mul_lo_u32 v17, v16, s12
	;; [unrolled: 1-line block ×3, first 2 shown]
	v_add3_u32 v9, v12, v9, v14
	v_sub_u32_e32 v10, v10, v15
	v_mul_lo_u32 v15, v10, s14
	v_mul_lo_u32 v10, v10, s15
	v_add3_u32 v7, v13, v11, v7
	v_add3_u32 v9, v17, v9, v15
	;; [unrolled: 1-line block ×3, first 2 shown]
	s_cbranch_scc1 .LBB229_62
; %bb.63:
	s_and_b32 s8, s29, 3
	s_cmp_eq_u32 s8, 0
	s_cbranch_scc0 .LBB229_67
	s_branch .LBB229_69
.LBB229_64:
                                        ; implicit-def: $vgpr9
                                        ; implicit-def: $vgpr11
	s_branch .LBB229_70
.LBB229_65:
	v_mov_b32_e32 v9, 0
	v_mov_b32_e32 v11, 0
	s_branch .LBB229_69
.LBB229_66:
	v_mov_b32_e32 v9, 0
	v_mov_b32_e32 v11, 0
	;; [unrolled: 1-line block ×3, first 2 shown]
	s_and_b32 s8, s29, 3
	s_cmp_eq_u32 s8, 0
	s_cbranch_scc1 .LBB229_69
.LBB229_67:
	s_lshl_b32 s2, s28, 3
	s_add_u32 s2, s34, s2
	s_addc_u32 s3, s35, 0
	s_add_u32 s2, s2, 0xc4
	s_addc_u32 s3, s3, 0
	s_mul_i32 s6, s28, 12
	s_add_u32 s6, s34, s6
	s_addc_u32 s7, s35, 0
.LBB229_68:                             ; =>This Inner Loop Header: Depth=1
	s_load_dwordx2 s[10:11], s[6:7], 0x4
	s_load_dword s9, s[6:7], 0xc
	s_load_dwordx2 s[12:13], s[2:3], 0x0
	s_add_u32 s6, s6, 12
	s_addc_u32 s7, s7, 0
	s_waitcnt lgkmcnt(0)
	v_mul_hi_u32 v7, s11, v4
	s_add_u32 s2, s2, 8
	s_addc_u32 s3, s3, 0
	s_add_i32 s8, s8, -1
	v_add_u32_e32 v7, v4, v7
	v_lshrrev_b32_e32 v7, s9, v7
	v_mul_lo_u32 v10, v7, s10
	s_cmp_lg_u32 s8, 0
	v_sub_u32_e32 v4, v4, v10
	v_mad_u64_u32 v[9:10], s[10:11], v4, s12, v[9:10]
	v_mad_u64_u32 v[11:12], s[10:11], v4, s13, v[11:12]
	v_mov_b32_e32 v4, v7
	s_cbranch_scc1 .LBB229_68
.LBB229_69:
	s_cbranch_execnz .LBB229_72
.LBB229_70:
	s_load_dwordx4 s[8:11], s[34:35], 0x4
	s_load_dwordx2 s[2:3], s[34:35], 0xc4
	s_cmp_lt_u32 s33, 2
	s_waitcnt lgkmcnt(0)
	v_mul_hi_u32 v4, s9, v1
	v_add_u32_e32 v4, v1, v4
	v_lshrrev_b32_e32 v4, s10, v4
	v_mul_lo_u32 v7, v4, s8
	v_sub_u32_e32 v1, v1, v7
	v_mul_lo_u32 v9, v1, s2
	v_mul_lo_u32 v11, v1, s3
	s_cbranch_scc1 .LBB229_72
; %bb.71:
	s_load_dwordx4 s[8:11], s[34:35], 0x10
	s_load_dwordx2 s[2:3], s[34:35], 0xcc
	s_waitcnt lgkmcnt(0)
	v_mul_hi_u32 v1, s9, v4
	v_add_u32_e32 v1, v4, v1
	v_lshrrev_b32_e32 v1, s10, v1
	v_mul_lo_u32 v1, v1, s8
	v_sub_u32_e32 v1, v4, v1
	v_mad_u64_u32 v[9:10], s[6:7], v1, s2, v[9:10]
	v_mad_u64_u32 v[11:12], s[2:3], v1, s3, v[11:12]
.LBB229_72:
	s_and_b64 vcc, exec, s[0:1]
	v_add_u32_e32 v1, 0x200, v19
	s_cbranch_vccnz .LBB229_78
; %bb.73:
	s_cmp_lg_u32 s33, 0
	s_mov_b32 s28, 0
	s_cbranch_scc0 .LBB229_79
; %bb.74:
	s_min_u32 s29, s58, 15
	s_add_i32 s29, s29, 1
	s_cmp_eq_u32 s58, 2
	s_cbranch_scc1 .LBB229_80
; %bb.75:
	s_and_b32 s28, s29, 28
	s_add_u32 s2, s34, 0xc4
	s_addc_u32 s3, s35, 0
	v_mov_b32_e32 v14, 0
	s_mov_b32 s30, 0
	s_mov_b64 s[6:7], s[34:35]
	v_mov_b32_e32 v12, 0
	v_mov_b32_e32 v4, v1
.LBB229_76:                             ; =>This Inner Loop Header: Depth=1
	s_load_dwordx8 s[16:23], s[6:7], 0x4
	s_load_dwordx4 s[24:27], s[6:7], 0x24
	s_load_dwordx8 s[8:15], s[2:3], 0x0
	s_add_u32 s6, s6, 48
	s_addc_u32 s7, s7, 0
	s_waitcnt lgkmcnt(0)
	v_mul_hi_u32 v7, s17, v4
	s_add_i32 s30, s30, 4
	s_add_u32 s2, s2, 32
	s_addc_u32 s3, s3, 0
	v_add_u32_e32 v7, v4, v7
	v_lshrrev_b32_e32 v7, s18, v7
	v_mul_lo_u32 v10, v7, s16
	v_mul_hi_u32 v13, s20, v7
	s_cmp_lg_u32 s28, s30
	v_sub_u32_e32 v4, v4, v10
	v_add_u32_e32 v10, v7, v13
	v_mul_lo_u32 v13, v4, s8
	v_mul_lo_u32 v15, v4, s9
	v_lshrrev_b32_e32 v4, s21, v10
	v_mul_lo_u32 v10, v4, s19
	v_mul_hi_u32 v16, s23, v4
	v_sub_u32_e32 v7, v7, v10
	v_add_u32_e32 v10, v4, v16
	v_lshrrev_b32_e32 v10, s24, v10
	v_mul_hi_u32 v17, s26, v10
	v_mul_lo_u32 v18, v10, s22
	v_mul_lo_u32 v16, v7, s10
	;; [unrolled: 1-line block ×3, first 2 shown]
	v_sub_u32_e32 v18, v4, v18
	v_add_u32_e32 v4, v10, v17
	v_lshrrev_b32_e32 v4, s27, v4
	v_mul_lo_u32 v17, v4, s25
	v_mul_lo_u32 v20, v18, s12
	;; [unrolled: 1-line block ×3, first 2 shown]
	v_add3_u32 v12, v13, v12, v16
	v_sub_u32_e32 v10, v10, v17
	v_mul_lo_u32 v17, v10, s14
	v_mul_lo_u32 v10, v10, s15
	v_add3_u32 v7, v15, v14, v7
	v_add3_u32 v12, v20, v12, v17
	;; [unrolled: 1-line block ×3, first 2 shown]
	s_cbranch_scc1 .LBB229_76
; %bb.77:
	s_and_b32 s8, s29, 3
	s_cmp_eq_u32 s8, 0
	s_cbranch_scc0 .LBB229_81
	s_branch .LBB229_83
.LBB229_78:
                                        ; implicit-def: $vgpr12
                                        ; implicit-def: $vgpr14
	s_branch .LBB229_84
.LBB229_79:
	v_mov_b32_e32 v12, 0
	v_mov_b32_e32 v14, 0
	s_branch .LBB229_83
.LBB229_80:
	v_mov_b32_e32 v12, 0
	v_mov_b32_e32 v14, 0
	;; [unrolled: 1-line block ×3, first 2 shown]
	s_and_b32 s8, s29, 3
	s_cmp_eq_u32 s8, 0
	s_cbranch_scc1 .LBB229_83
.LBB229_81:
	s_lshl_b32 s2, s28, 3
	s_add_u32 s2, s34, s2
	s_addc_u32 s3, s35, 0
	s_add_u32 s2, s2, 0xc4
	s_addc_u32 s3, s3, 0
	s_mul_i32 s6, s28, 12
	s_add_u32 s6, s34, s6
	s_addc_u32 s7, s35, 0
.LBB229_82:                             ; =>This Inner Loop Header: Depth=1
	s_load_dwordx2 s[10:11], s[6:7], 0x4
	s_load_dword s9, s[6:7], 0xc
	s_load_dwordx2 s[12:13], s[2:3], 0x0
	s_add_u32 s6, s6, 12
	s_addc_u32 s7, s7, 0
	s_waitcnt lgkmcnt(0)
	v_mul_hi_u32 v7, s11, v4
	s_add_u32 s2, s2, 8
	s_addc_u32 s3, s3, 0
	s_add_i32 s8, s8, -1
	v_add_u32_e32 v7, v4, v7
	v_lshrrev_b32_e32 v7, s9, v7
	v_mul_lo_u32 v10, v7, s10
	s_cmp_lg_u32 s8, 0
	v_sub_u32_e32 v4, v4, v10
	v_mad_u64_u32 v[12:13], s[10:11], v4, s12, v[12:13]
	v_mad_u64_u32 v[14:15], s[10:11], v4, s13, v[14:15]
	v_mov_b32_e32 v4, v7
	s_cbranch_scc1 .LBB229_82
.LBB229_83:
	s_cbranch_execnz .LBB229_86
.LBB229_84:
	s_load_dwordx4 s[8:11], s[34:35], 0x4
	s_load_dwordx2 s[2:3], s[34:35], 0xc4
	s_cmp_lt_u32 s33, 2
	s_waitcnt lgkmcnt(0)
	v_mul_hi_u32 v4, s9, v1
	v_add_u32_e32 v4, v1, v4
	v_lshrrev_b32_e32 v4, s10, v4
	v_mul_lo_u32 v7, v4, s8
	v_sub_u32_e32 v1, v1, v7
	v_mul_lo_u32 v12, v1, s2
	v_mul_lo_u32 v14, v1, s3
	s_cbranch_scc1 .LBB229_86
; %bb.85:
	s_load_dwordx4 s[8:11], s[34:35], 0x10
	s_load_dwordx2 s[2:3], s[34:35], 0xcc
	s_waitcnt lgkmcnt(0)
	v_mul_hi_u32 v1, s9, v4
	v_add_u32_e32 v1, v4, v1
	v_lshrrev_b32_e32 v1, s10, v1
	v_mul_lo_u32 v1, v1, s8
	v_sub_u32_e32 v1, v4, v1
	v_mad_u64_u32 v[12:13], s[6:7], v1, s2, v[12:13]
	v_mad_u64_u32 v[14:15], s[2:3], v1, s3, v[14:15]
.LBB229_86:
	s_and_b64 vcc, exec, s[0:1]
	v_add_u32_e32 v1, 0x280, v19
	s_cbranch_vccnz .LBB229_92
; %bb.87:
	s_cmp_lg_u32 s33, 0
	s_mov_b32 s28, 0
	s_cbranch_scc0 .LBB229_93
; %bb.88:
	s_min_u32 s29, s58, 15
	s_add_i32 s29, s29, 1
	s_cmp_eq_u32 s58, 2
	s_cbranch_scc1 .LBB229_94
; %bb.89:
	s_and_b32 s28, s29, 28
	s_add_u32 s2, s34, 0xc4
	s_addc_u32 s3, s35, 0
	v_mov_b32_e32 v17, 0
	s_mov_b32 s30, 0
	s_mov_b64 s[6:7], s[34:35]
	v_mov_b32_e32 v15, 0
	v_mov_b32_e32 v4, v1
.LBB229_90:                             ; =>This Inner Loop Header: Depth=1
	s_load_dwordx8 s[16:23], s[6:7], 0x4
	s_load_dwordx4 s[24:27], s[6:7], 0x24
	s_load_dwordx8 s[8:15], s[2:3], 0x0
	s_add_u32 s6, s6, 48
	s_addc_u32 s7, s7, 0
	s_waitcnt lgkmcnt(0)
	v_mul_hi_u32 v7, s17, v4
	s_add_i32 s30, s30, 4
	s_add_u32 s2, s2, 32
	s_addc_u32 s3, s3, 0
	v_add_u32_e32 v7, v4, v7
	v_lshrrev_b32_e32 v7, s18, v7
	v_mul_lo_u32 v10, v7, s16
	v_mul_hi_u32 v13, s20, v7
	s_cmp_lg_u32 s28, s30
	v_sub_u32_e32 v4, v4, v10
	v_add_u32_e32 v10, v7, v13
	v_mul_lo_u32 v13, v4, s8
	v_mul_lo_u32 v16, v4, s9
	v_lshrrev_b32_e32 v4, s21, v10
	v_mul_lo_u32 v10, v4, s19
	v_mul_hi_u32 v18, s23, v4
	v_sub_u32_e32 v7, v7, v10
	v_add_u32_e32 v10, v4, v18
	v_lshrrev_b32_e32 v10, s24, v10
	v_mul_hi_u32 v20, s26, v10
	v_mul_lo_u32 v21, v10, s22
	v_mul_lo_u32 v18, v7, s10
	;; [unrolled: 1-line block ×3, first 2 shown]
	v_sub_u32_e32 v21, v4, v21
	v_add_u32_e32 v4, v10, v20
	v_lshrrev_b32_e32 v4, s27, v4
	v_mul_lo_u32 v20, v4, s25
	v_mul_lo_u32 v22, v21, s12
	;; [unrolled: 1-line block ×3, first 2 shown]
	v_add3_u32 v13, v13, v15, v18
	v_sub_u32_e32 v10, v10, v20
	v_mul_lo_u32 v20, v10, s14
	v_mul_lo_u32 v10, v10, s15
	v_add3_u32 v7, v16, v17, v7
	v_add3_u32 v15, v22, v13, v20
	;; [unrolled: 1-line block ×3, first 2 shown]
	s_cbranch_scc1 .LBB229_90
; %bb.91:
	s_and_b32 s8, s29, 3
	s_cmp_eq_u32 s8, 0
	s_cbranch_scc0 .LBB229_95
	s_branch .LBB229_97
.LBB229_92:
                                        ; implicit-def: $vgpr15
                                        ; implicit-def: $vgpr17
	s_branch .LBB229_98
.LBB229_93:
	v_mov_b32_e32 v15, 0
	v_mov_b32_e32 v17, 0
	s_branch .LBB229_97
.LBB229_94:
	v_mov_b32_e32 v15, 0
	v_mov_b32_e32 v17, 0
	;; [unrolled: 1-line block ×3, first 2 shown]
	s_and_b32 s8, s29, 3
	s_cmp_eq_u32 s8, 0
	s_cbranch_scc1 .LBB229_97
.LBB229_95:
	s_lshl_b32 s2, s28, 3
	s_add_u32 s2, s34, s2
	s_addc_u32 s3, s35, 0
	s_add_u32 s2, s2, 0xc4
	s_addc_u32 s3, s3, 0
	s_mul_i32 s6, s28, 12
	s_add_u32 s6, s34, s6
	s_addc_u32 s7, s35, 0
.LBB229_96:                             ; =>This Inner Loop Header: Depth=1
	s_load_dwordx2 s[10:11], s[6:7], 0x4
	s_load_dword s9, s[6:7], 0xc
	s_load_dwordx2 s[12:13], s[2:3], 0x0
	s_add_u32 s6, s6, 12
	s_addc_u32 s7, s7, 0
	s_waitcnt lgkmcnt(0)
	v_mul_hi_u32 v7, s11, v4
	s_add_u32 s2, s2, 8
	s_addc_u32 s3, s3, 0
	s_add_i32 s8, s8, -1
	v_add_u32_e32 v7, v4, v7
	v_lshrrev_b32_e32 v7, s9, v7
	v_mul_lo_u32 v10, v7, s10
	s_cmp_lg_u32 s8, 0
	v_sub_u32_e32 v4, v4, v10
	v_mad_u64_u32 v[15:16], s[10:11], v4, s12, v[15:16]
	v_mad_u64_u32 v[17:18], s[10:11], v4, s13, v[17:18]
	v_mov_b32_e32 v4, v7
	s_cbranch_scc1 .LBB229_96
.LBB229_97:
	s_cbranch_execnz .LBB229_100
.LBB229_98:
	s_load_dwordx4 s[8:11], s[34:35], 0x4
	s_load_dwordx2 s[2:3], s[34:35], 0xc4
	s_cmp_lt_u32 s33, 2
	s_waitcnt lgkmcnt(0)
	v_mul_hi_u32 v4, s9, v1
	v_add_u32_e32 v4, v1, v4
	v_lshrrev_b32_e32 v4, s10, v4
	v_mul_lo_u32 v7, v4, s8
	v_sub_u32_e32 v1, v1, v7
	v_mul_lo_u32 v15, v1, s2
	v_mul_lo_u32 v17, v1, s3
	s_cbranch_scc1 .LBB229_100
; %bb.99:
	s_load_dwordx4 s[8:11], s[34:35], 0x10
	s_load_dwordx2 s[2:3], s[34:35], 0xcc
	s_waitcnt lgkmcnt(0)
	v_mul_hi_u32 v1, s9, v4
	v_add_u32_e32 v1, v4, v1
	v_lshrrev_b32_e32 v1, s10, v1
	v_mul_lo_u32 v1, v1, s8
	v_sub_u32_e32 v1, v4, v1
	v_mad_u64_u32 v[15:16], s[6:7], v1, s2, v[15:16]
	v_mad_u64_u32 v[17:18], s[2:3], v1, s3, v[17:18]
.LBB229_100:
	s_and_b64 vcc, exec, s[0:1]
	v_add_u32_e32 v1, 0x300, v19
	s_cbranch_vccnz .LBB229_106
; %bb.101:
	s_cmp_lg_u32 s33, 0
	s_mov_b32 s28, 0
	s_cbranch_scc0 .LBB229_107
; %bb.102:
	s_min_u32 s29, s58, 15
	s_add_i32 s29, s29, 1
	s_cmp_eq_u32 s58, 2
	s_cbranch_scc1 .LBB229_108
; %bb.103:
	s_and_b32 s28, s29, 28
	s_add_u32 s2, s34, 0xc4
	s_addc_u32 s3, s35, 0
	v_mov_b32_e32 v20, 0
	s_mov_b32 s30, 0
	s_mov_b64 s[6:7], s[34:35]
	v_mov_b32_e32 v18, 0
	v_mov_b32_e32 v4, v1
.LBB229_104:                            ; =>This Inner Loop Header: Depth=1
	s_load_dwordx8 s[16:23], s[6:7], 0x4
	s_load_dwordx4 s[24:27], s[6:7], 0x24
	s_load_dwordx8 s[8:15], s[2:3], 0x0
	s_add_u32 s6, s6, 48
	s_addc_u32 s7, s7, 0
	s_waitcnt lgkmcnt(0)
	v_mul_hi_u32 v7, s17, v4
	s_add_i32 s30, s30, 4
	s_add_u32 s2, s2, 32
	s_addc_u32 s3, s3, 0
	v_add_u32_e32 v7, v4, v7
	v_lshrrev_b32_e32 v7, s18, v7
	v_mul_lo_u32 v10, v7, s16
	v_mul_hi_u32 v13, s20, v7
	s_cmp_lg_u32 s28, s30
	v_sub_u32_e32 v4, v4, v10
	v_add_u32_e32 v10, v7, v13
	v_mul_lo_u32 v13, v4, s8
	v_mul_lo_u32 v16, v4, s9
	v_lshrrev_b32_e32 v4, s21, v10
	v_mul_lo_u32 v10, v4, s19
	v_mul_hi_u32 v19, s23, v4
	v_sub_u32_e32 v7, v7, v10
	v_add_u32_e32 v10, v4, v19
	v_lshrrev_b32_e32 v10, s24, v10
	v_mul_hi_u32 v21, s26, v10
	v_mul_lo_u32 v22, v10, s22
	v_mul_lo_u32 v19, v7, s10
	;; [unrolled: 1-line block ×3, first 2 shown]
	v_sub_u32_e32 v22, v4, v22
	v_add_u32_e32 v4, v10, v21
	v_lshrrev_b32_e32 v4, s27, v4
	v_mul_lo_u32 v21, v4, s25
	v_mul_lo_u32 v23, v22, s12
	;; [unrolled: 1-line block ×3, first 2 shown]
	v_add3_u32 v13, v13, v18, v19
	v_sub_u32_e32 v10, v10, v21
	v_mul_lo_u32 v21, v10, s14
	v_mul_lo_u32 v10, v10, s15
	v_add3_u32 v7, v16, v20, v7
	v_add3_u32 v18, v23, v13, v21
	;; [unrolled: 1-line block ×3, first 2 shown]
	s_cbranch_scc1 .LBB229_104
; %bb.105:
	s_and_b32 s8, s29, 3
	s_cmp_eq_u32 s8, 0
	s_cbranch_scc0 .LBB229_109
	s_branch .LBB229_111
.LBB229_106:
                                        ; implicit-def: $vgpr18
                                        ; implicit-def: $vgpr20
	s_branch .LBB229_112
.LBB229_107:
	v_mov_b32_e32 v18, 0
	v_mov_b32_e32 v20, 0
	s_branch .LBB229_111
.LBB229_108:
	v_mov_b32_e32 v18, 0
	v_mov_b32_e32 v20, 0
	;; [unrolled: 1-line block ×3, first 2 shown]
	s_and_b32 s8, s29, 3
	s_cmp_eq_u32 s8, 0
	s_cbranch_scc1 .LBB229_111
.LBB229_109:
	s_lshl_b32 s2, s28, 3
	s_add_u32 s2, s34, s2
	s_addc_u32 s3, s35, 0
	s_add_u32 s2, s2, 0xc4
	s_addc_u32 s3, s3, 0
	s_mul_i32 s6, s28, 12
	s_add_u32 s6, s34, s6
	s_addc_u32 s7, s35, 0
.LBB229_110:                            ; =>This Inner Loop Header: Depth=1
	s_load_dwordx2 s[10:11], s[6:7], 0x4
	s_load_dword s9, s[6:7], 0xc
	s_load_dwordx2 s[12:13], s[2:3], 0x0
	s_add_u32 s6, s6, 12
	s_addc_u32 s7, s7, 0
	s_waitcnt lgkmcnt(0)
	v_mul_hi_u32 v7, s11, v4
	s_add_u32 s2, s2, 8
	s_addc_u32 s3, s3, 0
	s_add_i32 s8, s8, -1
	v_add_u32_e32 v7, v4, v7
	v_lshrrev_b32_e32 v7, s9, v7
	v_mul_lo_u32 v10, v7, s10
	s_cmp_lg_u32 s8, 0
	v_sub_u32_e32 v4, v4, v10
	v_mad_u64_u32 v[18:19], s[10:11], v4, s12, v[18:19]
	v_mad_u64_u32 v[20:21], s[10:11], v4, s13, v[20:21]
	v_mov_b32_e32 v4, v7
	s_cbranch_scc1 .LBB229_110
.LBB229_111:
	s_cbranch_execnz .LBB229_114
.LBB229_112:
	s_load_dwordx4 s[8:11], s[34:35], 0x4
	s_load_dwordx2 s[2:3], s[34:35], 0xc4
	s_cmp_lt_u32 s33, 2
	s_waitcnt lgkmcnt(0)
	v_mul_hi_u32 v4, s9, v1
	v_add_u32_e32 v4, v1, v4
	v_lshrrev_b32_e32 v4, s10, v4
	v_mul_lo_u32 v7, v4, s8
	v_sub_u32_e32 v1, v1, v7
	v_mul_lo_u32 v18, v1, s2
	v_mul_lo_u32 v20, v1, s3
	s_cbranch_scc1 .LBB229_114
; %bb.113:
	s_load_dwordx4 s[8:11], s[34:35], 0x10
	s_load_dwordx2 s[2:3], s[34:35], 0xcc
	s_waitcnt lgkmcnt(0)
	v_mul_hi_u32 v1, s9, v4
	v_add_u32_e32 v1, v4, v1
	v_lshrrev_b32_e32 v1, s10, v1
	v_mul_lo_u32 v1, v1, s8
	v_sub_u32_e32 v1, v4, v1
	v_mad_u64_u32 v[18:19], s[6:7], v1, s2, v[18:19]
	v_mad_u64_u32 v[20:21], s[2:3], v1, s3, v[20:21]
.LBB229_114:
	s_and_b64 vcc, exec, s[0:1]
	s_cbranch_vccnz .LBB229_120
; %bb.115:
	s_cmp_lg_u32 s33, 0
	s_mov_b32 s26, 0
	s_cbranch_scc0 .LBB229_121
; %bb.116:
	s_min_u32 s27, s58, 15
	s_add_i32 s27, s27, 1
	s_cmp_eq_u32 s58, 2
	s_cbranch_scc1 .LBB229_122
; %bb.117:
	s_and_b32 s26, s27, 28
	s_add_u32 s6, s34, 0xc4
	s_addc_u32 s7, s35, 0
	v_mov_b32_e32 v23, 0
	s_mov_b32 s28, 0
	s_mov_b64 s[24:25], s[34:35]
	v_mov_b32_e32 v21, 0
	v_mov_b32_e32 v1, v25
.LBB229_118:                            ; =>This Inner Loop Header: Depth=1
	s_load_dwordx8 s[16:23], s[24:25], 0x4
	s_load_dwordx4 s[0:3], s[24:25], 0x24
	s_load_dwordx8 s[8:15], s[6:7], 0x0
	s_add_u32 s24, s24, 48
	s_addc_u32 s25, s25, 0
	s_waitcnt lgkmcnt(0)
	v_mul_hi_u32 v4, s17, v1
	s_add_i32 s28, s28, 4
	s_add_u32 s6, s6, 32
	s_addc_u32 s7, s7, 0
	v_add_u32_e32 v4, v1, v4
	v_lshrrev_b32_e32 v4, s18, v4
	v_mul_lo_u32 v7, v4, s16
	v_mul_hi_u32 v10, s20, v4
	s_cmp_lg_u32 s26, s28
	v_sub_u32_e32 v1, v1, v7
	v_add_u32_e32 v7, v4, v10
	v_mul_lo_u32 v10, v1, s8
	v_mul_lo_u32 v13, v1, s9
	v_lshrrev_b32_e32 v1, s21, v7
	v_mul_lo_u32 v7, v1, s19
	v_mul_hi_u32 v16, s23, v1
	v_sub_u32_e32 v4, v4, v7
	v_add_u32_e32 v7, v1, v16
	v_lshrrev_b32_e32 v7, s0, v7
	v_mul_hi_u32 v19, s2, v7
	v_mul_lo_u32 v22, v7, s22
	v_mul_lo_u32 v16, v4, s10
	v_mul_lo_u32 v4, v4, s11
	v_sub_u32_e32 v22, v1, v22
	v_add_u32_e32 v1, v7, v19
	v_lshrrev_b32_e32 v1, s3, v1
	v_mul_lo_u32 v19, v1, s1
	v_mul_lo_u32 v24, v22, s12
	;; [unrolled: 1-line block ×3, first 2 shown]
	v_add3_u32 v10, v10, v21, v16
	v_sub_u32_e32 v7, v7, v19
	v_mul_lo_u32 v19, v7, s14
	v_mul_lo_u32 v7, v7, s15
	v_add3_u32 v4, v13, v23, v4
	v_add3_u32 v21, v24, v10, v19
	;; [unrolled: 1-line block ×3, first 2 shown]
	s_cbranch_scc1 .LBB229_118
; %bb.119:
	s_and_b32 s6, s27, 3
	s_cmp_eq_u32 s6, 0
	s_cbranch_scc0 .LBB229_123
	s_branch .LBB229_125
.LBB229_120:
                                        ; implicit-def: $vgpr21
                                        ; implicit-def: $vgpr23
	s_branch .LBB229_126
.LBB229_121:
	v_mov_b32_e32 v21, 0
	v_mov_b32_e32 v23, 0
	s_branch .LBB229_125
.LBB229_122:
	v_mov_b32_e32 v21, 0
	v_mov_b32_e32 v23, 0
	;; [unrolled: 1-line block ×3, first 2 shown]
	s_and_b32 s6, s27, 3
	s_cmp_eq_u32 s6, 0
	s_cbranch_scc1 .LBB229_125
.LBB229_123:
	s_lshl_b32 s0, s26, 3
	s_add_u32 s0, s34, s0
	s_addc_u32 s1, s35, 0
	s_add_u32 s0, s0, 0xc4
	s_addc_u32 s1, s1, 0
	s_mul_i32 s2, s26, 12
	s_add_u32 s2, s34, s2
	s_addc_u32 s3, s35, 0
.LBB229_124:                            ; =>This Inner Loop Header: Depth=1
	s_load_dwordx2 s[8:9], s[2:3], 0x4
	s_load_dword s7, s[2:3], 0xc
	s_load_dwordx2 s[10:11], s[0:1], 0x0
	s_add_u32 s2, s2, 12
	s_addc_u32 s3, s3, 0
	s_waitcnt lgkmcnt(0)
	v_mul_hi_u32 v4, s9, v1
	s_add_u32 s0, s0, 8
	s_addc_u32 s1, s1, 0
	s_add_i32 s6, s6, -1
	v_add_u32_e32 v4, v1, v4
	v_lshrrev_b32_e32 v4, s7, v4
	v_mul_lo_u32 v7, v4, s8
	s_cmp_lg_u32 s6, 0
	v_sub_u32_e32 v1, v1, v7
	v_mad_u64_u32 v[21:22], s[8:9], v1, s10, v[21:22]
	v_mad_u64_u32 v[23:24], s[8:9], v1, s11, v[23:24]
	v_mov_b32_e32 v1, v4
	s_cbranch_scc1 .LBB229_124
.LBB229_125:
	s_cbranch_execnz .LBB229_128
.LBB229_126:
	s_load_dwordx4 s[0:3], s[34:35], 0x4
	s_load_dwordx2 s[6:7], s[34:35], 0xc4
	s_cmp_lt_u32 s33, 2
	s_waitcnt lgkmcnt(0)
	v_mul_hi_u32 v1, s1, v25
	v_add_u32_e32 v1, v25, v1
	v_lshrrev_b32_e32 v1, s2, v1
	v_mul_lo_u32 v4, v1, s0
	v_sub_u32_e32 v4, v25, v4
	v_mul_lo_u32 v21, v4, s6
	v_mul_lo_u32 v23, v4, s7
	s_cbranch_scc1 .LBB229_128
; %bb.127:
	s_load_dwordx4 s[0:3], s[34:35], 0x10
	s_load_dwordx2 s[6:7], s[34:35], 0xcc
	s_waitcnt lgkmcnt(0)
	v_mul_hi_u32 v4, s1, v1
	v_add_u32_e32 v4, v1, v4
	v_lshrrev_b32_e32 v4, s2, v4
	v_mul_lo_u32 v4, v4, s0
	v_sub_u32_e32 v1, v1, v4
	v_mad_u64_u32 v[21:22], s[0:1], v1, s6, v[21:22]
	v_mad_u64_u32 v[23:24], s[0:1], v1, s7, v[23:24]
.LBB229_128:
	s_load_dwordx4 s[0:3], s[34:35], 0x148
	s_load_dword s6, s[4:5], 0x160
	s_waitcnt lgkmcnt(0)
	global_load_ushort v1, v2, s[2:3]
	global_load_ushort v4, v5, s[2:3]
	;; [unrolled: 1-line block ×8, first 2 shown]
	s_lshr_b32 s2, s6, 16
	s_cmp_gt_u32 s2, 14
	s_cselect_b64 vcc, -1, 0
	s_waitcnt vmcnt(7)
	v_ashrrev_i16_e32 v2, 15, v1
	v_ashrrev_i32_sdwa v1, s2, sext(v1) dst_sel:DWORD dst_unused:UNUSED_PAD src0_sel:DWORD src1_sel:WORD_0
	v_cndmask_b32_e32 v1, v1, v2, vcc
	s_waitcnt vmcnt(6)
	v_ashrrev_i16_e32 v2, 15, v4
	v_ashrrev_i32_sdwa v4, s2, sext(v4) dst_sel:DWORD dst_unused:UNUSED_PAD src0_sel:DWORD src1_sel:WORD_0
	v_cndmask_b32_e32 v2, v4, v2, vcc
	;; [unrolled: 4-line block ×8, first 2 shown]
	global_store_short v0, v1, s[0:1]
	global_store_short v3, v2, s[0:1]
	;; [unrolled: 1-line block ×8, first 2 shown]
	s_endpgm
.LBB229_129:
	v_mov_b32_e32 v0, 0
	v_mov_b32_e32 v2, 0
	s_branch .LBB229_135
.LBB229_130:
	v_mov_b32_e32 v0, 0
	v_mov_b32_e32 v2, 0
	s_branch .LBB229_151
.LBB229_131:
	s_mov_b32 s62, 0
	v_mov_b32_e32 v0, 0
	v_mov_b32_e32 v2, 0
	;; [unrolled: 1-line block ×3, first 2 shown]
.LBB229_132:
	s_and_b32 s12, s63, 3
	s_cmp_eq_u32 s12, 0
	s_cbranch_scc1 .LBB229_135
; %bb.133:
	s_lshl_b32 s8, s62, 3
	s_add_u32 s8, s34, s8
	s_addc_u32 s9, s35, 0
	s_add_u32 s8, s8, 0xc4
	s_addc_u32 s9, s9, 0
	s_mul_i32 s10, s62, 12
	s_add_u32 s10, s34, s10
	s_addc_u32 s11, s35, 0
.LBB229_134:                            ; =>This Inner Loop Header: Depth=1
	s_load_dwordx2 s[14:15], s[10:11], 0x4
	s_load_dword s13, s[10:11], 0xc
	s_load_dwordx2 s[16:17], s[8:9], 0x0
	s_add_u32 s10, s10, 12
	s_addc_u32 s11, s11, 0
	s_waitcnt lgkmcnt(0)
	v_mul_hi_u32 v3, s15, v1
	s_add_u32 s8, s8, 8
	s_addc_u32 s9, s9, 0
	s_add_i32 s12, s12, -1
	v_add_u32_e32 v3, v1, v3
	v_lshrrev_b32_e32 v4, s13, v3
	v_mul_lo_u32 v3, v4, s14
	s_cmp_lg_u32 s12, 0
	v_sub_u32_e32 v3, v1, v3
	v_mad_u64_u32 v[0:1], s[14:15], v3, s16, v[0:1]
	v_mad_u64_u32 v[2:3], s[14:15], v3, s17, v[2:3]
	v_mov_b32_e32 v1, v4
	s_cbranch_scc1 .LBB229_134
.LBB229_135:
	s_cbranch_execnz .LBB229_138
.LBB229_136:
	v_mul_hi_u32 v0, s29, v19
	s_andn2_b64 vcc, exec, s[46:47]
	v_add_u32_e32 v0, v19, v0
	v_lshrrev_b32_e32 v1, s30, v0
	v_mul_lo_u32 v0, v1, s28
	v_sub_u32_e32 v2, v19, v0
	v_mul_lo_u32 v0, v2, s36
	v_mul_lo_u32 v2, v2, s37
	s_cbranch_vccnz .LBB229_138
; %bb.137:
	v_mul_hi_u32 v3, s44, v1
	v_add_u32_e32 v3, v1, v3
	v_lshrrev_b32_e32 v3, s45, v3
	v_mul_lo_u32 v3, v3, s31
	v_sub_u32_e32 v3, v1, v3
	v_mad_u64_u32 v[0:1], s[8:9], v3, s38, v[0:1]
	v_mad_u64_u32 v[2:3], s[8:9], v3, s39, v[2:3]
.LBB229_138:
	global_load_ushort v1, v2, s[26:27]
	v_add_u32_e32 v19, 0x80, v19
	s_waitcnt vmcnt(0)
	v_ashrrev_i16_e32 v2, 15, v1
	v_ashrrev_i32_sdwa v1, s59, sext(v1) dst_sel:DWORD dst_unused:UNUSED_PAD src0_sel:DWORD src1_sel:WORD_0
	v_cndmask_b32_e64 v1, v1, v2, s[0:1]
	global_store_short v0, v1, s[24:25]
	s_or_b64 exec, exec, s[52:53]
	v_cmp_gt_i32_e32 vcc, s60, v19
	s_and_saveexec_b64 s[52:53], vcc
	s_cbranch_execnz .LBB229_15
.LBB229_139:
	s_or_b64 exec, exec, s[52:53]
	v_cmp_gt_i32_e32 vcc, s60, v19
	s_and_saveexec_b64 s[52:53], vcc
	s_cbranch_execz .LBB229_155
.LBB229_140:
	s_andn2_b64 vcc, exec, s[2:3]
	s_cbranch_vccnz .LBB229_145
; %bb.141:
	s_andn2_b64 vcc, exec, s[50:51]
	s_cbranch_vccnz .LBB229_146
; %bb.142:
	s_add_i32 s63, s61, 1
	s_cmp_eq_u32 s58, 2
	s_cbranch_scc1 .LBB229_163
; %bb.143:
	s_and_b32 s62, s63, 28
	v_mov_b32_e32 v2, 0
	s_mov_b32 s64, 0
	s_mov_b64 s[54:55], s[34:35]
	s_mov_b64 s[56:57], s[48:49]
	v_mov_b32_e32 v0, 0
	v_mov_b32_e32 v1, v19
.LBB229_144:                            ; =>This Inner Loop Header: Depth=1
	s_load_dwordx8 s[16:23], s[54:55], 0x4
	s_load_dwordx4 s[40:43], s[54:55], 0x24
	s_load_dwordx8 s[8:15], s[56:57], 0x0
	s_add_u32 s54, s54, 48
	s_addc_u32 s55, s55, 0
	s_waitcnt lgkmcnt(0)
	v_mul_hi_u32 v3, s17, v1
	s_add_i32 s64, s64, 4
	s_add_u32 s56, s56, 32
	s_addc_u32 s57, s57, 0
	v_add_u32_e32 v3, v1, v3
	v_lshrrev_b32_e32 v3, s18, v3
	v_mul_lo_u32 v4, v3, s16
	v_mul_hi_u32 v5, s20, v3
	s_cmp_eq_u32 s62, s64
	v_sub_u32_e32 v1, v1, v4
	v_add_u32_e32 v4, v3, v5
	v_mul_lo_u32 v5, v1, s8
	v_mul_lo_u32 v6, v1, s9
	v_lshrrev_b32_e32 v1, s21, v4
	v_mul_lo_u32 v4, v1, s19
	v_mul_hi_u32 v7, s23, v1
	v_sub_u32_e32 v3, v3, v4
	v_add_u32_e32 v4, v1, v7
	v_lshrrev_b32_e32 v4, s40, v4
	v_mul_hi_u32 v8, s42, v4
	v_mul_lo_u32 v9, v4, s22
	v_mul_lo_u32 v7, v3, s10
	;; [unrolled: 1-line block ×3, first 2 shown]
	v_sub_u32_e32 v9, v1, v9
	v_add_u32_e32 v1, v4, v8
	v_lshrrev_b32_e32 v1, s43, v1
	v_mul_lo_u32 v8, v1, s41
	v_mul_lo_u32 v10, v9, s12
	;; [unrolled: 1-line block ×3, first 2 shown]
	v_add3_u32 v0, v5, v0, v7
	v_sub_u32_e32 v4, v4, v8
	v_mul_lo_u32 v8, v4, s14
	v_mul_lo_u32 v4, v4, s15
	v_add3_u32 v2, v6, v2, v3
	v_add3_u32 v0, v10, v0, v8
	;; [unrolled: 1-line block ×3, first 2 shown]
	s_cbranch_scc0 .LBB229_144
	s_branch .LBB229_164
.LBB229_145:
                                        ; implicit-def: $vgpr0
                                        ; implicit-def: $vgpr2
	s_branch .LBB229_168
.LBB229_146:
	v_mov_b32_e32 v0, 0
	v_mov_b32_e32 v2, 0
	s_branch .LBB229_167
.LBB229_147:
	s_mov_b32 s62, 0
	v_mov_b32_e32 v0, 0
	v_mov_b32_e32 v2, 0
	;; [unrolled: 1-line block ×3, first 2 shown]
.LBB229_148:
	s_and_b32 s12, s63, 3
	s_cmp_eq_u32 s12, 0
	s_cbranch_scc1 .LBB229_151
; %bb.149:
	s_lshl_b32 s8, s62, 3
	s_add_u32 s8, s34, s8
	s_addc_u32 s9, s35, 0
	s_add_u32 s8, s8, 0xc4
	s_addc_u32 s9, s9, 0
	s_mul_i32 s10, s62, 12
	s_add_u32 s10, s34, s10
	s_addc_u32 s11, s35, 0
.LBB229_150:                            ; =>This Inner Loop Header: Depth=1
	s_load_dwordx2 s[14:15], s[10:11], 0x4
	s_load_dword s13, s[10:11], 0xc
	s_load_dwordx2 s[16:17], s[8:9], 0x0
	s_add_u32 s10, s10, 12
	s_addc_u32 s11, s11, 0
	s_waitcnt lgkmcnt(0)
	v_mul_hi_u32 v3, s15, v1
	s_add_u32 s8, s8, 8
	s_addc_u32 s9, s9, 0
	s_add_i32 s12, s12, -1
	v_add_u32_e32 v3, v1, v3
	v_lshrrev_b32_e32 v4, s13, v3
	v_mul_lo_u32 v3, v4, s14
	s_cmp_lg_u32 s12, 0
	v_sub_u32_e32 v3, v1, v3
	v_mad_u64_u32 v[0:1], s[14:15], v3, s16, v[0:1]
	v_mad_u64_u32 v[2:3], s[14:15], v3, s17, v[2:3]
	v_mov_b32_e32 v1, v4
	s_cbranch_scc1 .LBB229_150
.LBB229_151:
	s_cbranch_execnz .LBB229_154
.LBB229_152:
	v_mul_hi_u32 v0, s29, v19
	s_andn2_b64 vcc, exec, s[46:47]
	v_add_u32_e32 v0, v19, v0
	v_lshrrev_b32_e32 v1, s30, v0
	v_mul_lo_u32 v0, v1, s28
	v_sub_u32_e32 v2, v19, v0
	v_mul_lo_u32 v0, v2, s36
	v_mul_lo_u32 v2, v2, s37
	s_cbranch_vccnz .LBB229_154
; %bb.153:
	v_mul_hi_u32 v3, s44, v1
	v_add_u32_e32 v3, v1, v3
	v_lshrrev_b32_e32 v3, s45, v3
	v_mul_lo_u32 v3, v3, s31
	v_sub_u32_e32 v3, v1, v3
	v_mad_u64_u32 v[0:1], s[8:9], v3, s38, v[0:1]
	v_mad_u64_u32 v[2:3], s[8:9], v3, s39, v[2:3]
.LBB229_154:
	global_load_ushort v1, v2, s[26:27]
	v_add_u32_e32 v19, 0x80, v19
	s_waitcnt vmcnt(0)
	v_ashrrev_i16_e32 v2, 15, v1
	v_ashrrev_i32_sdwa v1, s59, sext(v1) dst_sel:DWORD dst_unused:UNUSED_PAD src0_sel:DWORD src1_sel:WORD_0
	v_cndmask_b32_e64 v1, v1, v2, s[0:1]
	global_store_short v0, v1, s[24:25]
	s_or_b64 exec, exec, s[52:53]
	v_cmp_gt_i32_e32 vcc, s60, v19
	s_and_saveexec_b64 s[52:53], vcc
	s_cbranch_execnz .LBB229_140
.LBB229_155:
	s_or_b64 exec, exec, s[52:53]
	v_cmp_gt_i32_e32 vcc, s60, v19
	s_and_saveexec_b64 s[52:53], vcc
	s_cbranch_execz .LBB229_171
.LBB229_156:
	s_andn2_b64 vcc, exec, s[2:3]
	s_cbranch_vccnz .LBB229_161
; %bb.157:
	s_andn2_b64 vcc, exec, s[50:51]
	s_cbranch_vccnz .LBB229_162
; %bb.158:
	s_add_i32 s63, s61, 1
	s_cmp_eq_u32 s58, 2
	s_cbranch_scc1 .LBB229_179
; %bb.159:
	s_and_b32 s62, s63, 28
	v_mov_b32_e32 v2, 0
	s_mov_b32 s64, 0
	s_mov_b64 s[54:55], s[34:35]
	s_mov_b64 s[56:57], s[48:49]
	v_mov_b32_e32 v0, 0
	v_mov_b32_e32 v1, v19
.LBB229_160:                            ; =>This Inner Loop Header: Depth=1
	s_load_dwordx8 s[16:23], s[54:55], 0x4
	s_load_dwordx4 s[40:43], s[54:55], 0x24
	s_load_dwordx8 s[8:15], s[56:57], 0x0
	s_add_u32 s54, s54, 48
	s_addc_u32 s55, s55, 0
	s_waitcnt lgkmcnt(0)
	v_mul_hi_u32 v3, s17, v1
	s_add_i32 s64, s64, 4
	s_add_u32 s56, s56, 32
	s_addc_u32 s57, s57, 0
	v_add_u32_e32 v3, v1, v3
	v_lshrrev_b32_e32 v3, s18, v3
	v_mul_lo_u32 v4, v3, s16
	v_mul_hi_u32 v5, s20, v3
	s_cmp_eq_u32 s62, s64
	v_sub_u32_e32 v1, v1, v4
	v_add_u32_e32 v4, v3, v5
	v_mul_lo_u32 v5, v1, s8
	v_mul_lo_u32 v6, v1, s9
	v_lshrrev_b32_e32 v1, s21, v4
	v_mul_lo_u32 v4, v1, s19
	v_mul_hi_u32 v7, s23, v1
	v_sub_u32_e32 v3, v3, v4
	v_add_u32_e32 v4, v1, v7
	v_lshrrev_b32_e32 v4, s40, v4
	v_mul_hi_u32 v8, s42, v4
	v_mul_lo_u32 v9, v4, s22
	v_mul_lo_u32 v7, v3, s10
	;; [unrolled: 1-line block ×3, first 2 shown]
	v_sub_u32_e32 v9, v1, v9
	v_add_u32_e32 v1, v4, v8
	v_lshrrev_b32_e32 v1, s43, v1
	v_mul_lo_u32 v8, v1, s41
	v_mul_lo_u32 v10, v9, s12
	;; [unrolled: 1-line block ×3, first 2 shown]
	v_add3_u32 v0, v5, v0, v7
	v_sub_u32_e32 v4, v4, v8
	v_mul_lo_u32 v8, v4, s14
	v_mul_lo_u32 v4, v4, s15
	v_add3_u32 v2, v6, v2, v3
	v_add3_u32 v0, v10, v0, v8
	;; [unrolled: 1-line block ×3, first 2 shown]
	s_cbranch_scc0 .LBB229_160
	s_branch .LBB229_180
.LBB229_161:
                                        ; implicit-def: $vgpr0
                                        ; implicit-def: $vgpr2
	s_branch .LBB229_184
.LBB229_162:
	v_mov_b32_e32 v0, 0
	v_mov_b32_e32 v2, 0
	s_branch .LBB229_183
.LBB229_163:
	s_mov_b32 s62, 0
	v_mov_b32_e32 v0, 0
	v_mov_b32_e32 v2, 0
	v_mov_b32_e32 v1, v19
.LBB229_164:
	s_and_b32 s12, s63, 3
	s_cmp_eq_u32 s12, 0
	s_cbranch_scc1 .LBB229_167
; %bb.165:
	s_lshl_b32 s8, s62, 3
	s_add_u32 s8, s34, s8
	s_addc_u32 s9, s35, 0
	s_add_u32 s8, s8, 0xc4
	s_addc_u32 s9, s9, 0
	s_mul_i32 s10, s62, 12
	s_add_u32 s10, s34, s10
	s_addc_u32 s11, s35, 0
.LBB229_166:                            ; =>This Inner Loop Header: Depth=1
	s_load_dwordx2 s[14:15], s[10:11], 0x4
	s_load_dword s13, s[10:11], 0xc
	s_load_dwordx2 s[16:17], s[8:9], 0x0
	s_add_u32 s10, s10, 12
	s_addc_u32 s11, s11, 0
	s_waitcnt lgkmcnt(0)
	v_mul_hi_u32 v3, s15, v1
	s_add_u32 s8, s8, 8
	s_addc_u32 s9, s9, 0
	s_add_i32 s12, s12, -1
	v_add_u32_e32 v3, v1, v3
	v_lshrrev_b32_e32 v4, s13, v3
	v_mul_lo_u32 v3, v4, s14
	s_cmp_lg_u32 s12, 0
	v_sub_u32_e32 v3, v1, v3
	v_mad_u64_u32 v[0:1], s[14:15], v3, s16, v[0:1]
	v_mad_u64_u32 v[2:3], s[14:15], v3, s17, v[2:3]
	v_mov_b32_e32 v1, v4
	s_cbranch_scc1 .LBB229_166
.LBB229_167:
	s_cbranch_execnz .LBB229_170
.LBB229_168:
	v_mul_hi_u32 v0, s29, v19
	s_andn2_b64 vcc, exec, s[46:47]
	v_add_u32_e32 v0, v19, v0
	v_lshrrev_b32_e32 v1, s30, v0
	v_mul_lo_u32 v0, v1, s28
	v_sub_u32_e32 v2, v19, v0
	v_mul_lo_u32 v0, v2, s36
	v_mul_lo_u32 v2, v2, s37
	s_cbranch_vccnz .LBB229_170
; %bb.169:
	v_mul_hi_u32 v3, s44, v1
	v_add_u32_e32 v3, v1, v3
	v_lshrrev_b32_e32 v3, s45, v3
	v_mul_lo_u32 v3, v3, s31
	v_sub_u32_e32 v3, v1, v3
	v_mad_u64_u32 v[0:1], s[8:9], v3, s38, v[0:1]
	v_mad_u64_u32 v[2:3], s[8:9], v3, s39, v[2:3]
.LBB229_170:
	global_load_ushort v1, v2, s[26:27]
	v_add_u32_e32 v19, 0x80, v19
	s_waitcnt vmcnt(0)
	v_ashrrev_i16_e32 v2, 15, v1
	v_ashrrev_i32_sdwa v1, s59, sext(v1) dst_sel:DWORD dst_unused:UNUSED_PAD src0_sel:DWORD src1_sel:WORD_0
	v_cndmask_b32_e64 v1, v1, v2, s[0:1]
	global_store_short v0, v1, s[24:25]
	s_or_b64 exec, exec, s[52:53]
	v_cmp_gt_i32_e32 vcc, s60, v19
	s_and_saveexec_b64 s[52:53], vcc
	s_cbranch_execnz .LBB229_156
.LBB229_171:
	s_or_b64 exec, exec, s[52:53]
	v_cmp_gt_i32_e32 vcc, s60, v19
	s_and_saveexec_b64 s[52:53], vcc
	s_cbranch_execz .LBB229_187
.LBB229_172:
	s_andn2_b64 vcc, exec, s[2:3]
	s_cbranch_vccnz .LBB229_177
; %bb.173:
	s_andn2_b64 vcc, exec, s[50:51]
	s_cbranch_vccnz .LBB229_178
; %bb.174:
	s_add_i32 s63, s61, 1
	s_cmp_eq_u32 s58, 2
	s_cbranch_scc1 .LBB229_195
; %bb.175:
	s_and_b32 s62, s63, 28
	v_mov_b32_e32 v2, 0
	s_mov_b32 s64, 0
	s_mov_b64 s[54:55], s[34:35]
	s_mov_b64 s[56:57], s[48:49]
	v_mov_b32_e32 v0, 0
	v_mov_b32_e32 v1, v19
.LBB229_176:                            ; =>This Inner Loop Header: Depth=1
	s_load_dwordx8 s[16:23], s[54:55], 0x4
	s_load_dwordx4 s[40:43], s[54:55], 0x24
	s_load_dwordx8 s[8:15], s[56:57], 0x0
	s_add_u32 s54, s54, 48
	s_addc_u32 s55, s55, 0
	s_waitcnt lgkmcnt(0)
	v_mul_hi_u32 v3, s17, v1
	s_add_i32 s64, s64, 4
	s_add_u32 s56, s56, 32
	s_addc_u32 s57, s57, 0
	v_add_u32_e32 v3, v1, v3
	v_lshrrev_b32_e32 v3, s18, v3
	v_mul_lo_u32 v4, v3, s16
	v_mul_hi_u32 v5, s20, v3
	s_cmp_eq_u32 s62, s64
	v_sub_u32_e32 v1, v1, v4
	v_add_u32_e32 v4, v3, v5
	v_mul_lo_u32 v5, v1, s8
	v_mul_lo_u32 v6, v1, s9
	v_lshrrev_b32_e32 v1, s21, v4
	v_mul_lo_u32 v4, v1, s19
	v_mul_hi_u32 v7, s23, v1
	v_sub_u32_e32 v3, v3, v4
	v_add_u32_e32 v4, v1, v7
	v_lshrrev_b32_e32 v4, s40, v4
	v_mul_hi_u32 v8, s42, v4
	v_mul_lo_u32 v9, v4, s22
	v_mul_lo_u32 v7, v3, s10
	;; [unrolled: 1-line block ×3, first 2 shown]
	v_sub_u32_e32 v9, v1, v9
	v_add_u32_e32 v1, v4, v8
	v_lshrrev_b32_e32 v1, s43, v1
	v_mul_lo_u32 v8, v1, s41
	v_mul_lo_u32 v10, v9, s12
	v_mul_lo_u32 v9, v9, s13
	v_add3_u32 v0, v5, v0, v7
	v_sub_u32_e32 v4, v4, v8
	v_mul_lo_u32 v8, v4, s14
	v_mul_lo_u32 v4, v4, s15
	v_add3_u32 v2, v6, v2, v3
	v_add3_u32 v0, v10, v0, v8
	v_add3_u32 v2, v9, v2, v4
	s_cbranch_scc0 .LBB229_176
	s_branch .LBB229_196
.LBB229_177:
                                        ; implicit-def: $vgpr0
                                        ; implicit-def: $vgpr2
	s_branch .LBB229_200
.LBB229_178:
	v_mov_b32_e32 v0, 0
	v_mov_b32_e32 v2, 0
	s_branch .LBB229_199
.LBB229_179:
	s_mov_b32 s62, 0
	v_mov_b32_e32 v0, 0
	v_mov_b32_e32 v2, 0
	;; [unrolled: 1-line block ×3, first 2 shown]
.LBB229_180:
	s_and_b32 s12, s63, 3
	s_cmp_eq_u32 s12, 0
	s_cbranch_scc1 .LBB229_183
; %bb.181:
	s_lshl_b32 s8, s62, 3
	s_add_u32 s8, s34, s8
	s_addc_u32 s9, s35, 0
	s_add_u32 s8, s8, 0xc4
	s_addc_u32 s9, s9, 0
	s_mul_i32 s10, s62, 12
	s_add_u32 s10, s34, s10
	s_addc_u32 s11, s35, 0
.LBB229_182:                            ; =>This Inner Loop Header: Depth=1
	s_load_dwordx2 s[14:15], s[10:11], 0x4
	s_load_dword s13, s[10:11], 0xc
	s_load_dwordx2 s[16:17], s[8:9], 0x0
	s_add_u32 s10, s10, 12
	s_addc_u32 s11, s11, 0
	s_waitcnt lgkmcnt(0)
	v_mul_hi_u32 v3, s15, v1
	s_add_u32 s8, s8, 8
	s_addc_u32 s9, s9, 0
	s_add_i32 s12, s12, -1
	v_add_u32_e32 v3, v1, v3
	v_lshrrev_b32_e32 v4, s13, v3
	v_mul_lo_u32 v3, v4, s14
	s_cmp_lg_u32 s12, 0
	v_sub_u32_e32 v3, v1, v3
	v_mad_u64_u32 v[0:1], s[14:15], v3, s16, v[0:1]
	v_mad_u64_u32 v[2:3], s[14:15], v3, s17, v[2:3]
	v_mov_b32_e32 v1, v4
	s_cbranch_scc1 .LBB229_182
.LBB229_183:
	s_cbranch_execnz .LBB229_186
.LBB229_184:
	v_mul_hi_u32 v0, s29, v19
	s_andn2_b64 vcc, exec, s[46:47]
	v_add_u32_e32 v0, v19, v0
	v_lshrrev_b32_e32 v1, s30, v0
	v_mul_lo_u32 v0, v1, s28
	v_sub_u32_e32 v2, v19, v0
	v_mul_lo_u32 v0, v2, s36
	v_mul_lo_u32 v2, v2, s37
	s_cbranch_vccnz .LBB229_186
; %bb.185:
	v_mul_hi_u32 v3, s44, v1
	v_add_u32_e32 v3, v1, v3
	v_lshrrev_b32_e32 v3, s45, v3
	v_mul_lo_u32 v3, v3, s31
	v_sub_u32_e32 v3, v1, v3
	v_mad_u64_u32 v[0:1], s[8:9], v3, s38, v[0:1]
	v_mad_u64_u32 v[2:3], s[8:9], v3, s39, v[2:3]
.LBB229_186:
	global_load_ushort v1, v2, s[26:27]
	v_add_u32_e32 v19, 0x80, v19
	s_waitcnt vmcnt(0)
	v_ashrrev_i16_e32 v2, 15, v1
	v_ashrrev_i32_sdwa v1, s59, sext(v1) dst_sel:DWORD dst_unused:UNUSED_PAD src0_sel:DWORD src1_sel:WORD_0
	v_cndmask_b32_e64 v1, v1, v2, s[0:1]
	global_store_short v0, v1, s[24:25]
	s_or_b64 exec, exec, s[52:53]
	v_cmp_gt_i32_e32 vcc, s60, v19
	s_and_saveexec_b64 s[52:53], vcc
	s_cbranch_execnz .LBB229_172
.LBB229_187:
	s_or_b64 exec, exec, s[52:53]
	v_cmp_gt_i32_e32 vcc, s60, v19
	s_and_saveexec_b64 s[52:53], vcc
	s_cbranch_execz .LBB229_203
.LBB229_188:
	s_andn2_b64 vcc, exec, s[2:3]
	s_cbranch_vccnz .LBB229_193
; %bb.189:
	s_andn2_b64 vcc, exec, s[50:51]
	s_cbranch_vccnz .LBB229_194
; %bb.190:
	s_add_i32 s63, s61, 1
	s_cmp_eq_u32 s58, 2
	s_cbranch_scc1 .LBB229_211
; %bb.191:
	s_and_b32 s62, s63, 28
	v_mov_b32_e32 v2, 0
	s_mov_b32 s64, 0
	s_mov_b64 s[54:55], s[34:35]
	s_mov_b64 s[56:57], s[48:49]
	v_mov_b32_e32 v0, 0
	v_mov_b32_e32 v1, v19
.LBB229_192:                            ; =>This Inner Loop Header: Depth=1
	s_load_dwordx8 s[16:23], s[54:55], 0x4
	s_load_dwordx4 s[40:43], s[54:55], 0x24
	s_load_dwordx8 s[8:15], s[56:57], 0x0
	s_add_u32 s54, s54, 48
	s_addc_u32 s55, s55, 0
	s_waitcnt lgkmcnt(0)
	v_mul_hi_u32 v3, s17, v1
	s_add_i32 s64, s64, 4
	s_add_u32 s56, s56, 32
	s_addc_u32 s57, s57, 0
	v_add_u32_e32 v3, v1, v3
	v_lshrrev_b32_e32 v3, s18, v3
	v_mul_lo_u32 v4, v3, s16
	v_mul_hi_u32 v5, s20, v3
	s_cmp_eq_u32 s62, s64
	v_sub_u32_e32 v1, v1, v4
	v_add_u32_e32 v4, v3, v5
	v_mul_lo_u32 v5, v1, s8
	v_mul_lo_u32 v6, v1, s9
	v_lshrrev_b32_e32 v1, s21, v4
	v_mul_lo_u32 v4, v1, s19
	v_mul_hi_u32 v7, s23, v1
	v_sub_u32_e32 v3, v3, v4
	v_add_u32_e32 v4, v1, v7
	v_lshrrev_b32_e32 v4, s40, v4
	v_mul_hi_u32 v8, s42, v4
	v_mul_lo_u32 v9, v4, s22
	v_mul_lo_u32 v7, v3, s10
	;; [unrolled: 1-line block ×3, first 2 shown]
	v_sub_u32_e32 v9, v1, v9
	v_add_u32_e32 v1, v4, v8
	v_lshrrev_b32_e32 v1, s43, v1
	v_mul_lo_u32 v8, v1, s41
	v_mul_lo_u32 v10, v9, s12
	;; [unrolled: 1-line block ×3, first 2 shown]
	v_add3_u32 v0, v5, v0, v7
	v_sub_u32_e32 v4, v4, v8
	v_mul_lo_u32 v8, v4, s14
	v_mul_lo_u32 v4, v4, s15
	v_add3_u32 v2, v6, v2, v3
	v_add3_u32 v0, v10, v0, v8
	;; [unrolled: 1-line block ×3, first 2 shown]
	s_cbranch_scc0 .LBB229_192
	s_branch .LBB229_212
.LBB229_193:
                                        ; implicit-def: $vgpr0
                                        ; implicit-def: $vgpr2
	s_branch .LBB229_216
.LBB229_194:
	v_mov_b32_e32 v0, 0
	v_mov_b32_e32 v2, 0
	s_branch .LBB229_215
.LBB229_195:
	s_mov_b32 s62, 0
	v_mov_b32_e32 v0, 0
	v_mov_b32_e32 v2, 0
	;; [unrolled: 1-line block ×3, first 2 shown]
.LBB229_196:
	s_and_b32 s12, s63, 3
	s_cmp_eq_u32 s12, 0
	s_cbranch_scc1 .LBB229_199
; %bb.197:
	s_lshl_b32 s8, s62, 3
	s_add_u32 s8, s34, s8
	s_addc_u32 s9, s35, 0
	s_add_u32 s8, s8, 0xc4
	s_addc_u32 s9, s9, 0
	s_mul_i32 s10, s62, 12
	s_add_u32 s10, s34, s10
	s_addc_u32 s11, s35, 0
.LBB229_198:                            ; =>This Inner Loop Header: Depth=1
	s_load_dwordx2 s[14:15], s[10:11], 0x4
	s_load_dword s13, s[10:11], 0xc
	s_load_dwordx2 s[16:17], s[8:9], 0x0
	s_add_u32 s10, s10, 12
	s_addc_u32 s11, s11, 0
	s_waitcnt lgkmcnt(0)
	v_mul_hi_u32 v3, s15, v1
	s_add_u32 s8, s8, 8
	s_addc_u32 s9, s9, 0
	s_add_i32 s12, s12, -1
	v_add_u32_e32 v3, v1, v3
	v_lshrrev_b32_e32 v4, s13, v3
	v_mul_lo_u32 v3, v4, s14
	s_cmp_lg_u32 s12, 0
	v_sub_u32_e32 v3, v1, v3
	v_mad_u64_u32 v[0:1], s[14:15], v3, s16, v[0:1]
	v_mad_u64_u32 v[2:3], s[14:15], v3, s17, v[2:3]
	v_mov_b32_e32 v1, v4
	s_cbranch_scc1 .LBB229_198
.LBB229_199:
	s_cbranch_execnz .LBB229_202
.LBB229_200:
	v_mul_hi_u32 v0, s29, v19
	s_andn2_b64 vcc, exec, s[46:47]
	v_add_u32_e32 v0, v19, v0
	v_lshrrev_b32_e32 v1, s30, v0
	v_mul_lo_u32 v0, v1, s28
	v_sub_u32_e32 v2, v19, v0
	v_mul_lo_u32 v0, v2, s36
	v_mul_lo_u32 v2, v2, s37
	s_cbranch_vccnz .LBB229_202
; %bb.201:
	v_mul_hi_u32 v3, s44, v1
	v_add_u32_e32 v3, v1, v3
	v_lshrrev_b32_e32 v3, s45, v3
	v_mul_lo_u32 v3, v3, s31
	v_sub_u32_e32 v3, v1, v3
	v_mad_u64_u32 v[0:1], s[8:9], v3, s38, v[0:1]
	v_mad_u64_u32 v[2:3], s[8:9], v3, s39, v[2:3]
.LBB229_202:
	global_load_ushort v1, v2, s[26:27]
	v_add_u32_e32 v19, 0x80, v19
	s_waitcnt vmcnt(0)
	v_ashrrev_i16_e32 v2, 15, v1
	v_ashrrev_i32_sdwa v1, s59, sext(v1) dst_sel:DWORD dst_unused:UNUSED_PAD src0_sel:DWORD src1_sel:WORD_0
	v_cndmask_b32_e64 v1, v1, v2, s[0:1]
	global_store_short v0, v1, s[24:25]
	s_or_b64 exec, exec, s[52:53]
	v_cmp_gt_i32_e32 vcc, s60, v19
	s_and_saveexec_b64 s[52:53], vcc
	s_cbranch_execnz .LBB229_188
.LBB229_203:
	s_or_b64 exec, exec, s[52:53]
	v_cmp_gt_i32_e32 vcc, s60, v19
	s_and_saveexec_b64 s[52:53], vcc
	s_cbranch_execz .LBB229_219
.LBB229_204:
	s_andn2_b64 vcc, exec, s[2:3]
	s_cbranch_vccnz .LBB229_209
; %bb.205:
	s_andn2_b64 vcc, exec, s[50:51]
	s_cbranch_vccnz .LBB229_210
; %bb.206:
	s_add_i32 s63, s61, 1
	s_cmp_eq_u32 s58, 2
	s_cbranch_scc1 .LBB229_222
; %bb.207:
	s_and_b32 s62, s63, 28
	v_mov_b32_e32 v2, 0
	s_mov_b32 s64, 0
	s_mov_b64 s[54:55], s[34:35]
	s_mov_b64 s[56:57], s[48:49]
	v_mov_b32_e32 v0, 0
	v_mov_b32_e32 v1, v19
.LBB229_208:                            ; =>This Inner Loop Header: Depth=1
	s_load_dwordx8 s[16:23], s[54:55], 0x4
	s_load_dwordx4 s[40:43], s[54:55], 0x24
	s_load_dwordx8 s[8:15], s[56:57], 0x0
	s_add_u32 s54, s54, 48
	s_addc_u32 s55, s55, 0
	s_waitcnt lgkmcnt(0)
	v_mul_hi_u32 v3, s17, v1
	s_add_i32 s64, s64, 4
	s_add_u32 s56, s56, 32
	s_addc_u32 s57, s57, 0
	v_add_u32_e32 v3, v1, v3
	v_lshrrev_b32_e32 v3, s18, v3
	v_mul_lo_u32 v4, v3, s16
	v_mul_hi_u32 v5, s20, v3
	s_cmp_eq_u32 s62, s64
	v_sub_u32_e32 v1, v1, v4
	v_add_u32_e32 v4, v3, v5
	v_mul_lo_u32 v5, v1, s8
	v_mul_lo_u32 v6, v1, s9
	v_lshrrev_b32_e32 v1, s21, v4
	v_mul_lo_u32 v4, v1, s19
	v_mul_hi_u32 v7, s23, v1
	v_sub_u32_e32 v3, v3, v4
	v_add_u32_e32 v4, v1, v7
	v_lshrrev_b32_e32 v4, s40, v4
	v_mul_hi_u32 v8, s42, v4
	v_mul_lo_u32 v9, v4, s22
	v_mul_lo_u32 v7, v3, s10
	;; [unrolled: 1-line block ×3, first 2 shown]
	v_sub_u32_e32 v9, v1, v9
	v_add_u32_e32 v1, v4, v8
	v_lshrrev_b32_e32 v1, s43, v1
	v_mul_lo_u32 v8, v1, s41
	v_mul_lo_u32 v10, v9, s12
	;; [unrolled: 1-line block ×3, first 2 shown]
	v_add3_u32 v0, v5, v0, v7
	v_sub_u32_e32 v4, v4, v8
	v_mul_lo_u32 v8, v4, s14
	v_mul_lo_u32 v4, v4, s15
	v_add3_u32 v2, v6, v2, v3
	v_add3_u32 v0, v10, v0, v8
	;; [unrolled: 1-line block ×3, first 2 shown]
	s_cbranch_scc0 .LBB229_208
	s_branch .LBB229_223
.LBB229_209:
                                        ; implicit-def: $vgpr0
                                        ; implicit-def: $vgpr2
	s_branch .LBB229_227
.LBB229_210:
	v_mov_b32_e32 v0, 0
	v_mov_b32_e32 v2, 0
	s_branch .LBB229_226
.LBB229_211:
	s_mov_b32 s62, 0
	v_mov_b32_e32 v0, 0
	v_mov_b32_e32 v2, 0
	;; [unrolled: 1-line block ×3, first 2 shown]
.LBB229_212:
	s_and_b32 s12, s63, 3
	s_cmp_eq_u32 s12, 0
	s_cbranch_scc1 .LBB229_215
; %bb.213:
	s_lshl_b32 s8, s62, 3
	s_add_u32 s8, s34, s8
	s_addc_u32 s9, s35, 0
	s_add_u32 s8, s8, 0xc4
	s_addc_u32 s9, s9, 0
	s_mul_i32 s10, s62, 12
	s_add_u32 s10, s34, s10
	s_addc_u32 s11, s35, 0
.LBB229_214:                            ; =>This Inner Loop Header: Depth=1
	s_load_dwordx2 s[14:15], s[10:11], 0x4
	s_load_dword s13, s[10:11], 0xc
	s_load_dwordx2 s[16:17], s[8:9], 0x0
	s_add_u32 s10, s10, 12
	s_addc_u32 s11, s11, 0
	s_waitcnt lgkmcnt(0)
	v_mul_hi_u32 v3, s15, v1
	s_add_u32 s8, s8, 8
	s_addc_u32 s9, s9, 0
	s_add_i32 s12, s12, -1
	v_add_u32_e32 v3, v1, v3
	v_lshrrev_b32_e32 v4, s13, v3
	v_mul_lo_u32 v3, v4, s14
	s_cmp_lg_u32 s12, 0
	v_sub_u32_e32 v3, v1, v3
	v_mad_u64_u32 v[0:1], s[14:15], v3, s16, v[0:1]
	v_mad_u64_u32 v[2:3], s[14:15], v3, s17, v[2:3]
	v_mov_b32_e32 v1, v4
	s_cbranch_scc1 .LBB229_214
.LBB229_215:
	s_cbranch_execnz .LBB229_218
.LBB229_216:
	v_mul_hi_u32 v0, s29, v19
	s_andn2_b64 vcc, exec, s[46:47]
	v_add_u32_e32 v0, v19, v0
	v_lshrrev_b32_e32 v1, s30, v0
	v_mul_lo_u32 v0, v1, s28
	v_sub_u32_e32 v2, v19, v0
	v_mul_lo_u32 v0, v2, s36
	v_mul_lo_u32 v2, v2, s37
	s_cbranch_vccnz .LBB229_218
; %bb.217:
	v_mul_hi_u32 v3, s44, v1
	v_add_u32_e32 v3, v1, v3
	v_lshrrev_b32_e32 v3, s45, v3
	v_mul_lo_u32 v3, v3, s31
	v_sub_u32_e32 v3, v1, v3
	v_mad_u64_u32 v[0:1], s[8:9], v3, s38, v[0:1]
	v_mad_u64_u32 v[2:3], s[8:9], v3, s39, v[2:3]
.LBB229_218:
	global_load_ushort v1, v2, s[26:27]
	v_add_u32_e32 v19, 0x80, v19
	s_waitcnt vmcnt(0)
	v_ashrrev_i16_e32 v2, 15, v1
	v_ashrrev_i32_sdwa v1, s59, sext(v1) dst_sel:DWORD dst_unused:UNUSED_PAD src0_sel:DWORD src1_sel:WORD_0
	v_cndmask_b32_e64 v1, v1, v2, s[0:1]
	global_store_short v0, v1, s[24:25]
	s_or_b64 exec, exec, s[52:53]
	v_cmp_gt_i32_e32 vcc, s60, v19
	s_and_saveexec_b64 s[52:53], vcc
	s_cbranch_execnz .LBB229_204
.LBB229_219:
	s_or_b64 exec, exec, s[52:53]
	v_cmp_gt_i32_e32 vcc, s60, v19
	s_and_saveexec_b64 s[52:53], vcc
	s_cbranch_execnz .LBB229_230
.LBB229_220:
	s_or_b64 exec, exec, s[52:53]
                                        ; implicit-def: $vgpr25
                                        ; implicit-def: $vgpr19
	s_andn2_saveexec_b64 s[0:1], s[6:7]
	s_cbranch_execnz .LBB229_8
.LBB229_221:
	s_endpgm
.LBB229_222:
	s_mov_b32 s62, 0
	v_mov_b32_e32 v0, 0
	v_mov_b32_e32 v2, 0
	;; [unrolled: 1-line block ×3, first 2 shown]
.LBB229_223:
	s_and_b32 s12, s63, 3
	s_cmp_eq_u32 s12, 0
	s_cbranch_scc1 .LBB229_226
; %bb.224:
	s_lshl_b32 s8, s62, 3
	s_add_u32 s8, s34, s8
	s_addc_u32 s9, s35, 0
	s_add_u32 s8, s8, 0xc4
	s_addc_u32 s9, s9, 0
	s_mul_i32 s10, s62, 12
	s_add_u32 s10, s34, s10
	s_addc_u32 s11, s35, 0
.LBB229_225:                            ; =>This Inner Loop Header: Depth=1
	s_load_dwordx2 s[14:15], s[10:11], 0x4
	s_load_dword s13, s[10:11], 0xc
	s_load_dwordx2 s[16:17], s[8:9], 0x0
	s_add_u32 s10, s10, 12
	s_addc_u32 s11, s11, 0
	s_waitcnt lgkmcnt(0)
	v_mul_hi_u32 v3, s15, v1
	s_add_u32 s8, s8, 8
	s_addc_u32 s9, s9, 0
	s_add_i32 s12, s12, -1
	v_add_u32_e32 v3, v1, v3
	v_lshrrev_b32_e32 v4, s13, v3
	v_mul_lo_u32 v3, v4, s14
	s_cmp_lg_u32 s12, 0
	v_sub_u32_e32 v3, v1, v3
	v_mad_u64_u32 v[0:1], s[14:15], v3, s16, v[0:1]
	v_mad_u64_u32 v[2:3], s[14:15], v3, s17, v[2:3]
	v_mov_b32_e32 v1, v4
	s_cbranch_scc1 .LBB229_225
.LBB229_226:
	s_cbranch_execnz .LBB229_229
.LBB229_227:
	v_mul_hi_u32 v0, s29, v19
	s_andn2_b64 vcc, exec, s[46:47]
	v_add_u32_e32 v0, v19, v0
	v_lshrrev_b32_e32 v1, s30, v0
	v_mul_lo_u32 v0, v1, s28
	v_sub_u32_e32 v2, v19, v0
	v_mul_lo_u32 v0, v2, s36
	v_mul_lo_u32 v2, v2, s37
	s_cbranch_vccnz .LBB229_229
; %bb.228:
	v_mul_hi_u32 v3, s44, v1
	v_add_u32_e32 v3, v1, v3
	v_lshrrev_b32_e32 v3, s45, v3
	v_mul_lo_u32 v3, v3, s31
	v_sub_u32_e32 v3, v1, v3
	v_mad_u64_u32 v[0:1], s[8:9], v3, s38, v[0:1]
	v_mad_u64_u32 v[2:3], s[8:9], v3, s39, v[2:3]
.LBB229_229:
	global_load_ushort v1, v2, s[26:27]
	v_add_u32_e32 v19, 0x80, v19
	s_waitcnt vmcnt(0)
	v_ashrrev_i16_e32 v2, 15, v1
	v_ashrrev_i32_sdwa v1, s59, sext(v1) dst_sel:DWORD dst_unused:UNUSED_PAD src0_sel:DWORD src1_sel:WORD_0
	v_cndmask_b32_e64 v1, v1, v2, s[0:1]
	global_store_short v0, v1, s[24:25]
	s_or_b64 exec, exec, s[52:53]
	v_cmp_gt_i32_e32 vcc, s60, v19
	s_and_saveexec_b64 s[52:53], vcc
	s_cbranch_execz .LBB229_220
.LBB229_230:
	s_andn2_b64 vcc, exec, s[2:3]
	s_cbranch_vccnz .LBB229_235
; %bb.231:
	s_andn2_b64 vcc, exec, s[50:51]
	s_cbranch_vccnz .LBB229_236
; %bb.232:
	s_add_i32 s61, s61, 1
	s_cmp_eq_u32 s58, 2
	s_cbranch_scc1 .LBB229_237
; %bb.233:
	s_and_b32 s54, s61, 28
	v_mov_b32_e32 v2, 0
	s_mov_b32 s55, 0
	s_mov_b64 s[50:51], s[34:35]
	v_mov_b32_e32 v0, 0
	v_mov_b32_e32 v1, v19
.LBB229_234:                            ; =>This Inner Loop Header: Depth=1
	s_load_dwordx8 s[16:23], s[50:51], 0x4
	s_load_dwordx4 s[40:43], s[50:51], 0x24
	s_load_dwordx8 s[8:15], s[48:49], 0x0
	s_add_u32 s50, s50, 48
	s_addc_u32 s51, s51, 0
	s_waitcnt lgkmcnt(0)
	v_mul_hi_u32 v3, s17, v1
	s_add_i32 s55, s55, 4
	s_add_u32 s48, s48, 32
	s_addc_u32 s49, s49, 0
	v_add_u32_e32 v3, v1, v3
	v_lshrrev_b32_e32 v3, s18, v3
	v_mul_lo_u32 v4, v3, s16
	v_mul_hi_u32 v5, s20, v3
	s_cmp_eq_u32 s54, s55
	v_sub_u32_e32 v1, v1, v4
	v_add_u32_e32 v4, v3, v5
	v_mul_lo_u32 v5, v1, s8
	v_mul_lo_u32 v6, v1, s9
	v_lshrrev_b32_e32 v1, s21, v4
	v_mul_lo_u32 v4, v1, s19
	v_mul_hi_u32 v7, s23, v1
	v_sub_u32_e32 v3, v3, v4
	v_add_u32_e32 v4, v1, v7
	v_lshrrev_b32_e32 v4, s40, v4
	v_mul_hi_u32 v8, s42, v4
	v_mul_lo_u32 v9, v4, s22
	v_mul_lo_u32 v7, v3, s10
	;; [unrolled: 1-line block ×3, first 2 shown]
	v_sub_u32_e32 v9, v1, v9
	v_add_u32_e32 v1, v4, v8
	v_lshrrev_b32_e32 v1, s43, v1
	v_mul_lo_u32 v8, v1, s41
	v_mul_lo_u32 v10, v9, s12
	;; [unrolled: 1-line block ×3, first 2 shown]
	v_add3_u32 v0, v5, v0, v7
	v_sub_u32_e32 v4, v4, v8
	v_mul_lo_u32 v8, v4, s14
	v_mul_lo_u32 v4, v4, s15
	v_add3_u32 v2, v6, v2, v3
	v_add3_u32 v0, v10, v0, v8
	;; [unrolled: 1-line block ×3, first 2 shown]
	s_cbranch_scc0 .LBB229_234
	s_branch .LBB229_238
.LBB229_235:
                                        ; implicit-def: $vgpr0
                                        ; implicit-def: $vgpr2
	s_branch .LBB229_242
.LBB229_236:
	v_mov_b32_e32 v0, 0
	v_mov_b32_e32 v2, 0
	s_branch .LBB229_241
.LBB229_237:
	s_mov_b32 s54, 0
	v_mov_b32_e32 v0, 0
	v_mov_b32_e32 v2, 0
	;; [unrolled: 1-line block ×3, first 2 shown]
.LBB229_238:
	s_and_b32 s12, s61, 3
	s_cmp_eq_u32 s12, 0
	s_cbranch_scc1 .LBB229_241
; %bb.239:
	s_lshl_b32 s8, s54, 3
	s_add_u32 s8, s34, s8
	s_addc_u32 s9, s35, 0
	s_add_u32 s8, s8, 0xc4
	s_addc_u32 s9, s9, 0
	s_mul_i32 s10, s54, 12
	s_add_u32 s10, s34, s10
	s_addc_u32 s11, s35, 0
.LBB229_240:                            ; =>This Inner Loop Header: Depth=1
	s_load_dwordx2 s[14:15], s[10:11], 0x4
	s_load_dword s13, s[10:11], 0xc
	s_load_dwordx2 s[16:17], s[8:9], 0x0
	s_add_u32 s10, s10, 12
	s_addc_u32 s11, s11, 0
	s_waitcnt lgkmcnt(0)
	v_mul_hi_u32 v3, s15, v1
	s_add_u32 s8, s8, 8
	s_addc_u32 s9, s9, 0
	s_add_i32 s12, s12, -1
	v_add_u32_e32 v3, v1, v3
	v_lshrrev_b32_e32 v4, s13, v3
	v_mul_lo_u32 v3, v4, s14
	s_cmp_lg_u32 s12, 0
	v_sub_u32_e32 v3, v1, v3
	v_mad_u64_u32 v[0:1], s[14:15], v3, s16, v[0:1]
	v_mad_u64_u32 v[2:3], s[14:15], v3, s17, v[2:3]
	v_mov_b32_e32 v1, v4
	s_cbranch_scc1 .LBB229_240
.LBB229_241:
	s_cbranch_execnz .LBB229_244
.LBB229_242:
	v_mul_hi_u32 v0, s29, v19
	s_andn2_b64 vcc, exec, s[46:47]
	v_add_u32_e32 v0, v19, v0
	v_lshrrev_b32_e32 v1, s30, v0
	v_mul_lo_u32 v0, v1, s28
	v_sub_u32_e32 v2, v19, v0
	v_mul_lo_u32 v0, v2, s36
	v_mul_lo_u32 v2, v2, s37
	s_cbranch_vccnz .LBB229_244
; %bb.243:
	v_mul_hi_u32 v3, s44, v1
	v_add_u32_e32 v3, v1, v3
	v_lshrrev_b32_e32 v3, s45, v3
	v_mul_lo_u32 v3, v3, s31
	v_sub_u32_e32 v3, v1, v3
	v_mad_u64_u32 v[0:1], s[8:9], v3, s38, v[0:1]
	v_mad_u64_u32 v[2:3], s[8:9], v3, s39, v[2:3]
.LBB229_244:
	global_load_ushort v1, v2, s[26:27]
	s_waitcnt vmcnt(0)
	v_ashrrev_i16_e32 v2, 15, v1
	v_ashrrev_i32_sdwa v1, s59, sext(v1) dst_sel:DWORD dst_unused:UNUSED_PAD src0_sel:DWORD src1_sel:WORD_0
	v_cndmask_b32_e64 v1, v1, v2, s[0:1]
	global_store_short v0, v1, s[24:25]
	s_or_b64 exec, exec, s[52:53]
                                        ; implicit-def: $vgpr25
                                        ; implicit-def: $vgpr19
	s_andn2_saveexec_b64 s[0:1], s[6:7]
	s_cbranch_execz .LBB229_221
	s_branch .LBB229_8
	.section	.rodata,"a",@progbits
	.p2align	6, 0x0
	.amdhsa_kernel _ZN2at6native32elementwise_kernel_manual_unrollILi128ELi8EZNS0_22gpu_kernel_impl_nocastINS0_13BUnaryFunctorIsssZZZNS0_18rshift_kernel_cudaERNS_18TensorIteratorBaseEENKUlvE_clEvENKUlvE3_clEvEUlssE_EEEEvS5_RKT_EUlibE_EEviT1_
		.amdhsa_group_segment_fixed_size 0
		.amdhsa_private_segment_fixed_size 0
		.amdhsa_kernarg_size 360
		.amdhsa_user_sgpr_count 6
		.amdhsa_user_sgpr_private_segment_buffer 1
		.amdhsa_user_sgpr_dispatch_ptr 0
		.amdhsa_user_sgpr_queue_ptr 0
		.amdhsa_user_sgpr_kernarg_segment_ptr 1
		.amdhsa_user_sgpr_dispatch_id 0
		.amdhsa_user_sgpr_flat_scratch_init 0
		.amdhsa_user_sgpr_private_segment_size 0
		.amdhsa_uses_dynamic_stack 0
		.amdhsa_system_sgpr_private_segment_wavefront_offset 0
		.amdhsa_system_sgpr_workgroup_id_x 1
		.amdhsa_system_sgpr_workgroup_id_y 0
		.amdhsa_system_sgpr_workgroup_id_z 0
		.amdhsa_system_sgpr_workgroup_info 0
		.amdhsa_system_vgpr_workitem_id 0
		.amdhsa_next_free_vgpr 26
		.amdhsa_next_free_sgpr 65
		.amdhsa_reserve_vcc 1
		.amdhsa_reserve_flat_scratch 0
		.amdhsa_float_round_mode_32 0
		.amdhsa_float_round_mode_16_64 0
		.amdhsa_float_denorm_mode_32 3
		.amdhsa_float_denorm_mode_16_64 3
		.amdhsa_dx10_clamp 1
		.amdhsa_ieee_mode 1
		.amdhsa_fp16_overflow 0
		.amdhsa_exception_fp_ieee_invalid_op 0
		.amdhsa_exception_fp_denorm_src 0
		.amdhsa_exception_fp_ieee_div_zero 0
		.amdhsa_exception_fp_ieee_overflow 0
		.amdhsa_exception_fp_ieee_underflow 0
		.amdhsa_exception_fp_ieee_inexact 0
		.amdhsa_exception_int_div_zero 0
	.end_amdhsa_kernel
	.section	.text._ZN2at6native32elementwise_kernel_manual_unrollILi128ELi8EZNS0_22gpu_kernel_impl_nocastINS0_13BUnaryFunctorIsssZZZNS0_18rshift_kernel_cudaERNS_18TensorIteratorBaseEENKUlvE_clEvENKUlvE3_clEvEUlssE_EEEEvS5_RKT_EUlibE_EEviT1_,"axG",@progbits,_ZN2at6native32elementwise_kernel_manual_unrollILi128ELi8EZNS0_22gpu_kernel_impl_nocastINS0_13BUnaryFunctorIsssZZZNS0_18rshift_kernel_cudaERNS_18TensorIteratorBaseEENKUlvE_clEvENKUlvE3_clEvEUlssE_EEEEvS5_RKT_EUlibE_EEviT1_,comdat
.Lfunc_end229:
	.size	_ZN2at6native32elementwise_kernel_manual_unrollILi128ELi8EZNS0_22gpu_kernel_impl_nocastINS0_13BUnaryFunctorIsssZZZNS0_18rshift_kernel_cudaERNS_18TensorIteratorBaseEENKUlvE_clEvENKUlvE3_clEvEUlssE_EEEEvS5_RKT_EUlibE_EEviT1_, .Lfunc_end229-_ZN2at6native32elementwise_kernel_manual_unrollILi128ELi8EZNS0_22gpu_kernel_impl_nocastINS0_13BUnaryFunctorIsssZZZNS0_18rshift_kernel_cudaERNS_18TensorIteratorBaseEENKUlvE_clEvENKUlvE3_clEvEUlssE_EEEEvS5_RKT_EUlibE_EEviT1_
                                        ; -- End function
	.set _ZN2at6native32elementwise_kernel_manual_unrollILi128ELi8EZNS0_22gpu_kernel_impl_nocastINS0_13BUnaryFunctorIsssZZZNS0_18rshift_kernel_cudaERNS_18TensorIteratorBaseEENKUlvE_clEvENKUlvE3_clEvEUlssE_EEEEvS5_RKT_EUlibE_EEviT1_.num_vgpr, 26
	.set _ZN2at6native32elementwise_kernel_manual_unrollILi128ELi8EZNS0_22gpu_kernel_impl_nocastINS0_13BUnaryFunctorIsssZZZNS0_18rshift_kernel_cudaERNS_18TensorIteratorBaseEENKUlvE_clEvENKUlvE3_clEvEUlssE_EEEEvS5_RKT_EUlibE_EEviT1_.num_agpr, 0
	.set _ZN2at6native32elementwise_kernel_manual_unrollILi128ELi8EZNS0_22gpu_kernel_impl_nocastINS0_13BUnaryFunctorIsssZZZNS0_18rshift_kernel_cudaERNS_18TensorIteratorBaseEENKUlvE_clEvENKUlvE3_clEvEUlssE_EEEEvS5_RKT_EUlibE_EEviT1_.numbered_sgpr, 65
	.set _ZN2at6native32elementwise_kernel_manual_unrollILi128ELi8EZNS0_22gpu_kernel_impl_nocastINS0_13BUnaryFunctorIsssZZZNS0_18rshift_kernel_cudaERNS_18TensorIteratorBaseEENKUlvE_clEvENKUlvE3_clEvEUlssE_EEEEvS5_RKT_EUlibE_EEviT1_.num_named_barrier, 0
	.set _ZN2at6native32elementwise_kernel_manual_unrollILi128ELi8EZNS0_22gpu_kernel_impl_nocastINS0_13BUnaryFunctorIsssZZZNS0_18rshift_kernel_cudaERNS_18TensorIteratorBaseEENKUlvE_clEvENKUlvE3_clEvEUlssE_EEEEvS5_RKT_EUlibE_EEviT1_.private_seg_size, 0
	.set _ZN2at6native32elementwise_kernel_manual_unrollILi128ELi8EZNS0_22gpu_kernel_impl_nocastINS0_13BUnaryFunctorIsssZZZNS0_18rshift_kernel_cudaERNS_18TensorIteratorBaseEENKUlvE_clEvENKUlvE3_clEvEUlssE_EEEEvS5_RKT_EUlibE_EEviT1_.uses_vcc, 1
	.set _ZN2at6native32elementwise_kernel_manual_unrollILi128ELi8EZNS0_22gpu_kernel_impl_nocastINS0_13BUnaryFunctorIsssZZZNS0_18rshift_kernel_cudaERNS_18TensorIteratorBaseEENKUlvE_clEvENKUlvE3_clEvEUlssE_EEEEvS5_RKT_EUlibE_EEviT1_.uses_flat_scratch, 0
	.set _ZN2at6native32elementwise_kernel_manual_unrollILi128ELi8EZNS0_22gpu_kernel_impl_nocastINS0_13BUnaryFunctorIsssZZZNS0_18rshift_kernel_cudaERNS_18TensorIteratorBaseEENKUlvE_clEvENKUlvE3_clEvEUlssE_EEEEvS5_RKT_EUlibE_EEviT1_.has_dyn_sized_stack, 0
	.set _ZN2at6native32elementwise_kernel_manual_unrollILi128ELi8EZNS0_22gpu_kernel_impl_nocastINS0_13BUnaryFunctorIsssZZZNS0_18rshift_kernel_cudaERNS_18TensorIteratorBaseEENKUlvE_clEvENKUlvE3_clEvEUlssE_EEEEvS5_RKT_EUlibE_EEviT1_.has_recursion, 0
	.set _ZN2at6native32elementwise_kernel_manual_unrollILi128ELi8EZNS0_22gpu_kernel_impl_nocastINS0_13BUnaryFunctorIsssZZZNS0_18rshift_kernel_cudaERNS_18TensorIteratorBaseEENKUlvE_clEvENKUlvE3_clEvEUlssE_EEEEvS5_RKT_EUlibE_EEviT1_.has_indirect_call, 0
	.section	.AMDGPU.csdata,"",@progbits
; Kernel info:
; codeLenInByte = 11436
; TotalNumSgprs: 69
; NumVgprs: 26
; ScratchSize: 0
; MemoryBound: 0
; FloatMode: 240
; IeeeMode: 1
; LDSByteSize: 0 bytes/workgroup (compile time only)
; SGPRBlocks: 8
; VGPRBlocks: 6
; NumSGPRsForWavesPerEU: 69
; NumVGPRsForWavesPerEU: 26
; Occupancy: 9
; WaveLimiterHint : 1
; COMPUTE_PGM_RSRC2:SCRATCH_EN: 0
; COMPUTE_PGM_RSRC2:USER_SGPR: 6
; COMPUTE_PGM_RSRC2:TRAP_HANDLER: 0
; COMPUTE_PGM_RSRC2:TGID_X_EN: 1
; COMPUTE_PGM_RSRC2:TGID_Y_EN: 0
; COMPUTE_PGM_RSRC2:TGID_Z_EN: 0
; COMPUTE_PGM_RSRC2:TIDIG_COMP_CNT: 0
	.section	.text._ZN2at6native32elementwise_kernel_manual_unrollILi128ELi4EZNS0_15gpu_kernel_implINS0_13BUnaryFunctorIsssZZZNS0_18rshift_kernel_cudaERNS_18TensorIteratorBaseEENKUlvE_clEvENKUlvE3_clEvEUlssE_EEEEvS5_RKT_EUlibE_EEviT1_,"axG",@progbits,_ZN2at6native32elementwise_kernel_manual_unrollILi128ELi4EZNS0_15gpu_kernel_implINS0_13BUnaryFunctorIsssZZZNS0_18rshift_kernel_cudaERNS_18TensorIteratorBaseEENKUlvE_clEvENKUlvE3_clEvEUlssE_EEEEvS5_RKT_EUlibE_EEviT1_,comdat
	.globl	_ZN2at6native32elementwise_kernel_manual_unrollILi128ELi4EZNS0_15gpu_kernel_implINS0_13BUnaryFunctorIsssZZZNS0_18rshift_kernel_cudaERNS_18TensorIteratorBaseEENKUlvE_clEvENKUlvE3_clEvEUlssE_EEEEvS5_RKT_EUlibE_EEviT1_ ; -- Begin function _ZN2at6native32elementwise_kernel_manual_unrollILi128ELi4EZNS0_15gpu_kernel_implINS0_13BUnaryFunctorIsssZZZNS0_18rshift_kernel_cudaERNS_18TensorIteratorBaseEENKUlvE_clEvENKUlvE3_clEvEUlssE_EEEEvS5_RKT_EUlibE_EEviT1_
	.p2align	8
	.type	_ZN2at6native32elementwise_kernel_manual_unrollILi128ELi4EZNS0_15gpu_kernel_implINS0_13BUnaryFunctorIsssZZZNS0_18rshift_kernel_cudaERNS_18TensorIteratorBaseEENKUlvE_clEvENKUlvE3_clEvEUlssE_EEEEvS5_RKT_EUlibE_EEviT1_,@function
_ZN2at6native32elementwise_kernel_manual_unrollILi128ELi4EZNS0_15gpu_kernel_implINS0_13BUnaryFunctorIsssZZZNS0_18rshift_kernel_cudaERNS_18TensorIteratorBaseEENKUlvE_clEvENKUlvE3_clEvEUlssE_EEEEvS5_RKT_EUlibE_EEviT1_: ; @_ZN2at6native32elementwise_kernel_manual_unrollILi128ELi4EZNS0_15gpu_kernel_implINS0_13BUnaryFunctorIsssZZZNS0_18rshift_kernel_cudaERNS_18TensorIteratorBaseEENKUlvE_clEvENKUlvE3_clEvEUlssE_EEEEvS5_RKT_EUlibE_EEviT1_
; %bb.0:
	s_load_dwordx8 s[8:15], s[4:5], 0x8
	s_load_dword s42, s[4:5], 0x0
	v_lshl_or_b32 v9, s6, 9, v0
	v_or_b32_e32 v0, 0x180, v9
	s_mov_b64 s[4:5], 0
	s_waitcnt lgkmcnt(0)
	s_lshr_b32 s14, s14, 16
	s_bfe_u32 s33, s15, 0x80008
	v_cmp_le_i32_e32 vcc, s42, v0
	s_mov_b64 s[16:17], 0
	s_and_saveexec_b64 s[0:1], vcc
	s_xor_b64 s[6:7], exec, s[0:1]
	s_cbranch_execz .LBB230_1011
; %bb.1:
	s_and_b32 s46, 0xffff, s14
	s_cmp_gt_u32 s46, 14
	s_cselect_b64 s[0:1], -1, 0
	v_cmp_gt_i32_e32 vcc, s42, v9
	s_mov_b64 s[2:3], -1
	s_mov_b64 s[24:25], 0
	s_mov_b64 s[18:19], 0
	s_and_saveexec_b64 s[20:21], vcc
	s_cbranch_execz .LBB230_248
; %bb.2:
	v_mul_lo_u32 v0, v9, s13
	v_mov_b32_e32 v1, s11
	s_and_b32 s22, 0xffff, s33
	s_cmp_lt_i32 s22, 11
	v_ashrrev_i32_e32 v2, 31, v0
	v_add_co_u32_e32 v0, vcc, s10, v0
	v_addc_co_u32_e32 v1, vcc, v1, v2, vcc
	s_cbranch_scc1 .LBB230_9
; %bb.3:
	s_cmp_gt_i32 s22, 25
	s_cbranch_scc0 .LBB230_18
; %bb.4:
	s_cmp_gt_i32 s22, 28
	s_cbranch_scc0 .LBB230_22
	;; [unrolled: 3-line block ×4, first 2 shown]
; %bb.7:
	s_cmp_eq_u32 s22, 46
	s_cbranch_scc0 .LBB230_28
; %bb.8:
	global_load_dword v2, v[0:1], off
	s_waitcnt vmcnt(0)
	v_lshlrev_b32_e32 v2, 16, v2
	v_cvt_i32_f32_e32 v2, v2
	s_branch .LBB230_30
.LBB230_9:
                                        ; implicit-def: $vgpr2
	s_mov_b64 s[2:3], 0
	s_cbranch_execnz .LBB230_199
.LBB230_10:
	s_andn2_b64 vcc, exec, s[2:3]
	s_cbranch_vccnz .LBB230_246
.LBB230_11:
	v_mul_lo_u32 v0, v9, s12
	s_waitcnt vmcnt(0)
	v_ashrrev_i16_e32 v1, 15, v2
	v_ashrrev_i32_sdwa v2, s46, sext(v2) dst_sel:DWORD dst_unused:UNUSED_PAD src0_sel:DWORD src1_sel:WORD_0
	v_cndmask_b32_e64 v4, v2, v1, s[0:1]
	v_ashrrev_i32_e32 v1, 31, v0
	v_mov_b32_e32 v2, s9
	s_and_b32 s28, s15, 0xff
	v_add_co_u32_e32 v0, vcc, s8, v0
	s_cmp_lt_i32 s28, 11
	v_addc_co_u32_e32 v1, vcc, v2, v1, vcc
	s_cbranch_scc1 .LBB230_19
; %bb.12:
	s_and_b32 s29, 0xffff, s28
	s_cmp_gt_i32 s29, 25
	s_cbranch_scc0 .LBB230_23
; %bb.13:
	s_cmp_gt_i32 s29, 28
	s_cbranch_scc0 .LBB230_25
; %bb.14:
	;; [unrolled: 3-line block ×4, first 2 shown]
	s_mov_b64 s[22:23], 0
	s_mov_b64 s[2:3], -1
	s_cmp_eq_u32 s29, 46
	s_mov_b64 s[16:17], 0
	s_cbranch_scc0 .LBB230_34
; %bb.17:
	v_cvt_f32_i32_sdwa v2, sext(v4) dst_sel:DWORD dst_unused:UNUSED_PAD src0_sel:WORD_0
	s_movk_i32 s2, 0x7fff
	s_mov_b64 s[16:17], -1
	v_bfe_u32 v3, v2, 16, 1
	v_add3_u32 v2, v2, v3, s2
	v_lshrrev_b32_e32 v2, 16, v2
	global_store_dword v[0:1], v2, off
	s_mov_b64 s[2:3], 0
	s_branch .LBB230_34
.LBB230_18:
	s_mov_b64 s[2:3], 0
                                        ; implicit-def: $vgpr2
	s_cbranch_execnz .LBB230_166
	s_branch .LBB230_198
.LBB230_19:
	s_mov_b64 s[2:3], 0
	s_mov_b64 s[16:17], 0
	s_cbranch_execnz .LBB230_103
.LBB230_20:
	s_andn2_b64 vcc, exec, s[16:17]
	s_cbranch_vccnz .LBB230_141
.LBB230_21:
	v_add_u32_e32 v9, 0x80, v9
	s_mov_b64 s[22:23], -1
	s_branch .LBB230_247
.LBB230_22:
	s_mov_b64 s[16:17], -1
	s_mov_b64 s[2:3], 0
                                        ; implicit-def: $vgpr2
	s_branch .LBB230_149
.LBB230_23:
	s_mov_b64 s[22:23], -1
	s_mov_b64 s[2:3], 0
	s_mov_b64 s[16:17], 0
	s_branch .LBB230_61
.LBB230_24:
	s_mov_b64 s[16:17], -1
	s_mov_b64 s[2:3], 0
                                        ; implicit-def: $vgpr2
	s_branch .LBB230_144
.LBB230_25:
	s_mov_b64 s[22:23], -1
	s_mov_b64 s[2:3], 0
	s_mov_b64 s[16:17], 0
	s_branch .LBB230_44
.LBB230_26:
	s_mov_b64 s[16:17], -1
	s_branch .LBB230_29
.LBB230_27:
	s_mov_b64 s[22:23], -1
	s_mov_b64 s[2:3], 0
	s_mov_b64 s[16:17], 0
	s_branch .LBB230_40
.LBB230_28:
	s_mov_b64 s[18:19], -1
.LBB230_29:
	s_mov_b64 s[2:3], 0
                                        ; implicit-def: $vgpr2
.LBB230_30:
	s_and_b64 vcc, exec, s[16:17]
	s_cbranch_vccz .LBB230_143
; %bb.31:
	s_cmp_eq_u32 s22, 44
	s_cbranch_scc0 .LBB230_142
; %bb.32:
	global_load_ubyte v2, v[0:1], off
	s_mov_b64 s[2:3], -1
	s_mov_b64 s[18:19], 0
	s_waitcnt vmcnt(0)
	v_lshlrev_b32_e32 v3, 23, v2
	v_cvt_i32_f32_e32 v3, v3
	v_cmp_ne_u32_e32 vcc, 0, v2
	v_cndmask_b32_e32 v2, 0, v3, vcc
	s_branch .LBB230_143
.LBB230_33:
	s_mov_b64 s[22:23], -1
	s_mov_b64 s[2:3], 0
	s_mov_b64 s[16:17], 0
.LBB230_34:
	s_and_b64 vcc, exec, s[22:23]
	s_cbranch_vccz .LBB230_39
; %bb.35:
	s_cmp_eq_u32 s29, 44
	s_mov_b64 s[2:3], -1
	s_cbranch_scc0 .LBB230_39
; %bb.36:
	v_cvt_f32_i32_sdwa v2, sext(v4) dst_sel:DWORD dst_unused:UNUSED_PAD src0_sel:WORD_0
	s_movk_i32 s2, 0xff
	v_mov_b32_e32 v5, 0xff
	v_bfe_u32 v3, v2, 23, 8
	v_cmp_ne_u32_e32 vcc, s2, v3
	s_and_saveexec_b64 s[16:17], vcc
; %bb.37:
	s_mov_b32 s2, 0x3fffff
	v_lshrrev_b32_e32 v5, 23, v2
	v_and_b32_e32 v6, 0x400000, v2
	v_and_or_b32 v2, v2, s2, v3
	v_cmp_ne_u32_e32 vcc, 0, v6
	v_cmp_ne_u32_e64 s[2:3], 0, v2
	s_and_b64 s[2:3], vcc, s[2:3]
	v_cndmask_b32_e64 v2, 0, 1, s[2:3]
	v_add_u32_e32 v5, v5, v2
; %bb.38:
	s_or_b64 exec, exec, s[16:17]
	s_mov_b64 s[16:17], -1
	s_mov_b64 s[2:3], 0
	global_store_byte v[0:1], v5, off
.LBB230_39:
	s_mov_b64 s[22:23], 0
.LBB230_40:
	s_and_b64 vcc, exec, s[22:23]
	s_cbranch_vccz .LBB230_43
; %bb.41:
	s_cmp_eq_u32 s29, 29
	s_mov_b64 s[2:3], -1
	s_cbranch_scc0 .LBB230_43
; %bb.42:
	v_bfe_i32 v2, v4, 0, 16
	v_ashrrev_i32_e32 v3, 31, v2
	global_store_dwordx2 v[0:1], v[2:3], off
	s_mov_b64 s[16:17], -1
	s_mov_b64 s[2:3], 0
.LBB230_43:
	s_mov_b64 s[22:23], 0
.LBB230_44:
	s_and_b64 vcc, exec, s[22:23]
	s_cbranch_vccz .LBB230_60
; %bb.45:
	s_cmp_lt_i32 s29, 27
	s_mov_b64 s[16:17], -1
	s_cbranch_scc1 .LBB230_51
; %bb.46:
	s_cmp_gt_i32 s29, 27
	s_cbranch_scc0 .LBB230_48
; %bb.47:
	v_bfe_i32 v2, v4, 0, 16
	s_mov_b64 s[16:17], 0
	global_store_dword v[0:1], v2, off
.LBB230_48:
	s_andn2_b64 vcc, exec, s[16:17]
	s_cbranch_vccnz .LBB230_50
; %bb.49:
	global_store_short v[0:1], v4, off
.LBB230_50:
	s_mov_b64 s[16:17], 0
.LBB230_51:
	s_andn2_b64 vcc, exec, s[16:17]
	s_cbranch_vccnz .LBB230_59
; %bb.52:
	v_cvt_f32_i32_sdwa v2, sext(v4) dst_sel:DWORD dst_unused:UNUSED_PAD src0_sel:WORD_0
	s_mov_b32 s16, 0x43800000
	v_mov_b32_e32 v5, 0x80
	v_and_b32_e32 v3, 0x7fffffff, v2
	v_cmp_gt_u32_e32 vcc, s16, v3
	s_and_saveexec_b64 s[16:17], vcc
	s_cbranch_execz .LBB230_58
; %bb.53:
	s_mov_b32 s22, 0x3bffffff
	v_cmp_lt_u32_e32 vcc, s22, v3
	s_mov_b64 s[22:23], 0
                                        ; implicit-def: $vgpr3
	s_and_saveexec_b64 s[26:27], vcc
	s_xor_b64 s[26:27], exec, s[26:27]
	s_cbranch_execz .LBB230_275
; %bb.54:
	v_bfe_u32 v3, v2, 20, 1
	s_mov_b32 s30, 0x487ffff
	v_add3_u32 v3, v2, v3, s30
	s_mov_b64 s[22:23], exec
	v_lshrrev_b32_e32 v3, 20, v3
	s_andn2_saveexec_b64 s[26:27], s[26:27]
	s_cbranch_execnz .LBB230_276
.LBB230_55:
	s_or_b64 exec, exec, s[26:27]
	v_mov_b32_e32 v5, 0
	s_and_saveexec_b64 s[26:27], s[22:23]
.LBB230_56:
	v_lshrrev_b32_e32 v2, 24, v2
	s_movk_i32 s22, 0x80
	v_and_or_b32 v5, v2, s22, v3
.LBB230_57:
	s_or_b64 exec, exec, s[26:27]
.LBB230_58:
	s_or_b64 exec, exec, s[16:17]
	global_store_byte v[0:1], v5, off
.LBB230_59:
	s_mov_b64 s[16:17], -1
.LBB230_60:
	s_mov_b64 s[22:23], 0
.LBB230_61:
	s_and_b64 vcc, exec, s[22:23]
	s_cbranch_vccz .LBB230_102
; %bb.62:
	s_cmp_gt_i32 s29, 22
	s_mov_b64 s[22:23], -1
	s_cbranch_scc0 .LBB230_94
; %bb.63:
	s_cmp_lt_i32 s29, 24
	s_mov_b64 s[16:17], -1
	s_cbranch_scc1 .LBB230_83
; %bb.64:
	s_cmp_gt_i32 s29, 24
	s_cbranch_scc0 .LBB230_72
; %bb.65:
	v_cvt_f32_i32_sdwa v2, sext(v4) dst_sel:DWORD dst_unused:UNUSED_PAD src0_sel:WORD_0
	s_mov_b32 s16, 0x47800000
	v_mov_b32_e32 v5, 0x80
	v_and_b32_e32 v3, 0x7fffffff, v2
	v_cmp_gt_u32_e32 vcc, s16, v3
	s_and_saveexec_b64 s[16:17], vcc
	s_cbranch_execz .LBB230_71
; %bb.66:
	s_mov_b32 s22, 0x37ffffff
	v_cmp_lt_u32_e32 vcc, s22, v3
	s_mov_b64 s[22:23], 0
                                        ; implicit-def: $vgpr3
	s_and_saveexec_b64 s[26:27], vcc
	s_xor_b64 s[26:27], exec, s[26:27]
	s_cbranch_execz .LBB230_279
; %bb.67:
	v_bfe_u32 v3, v2, 21, 1
	s_mov_b32 s30, 0x88fffff
	v_add3_u32 v3, v2, v3, s30
	s_mov_b64 s[22:23], exec
	v_lshrrev_b32_e32 v3, 21, v3
	s_andn2_saveexec_b64 s[26:27], s[26:27]
	s_cbranch_execnz .LBB230_280
.LBB230_68:
	s_or_b64 exec, exec, s[26:27]
	v_mov_b32_e32 v5, 0
	s_and_saveexec_b64 s[26:27], s[22:23]
.LBB230_69:
	v_lshrrev_b32_e32 v2, 24, v2
	s_movk_i32 s22, 0x80
	v_and_or_b32 v5, v2, s22, v3
.LBB230_70:
	s_or_b64 exec, exec, s[26:27]
.LBB230_71:
	s_or_b64 exec, exec, s[16:17]
	s_mov_b64 s[16:17], 0
	global_store_byte v[0:1], v5, off
.LBB230_72:
	s_and_b64 vcc, exec, s[16:17]
	s_cbranch_vccz .LBB230_82
; %bb.73:
	v_cvt_f32_i32_sdwa v2, sext(v4) dst_sel:DWORD dst_unused:UNUSED_PAD src0_sel:WORD_0
	s_mov_b32 s16, 0x43f00000
                                        ; implicit-def: $vgpr3
	v_and_b32_e32 v5, 0x7fffffff, v2
	v_cmp_gt_u32_e32 vcc, s16, v5
	s_and_saveexec_b64 s[16:17], vcc
	s_xor_b64 s[16:17], exec, s[16:17]
	s_cbranch_execz .LBB230_79
; %bb.74:
	s_mov_b32 s22, 0x3c7fffff
	v_cmp_lt_u32_e32 vcc, s22, v5
                                        ; implicit-def: $vgpr3
	s_and_saveexec_b64 s[22:23], vcc
	s_xor_b64 s[22:23], exec, s[22:23]
; %bb.75:
	v_bfe_u32 v3, v2, 20, 1
	s_mov_b32 s26, 0x407ffff
	v_add3_u32 v3, v2, v3, s26
	v_lshrrev_b32_e32 v5, 20, v3
	v_and_b32_e32 v3, 0xff00000, v3
	s_mov_b32 s26, 0x7f00000
	v_mov_b32_e32 v6, 0x7e
	v_cmp_ne_u32_e32 vcc, s26, v3
	v_cndmask_b32_e32 v3, v6, v5, vcc
; %bb.76:
	s_andn2_saveexec_b64 s[22:23], s[22:23]
; %bb.77:
	s_mov_b32 s26, 0x46800000
	v_add_f32_e64 v3, |v2|, s26
; %bb.78:
	s_or_b64 exec, exec, s[22:23]
                                        ; implicit-def: $vgpr5
.LBB230_79:
	s_andn2_saveexec_b64 s[16:17], s[16:17]
; %bb.80:
	s_mov_b32 s22, 0x7f800000
	v_mov_b32_e32 v3, 0x7e
	v_mov_b32_e32 v6, 0x7f
	v_cmp_lt_u32_e32 vcc, s22, v5
	v_cndmask_b32_e32 v3, v3, v6, vcc
; %bb.81:
	s_or_b64 exec, exec, s[16:17]
	v_lshrrev_b32_e32 v2, 24, v2
	s_movk_i32 s16, 0x80
	v_and_or_b32 v2, v2, s16, v3
	global_store_byte v[0:1], v2, off
.LBB230_82:
	s_mov_b64 s[16:17], 0
.LBB230_83:
	s_andn2_b64 vcc, exec, s[16:17]
	s_cbranch_vccnz .LBB230_93
; %bb.84:
	v_cvt_f32_i32_sdwa v2, sext(v4) dst_sel:DWORD dst_unused:UNUSED_PAD src0_sel:WORD_0
	s_mov_b32 s16, 0x47800000
                                        ; implicit-def: $vgpr3
	v_and_b32_e32 v5, 0x7fffffff, v2
	v_cmp_gt_u32_e32 vcc, s16, v5
	s_and_saveexec_b64 s[16:17], vcc
	s_xor_b64 s[16:17], exec, s[16:17]
	s_cbranch_execz .LBB230_90
; %bb.85:
	s_mov_b32 s22, 0x387fffff
	v_cmp_lt_u32_e32 vcc, s22, v5
                                        ; implicit-def: $vgpr3
	s_and_saveexec_b64 s[22:23], vcc
	s_xor_b64 s[22:23], exec, s[22:23]
; %bb.86:
	v_bfe_u32 v3, v2, 21, 1
	s_mov_b32 s26, 0x80fffff
	v_add3_u32 v3, v2, v3, s26
	v_lshrrev_b32_e32 v3, 21, v3
; %bb.87:
	s_andn2_saveexec_b64 s[22:23], s[22:23]
; %bb.88:
	s_mov_b32 s26, 0x43000000
	v_add_f32_e64 v3, |v2|, s26
; %bb.89:
	s_or_b64 exec, exec, s[22:23]
                                        ; implicit-def: $vgpr5
.LBB230_90:
	s_andn2_saveexec_b64 s[16:17], s[16:17]
; %bb.91:
	s_mov_b32 s22, 0x7f800000
	v_mov_b32_e32 v3, 0x7c
	v_mov_b32_e32 v6, 0x7f
	v_cmp_lt_u32_e32 vcc, s22, v5
	v_cndmask_b32_e32 v3, v3, v6, vcc
; %bb.92:
	s_or_b64 exec, exec, s[16:17]
	v_lshrrev_b32_e32 v2, 24, v2
	s_movk_i32 s16, 0x80
	v_and_or_b32 v2, v2, s16, v3
	global_store_byte v[0:1], v2, off
.LBB230_93:
	s_mov_b64 s[22:23], 0
	s_mov_b64 s[16:17], -1
.LBB230_94:
	s_andn2_b64 vcc, exec, s[22:23]
	s_cbranch_vccnz .LBB230_102
; %bb.95:
	s_cmp_gt_i32 s29, 14
	s_mov_b64 s[22:23], -1
	s_cbranch_scc0 .LBB230_99
; %bb.96:
	s_cmp_eq_u32 s29, 15
	s_mov_b64 s[2:3], -1
	s_cbranch_scc0 .LBB230_98
; %bb.97:
	v_cvt_f32_i32_sdwa v2, sext(v4) dst_sel:DWORD dst_unused:UNUSED_PAD src0_sel:WORD_0
	s_movk_i32 s2, 0x7fff
	s_mov_b64 s[16:17], -1
	v_bfe_u32 v3, v2, 16, 1
	v_add3_u32 v2, v2, v3, s2
	global_store_short_d16_hi v[0:1], v2, off
	s_mov_b64 s[2:3], 0
.LBB230_98:
	s_mov_b64 s[22:23], 0
.LBB230_99:
	s_and_b64 vcc, exec, s[22:23]
	s_cbranch_vccz .LBB230_102
; %bb.100:
	s_cmp_eq_u32 s29, 11
	s_mov_b64 s[2:3], -1
	s_cbranch_scc0 .LBB230_102
; %bb.101:
	v_cmp_ne_u16_e32 vcc, 0, v4
	v_cndmask_b32_e64 v2, 0, 1, vcc
	s_mov_b64 s[16:17], -1
	s_mov_b64 s[2:3], 0
	global_store_byte v[0:1], v2, off
.LBB230_102:
	s_branch .LBB230_20
.LBB230_103:
	s_and_b32 s22, 0xffff, s28
	s_cmp_lt_i32 s22, 5
	s_mov_b64 s[16:17], -1
	s_cbranch_scc1 .LBB230_124
; %bb.104:
	s_cmp_lt_i32 s22, 8
	s_cbranch_scc1 .LBB230_114
; %bb.105:
	s_cmp_lt_i32 s22, 9
	s_cbranch_scc1 .LBB230_111
; %bb.106:
	s_cmp_gt_i32 s22, 9
	s_cbranch_scc0 .LBB230_108
; %bb.107:
	v_bfe_i32 v2, v4, 0, 16
	v_cvt_f64_i32_e32 v[5:6], v2
	v_mov_b32_e32 v7, 0
	v_mov_b32_e32 v8, v7
	s_mov_b64 s[16:17], 0
	global_store_dwordx4 v[0:1], v[5:8], off
.LBB230_108:
	s_andn2_b64 vcc, exec, s[16:17]
	s_cbranch_vccnz .LBB230_110
; %bb.109:
	v_cvt_f32_i32_sdwa v2, sext(v4) dst_sel:DWORD dst_unused:UNUSED_PAD src0_sel:WORD_0
	v_mov_b32_e32 v3, 0
	global_store_dwordx2 v[0:1], v[2:3], off
.LBB230_110:
	s_mov_b64 s[16:17], 0
.LBB230_111:
	s_andn2_b64 vcc, exec, s[16:17]
	s_cbranch_vccnz .LBB230_113
; %bb.112:
	v_cvt_f16_i16_e32 v2, v4
	global_store_dword v[0:1], v2, off
.LBB230_113:
	s_mov_b64 s[16:17], 0
.LBB230_114:
	s_andn2_b64 vcc, exec, s[16:17]
	s_cbranch_vccnz .LBB230_123
; %bb.115:
	s_cmp_lt_i32 s22, 6
	s_mov_b64 s[16:17], -1
	s_cbranch_scc1 .LBB230_121
; %bb.116:
	s_cmp_gt_i32 s22, 6
	s_cbranch_scc0 .LBB230_118
; %bb.117:
	v_bfe_i32 v2, v4, 0, 16
	v_cvt_f64_i32_e32 v[2:3], v2
	s_mov_b64 s[16:17], 0
	global_store_dwordx2 v[0:1], v[2:3], off
.LBB230_118:
	s_andn2_b64 vcc, exec, s[16:17]
	s_cbranch_vccnz .LBB230_120
; %bb.119:
	v_cvt_f32_i32_sdwa v2, sext(v4) dst_sel:DWORD dst_unused:UNUSED_PAD src0_sel:WORD_0
	global_store_dword v[0:1], v2, off
.LBB230_120:
	s_mov_b64 s[16:17], 0
.LBB230_121:
	s_andn2_b64 vcc, exec, s[16:17]
	s_cbranch_vccnz .LBB230_123
; %bb.122:
	v_cvt_f16_i16_e32 v2, v4
	global_store_short v[0:1], v2, off
.LBB230_123:
	s_mov_b64 s[16:17], 0
.LBB230_124:
	s_andn2_b64 vcc, exec, s[16:17]
	s_cbranch_vccnz .LBB230_140
; %bb.125:
	s_cmp_lt_i32 s22, 2
	s_mov_b64 s[16:17], -1
	s_cbranch_scc1 .LBB230_135
; %bb.126:
	s_cmp_lt_i32 s22, 3
	s_cbranch_scc1 .LBB230_132
; %bb.127:
	s_cmp_gt_i32 s22, 3
	v_bfe_i32 v2, v4, 0, 16
	s_cbranch_scc0 .LBB230_129
; %bb.128:
	v_ashrrev_i32_e32 v3, 31, v2
	global_store_dwordx2 v[0:1], v[2:3], off
	s_mov_b64 s[16:17], 0
.LBB230_129:
	s_andn2_b64 vcc, exec, s[16:17]
	s_cbranch_vccnz .LBB230_131
; %bb.130:
	global_store_dword v[0:1], v2, off
.LBB230_131:
	s_mov_b64 s[16:17], 0
.LBB230_132:
	s_andn2_b64 vcc, exec, s[16:17]
	s_cbranch_vccnz .LBB230_134
; %bb.133:
	global_store_short v[0:1], v4, off
.LBB230_134:
	s_mov_b64 s[16:17], 0
.LBB230_135:
	s_andn2_b64 vcc, exec, s[16:17]
	s_cbranch_vccnz .LBB230_140
; %bb.136:
	s_cmp_gt_i32 s22, 0
	s_mov_b64 s[16:17], -1
	s_cbranch_scc0 .LBB230_138
; %bb.137:
	global_store_byte v[0:1], v4, off
	s_mov_b64 s[16:17], 0
.LBB230_138:
	s_andn2_b64 vcc, exec, s[16:17]
	s_cbranch_vccnz .LBB230_140
; %bb.139:
	global_store_byte v[0:1], v4, off
.LBB230_140:
	s_branch .LBB230_21
.LBB230_141:
	s_mov_b64 s[22:23], 0
                                        ; implicit-def: $vgpr9
	s_branch .LBB230_247
.LBB230_142:
	s_mov_b64 s[18:19], -1
                                        ; implicit-def: $vgpr2
.LBB230_143:
	s_mov_b64 s[16:17], 0
.LBB230_144:
	s_and_b64 vcc, exec, s[16:17]
	s_cbranch_vccz .LBB230_148
; %bb.145:
	s_cmp_eq_u32 s22, 29
	s_cbranch_scc0 .LBB230_147
; %bb.146:
	global_load_dwordx2 v[2:3], v[0:1], off
	s_mov_b64 s[2:3], -1
	s_mov_b64 s[18:19], 0
	s_branch .LBB230_148
.LBB230_147:
	s_mov_b64 s[18:19], -1
                                        ; implicit-def: $vgpr2
.LBB230_148:
	s_mov_b64 s[16:17], 0
.LBB230_149:
	s_and_b64 vcc, exec, s[16:17]
	s_cbranch_vccz .LBB230_165
; %bb.150:
	s_cmp_lt_i32 s22, 27
	s_cbranch_scc1 .LBB230_153
; %bb.151:
	s_cmp_gt_i32 s22, 27
	s_cbranch_scc0 .LBB230_154
; %bb.152:
	global_load_dword v2, v[0:1], off
	s_mov_b64 s[2:3], 0
	s_branch .LBB230_155
.LBB230_153:
	s_mov_b64 s[2:3], -1
                                        ; implicit-def: $vgpr2
	s_branch .LBB230_158
.LBB230_154:
	s_mov_b64 s[2:3], -1
                                        ; implicit-def: $vgpr2
.LBB230_155:
	s_andn2_b64 vcc, exec, s[2:3]
	s_cbranch_vccnz .LBB230_157
; %bb.156:
	global_load_ushort v2, v[0:1], off
.LBB230_157:
	s_mov_b64 s[2:3], 0
.LBB230_158:
	s_andn2_b64 vcc, exec, s[2:3]
	s_cbranch_vccnz .LBB230_164
; %bb.159:
	global_load_ubyte v3, v[0:1], off
	s_movk_i32 s2, 0x7f
	s_mov_b64 s[16:17], 0
	s_waitcnt vmcnt(0)
	v_cmp_lt_i16_e32 vcc, s2, v3
	s_and_saveexec_b64 s[2:3], vcc
	s_xor_b64 s[2:3], exec, s[2:3]
	s_cbranch_execz .LBB230_175
; %bb.160:
	s_movk_i32 s16, 0x80
	v_cmp_ne_u16_e32 vcc, s16, v3
	s_and_b64 s[16:17], vcc, exec
	s_andn2_saveexec_b64 s[2:3], s[2:3]
	s_cbranch_execnz .LBB230_176
.LBB230_161:
	s_or_b64 exec, exec, s[2:3]
	v_mov_b32_e32 v2, 0
	s_and_saveexec_b64 s[2:3], s[16:17]
	s_cbranch_execz .LBB230_163
.LBB230_162:
	v_lshlrev_b32_e32 v2, 24, v3
	v_and_b32_e32 v3, 0xffff, v3
	v_and_b32_e32 v4, 7, v3
	v_ffbh_u32_e32 v6, v4
	v_min_u32_e32 v6, 32, v6
	v_subrev_u32_e32 v7, 28, v6
	v_bfe_u32 v5, v3, 3, 4
	v_lshlrev_b32_e32 v3, v7, v3
	v_sub_u32_e32 v6, 29, v6
	v_and_b32_e32 v3, 7, v3
	v_cmp_eq_u32_e32 vcc, 0, v5
	v_cndmask_b32_e32 v5, v5, v6, vcc
	v_cndmask_b32_e32 v3, v4, v3, vcc
	v_mov_b32_e32 v4, 0x3b800000
	v_lshlrev_b32_e32 v3, 20, v3
	v_and_b32_e32 v2, 0x80000000, v2
	v_lshl_add_u32 v4, v5, 23, v4
	v_or3_b32 v2, v2, v4, v3
	v_cvt_i32_f32_e32 v2, v2
.LBB230_163:
	s_or_b64 exec, exec, s[2:3]
.LBB230_164:
	s_mov_b64 s[2:3], -1
.LBB230_165:
	s_branch .LBB230_198
.LBB230_166:
	s_cmp_gt_i32 s22, 22
	s_cbranch_scc0 .LBB230_174
; %bb.167:
	s_cmp_lt_i32 s22, 24
	s_cbranch_scc1 .LBB230_177
; %bb.168:
	s_cmp_gt_i32 s22, 24
	s_cbranch_scc0 .LBB230_178
; %bb.169:
	global_load_ubyte v3, v[0:1], off
	s_movk_i32 s2, 0x7f
	s_mov_b64 s[16:17], 0
	s_waitcnt vmcnt(0)
	v_cmp_lt_i16_e32 vcc, s2, v3
	s_and_saveexec_b64 s[2:3], vcc
	s_xor_b64 s[2:3], exec, s[2:3]
	s_cbranch_execz .LBB230_190
; %bb.170:
	s_movk_i32 s16, 0x80
	v_cmp_ne_u16_e32 vcc, s16, v3
	s_and_b64 s[16:17], vcc, exec
	s_andn2_saveexec_b64 s[2:3], s[2:3]
	s_cbranch_execnz .LBB230_191
.LBB230_171:
	s_or_b64 exec, exec, s[2:3]
	v_mov_b32_e32 v2, 0
	s_and_saveexec_b64 s[2:3], s[16:17]
	s_cbranch_execz .LBB230_173
.LBB230_172:
	v_lshlrev_b32_e32 v2, 24, v3
	v_and_b32_e32 v3, 0xffff, v3
	v_and_b32_e32 v4, 3, v3
	v_ffbh_u32_e32 v6, v4
	v_min_u32_e32 v6, 32, v6
	v_subrev_u32_e32 v7, 29, v6
	v_bfe_u32 v5, v3, 2, 5
	v_lshlrev_b32_e32 v3, v7, v3
	v_sub_u32_e32 v6, 30, v6
	v_and_b32_e32 v3, 3, v3
	v_cmp_eq_u32_e32 vcc, 0, v5
	v_cndmask_b32_e32 v5, v5, v6, vcc
	v_cndmask_b32_e32 v3, v4, v3, vcc
	v_mov_b32_e32 v4, 0x37800000
	v_lshlrev_b32_e32 v3, 21, v3
	v_and_b32_e32 v2, 0x80000000, v2
	v_lshl_add_u32 v4, v5, 23, v4
	v_or3_b32 v2, v2, v4, v3
	v_cvt_i32_f32_e32 v2, v2
.LBB230_173:
	s_or_b64 exec, exec, s[2:3]
	s_mov_b64 s[2:3], 0
	s_branch .LBB230_179
.LBB230_174:
	s_mov_b64 s[16:17], -1
                                        ; implicit-def: $vgpr2
	s_branch .LBB230_185
.LBB230_175:
	s_andn2_saveexec_b64 s[2:3], s[2:3]
	s_cbranch_execz .LBB230_161
.LBB230_176:
	v_cmp_ne_u16_e32 vcc, 0, v3
	s_andn2_b64 s[16:17], s[16:17], exec
	s_and_b64 s[26:27], vcc, exec
	s_or_b64 s[16:17], s[16:17], s[26:27]
	s_or_b64 exec, exec, s[2:3]
	v_mov_b32_e32 v2, 0
	s_and_saveexec_b64 s[2:3], s[16:17]
	s_cbranch_execnz .LBB230_162
	s_branch .LBB230_163
.LBB230_177:
	s_mov_b64 s[2:3], -1
                                        ; implicit-def: $vgpr2
	s_branch .LBB230_182
.LBB230_178:
	s_mov_b64 s[2:3], -1
                                        ; implicit-def: $vgpr2
.LBB230_179:
	s_and_b64 vcc, exec, s[2:3]
	s_cbranch_vccz .LBB230_181
; %bb.180:
	global_load_ubyte v2, v[0:1], off
	s_mov_b32 s2, 0x7f800000
	s_waitcnt vmcnt(0)
	v_lshlrev_b32_e32 v2, 24, v2
	v_and_b32_e32 v3, 0x7f000000, v2
	v_ffbh_u32_e32 v4, v3
	v_min_u32_e32 v4, 32, v4
	v_sub_u32_e64 v4, v4, 4 clamp
	v_lshlrev_b32_e32 v6, v4, v3
	v_lshlrev_b32_e32 v4, 23, v4
	v_lshrrev_b32_e32 v6, 4, v6
	v_add_u32_e32 v5, 0x1000000, v3
	v_sub_u32_e32 v4, v6, v4
	v_ashrrev_i32_e32 v5, 8, v5
	v_add_u32_e32 v4, 0x3c000000, v4
	v_and_or_b32 v4, v5, s2, v4
	v_cmp_ne_u32_e32 vcc, 0, v3
	v_cndmask_b32_e32 v3, 0, v4, vcc
	s_brev_b32 s2, 1
	v_and_or_b32 v2, v2, s2, v3
	v_cvt_i32_f32_e32 v2, v2
.LBB230_181:
	s_mov_b64 s[2:3], 0
.LBB230_182:
	s_andn2_b64 vcc, exec, s[2:3]
	s_cbranch_vccnz .LBB230_184
; %bb.183:
	global_load_ubyte v2, v[0:1], off
	s_movk_i32 s2, 0x7f00
	s_brev_b32 s3, 16
	s_waitcnt vmcnt(0)
	v_lshlrev_b16_e32 v3, 8, v2
	v_lshlrev_b32_e32 v2, 25, v2
	v_lshrrev_b32_e32 v4, 4, v2
	v_and_or_b32 v5, v3, s2, 0.5
	v_or_b32_e32 v4, 0x70000000, v4
	v_add_f32_e32 v5, -0.5, v5
	v_mul_f32_e32 v4, 0x7800000, v4
	v_cmp_gt_u32_e32 vcc, s3, v2
	v_bfe_i32 v3, v3, 0, 16
	v_cndmask_b32_e32 v2, v4, v5, vcc
	s_brev_b32 s2, 1
	v_and_or_b32 v2, v3, s2, v2
	v_cvt_i32_f32_e32 v2, v2
.LBB230_184:
	s_mov_b64 s[16:17], 0
	s_mov_b64 s[2:3], -1
.LBB230_185:
	s_andn2_b64 vcc, exec, s[16:17]
	s_cbranch_vccnz .LBB230_198
; %bb.186:
	s_cmp_gt_i32 s22, 14
	s_cbranch_scc0 .LBB230_189
; %bb.187:
	s_cmp_eq_u32 s22, 15
	s_cbranch_scc0 .LBB230_192
; %bb.188:
	global_load_ushort v2, v[0:1], off
	s_mov_b64 s[2:3], -1
	s_mov_b64 s[18:19], 0
	s_waitcnt vmcnt(0)
	v_lshlrev_b32_e32 v2, 16, v2
	v_cvt_i32_f32_e32 v2, v2
	s_branch .LBB230_193
.LBB230_189:
	s_mov_b64 s[16:17], -1
                                        ; implicit-def: $vgpr2
	s_branch .LBB230_194
.LBB230_190:
	s_andn2_saveexec_b64 s[2:3], s[2:3]
	s_cbranch_execz .LBB230_171
.LBB230_191:
	v_cmp_ne_u16_e32 vcc, 0, v3
	s_andn2_b64 s[16:17], s[16:17], exec
	s_and_b64 s[26:27], vcc, exec
	s_or_b64 s[16:17], s[16:17], s[26:27]
	s_or_b64 exec, exec, s[2:3]
	v_mov_b32_e32 v2, 0
	s_and_saveexec_b64 s[2:3], s[16:17]
	s_cbranch_execnz .LBB230_172
	s_branch .LBB230_173
.LBB230_192:
	s_mov_b64 s[18:19], -1
                                        ; implicit-def: $vgpr2
.LBB230_193:
	s_mov_b64 s[16:17], 0
.LBB230_194:
	s_and_b64 vcc, exec, s[16:17]
	s_cbranch_vccz .LBB230_198
; %bb.195:
	s_cmp_eq_u32 s22, 11
	s_cbranch_scc0 .LBB230_197
; %bb.196:
	global_load_ubyte v2, v[0:1], off
	s_mov_b64 s[2:3], -1
	s_mov_b64 s[18:19], 0
	s_waitcnt vmcnt(0)
	v_cmp_ne_u16_e32 vcc, 0, v2
	v_cndmask_b32_e64 v2, 0, 1, vcc
	s_branch .LBB230_198
.LBB230_197:
	s_mov_b64 s[18:19], -1
                                        ; implicit-def: $vgpr2
.LBB230_198:
	s_branch .LBB230_10
.LBB230_199:
	s_cmp_lt_i32 s22, 5
	s_cbranch_scc1 .LBB230_204
; %bb.200:
	s_cmp_lt_i32 s22, 8
	s_cbranch_scc1 .LBB230_205
; %bb.201:
	;; [unrolled: 3-line block ×3, first 2 shown]
	s_cmp_gt_i32 s22, 9
	s_cbranch_scc0 .LBB230_207
; %bb.203:
	global_load_dwordx2 v[2:3], v[0:1], off
	s_mov_b64 s[2:3], 0
	s_waitcnt vmcnt(0)
	v_cvt_i32_f64_e32 v2, v[2:3]
	s_branch .LBB230_208
.LBB230_204:
                                        ; implicit-def: $vgpr2
	s_branch .LBB230_226
.LBB230_205:
	s_mov_b64 s[2:3], -1
                                        ; implicit-def: $vgpr2
	s_branch .LBB230_214
.LBB230_206:
	s_mov_b64 s[2:3], -1
                                        ; implicit-def: $vgpr2
	s_branch .LBB230_211
.LBB230_207:
	s_mov_b64 s[2:3], -1
                                        ; implicit-def: $vgpr2
.LBB230_208:
	s_andn2_b64 vcc, exec, s[2:3]
	s_cbranch_vccnz .LBB230_210
; %bb.209:
	global_load_dword v2, v[0:1], off
	s_waitcnt vmcnt(0)
	v_cvt_i32_f32_e32 v2, v2
.LBB230_210:
	s_mov_b64 s[2:3], 0
.LBB230_211:
	s_andn2_b64 vcc, exec, s[2:3]
	s_cbranch_vccnz .LBB230_213
; %bb.212:
	global_load_dword v2, v[0:1], off
	s_waitcnt vmcnt(0)
	v_cvt_i16_f16_e32 v2, v2
.LBB230_213:
	s_mov_b64 s[2:3], 0
.LBB230_214:
	s_andn2_b64 vcc, exec, s[2:3]
	s_cbranch_vccnz .LBB230_225
; %bb.215:
	s_cmp_lt_i32 s22, 6
	s_cbranch_scc1 .LBB230_218
; %bb.216:
	s_cmp_gt_i32 s22, 6
	s_cbranch_scc0 .LBB230_219
; %bb.217:
	global_load_dwordx2 v[2:3], v[0:1], off
	s_mov_b64 s[2:3], 0
	s_waitcnt vmcnt(0)
	v_cvt_i32_f64_e32 v2, v[2:3]
	s_branch .LBB230_220
.LBB230_218:
	s_mov_b64 s[2:3], -1
                                        ; implicit-def: $vgpr2
	s_branch .LBB230_223
.LBB230_219:
	s_mov_b64 s[2:3], -1
                                        ; implicit-def: $vgpr2
.LBB230_220:
	s_andn2_b64 vcc, exec, s[2:3]
	s_cbranch_vccnz .LBB230_222
; %bb.221:
	global_load_dword v2, v[0:1], off
	s_waitcnt vmcnt(0)
	v_cvt_i32_f32_e32 v2, v2
.LBB230_222:
	s_mov_b64 s[2:3], 0
.LBB230_223:
	s_andn2_b64 vcc, exec, s[2:3]
	s_cbranch_vccnz .LBB230_225
; %bb.224:
	global_load_ushort v2, v[0:1], off
	s_waitcnt vmcnt(0)
	v_cvt_i16_f16_e32 v2, v2
.LBB230_225:
	s_cbranch_execnz .LBB230_245
.LBB230_226:
	s_cmp_lt_i32 s22, 2
	s_cbranch_scc1 .LBB230_230
; %bb.227:
	s_cmp_lt_i32 s22, 3
	s_cbranch_scc1 .LBB230_231
; %bb.228:
	s_cmp_gt_i32 s22, 3
	s_cbranch_scc0 .LBB230_232
; %bb.229:
	global_load_dwordx2 v[2:3], v[0:1], off
	s_mov_b64 s[2:3], 0
	s_branch .LBB230_233
.LBB230_230:
	s_mov_b64 s[2:3], -1
                                        ; implicit-def: $vgpr2
	s_branch .LBB230_239
.LBB230_231:
	s_mov_b64 s[2:3], -1
                                        ; implicit-def: $vgpr2
	s_branch .LBB230_236
.LBB230_232:
	s_mov_b64 s[2:3], -1
                                        ; implicit-def: $vgpr2
.LBB230_233:
	s_andn2_b64 vcc, exec, s[2:3]
	s_cbranch_vccnz .LBB230_235
; %bb.234:
	global_load_dword v2, v[0:1], off
.LBB230_235:
	s_mov_b64 s[2:3], 0
.LBB230_236:
	s_andn2_b64 vcc, exec, s[2:3]
	s_cbranch_vccnz .LBB230_238
; %bb.237:
	global_load_ushort v2, v[0:1], off
.LBB230_238:
	s_mov_b64 s[2:3], 0
.LBB230_239:
	s_andn2_b64 vcc, exec, s[2:3]
	s_cbranch_vccnz .LBB230_245
; %bb.240:
	s_cmp_gt_i32 s22, 0
	s_cbranch_scc0 .LBB230_242
; %bb.241:
	global_load_sbyte v2, v[0:1], off
	s_mov_b64 s[2:3], 0
	s_branch .LBB230_243
.LBB230_242:
	s_mov_b64 s[2:3], -1
                                        ; implicit-def: $vgpr2
.LBB230_243:
	s_andn2_b64 vcc, exec, s[2:3]
	s_cbranch_vccnz .LBB230_245
; %bb.244:
	global_load_ubyte v2, v[0:1], off
.LBB230_245:
	s_branch .LBB230_11
.LBB230_246:
	s_mov_b64 s[2:3], 0
                                        ; implicit-def: $vgpr9
	s_mov_b64 s[22:23], 0
.LBB230_247:
	s_and_b64 s[16:17], s[2:3], exec
	s_and_b64 s[18:19], s[18:19], exec
	s_orn2_b64 s[2:3], s[22:23], exec
.LBB230_248:
	s_or_b64 exec, exec, s[20:21]
	s_mov_b64 s[28:29], 0
	s_mov_b64 s[26:27], 0
                                        ; implicit-def: $vgpr0_vgpr1
                                        ; implicit-def: $vgpr2
	s_and_saveexec_b64 s[20:21], s[2:3]
	s_cbranch_execz .LBB230_257
; %bb.249:
	v_cmp_gt_i32_e32 vcc, s42, v9
	s_mov_b64 s[2:3], -1
	s_mov_b64 s[22:23], s[18:19]
	s_mov_b64 s[24:25], s[16:17]
	s_and_saveexec_b64 s[26:27], vcc
	s_cbranch_execz .LBB230_505
; %bb.250:
	v_mul_lo_u32 v0, v9, s13
	v_mov_b32_e32 v1, s11
	s_and_b32 s28, 0xffff, s33
	s_cmp_lt_i32 s28, 11
	s_waitcnt vmcnt(0)
	v_ashrrev_i32_e32 v2, 31, v0
	v_add_co_u32_e32 v0, vcc, s10, v0
	v_addc_co_u32_e32 v1, vcc, v1, v2, vcc
	s_cbranch_scc1 .LBB230_260
; %bb.251:
	s_cmp_gt_i32 s28, 25
	s_cbranch_scc0 .LBB230_269
; %bb.252:
	s_cmp_gt_i32 s28, 28
	s_cbranch_scc0 .LBB230_271
	;; [unrolled: 3-line block ×4, first 2 shown]
; %bb.255:
	s_cmp_eq_u32 s28, 46
	s_mov_b64 s[24:25], 0
	s_cbranch_scc0 .LBB230_281
; %bb.256:
	global_load_dword v2, v[0:1], off
	s_mov_b64 s[22:23], 0
	s_waitcnt vmcnt(0)
	v_lshlrev_b32_e32 v2, 16, v2
	v_cvt_i32_f32_e32 v2, v2
	s_branch .LBB230_282
.LBB230_257:
	s_or_b64 exec, exec, s[20:21]
	s_mov_b64 s[2:3], 0
	s_and_saveexec_b64 s[20:21], s[18:19]
	s_cbranch_execnz .LBB230_843
.LBB230_258:
	s_or_b64 exec, exec, s[20:21]
	s_and_saveexec_b64 s[18:19], s[24:25]
	s_xor_b64 s[18:19], exec, s[18:19]
	s_cbranch_execz .LBB230_844
.LBB230_259:
	global_load_ubyte v2, v[0:1], off
	s_or_b64 s[26:27], s[26:27], exec
	s_waitcnt vmcnt(0)
	v_cmp_ne_u16_e32 vcc, 0, v2
	v_cndmask_b32_e64 v2, 0, 1, vcc
	s_or_b64 exec, exec, s[18:19]
	s_and_saveexec_b64 s[18:19], s[28:29]
	s_cbranch_execz .LBB230_890
	s_branch .LBB230_845
.LBB230_260:
	s_mov_b64 s[2:3], 0
                                        ; implicit-def: $vgpr2
	s_mov_b64 s[22:23], s[18:19]
	s_cbranch_execnz .LBB230_455
.LBB230_261:
	s_andn2_b64 vcc, exec, s[2:3]
	s_cbranch_vccnz .LBB230_503
.LBB230_262:
	v_mul_lo_u32 v0, v9, s12
	s_waitcnt vmcnt(0)
	v_ashrrev_i16_e32 v1, 15, v2
	v_ashrrev_i32_sdwa v2, s46, sext(v2) dst_sel:DWORD dst_unused:UNUSED_PAD src0_sel:DWORD src1_sel:WORD_0
	v_cndmask_b32_e64 v4, v2, v1, s[0:1]
	v_ashrrev_i32_e32 v1, 31, v0
	v_mov_b32_e32 v2, s9
	s_and_b32 s34, s15, 0xff
	v_add_co_u32_e32 v0, vcc, s8, v0
	s_cmp_lt_i32 s34, 11
	v_addc_co_u32_e32 v1, vcc, v2, v1, vcc
	s_cbranch_scc1 .LBB230_270
; %bb.263:
	s_and_b32 s35, 0xffff, s34
	s_cmp_gt_i32 s35, 25
	s_cbranch_scc0 .LBB230_272
; %bb.264:
	s_cmp_gt_i32 s35, 28
	s_cbranch_scc0 .LBB230_274
; %bb.265:
	;; [unrolled: 3-line block ×4, first 2 shown]
	s_mov_b64 s[28:29], 0
	s_mov_b64 s[2:3], -1
	s_cmp_eq_u32 s35, 46
	s_mov_b64 s[24:25], 0
	s_cbranch_scc0 .LBB230_286
; %bb.268:
	v_cvt_f32_i32_sdwa v2, sext(v4) dst_sel:DWORD dst_unused:UNUSED_PAD src0_sel:WORD_0
	s_movk_i32 s2, 0x7fff
	s_mov_b64 s[24:25], -1
	v_bfe_u32 v3, v2, 16, 1
	v_add3_u32 v2, v2, v3, s2
	v_lshrrev_b32_e32 v2, 16, v2
	global_store_dword v[0:1], v2, off
	s_mov_b64 s[2:3], 0
	s_branch .LBB230_286
.LBB230_269:
	s_mov_b64 s[24:25], -1
	s_mov_b64 s[2:3], 0
	s_mov_b64 s[22:23], s[18:19]
                                        ; implicit-def: $vgpr2
	s_branch .LBB230_421
.LBB230_270:
	s_mov_b64 s[28:29], -1
	s_mov_b64 s[24:25], 0
	s_mov_b64 s[2:3], s[16:17]
	s_branch .LBB230_355
.LBB230_271:
	s_mov_b64 s[24:25], -1
	s_mov_b64 s[2:3], 0
	s_mov_b64 s[22:23], s[18:19]
                                        ; implicit-def: $vgpr2
	s_branch .LBB230_404
.LBB230_272:
	s_mov_b64 s[28:29], -1
	s_mov_b64 s[24:25], 0
	s_mov_b64 s[2:3], s[16:17]
	s_branch .LBB230_313
.LBB230_273:
	s_mov_b64 s[24:25], -1
	s_mov_b64 s[2:3], 0
	s_mov_b64 s[22:23], s[18:19]
                                        ; implicit-def: $vgpr2
	s_branch .LBB230_399
.LBB230_274:
	s_mov_b64 s[28:29], -1
	s_mov_b64 s[24:25], 0
	s_mov_b64 s[2:3], s[16:17]
	s_branch .LBB230_296
.LBB230_275:
	s_andn2_saveexec_b64 s[26:27], s[26:27]
	s_cbranch_execz .LBB230_55
.LBB230_276:
	s_mov_b32 s30, 0x46000000
	v_add_f32_e64 v3, |v2|, s30
	v_and_b32_e32 v3, 0xff, v3
	v_cmp_ne_u32_e32 vcc, 0, v3
	s_andn2_b64 s[22:23], s[22:23], exec
	s_and_b64 s[30:31], vcc, exec
	s_or_b64 s[22:23], s[22:23], s[30:31]
	s_or_b64 exec, exec, s[26:27]
	v_mov_b32_e32 v5, 0
	s_and_saveexec_b64 s[26:27], s[22:23]
	s_cbranch_execnz .LBB230_56
	s_branch .LBB230_57
.LBB230_277:
	s_mov_b64 s[24:25], -1
	s_mov_b64 s[2:3], 0
	s_mov_b64 s[22:23], s[18:19]
                                        ; implicit-def: $vgpr2
	s_branch .LBB230_282
.LBB230_278:
	s_mov_b64 s[28:29], -1
	s_mov_b64 s[24:25], 0
	s_mov_b64 s[2:3], s[16:17]
	s_branch .LBB230_292
.LBB230_279:
	s_andn2_saveexec_b64 s[26:27], s[26:27]
	s_cbranch_execz .LBB230_68
.LBB230_280:
	s_mov_b32 s30, 0x42800000
	v_add_f32_e64 v3, |v2|, s30
	v_and_b32_e32 v3, 0xff, v3
	v_cmp_ne_u32_e32 vcc, 0, v3
	s_andn2_b64 s[22:23], s[22:23], exec
	s_and_b64 s[30:31], vcc, exec
	s_or_b64 s[22:23], s[22:23], s[30:31]
	s_or_b64 exec, exec, s[26:27]
	v_mov_b32_e32 v5, 0
	s_and_saveexec_b64 s[26:27], s[22:23]
	s_cbranch_execnz .LBB230_69
	s_branch .LBB230_70
.LBB230_281:
	s_mov_b64 s[22:23], -1
                                        ; implicit-def: $vgpr2
	s_mov_b64 s[2:3], 0
.LBB230_282:
	s_and_b64 vcc, exec, s[24:25]
	s_cbranch_vccz .LBB230_398
; %bb.283:
	s_cmp_eq_u32 s28, 44
	s_cbranch_scc0 .LBB230_397
; %bb.284:
	global_load_ubyte v2, v[0:1], off
	s_mov_b64 s[2:3], -1
	s_mov_b64 s[22:23], 0
	s_waitcnt vmcnt(0)
	v_lshlrev_b32_e32 v3, 23, v2
	v_cvt_i32_f32_e32 v3, v3
	v_cmp_ne_u32_e32 vcc, 0, v2
	v_cndmask_b32_e32 v2, 0, v3, vcc
	s_branch .LBB230_398
.LBB230_285:
	s_mov_b64 s[28:29], -1
	s_mov_b64 s[24:25], 0
	s_mov_b64 s[2:3], s[16:17]
.LBB230_286:
	s_and_b64 vcc, exec, s[28:29]
	s_cbranch_vccz .LBB230_291
; %bb.287:
	s_cmp_eq_u32 s35, 44
	s_mov_b64 s[2:3], -1
	s_cbranch_scc0 .LBB230_291
; %bb.288:
	v_cvt_f32_i32_sdwa v2, sext(v4) dst_sel:DWORD dst_unused:UNUSED_PAD src0_sel:WORD_0
	s_movk_i32 s2, 0xff
	v_mov_b32_e32 v5, 0xff
	v_bfe_u32 v3, v2, 23, 8
	v_cmp_ne_u32_e32 vcc, s2, v3
	s_and_saveexec_b64 s[24:25], vcc
; %bb.289:
	s_mov_b32 s2, 0x3fffff
	v_lshrrev_b32_e32 v5, 23, v2
	v_and_b32_e32 v6, 0x400000, v2
	v_and_or_b32 v2, v2, s2, v3
	v_cmp_ne_u32_e32 vcc, 0, v6
	v_cmp_ne_u32_e64 s[2:3], 0, v2
	s_and_b64 s[2:3], vcc, s[2:3]
	v_cndmask_b32_e64 v2, 0, 1, s[2:3]
	v_add_u32_e32 v5, v5, v2
; %bb.290:
	s_or_b64 exec, exec, s[24:25]
	s_mov_b64 s[24:25], -1
	s_mov_b64 s[2:3], 0
	global_store_byte v[0:1], v5, off
.LBB230_291:
	s_mov_b64 s[28:29], 0
.LBB230_292:
	s_and_b64 vcc, exec, s[28:29]
	s_cbranch_vccz .LBB230_295
; %bb.293:
	s_cmp_eq_u32 s35, 29
	s_mov_b64 s[2:3], -1
	s_cbranch_scc0 .LBB230_295
; %bb.294:
	v_bfe_i32 v2, v4, 0, 16
	v_ashrrev_i32_e32 v3, 31, v2
	global_store_dwordx2 v[0:1], v[2:3], off
	s_mov_b64 s[24:25], -1
	s_mov_b64 s[2:3], 0
.LBB230_295:
	s_mov_b64 s[28:29], 0
.LBB230_296:
	s_and_b64 vcc, exec, s[28:29]
	s_cbranch_vccz .LBB230_312
; %bb.297:
	s_cmp_lt_i32 s35, 27
	s_mov_b64 s[24:25], -1
	s_cbranch_scc1 .LBB230_303
; %bb.298:
	s_cmp_gt_i32 s35, 27
	s_cbranch_scc0 .LBB230_300
; %bb.299:
	v_bfe_i32 v2, v4, 0, 16
	s_mov_b64 s[24:25], 0
	global_store_dword v[0:1], v2, off
.LBB230_300:
	s_andn2_b64 vcc, exec, s[24:25]
	s_cbranch_vccnz .LBB230_302
; %bb.301:
	global_store_short v[0:1], v4, off
.LBB230_302:
	s_mov_b64 s[24:25], 0
.LBB230_303:
	s_andn2_b64 vcc, exec, s[24:25]
	s_cbranch_vccnz .LBB230_311
; %bb.304:
	v_cvt_f32_i32_sdwa v2, sext(v4) dst_sel:DWORD dst_unused:UNUSED_PAD src0_sel:WORD_0
	s_mov_b32 s24, 0x43800000
	v_mov_b32_e32 v5, 0x80
	v_and_b32_e32 v3, 0x7fffffff, v2
	v_cmp_gt_u32_e32 vcc, s24, v3
	s_and_saveexec_b64 s[24:25], vcc
	s_cbranch_execz .LBB230_310
; %bb.305:
	s_mov_b32 s28, 0x3bffffff
	v_cmp_lt_u32_e32 vcc, s28, v3
	s_mov_b64 s[28:29], 0
                                        ; implicit-def: $vgpr3
	s_and_saveexec_b64 s[30:31], vcc
	s_xor_b64 s[30:31], exec, s[30:31]
	s_cbranch_execz .LBB230_518
; %bb.306:
	v_bfe_u32 v3, v2, 20, 1
	s_mov_b32 s36, 0x487ffff
	v_add3_u32 v3, v2, v3, s36
	s_mov_b64 s[28:29], exec
	v_lshrrev_b32_e32 v3, 20, v3
	s_andn2_saveexec_b64 s[30:31], s[30:31]
	s_cbranch_execnz .LBB230_519
.LBB230_307:
	s_or_b64 exec, exec, s[30:31]
	v_mov_b32_e32 v5, 0
	s_and_saveexec_b64 s[30:31], s[28:29]
.LBB230_308:
	v_lshrrev_b32_e32 v2, 24, v2
	s_movk_i32 s28, 0x80
	v_and_or_b32 v5, v2, s28, v3
.LBB230_309:
	s_or_b64 exec, exec, s[30:31]
.LBB230_310:
	s_or_b64 exec, exec, s[24:25]
	global_store_byte v[0:1], v5, off
.LBB230_311:
	s_mov_b64 s[24:25], -1
.LBB230_312:
	s_mov_b64 s[28:29], 0
.LBB230_313:
	s_and_b64 vcc, exec, s[28:29]
	s_cbranch_vccz .LBB230_354
; %bb.314:
	s_cmp_gt_i32 s35, 22
	s_mov_b64 s[28:29], -1
	s_cbranch_scc0 .LBB230_346
; %bb.315:
	s_cmp_lt_i32 s35, 24
	s_mov_b64 s[24:25], -1
	s_cbranch_scc1 .LBB230_335
; %bb.316:
	s_cmp_gt_i32 s35, 24
	s_cbranch_scc0 .LBB230_324
; %bb.317:
	v_cvt_f32_i32_sdwa v2, sext(v4) dst_sel:DWORD dst_unused:UNUSED_PAD src0_sel:WORD_0
	s_mov_b32 s24, 0x47800000
	v_mov_b32_e32 v5, 0x80
	v_and_b32_e32 v3, 0x7fffffff, v2
	v_cmp_gt_u32_e32 vcc, s24, v3
	s_and_saveexec_b64 s[24:25], vcc
	s_cbranch_execz .LBB230_323
; %bb.318:
	s_mov_b32 s28, 0x37ffffff
	v_cmp_lt_u32_e32 vcc, s28, v3
	s_mov_b64 s[28:29], 0
                                        ; implicit-def: $vgpr3
	s_and_saveexec_b64 s[30:31], vcc
	s_xor_b64 s[30:31], exec, s[30:31]
	s_cbranch_execz .LBB230_521
; %bb.319:
	v_bfe_u32 v3, v2, 21, 1
	s_mov_b32 s36, 0x88fffff
	v_add3_u32 v3, v2, v3, s36
	s_mov_b64 s[28:29], exec
	v_lshrrev_b32_e32 v3, 21, v3
	s_andn2_saveexec_b64 s[30:31], s[30:31]
	s_cbranch_execnz .LBB230_522
.LBB230_320:
	s_or_b64 exec, exec, s[30:31]
	v_mov_b32_e32 v5, 0
	s_and_saveexec_b64 s[30:31], s[28:29]
.LBB230_321:
	v_lshrrev_b32_e32 v2, 24, v2
	s_movk_i32 s28, 0x80
	v_and_or_b32 v5, v2, s28, v3
.LBB230_322:
	s_or_b64 exec, exec, s[30:31]
.LBB230_323:
	s_or_b64 exec, exec, s[24:25]
	s_mov_b64 s[24:25], 0
	global_store_byte v[0:1], v5, off
.LBB230_324:
	s_and_b64 vcc, exec, s[24:25]
	s_cbranch_vccz .LBB230_334
; %bb.325:
	v_cvt_f32_i32_sdwa v2, sext(v4) dst_sel:DWORD dst_unused:UNUSED_PAD src0_sel:WORD_0
	s_mov_b32 s24, 0x43f00000
                                        ; implicit-def: $vgpr3
	v_and_b32_e32 v5, 0x7fffffff, v2
	v_cmp_gt_u32_e32 vcc, s24, v5
	s_and_saveexec_b64 s[24:25], vcc
	s_xor_b64 s[24:25], exec, s[24:25]
	s_cbranch_execz .LBB230_331
; %bb.326:
	s_mov_b32 s28, 0x3c7fffff
	v_cmp_lt_u32_e32 vcc, s28, v5
                                        ; implicit-def: $vgpr3
	s_and_saveexec_b64 s[28:29], vcc
	s_xor_b64 s[28:29], exec, s[28:29]
; %bb.327:
	v_bfe_u32 v3, v2, 20, 1
	s_mov_b32 s30, 0x407ffff
	v_add3_u32 v3, v2, v3, s30
	v_lshrrev_b32_e32 v5, 20, v3
	v_and_b32_e32 v3, 0xff00000, v3
	s_mov_b32 s30, 0x7f00000
	v_mov_b32_e32 v6, 0x7e
	v_cmp_ne_u32_e32 vcc, s30, v3
	v_cndmask_b32_e32 v3, v6, v5, vcc
; %bb.328:
	s_andn2_saveexec_b64 s[28:29], s[28:29]
; %bb.329:
	s_mov_b32 s30, 0x46800000
	v_add_f32_e64 v3, |v2|, s30
; %bb.330:
	s_or_b64 exec, exec, s[28:29]
                                        ; implicit-def: $vgpr5
.LBB230_331:
	s_andn2_saveexec_b64 s[24:25], s[24:25]
; %bb.332:
	s_mov_b32 s28, 0x7f800000
	v_mov_b32_e32 v3, 0x7e
	v_mov_b32_e32 v6, 0x7f
	v_cmp_lt_u32_e32 vcc, s28, v5
	v_cndmask_b32_e32 v3, v3, v6, vcc
; %bb.333:
	s_or_b64 exec, exec, s[24:25]
	v_lshrrev_b32_e32 v2, 24, v2
	s_movk_i32 s24, 0x80
	v_and_or_b32 v2, v2, s24, v3
	global_store_byte v[0:1], v2, off
.LBB230_334:
	s_mov_b64 s[24:25], 0
.LBB230_335:
	s_andn2_b64 vcc, exec, s[24:25]
	s_cbranch_vccnz .LBB230_345
; %bb.336:
	v_cvt_f32_i32_sdwa v2, sext(v4) dst_sel:DWORD dst_unused:UNUSED_PAD src0_sel:WORD_0
	s_mov_b32 s24, 0x47800000
                                        ; implicit-def: $vgpr3
	v_and_b32_e32 v5, 0x7fffffff, v2
	v_cmp_gt_u32_e32 vcc, s24, v5
	s_and_saveexec_b64 s[24:25], vcc
	s_xor_b64 s[24:25], exec, s[24:25]
	s_cbranch_execz .LBB230_342
; %bb.337:
	s_mov_b32 s28, 0x387fffff
	v_cmp_lt_u32_e32 vcc, s28, v5
                                        ; implicit-def: $vgpr3
	s_and_saveexec_b64 s[28:29], vcc
	s_xor_b64 s[28:29], exec, s[28:29]
; %bb.338:
	v_bfe_u32 v3, v2, 21, 1
	s_mov_b32 s30, 0x80fffff
	v_add3_u32 v3, v2, v3, s30
	v_lshrrev_b32_e32 v3, 21, v3
; %bb.339:
	s_andn2_saveexec_b64 s[28:29], s[28:29]
; %bb.340:
	s_mov_b32 s30, 0x43000000
	v_add_f32_e64 v3, |v2|, s30
; %bb.341:
	s_or_b64 exec, exec, s[28:29]
                                        ; implicit-def: $vgpr5
.LBB230_342:
	s_andn2_saveexec_b64 s[24:25], s[24:25]
; %bb.343:
	s_mov_b32 s28, 0x7f800000
	v_mov_b32_e32 v3, 0x7c
	v_mov_b32_e32 v6, 0x7f
	v_cmp_lt_u32_e32 vcc, s28, v5
	v_cndmask_b32_e32 v3, v3, v6, vcc
; %bb.344:
	s_or_b64 exec, exec, s[24:25]
	v_lshrrev_b32_e32 v2, 24, v2
	s_movk_i32 s24, 0x80
	v_and_or_b32 v2, v2, s24, v3
	global_store_byte v[0:1], v2, off
.LBB230_345:
	s_mov_b64 s[28:29], 0
	s_mov_b64 s[24:25], -1
.LBB230_346:
	s_andn2_b64 vcc, exec, s[28:29]
	s_cbranch_vccnz .LBB230_354
; %bb.347:
	s_cmp_gt_i32 s35, 14
	s_mov_b64 s[28:29], -1
	s_cbranch_scc0 .LBB230_351
; %bb.348:
	s_cmp_eq_u32 s35, 15
	s_mov_b64 s[2:3], -1
	s_cbranch_scc0 .LBB230_350
; %bb.349:
	v_cvt_f32_i32_sdwa v2, sext(v4) dst_sel:DWORD dst_unused:UNUSED_PAD src0_sel:WORD_0
	s_movk_i32 s2, 0x7fff
	s_mov_b64 s[24:25], -1
	v_bfe_u32 v3, v2, 16, 1
	v_add3_u32 v2, v2, v3, s2
	global_store_short_d16_hi v[0:1], v2, off
	s_mov_b64 s[2:3], 0
.LBB230_350:
	s_mov_b64 s[28:29], 0
.LBB230_351:
	s_and_b64 vcc, exec, s[28:29]
	s_cbranch_vccz .LBB230_354
; %bb.352:
	s_cmp_eq_u32 s35, 11
	s_mov_b64 s[2:3], -1
	s_cbranch_scc0 .LBB230_354
; %bb.353:
	v_cmp_ne_u16_e32 vcc, 0, v4
	v_cndmask_b32_e64 v2, 0, 1, vcc
	s_mov_b64 s[24:25], -1
	s_mov_b64 s[2:3], 0
	global_store_byte v[0:1], v2, off
.LBB230_354:
	s_mov_b64 s[28:29], 0
.LBB230_355:
	s_and_b64 vcc, exec, s[28:29]
	s_cbranch_vccz .LBB230_394
; %bb.356:
	s_and_b32 s28, 0xffff, s34
	s_cmp_lt_i32 s28, 5
	s_mov_b64 s[24:25], -1
	s_cbranch_scc1 .LBB230_377
; %bb.357:
	s_cmp_lt_i32 s28, 8
	s_cbranch_scc1 .LBB230_367
; %bb.358:
	s_cmp_lt_i32 s28, 9
	s_cbranch_scc1 .LBB230_364
; %bb.359:
	s_cmp_gt_i32 s28, 9
	s_cbranch_scc0 .LBB230_361
; %bb.360:
	v_bfe_i32 v2, v4, 0, 16
	v_cvt_f64_i32_e32 v[5:6], v2
	v_mov_b32_e32 v7, 0
	v_mov_b32_e32 v8, v7
	s_mov_b64 s[24:25], 0
	global_store_dwordx4 v[0:1], v[5:8], off
.LBB230_361:
	s_andn2_b64 vcc, exec, s[24:25]
	s_cbranch_vccnz .LBB230_363
; %bb.362:
	v_cvt_f32_i32_sdwa v2, sext(v4) dst_sel:DWORD dst_unused:UNUSED_PAD src0_sel:WORD_0
	v_mov_b32_e32 v3, 0
	global_store_dwordx2 v[0:1], v[2:3], off
.LBB230_363:
	s_mov_b64 s[24:25], 0
.LBB230_364:
	s_andn2_b64 vcc, exec, s[24:25]
	s_cbranch_vccnz .LBB230_366
; %bb.365:
	v_cvt_f16_i16_e32 v2, v4
	global_store_dword v[0:1], v2, off
.LBB230_366:
	s_mov_b64 s[24:25], 0
.LBB230_367:
	s_andn2_b64 vcc, exec, s[24:25]
	s_cbranch_vccnz .LBB230_376
; %bb.368:
	s_cmp_lt_i32 s28, 6
	s_mov_b64 s[24:25], -1
	s_cbranch_scc1 .LBB230_374
; %bb.369:
	s_cmp_gt_i32 s28, 6
	s_cbranch_scc0 .LBB230_371
; %bb.370:
	v_bfe_i32 v2, v4, 0, 16
	v_cvt_f64_i32_e32 v[2:3], v2
	s_mov_b64 s[24:25], 0
	global_store_dwordx2 v[0:1], v[2:3], off
.LBB230_371:
	s_andn2_b64 vcc, exec, s[24:25]
	s_cbranch_vccnz .LBB230_373
; %bb.372:
	v_cvt_f32_i32_sdwa v2, sext(v4) dst_sel:DWORD dst_unused:UNUSED_PAD src0_sel:WORD_0
	global_store_dword v[0:1], v2, off
.LBB230_373:
	s_mov_b64 s[24:25], 0
.LBB230_374:
	s_andn2_b64 vcc, exec, s[24:25]
	s_cbranch_vccnz .LBB230_376
; %bb.375:
	v_cvt_f16_i16_e32 v2, v4
	global_store_short v[0:1], v2, off
.LBB230_376:
	s_mov_b64 s[24:25], 0
.LBB230_377:
	s_andn2_b64 vcc, exec, s[24:25]
	s_cbranch_vccnz .LBB230_393
; %bb.378:
	s_cmp_lt_i32 s28, 2
	s_mov_b64 s[24:25], -1
	s_cbranch_scc1 .LBB230_388
; %bb.379:
	s_cmp_lt_i32 s28, 3
	s_cbranch_scc1 .LBB230_385
; %bb.380:
	s_cmp_gt_i32 s28, 3
	v_bfe_i32 v2, v4, 0, 16
	s_cbranch_scc0 .LBB230_382
; %bb.381:
	v_ashrrev_i32_e32 v3, 31, v2
	s_mov_b64 s[24:25], 0
	global_store_dwordx2 v[0:1], v[2:3], off
.LBB230_382:
	s_andn2_b64 vcc, exec, s[24:25]
	s_cbranch_vccnz .LBB230_384
; %bb.383:
	global_store_dword v[0:1], v2, off
.LBB230_384:
	s_mov_b64 s[24:25], 0
.LBB230_385:
	s_andn2_b64 vcc, exec, s[24:25]
	s_cbranch_vccnz .LBB230_387
; %bb.386:
	global_store_short v[0:1], v4, off
.LBB230_387:
	s_mov_b64 s[24:25], 0
.LBB230_388:
	s_andn2_b64 vcc, exec, s[24:25]
	s_cbranch_vccnz .LBB230_393
; %bb.389:
	s_cmp_gt_i32 s28, 0
	s_mov_b64 s[24:25], -1
	s_cbranch_scc0 .LBB230_391
; %bb.390:
	s_mov_b64 s[24:25], 0
	global_store_byte v[0:1], v4, off
.LBB230_391:
	s_andn2_b64 vcc, exec, s[24:25]
	s_cbranch_vccnz .LBB230_393
; %bb.392:
	global_store_byte v[0:1], v4, off
.LBB230_393:
	s_mov_b64 s[24:25], -1
.LBB230_394:
	s_andn2_b64 vcc, exec, s[24:25]
	s_cbranch_vccnz .LBB230_396
; %bb.395:
	v_add_u32_e32 v9, 0x80, v9
	s_mov_b64 s[28:29], -1
	s_branch .LBB230_504
.LBB230_396:
	s_mov_b64 s[28:29], 0
                                        ; implicit-def: $vgpr9
	s_branch .LBB230_504
.LBB230_397:
	s_mov_b64 s[22:23], -1
                                        ; implicit-def: $vgpr2
.LBB230_398:
	s_mov_b64 s[24:25], 0
.LBB230_399:
	s_and_b64 vcc, exec, s[24:25]
	s_cbranch_vccz .LBB230_403
; %bb.400:
	s_cmp_eq_u32 s28, 29
	s_cbranch_scc0 .LBB230_402
; %bb.401:
	global_load_dwordx2 v[2:3], v[0:1], off
	s_mov_b64 s[2:3], -1
	s_mov_b64 s[22:23], 0
	s_branch .LBB230_403
.LBB230_402:
	s_mov_b64 s[22:23], -1
                                        ; implicit-def: $vgpr2
.LBB230_403:
	s_mov_b64 s[24:25], 0
.LBB230_404:
	s_and_b64 vcc, exec, s[24:25]
	s_cbranch_vccz .LBB230_420
; %bb.405:
	s_cmp_lt_i32 s28, 27
	s_cbranch_scc1 .LBB230_408
; %bb.406:
	s_cmp_gt_i32 s28, 27
	s_cbranch_scc0 .LBB230_409
; %bb.407:
	global_load_dword v2, v[0:1], off
	s_mov_b64 s[2:3], 0
	s_branch .LBB230_410
.LBB230_408:
	s_mov_b64 s[2:3], -1
                                        ; implicit-def: $vgpr2
	s_branch .LBB230_413
.LBB230_409:
	s_mov_b64 s[2:3], -1
                                        ; implicit-def: $vgpr2
.LBB230_410:
	s_andn2_b64 vcc, exec, s[2:3]
	s_cbranch_vccnz .LBB230_412
; %bb.411:
	global_load_ushort v2, v[0:1], off
.LBB230_412:
	s_mov_b64 s[2:3], 0
.LBB230_413:
	s_andn2_b64 vcc, exec, s[2:3]
	s_cbranch_vccnz .LBB230_419
; %bb.414:
	global_load_ubyte v3, v[0:1], off
	s_movk_i32 s2, 0x7f
	s_mov_b64 s[24:25], 0
	s_waitcnt vmcnt(0)
	v_cmp_lt_i16_e32 vcc, s2, v3
	s_and_saveexec_b64 s[2:3], vcc
	s_xor_b64 s[2:3], exec, s[2:3]
	s_cbranch_execz .LBB230_431
; %bb.415:
	s_movk_i32 s24, 0x80
	v_cmp_ne_u16_e32 vcc, s24, v3
	s_and_b64 s[24:25], vcc, exec
	s_andn2_saveexec_b64 s[2:3], s[2:3]
	s_cbranch_execnz .LBB230_432
.LBB230_416:
	s_or_b64 exec, exec, s[2:3]
	v_mov_b32_e32 v2, 0
	s_and_saveexec_b64 s[2:3], s[24:25]
	s_cbranch_execz .LBB230_418
.LBB230_417:
	v_lshlrev_b32_e32 v2, 24, v3
	v_and_b32_e32 v3, 0xffff, v3
	v_and_b32_e32 v4, 7, v3
	v_ffbh_u32_e32 v6, v4
	v_min_u32_e32 v6, 32, v6
	v_subrev_u32_e32 v7, 28, v6
	v_bfe_u32 v5, v3, 3, 4
	v_lshlrev_b32_e32 v3, v7, v3
	v_sub_u32_e32 v6, 29, v6
	v_and_b32_e32 v3, 7, v3
	v_cmp_eq_u32_e32 vcc, 0, v5
	v_cndmask_b32_e32 v5, v5, v6, vcc
	v_cndmask_b32_e32 v3, v4, v3, vcc
	v_mov_b32_e32 v4, 0x3b800000
	v_lshlrev_b32_e32 v3, 20, v3
	v_and_b32_e32 v2, 0x80000000, v2
	v_lshl_add_u32 v4, v5, 23, v4
	v_or3_b32 v2, v2, v4, v3
	v_cvt_i32_f32_e32 v2, v2
.LBB230_418:
	s_or_b64 exec, exec, s[2:3]
.LBB230_419:
	s_mov_b64 s[2:3], -1
.LBB230_420:
	s_mov_b64 s[24:25], 0
.LBB230_421:
	s_and_b64 vcc, exec, s[24:25]
	s_cbranch_vccz .LBB230_454
; %bb.422:
	s_cmp_gt_i32 s28, 22
	s_cbranch_scc0 .LBB230_430
; %bb.423:
	s_cmp_lt_i32 s28, 24
	s_cbranch_scc1 .LBB230_433
; %bb.424:
	s_cmp_gt_i32 s28, 24
	s_cbranch_scc0 .LBB230_434
; %bb.425:
	global_load_ubyte v3, v[0:1], off
	s_movk_i32 s2, 0x7f
	s_mov_b64 s[24:25], 0
	s_waitcnt vmcnt(0)
	v_cmp_lt_i16_e32 vcc, s2, v3
	s_and_saveexec_b64 s[2:3], vcc
	s_xor_b64 s[2:3], exec, s[2:3]
	s_cbranch_execz .LBB230_446
; %bb.426:
	s_movk_i32 s24, 0x80
	v_cmp_ne_u16_e32 vcc, s24, v3
	s_and_b64 s[24:25], vcc, exec
	s_andn2_saveexec_b64 s[2:3], s[2:3]
	s_cbranch_execnz .LBB230_447
.LBB230_427:
	s_or_b64 exec, exec, s[2:3]
	v_mov_b32_e32 v2, 0
	s_and_saveexec_b64 s[2:3], s[24:25]
	s_cbranch_execz .LBB230_429
.LBB230_428:
	v_lshlrev_b32_e32 v2, 24, v3
	v_and_b32_e32 v3, 0xffff, v3
	v_and_b32_e32 v4, 3, v3
	v_ffbh_u32_e32 v6, v4
	v_min_u32_e32 v6, 32, v6
	v_subrev_u32_e32 v7, 29, v6
	v_bfe_u32 v5, v3, 2, 5
	v_lshlrev_b32_e32 v3, v7, v3
	v_sub_u32_e32 v6, 30, v6
	v_and_b32_e32 v3, 3, v3
	v_cmp_eq_u32_e32 vcc, 0, v5
	v_cndmask_b32_e32 v5, v5, v6, vcc
	v_cndmask_b32_e32 v3, v4, v3, vcc
	v_mov_b32_e32 v4, 0x37800000
	v_lshlrev_b32_e32 v3, 21, v3
	v_and_b32_e32 v2, 0x80000000, v2
	v_lshl_add_u32 v4, v5, 23, v4
	v_or3_b32 v2, v2, v4, v3
	v_cvt_i32_f32_e32 v2, v2
.LBB230_429:
	s_or_b64 exec, exec, s[2:3]
	s_mov_b64 s[2:3], 0
	s_branch .LBB230_435
.LBB230_430:
	s_mov_b64 s[24:25], -1
                                        ; implicit-def: $vgpr2
	s_branch .LBB230_441
.LBB230_431:
	s_andn2_saveexec_b64 s[2:3], s[2:3]
	s_cbranch_execz .LBB230_416
.LBB230_432:
	v_cmp_ne_u16_e32 vcc, 0, v3
	s_andn2_b64 s[24:25], s[24:25], exec
	s_and_b64 s[30:31], vcc, exec
	s_or_b64 s[24:25], s[24:25], s[30:31]
	s_or_b64 exec, exec, s[2:3]
	v_mov_b32_e32 v2, 0
	s_and_saveexec_b64 s[2:3], s[24:25]
	s_cbranch_execnz .LBB230_417
	s_branch .LBB230_418
.LBB230_433:
	s_mov_b64 s[2:3], -1
                                        ; implicit-def: $vgpr2
	s_branch .LBB230_438
.LBB230_434:
	s_mov_b64 s[2:3], -1
                                        ; implicit-def: $vgpr2
.LBB230_435:
	s_and_b64 vcc, exec, s[2:3]
	s_cbranch_vccz .LBB230_437
; %bb.436:
	global_load_ubyte v2, v[0:1], off
	s_mov_b32 s2, 0x7f800000
	s_waitcnt vmcnt(0)
	v_lshlrev_b32_e32 v2, 24, v2
	v_and_b32_e32 v3, 0x7f000000, v2
	v_ffbh_u32_e32 v4, v3
	v_min_u32_e32 v4, 32, v4
	v_sub_u32_e64 v4, v4, 4 clamp
	v_lshlrev_b32_e32 v6, v4, v3
	v_lshlrev_b32_e32 v4, 23, v4
	v_lshrrev_b32_e32 v6, 4, v6
	v_add_u32_e32 v5, 0x1000000, v3
	v_sub_u32_e32 v4, v6, v4
	v_ashrrev_i32_e32 v5, 8, v5
	v_add_u32_e32 v4, 0x3c000000, v4
	v_and_or_b32 v4, v5, s2, v4
	v_cmp_ne_u32_e32 vcc, 0, v3
	v_cndmask_b32_e32 v3, 0, v4, vcc
	s_brev_b32 s2, 1
	v_and_or_b32 v2, v2, s2, v3
	v_cvt_i32_f32_e32 v2, v2
.LBB230_437:
	s_mov_b64 s[2:3], 0
.LBB230_438:
	s_andn2_b64 vcc, exec, s[2:3]
	s_cbranch_vccnz .LBB230_440
; %bb.439:
	global_load_ubyte v2, v[0:1], off
	s_movk_i32 s2, 0x7f00
	s_brev_b32 s3, 16
	s_waitcnt vmcnt(0)
	v_lshlrev_b16_e32 v3, 8, v2
	v_lshlrev_b32_e32 v2, 25, v2
	v_lshrrev_b32_e32 v4, 4, v2
	v_and_or_b32 v5, v3, s2, 0.5
	v_or_b32_e32 v4, 0x70000000, v4
	v_add_f32_e32 v5, -0.5, v5
	v_mul_f32_e32 v4, 0x7800000, v4
	v_cmp_gt_u32_e32 vcc, s3, v2
	v_bfe_i32 v3, v3, 0, 16
	v_cndmask_b32_e32 v2, v4, v5, vcc
	s_brev_b32 s2, 1
	v_and_or_b32 v2, v3, s2, v2
	v_cvt_i32_f32_e32 v2, v2
.LBB230_440:
	s_mov_b64 s[24:25], 0
	s_mov_b64 s[2:3], -1
.LBB230_441:
	s_andn2_b64 vcc, exec, s[24:25]
	s_cbranch_vccnz .LBB230_454
; %bb.442:
	s_cmp_gt_i32 s28, 14
	s_cbranch_scc0 .LBB230_445
; %bb.443:
	s_cmp_eq_u32 s28, 15
	s_cbranch_scc0 .LBB230_448
; %bb.444:
	global_load_ushort v2, v[0:1], off
	s_mov_b64 s[2:3], -1
	s_mov_b64 s[22:23], 0
	s_waitcnt vmcnt(0)
	v_lshlrev_b32_e32 v2, 16, v2
	v_cvt_i32_f32_e32 v2, v2
	s_branch .LBB230_449
.LBB230_445:
	s_mov_b64 s[24:25], -1
                                        ; implicit-def: $vgpr2
	s_branch .LBB230_450
.LBB230_446:
	s_andn2_saveexec_b64 s[2:3], s[2:3]
	s_cbranch_execz .LBB230_427
.LBB230_447:
	v_cmp_ne_u16_e32 vcc, 0, v3
	s_andn2_b64 s[24:25], s[24:25], exec
	s_and_b64 s[30:31], vcc, exec
	s_or_b64 s[24:25], s[24:25], s[30:31]
	s_or_b64 exec, exec, s[2:3]
	v_mov_b32_e32 v2, 0
	s_and_saveexec_b64 s[2:3], s[24:25]
	s_cbranch_execnz .LBB230_428
	s_branch .LBB230_429
.LBB230_448:
	s_mov_b64 s[22:23], -1
                                        ; implicit-def: $vgpr2
.LBB230_449:
	s_mov_b64 s[24:25], 0
.LBB230_450:
	s_and_b64 vcc, exec, s[24:25]
	s_cbranch_vccz .LBB230_454
; %bb.451:
	s_cmp_eq_u32 s28, 11
	s_cbranch_scc0 .LBB230_453
; %bb.452:
	global_load_ubyte v2, v[0:1], off
	s_mov_b64 s[2:3], -1
	s_mov_b64 s[22:23], 0
	s_waitcnt vmcnt(0)
	v_cmp_ne_u16_e32 vcc, 0, v2
	v_cndmask_b32_e64 v2, 0, 1, vcc
	s_branch .LBB230_454
.LBB230_453:
	s_mov_b64 s[22:23], -1
                                        ; implicit-def: $vgpr2
.LBB230_454:
	s_branch .LBB230_261
.LBB230_455:
	s_cmp_lt_i32 s28, 5
	s_cbranch_scc1 .LBB230_460
; %bb.456:
	s_cmp_lt_i32 s28, 8
	s_cbranch_scc1 .LBB230_461
; %bb.457:
	;; [unrolled: 3-line block ×3, first 2 shown]
	s_cmp_gt_i32 s28, 9
	s_cbranch_scc0 .LBB230_463
; %bb.459:
	global_load_dwordx2 v[2:3], v[0:1], off
	s_mov_b64 s[2:3], 0
	s_waitcnt vmcnt(0)
	v_cvt_i32_f64_e32 v2, v[2:3]
	s_branch .LBB230_464
.LBB230_460:
	s_mov_b64 s[2:3], -1
                                        ; implicit-def: $vgpr2
	s_branch .LBB230_482
.LBB230_461:
	s_mov_b64 s[2:3], -1
                                        ; implicit-def: $vgpr2
	s_branch .LBB230_470
.LBB230_462:
	s_mov_b64 s[2:3], -1
                                        ; implicit-def: $vgpr2
	s_branch .LBB230_467
.LBB230_463:
	s_mov_b64 s[2:3], -1
                                        ; implicit-def: $vgpr2
.LBB230_464:
	s_andn2_b64 vcc, exec, s[2:3]
	s_cbranch_vccnz .LBB230_466
; %bb.465:
	global_load_dword v2, v[0:1], off
	s_waitcnt vmcnt(0)
	v_cvt_i32_f32_e32 v2, v2
.LBB230_466:
	s_mov_b64 s[2:3], 0
.LBB230_467:
	s_andn2_b64 vcc, exec, s[2:3]
	s_cbranch_vccnz .LBB230_469
; %bb.468:
	global_load_dword v2, v[0:1], off
	s_waitcnt vmcnt(0)
	v_cvt_i16_f16_e32 v2, v2
.LBB230_469:
	s_mov_b64 s[2:3], 0
.LBB230_470:
	s_andn2_b64 vcc, exec, s[2:3]
	s_cbranch_vccnz .LBB230_481
; %bb.471:
	s_cmp_lt_i32 s28, 6
	s_cbranch_scc1 .LBB230_474
; %bb.472:
	s_cmp_gt_i32 s28, 6
	s_cbranch_scc0 .LBB230_475
; %bb.473:
	global_load_dwordx2 v[2:3], v[0:1], off
	s_mov_b64 s[2:3], 0
	s_waitcnt vmcnt(0)
	v_cvt_i32_f64_e32 v2, v[2:3]
	s_branch .LBB230_476
.LBB230_474:
	s_mov_b64 s[2:3], -1
                                        ; implicit-def: $vgpr2
	s_branch .LBB230_479
.LBB230_475:
	s_mov_b64 s[2:3], -1
                                        ; implicit-def: $vgpr2
.LBB230_476:
	s_andn2_b64 vcc, exec, s[2:3]
	s_cbranch_vccnz .LBB230_478
; %bb.477:
	global_load_dword v2, v[0:1], off
	s_waitcnt vmcnt(0)
	v_cvt_i32_f32_e32 v2, v2
.LBB230_478:
	s_mov_b64 s[2:3], 0
.LBB230_479:
	s_andn2_b64 vcc, exec, s[2:3]
	s_cbranch_vccnz .LBB230_481
; %bb.480:
	global_load_ushort v2, v[0:1], off
	s_waitcnt vmcnt(0)
	v_cvt_i16_f16_e32 v2, v2
.LBB230_481:
	s_mov_b64 s[2:3], 0
.LBB230_482:
	s_andn2_b64 vcc, exec, s[2:3]
	s_cbranch_vccnz .LBB230_502
; %bb.483:
	s_cmp_lt_i32 s28, 2
	s_cbranch_scc1 .LBB230_487
; %bb.484:
	s_cmp_lt_i32 s28, 3
	s_cbranch_scc1 .LBB230_488
; %bb.485:
	s_cmp_gt_i32 s28, 3
	s_cbranch_scc0 .LBB230_489
; %bb.486:
	global_load_dwordx2 v[2:3], v[0:1], off
	s_mov_b64 s[2:3], 0
	s_branch .LBB230_490
.LBB230_487:
	s_mov_b64 s[2:3], -1
                                        ; implicit-def: $vgpr2
	s_branch .LBB230_496
.LBB230_488:
	s_mov_b64 s[2:3], -1
                                        ; implicit-def: $vgpr2
	s_branch .LBB230_493
.LBB230_489:
	s_mov_b64 s[2:3], -1
                                        ; implicit-def: $vgpr2
.LBB230_490:
	s_andn2_b64 vcc, exec, s[2:3]
	s_cbranch_vccnz .LBB230_492
; %bb.491:
	global_load_dword v2, v[0:1], off
.LBB230_492:
	s_mov_b64 s[2:3], 0
.LBB230_493:
	s_andn2_b64 vcc, exec, s[2:3]
	s_cbranch_vccnz .LBB230_495
; %bb.494:
	global_load_ushort v2, v[0:1], off
.LBB230_495:
	s_mov_b64 s[2:3], 0
.LBB230_496:
	s_andn2_b64 vcc, exec, s[2:3]
	s_cbranch_vccnz .LBB230_502
; %bb.497:
	s_cmp_gt_i32 s28, 0
	s_cbranch_scc0 .LBB230_499
; %bb.498:
	global_load_sbyte v2, v[0:1], off
	s_mov_b64 s[2:3], 0
	s_branch .LBB230_500
.LBB230_499:
	s_mov_b64 s[2:3], -1
                                        ; implicit-def: $vgpr2
.LBB230_500:
	s_andn2_b64 vcc, exec, s[2:3]
	s_cbranch_vccnz .LBB230_502
; %bb.501:
	global_load_ubyte v2, v[0:1], off
.LBB230_502:
	s_branch .LBB230_262
.LBB230_503:
	s_mov_b64 s[28:29], 0
                                        ; implicit-def: $vgpr9
	s_mov_b64 s[2:3], s[16:17]
.LBB230_504:
	s_andn2_b64 s[24:25], s[16:17], exec
	s_and_b64 s[2:3], s[2:3], exec
	s_or_b64 s[24:25], s[24:25], s[2:3]
	s_andn2_b64 s[2:3], s[18:19], exec
	s_and_b64 s[22:23], s[22:23], exec
	s_or_b64 s[22:23], s[2:3], s[22:23]
	s_orn2_b64 s[2:3], s[28:29], exec
.LBB230_505:
	s_or_b64 exec, exec, s[26:27]
	s_mov_b64 s[30:31], 0
	s_mov_b64 s[28:29], 0
	;; [unrolled: 1-line block ×3, first 2 shown]
                                        ; implicit-def: $vgpr0_vgpr1
                                        ; implicit-def: $vgpr2
	s_and_saveexec_b64 s[26:27], s[2:3]
	s_cbranch_execz .LBB230_842
; %bb.506:
	v_cmp_gt_i32_e32 vcc, s42, v9
	s_mov_b64 s[38:39], -1
	s_mov_b64 s[2:3], s[22:23]
	s_mov_b64 s[34:35], s[24:25]
	s_and_saveexec_b64 s[28:29], vcc
	s_cbranch_execz .LBB230_760
; %bb.507:
	v_mul_lo_u32 v0, v9, s13
	v_mov_b32_e32 v1, s11
	s_and_b32 s36, 0xffff, s33
	s_cmp_lt_i32 s36, 11
	s_waitcnt vmcnt(0)
	v_ashrrev_i32_e32 v2, 31, v0
	v_add_co_u32_e32 v0, vcc, s10, v0
	v_addc_co_u32_e32 v1, vcc, v1, v2, vcc
	s_cbranch_scc1 .LBB230_514
; %bb.508:
	s_cmp_gt_i32 s36, 25
	s_cbranch_scc0 .LBB230_515
; %bb.509:
	s_cmp_gt_i32 s36, 28
	s_cbranch_scc0 .LBB230_516
	;; [unrolled: 3-line block ×4, first 2 shown]
; %bb.512:
	s_cmp_eq_u32 s36, 46
	s_mov_b64 s[34:35], 0
	s_cbranch_scc0 .LBB230_523
; %bb.513:
	global_load_dword v2, v[0:1], off
	s_mov_b64 s[2:3], -1
	s_waitcnt vmcnt(0)
	v_lshlrev_b32_e32 v2, 16, v2
	v_cvt_i32_f32_e32 v2, v2
	s_branch .LBB230_524
.LBB230_514:
	s_mov_b64 s[34:35], -1
	s_mov_b64 s[2:3], 0
                                        ; implicit-def: $vgpr2
	s_mov_b64 s[30:31], s[22:23]
	s_branch .LBB230_585
.LBB230_515:
	s_mov_b64 s[34:35], -1
	s_mov_b64 s[2:3], 0
	s_mov_b64 s[30:31], s[22:23]
                                        ; implicit-def: $vgpr2
	s_branch .LBB230_551
.LBB230_516:
	s_mov_b64 s[34:35], -1
	s_mov_b64 s[2:3], 0
	s_mov_b64 s[30:31], s[22:23]
                                        ; implicit-def: $vgpr2
	s_branch .LBB230_534
.LBB230_517:
	s_mov_b64 s[34:35], -1
	s_mov_b64 s[2:3], 0
	s_mov_b64 s[30:31], s[22:23]
                                        ; implicit-def: $vgpr2
	s_branch .LBB230_529
.LBB230_518:
	s_andn2_saveexec_b64 s[30:31], s[30:31]
	s_cbranch_execz .LBB230_307
.LBB230_519:
	s_mov_b32 s36, 0x46000000
	v_add_f32_e64 v3, |v2|, s36
	v_and_b32_e32 v3, 0xff, v3
	v_cmp_ne_u32_e32 vcc, 0, v3
	s_andn2_b64 s[28:29], s[28:29], exec
	s_and_b64 s[36:37], vcc, exec
	s_or_b64 s[28:29], s[28:29], s[36:37]
	s_or_b64 exec, exec, s[30:31]
	v_mov_b32_e32 v5, 0
	s_and_saveexec_b64 s[30:31], s[28:29]
	s_cbranch_execnz .LBB230_308
	s_branch .LBB230_309
.LBB230_520:
	s_mov_b64 s[34:35], -1
	s_mov_b64 s[2:3], 0
	s_mov_b64 s[30:31], s[22:23]
                                        ; implicit-def: $vgpr2
	s_branch .LBB230_524
.LBB230_521:
	s_andn2_saveexec_b64 s[30:31], s[30:31]
	s_cbranch_execz .LBB230_320
.LBB230_522:
	s_mov_b32 s36, 0x42800000
	v_add_f32_e64 v3, |v2|, s36
	v_and_b32_e32 v3, 0xff, v3
	v_cmp_ne_u32_e32 vcc, 0, v3
	s_andn2_b64 s[28:29], s[28:29], exec
	s_and_b64 s[36:37], vcc, exec
	s_or_b64 s[28:29], s[28:29], s[36:37]
	s_or_b64 exec, exec, s[30:31]
	v_mov_b32_e32 v5, 0
	s_and_saveexec_b64 s[30:31], s[28:29]
	s_cbranch_execnz .LBB230_321
	s_branch .LBB230_322
.LBB230_523:
	s_mov_b64 s[30:31], -1
                                        ; implicit-def: $vgpr2
	s_mov_b64 s[2:3], 0
.LBB230_524:
	s_and_b64 vcc, exec, s[34:35]
	s_cbranch_vccz .LBB230_528
; %bb.525:
	s_cmp_eq_u32 s36, 44
	s_cbranch_scc0 .LBB230_527
; %bb.526:
	global_load_ubyte v2, v[0:1], off
	s_mov_b64 s[2:3], -1
	s_mov_b64 s[30:31], 0
	s_waitcnt vmcnt(0)
	v_lshlrev_b32_e32 v3, 23, v2
	v_cvt_i32_f32_e32 v3, v3
	v_cmp_ne_u32_e32 vcc, 0, v2
	v_cndmask_b32_e32 v2, 0, v3, vcc
	s_branch .LBB230_528
.LBB230_527:
	s_mov_b64 s[30:31], -1
                                        ; implicit-def: $vgpr2
.LBB230_528:
	s_mov_b64 s[34:35], 0
.LBB230_529:
	s_and_b64 vcc, exec, s[34:35]
	s_cbranch_vccz .LBB230_533
; %bb.530:
	s_cmp_eq_u32 s36, 29
	s_cbranch_scc0 .LBB230_532
; %bb.531:
	global_load_dwordx2 v[2:3], v[0:1], off
	s_mov_b64 s[2:3], -1
	s_mov_b64 s[30:31], 0
	s_branch .LBB230_533
.LBB230_532:
	s_mov_b64 s[30:31], -1
                                        ; implicit-def: $vgpr2
.LBB230_533:
	s_mov_b64 s[34:35], 0
.LBB230_534:
	s_and_b64 vcc, exec, s[34:35]
	s_cbranch_vccz .LBB230_550
; %bb.535:
	s_cmp_lt_i32 s36, 27
	s_cbranch_scc1 .LBB230_538
; %bb.536:
	s_cmp_gt_i32 s36, 27
	s_cbranch_scc0 .LBB230_539
; %bb.537:
	global_load_dword v2, v[0:1], off
	s_mov_b64 s[2:3], 0
	s_branch .LBB230_540
.LBB230_538:
	s_mov_b64 s[2:3], -1
                                        ; implicit-def: $vgpr2
	s_branch .LBB230_543
.LBB230_539:
	s_mov_b64 s[2:3], -1
                                        ; implicit-def: $vgpr2
.LBB230_540:
	s_andn2_b64 vcc, exec, s[2:3]
	s_cbranch_vccnz .LBB230_542
; %bb.541:
	global_load_ushort v2, v[0:1], off
.LBB230_542:
	s_mov_b64 s[2:3], 0
.LBB230_543:
	s_andn2_b64 vcc, exec, s[2:3]
	s_cbranch_vccnz .LBB230_549
; %bb.544:
	global_load_ubyte v3, v[0:1], off
	s_movk_i32 s2, 0x7f
	s_mov_b64 s[34:35], 0
	s_waitcnt vmcnt(0)
	v_cmp_lt_i16_e32 vcc, s2, v3
	s_and_saveexec_b64 s[2:3], vcc
	s_xor_b64 s[2:3], exec, s[2:3]
	s_cbranch_execz .LBB230_561
; %bb.545:
	s_movk_i32 s34, 0x80
	v_cmp_ne_u16_e32 vcc, s34, v3
	s_and_b64 s[34:35], vcc, exec
	s_andn2_saveexec_b64 s[2:3], s[2:3]
	s_cbranch_execnz .LBB230_562
.LBB230_546:
	s_or_b64 exec, exec, s[2:3]
	v_mov_b32_e32 v2, 0
	s_and_saveexec_b64 s[2:3], s[34:35]
	s_cbranch_execz .LBB230_548
.LBB230_547:
	v_lshlrev_b32_e32 v2, 24, v3
	v_and_b32_e32 v3, 0xffff, v3
	v_and_b32_e32 v4, 7, v3
	v_ffbh_u32_e32 v6, v4
	v_min_u32_e32 v6, 32, v6
	v_subrev_u32_e32 v7, 28, v6
	v_bfe_u32 v5, v3, 3, 4
	v_lshlrev_b32_e32 v3, v7, v3
	v_sub_u32_e32 v6, 29, v6
	v_and_b32_e32 v3, 7, v3
	v_cmp_eq_u32_e32 vcc, 0, v5
	v_cndmask_b32_e32 v5, v5, v6, vcc
	v_cndmask_b32_e32 v3, v4, v3, vcc
	v_mov_b32_e32 v4, 0x3b800000
	v_lshlrev_b32_e32 v3, 20, v3
	v_and_b32_e32 v2, 0x80000000, v2
	v_lshl_add_u32 v4, v5, 23, v4
	v_or3_b32 v2, v2, v4, v3
	v_cvt_i32_f32_e32 v2, v2
.LBB230_548:
	s_or_b64 exec, exec, s[2:3]
.LBB230_549:
	s_mov_b64 s[2:3], -1
.LBB230_550:
	s_mov_b64 s[34:35], 0
.LBB230_551:
	s_and_b64 vcc, exec, s[34:35]
	s_cbranch_vccz .LBB230_584
; %bb.552:
	s_cmp_gt_i32 s36, 22
	s_cbranch_scc0 .LBB230_560
; %bb.553:
	s_cmp_lt_i32 s36, 24
	s_cbranch_scc1 .LBB230_563
; %bb.554:
	s_cmp_gt_i32 s36, 24
	s_cbranch_scc0 .LBB230_564
; %bb.555:
	global_load_ubyte v3, v[0:1], off
	s_movk_i32 s2, 0x7f
	s_mov_b64 s[34:35], 0
	s_waitcnt vmcnt(0)
	v_cmp_lt_i16_e32 vcc, s2, v3
	s_and_saveexec_b64 s[2:3], vcc
	s_xor_b64 s[2:3], exec, s[2:3]
	s_cbranch_execz .LBB230_576
; %bb.556:
	s_movk_i32 s34, 0x80
	v_cmp_ne_u16_e32 vcc, s34, v3
	s_and_b64 s[34:35], vcc, exec
	s_andn2_saveexec_b64 s[2:3], s[2:3]
	s_cbranch_execnz .LBB230_577
.LBB230_557:
	s_or_b64 exec, exec, s[2:3]
	v_mov_b32_e32 v2, 0
	s_and_saveexec_b64 s[2:3], s[34:35]
	s_cbranch_execz .LBB230_559
.LBB230_558:
	v_lshlrev_b32_e32 v2, 24, v3
	v_and_b32_e32 v3, 0xffff, v3
	v_and_b32_e32 v4, 3, v3
	v_ffbh_u32_e32 v6, v4
	v_min_u32_e32 v6, 32, v6
	v_subrev_u32_e32 v7, 29, v6
	v_bfe_u32 v5, v3, 2, 5
	v_lshlrev_b32_e32 v3, v7, v3
	v_sub_u32_e32 v6, 30, v6
	v_and_b32_e32 v3, 3, v3
	v_cmp_eq_u32_e32 vcc, 0, v5
	v_cndmask_b32_e32 v5, v5, v6, vcc
	v_cndmask_b32_e32 v3, v4, v3, vcc
	v_mov_b32_e32 v4, 0x37800000
	v_lshlrev_b32_e32 v3, 21, v3
	v_and_b32_e32 v2, 0x80000000, v2
	v_lshl_add_u32 v4, v5, 23, v4
	v_or3_b32 v2, v2, v4, v3
	v_cvt_i32_f32_e32 v2, v2
.LBB230_559:
	s_or_b64 exec, exec, s[2:3]
	s_mov_b64 s[2:3], 0
	s_branch .LBB230_565
.LBB230_560:
	s_mov_b64 s[34:35], -1
                                        ; implicit-def: $vgpr2
	s_branch .LBB230_571
.LBB230_561:
	s_andn2_saveexec_b64 s[2:3], s[2:3]
	s_cbranch_execz .LBB230_546
.LBB230_562:
	v_cmp_ne_u16_e32 vcc, 0, v3
	s_andn2_b64 s[34:35], s[34:35], exec
	s_and_b64 s[38:39], vcc, exec
	s_or_b64 s[34:35], s[34:35], s[38:39]
	s_or_b64 exec, exec, s[2:3]
	v_mov_b32_e32 v2, 0
	s_and_saveexec_b64 s[2:3], s[34:35]
	s_cbranch_execnz .LBB230_547
	s_branch .LBB230_548
.LBB230_563:
	s_mov_b64 s[2:3], -1
                                        ; implicit-def: $vgpr2
	s_branch .LBB230_568
.LBB230_564:
	s_mov_b64 s[2:3], -1
                                        ; implicit-def: $vgpr2
.LBB230_565:
	s_and_b64 vcc, exec, s[2:3]
	s_cbranch_vccz .LBB230_567
; %bb.566:
	global_load_ubyte v2, v[0:1], off
	s_mov_b32 s2, 0x7f800000
	s_waitcnt vmcnt(0)
	v_lshlrev_b32_e32 v2, 24, v2
	v_and_b32_e32 v3, 0x7f000000, v2
	v_ffbh_u32_e32 v4, v3
	v_min_u32_e32 v4, 32, v4
	v_sub_u32_e64 v4, v4, 4 clamp
	v_lshlrev_b32_e32 v6, v4, v3
	v_lshlrev_b32_e32 v4, 23, v4
	v_lshrrev_b32_e32 v6, 4, v6
	v_add_u32_e32 v5, 0x1000000, v3
	v_sub_u32_e32 v4, v6, v4
	v_ashrrev_i32_e32 v5, 8, v5
	v_add_u32_e32 v4, 0x3c000000, v4
	v_and_or_b32 v4, v5, s2, v4
	v_cmp_ne_u32_e32 vcc, 0, v3
	v_cndmask_b32_e32 v3, 0, v4, vcc
	s_brev_b32 s2, 1
	v_and_or_b32 v2, v2, s2, v3
	v_cvt_i32_f32_e32 v2, v2
.LBB230_567:
	s_mov_b64 s[2:3], 0
.LBB230_568:
	s_andn2_b64 vcc, exec, s[2:3]
	s_cbranch_vccnz .LBB230_570
; %bb.569:
	global_load_ubyte v2, v[0:1], off
	s_movk_i32 s2, 0x7f00
	s_brev_b32 s3, 16
	s_waitcnt vmcnt(0)
	v_lshlrev_b16_e32 v3, 8, v2
	v_lshlrev_b32_e32 v2, 25, v2
	v_lshrrev_b32_e32 v4, 4, v2
	v_and_or_b32 v5, v3, s2, 0.5
	v_or_b32_e32 v4, 0x70000000, v4
	v_add_f32_e32 v5, -0.5, v5
	v_mul_f32_e32 v4, 0x7800000, v4
	v_cmp_gt_u32_e32 vcc, s3, v2
	v_bfe_i32 v3, v3, 0, 16
	v_cndmask_b32_e32 v2, v4, v5, vcc
	s_brev_b32 s2, 1
	v_and_or_b32 v2, v3, s2, v2
	v_cvt_i32_f32_e32 v2, v2
.LBB230_570:
	s_mov_b64 s[34:35], 0
	s_mov_b64 s[2:3], -1
.LBB230_571:
	s_andn2_b64 vcc, exec, s[34:35]
	s_cbranch_vccnz .LBB230_584
; %bb.572:
	s_cmp_gt_i32 s36, 14
	s_cbranch_scc0 .LBB230_575
; %bb.573:
	s_cmp_eq_u32 s36, 15
	s_cbranch_scc0 .LBB230_578
; %bb.574:
	global_load_ushort v2, v[0:1], off
	s_mov_b64 s[2:3], -1
	s_mov_b64 s[30:31], 0
	s_waitcnt vmcnt(0)
	v_lshlrev_b32_e32 v2, 16, v2
	v_cvt_i32_f32_e32 v2, v2
	s_branch .LBB230_579
.LBB230_575:
	s_mov_b64 s[34:35], -1
                                        ; implicit-def: $vgpr2
	s_branch .LBB230_580
.LBB230_576:
	s_andn2_saveexec_b64 s[2:3], s[2:3]
	s_cbranch_execz .LBB230_557
.LBB230_577:
	v_cmp_ne_u16_e32 vcc, 0, v3
	s_andn2_b64 s[34:35], s[34:35], exec
	s_and_b64 s[38:39], vcc, exec
	s_or_b64 s[34:35], s[34:35], s[38:39]
	s_or_b64 exec, exec, s[2:3]
	v_mov_b32_e32 v2, 0
	s_and_saveexec_b64 s[2:3], s[34:35]
	s_cbranch_execnz .LBB230_558
	s_branch .LBB230_559
.LBB230_578:
	s_mov_b64 s[30:31], -1
                                        ; implicit-def: $vgpr2
.LBB230_579:
	s_mov_b64 s[34:35], 0
.LBB230_580:
	s_and_b64 vcc, exec, s[34:35]
	s_cbranch_vccz .LBB230_584
; %bb.581:
	s_cmp_eq_u32 s36, 11
	s_cbranch_scc0 .LBB230_583
; %bb.582:
	global_load_ubyte v2, v[0:1], off
	s_mov_b64 s[2:3], -1
	s_mov_b64 s[30:31], 0
	s_waitcnt vmcnt(0)
	v_cmp_ne_u16_e32 vcc, 0, v2
	v_cndmask_b32_e64 v2, 0, 1, vcc
	s_branch .LBB230_584
.LBB230_583:
	s_mov_b64 s[30:31], -1
                                        ; implicit-def: $vgpr2
.LBB230_584:
	s_mov_b64 s[34:35], 0
.LBB230_585:
	s_and_b64 vcc, exec, s[34:35]
	s_cbranch_vccz .LBB230_634
; %bb.586:
	s_cmp_lt_i32 s36, 5
	s_cbranch_scc1 .LBB230_591
; %bb.587:
	s_cmp_lt_i32 s36, 8
	s_cbranch_scc1 .LBB230_592
	;; [unrolled: 3-line block ×3, first 2 shown]
; %bb.589:
	s_cmp_gt_i32 s36, 9
	s_cbranch_scc0 .LBB230_594
; %bb.590:
	global_load_dwordx2 v[2:3], v[0:1], off
	s_mov_b64 s[2:3], 0
	s_waitcnt vmcnt(0)
	v_cvt_i32_f64_e32 v2, v[2:3]
	s_branch .LBB230_595
.LBB230_591:
	s_mov_b64 s[2:3], -1
                                        ; implicit-def: $vgpr2
	s_branch .LBB230_613
.LBB230_592:
	s_mov_b64 s[2:3], -1
                                        ; implicit-def: $vgpr2
	s_branch .LBB230_601
.LBB230_593:
	s_mov_b64 s[2:3], -1
                                        ; implicit-def: $vgpr2
	s_branch .LBB230_598
.LBB230_594:
	s_mov_b64 s[2:3], -1
                                        ; implicit-def: $vgpr2
.LBB230_595:
	s_andn2_b64 vcc, exec, s[2:3]
	s_cbranch_vccnz .LBB230_597
; %bb.596:
	global_load_dword v2, v[0:1], off
	s_waitcnt vmcnt(0)
	v_cvt_i32_f32_e32 v2, v2
.LBB230_597:
	s_mov_b64 s[2:3], 0
.LBB230_598:
	s_andn2_b64 vcc, exec, s[2:3]
	s_cbranch_vccnz .LBB230_600
; %bb.599:
	global_load_dword v2, v[0:1], off
	s_waitcnt vmcnt(0)
	v_cvt_i16_f16_e32 v2, v2
.LBB230_600:
	s_mov_b64 s[2:3], 0
.LBB230_601:
	s_andn2_b64 vcc, exec, s[2:3]
	s_cbranch_vccnz .LBB230_612
; %bb.602:
	s_cmp_lt_i32 s36, 6
	s_cbranch_scc1 .LBB230_605
; %bb.603:
	s_cmp_gt_i32 s36, 6
	s_cbranch_scc0 .LBB230_606
; %bb.604:
	global_load_dwordx2 v[2:3], v[0:1], off
	s_mov_b64 s[2:3], 0
	s_waitcnt vmcnt(0)
	v_cvt_i32_f64_e32 v2, v[2:3]
	s_branch .LBB230_607
.LBB230_605:
	s_mov_b64 s[2:3], -1
                                        ; implicit-def: $vgpr2
	s_branch .LBB230_610
.LBB230_606:
	s_mov_b64 s[2:3], -1
                                        ; implicit-def: $vgpr2
.LBB230_607:
	s_andn2_b64 vcc, exec, s[2:3]
	s_cbranch_vccnz .LBB230_609
; %bb.608:
	global_load_dword v2, v[0:1], off
	s_waitcnt vmcnt(0)
	v_cvt_i32_f32_e32 v2, v2
.LBB230_609:
	s_mov_b64 s[2:3], 0
.LBB230_610:
	s_andn2_b64 vcc, exec, s[2:3]
	s_cbranch_vccnz .LBB230_612
; %bb.611:
	global_load_ushort v2, v[0:1], off
	s_waitcnt vmcnt(0)
	v_cvt_i16_f16_e32 v2, v2
.LBB230_612:
	s_mov_b64 s[2:3], 0
.LBB230_613:
	s_andn2_b64 vcc, exec, s[2:3]
	s_cbranch_vccnz .LBB230_633
; %bb.614:
	s_cmp_lt_i32 s36, 2
	s_cbranch_scc1 .LBB230_618
; %bb.615:
	s_cmp_lt_i32 s36, 3
	s_cbranch_scc1 .LBB230_619
; %bb.616:
	s_cmp_gt_i32 s36, 3
	s_cbranch_scc0 .LBB230_620
; %bb.617:
	global_load_dwordx2 v[2:3], v[0:1], off
	s_mov_b64 s[2:3], 0
	s_branch .LBB230_621
.LBB230_618:
	s_mov_b64 s[2:3], -1
                                        ; implicit-def: $vgpr2
	s_branch .LBB230_627
.LBB230_619:
	s_mov_b64 s[2:3], -1
                                        ; implicit-def: $vgpr2
	s_branch .LBB230_624
.LBB230_620:
	s_mov_b64 s[2:3], -1
                                        ; implicit-def: $vgpr2
.LBB230_621:
	s_andn2_b64 vcc, exec, s[2:3]
	s_cbranch_vccnz .LBB230_623
; %bb.622:
	global_load_dword v2, v[0:1], off
.LBB230_623:
	s_mov_b64 s[2:3], 0
.LBB230_624:
	s_andn2_b64 vcc, exec, s[2:3]
	s_cbranch_vccnz .LBB230_626
; %bb.625:
	global_load_ushort v2, v[0:1], off
.LBB230_626:
	s_mov_b64 s[2:3], 0
.LBB230_627:
	s_andn2_b64 vcc, exec, s[2:3]
	s_cbranch_vccnz .LBB230_633
; %bb.628:
	s_cmp_gt_i32 s36, 0
	s_cbranch_scc0 .LBB230_630
; %bb.629:
	global_load_sbyte v2, v[0:1], off
	s_mov_b64 s[2:3], 0
	s_branch .LBB230_631
.LBB230_630:
	s_mov_b64 s[2:3], -1
                                        ; implicit-def: $vgpr2
.LBB230_631:
	s_andn2_b64 vcc, exec, s[2:3]
	s_cbranch_vccnz .LBB230_633
; %bb.632:
	global_load_ubyte v2, v[0:1], off
.LBB230_633:
	s_mov_b64 s[2:3], -1
.LBB230_634:
	s_andn2_b64 vcc, exec, s[2:3]
	s_cbranch_vccnz .LBB230_642
; %bb.635:
	v_mul_lo_u32 v0, v9, s12
	s_waitcnt vmcnt(0)
	v_ashrrev_i16_e32 v1, 15, v2
	v_ashrrev_i32_sdwa v2, s46, sext(v2) dst_sel:DWORD dst_unused:UNUSED_PAD src0_sel:DWORD src1_sel:WORD_0
	v_cndmask_b32_e64 v4, v2, v1, s[0:1]
	v_ashrrev_i32_e32 v1, 31, v0
	v_mov_b32_e32 v2, s9
	s_and_b32 s40, s15, 0xff
	v_add_co_u32_e32 v0, vcc, s8, v0
	s_cmp_lt_i32 s40, 11
	v_addc_co_u32_e32 v1, vcc, v2, v1, vcc
	s_cbranch_scc1 .LBB230_643
; %bb.636:
	s_and_b32 s41, 0xffff, s40
	s_cmp_gt_i32 s41, 25
	s_cbranch_scc0 .LBB230_644
; %bb.637:
	s_cmp_gt_i32 s41, 28
	s_cbranch_scc0 .LBB230_645
; %bb.638:
	;; [unrolled: 3-line block ×4, first 2 shown]
	s_mov_b64 s[36:37], 0
	s_mov_b64 s[2:3], -1
	s_cmp_eq_u32 s41, 46
	s_mov_b64 s[34:35], 0
	s_cbranch_scc0 .LBB230_648
; %bb.641:
	v_cvt_f32_i32_sdwa v2, sext(v4) dst_sel:DWORD dst_unused:UNUSED_PAD src0_sel:WORD_0
	s_movk_i32 s2, 0x7fff
	s_mov_b64 s[34:35], -1
	v_bfe_u32 v3, v2, 16, 1
	v_add3_u32 v2, v2, v3, s2
	v_lshrrev_b32_e32 v2, 16, v2
	global_store_dword v[0:1], v2, off
	s_mov_b64 s[2:3], 0
	s_branch .LBB230_648
.LBB230_642:
	s_mov_b64 s[36:37], 0
                                        ; implicit-def: $vgpr9
	s_mov_b64 s[2:3], s[24:25]
	s_branch .LBB230_759
.LBB230_643:
	s_mov_b64 s[36:37], -1
	s_mov_b64 s[34:35], 0
	s_mov_b64 s[2:3], s[24:25]
	s_branch .LBB230_717
.LBB230_644:
	s_mov_b64 s[36:37], -1
	s_mov_b64 s[34:35], 0
	s_mov_b64 s[2:3], s[24:25]
	s_branch .LBB230_675
.LBB230_645:
	s_mov_b64 s[36:37], -1
	s_mov_b64 s[34:35], 0
	s_mov_b64 s[2:3], s[24:25]
	s_branch .LBB230_658
.LBB230_646:
	s_mov_b64 s[36:37], -1
	s_mov_b64 s[34:35], 0
	s_mov_b64 s[2:3], s[24:25]
	s_branch .LBB230_654
.LBB230_647:
	s_mov_b64 s[36:37], -1
	s_mov_b64 s[34:35], 0
	s_mov_b64 s[2:3], s[24:25]
.LBB230_648:
	s_and_b64 vcc, exec, s[36:37]
	s_cbranch_vccz .LBB230_653
; %bb.649:
	s_cmp_eq_u32 s41, 44
	s_mov_b64 s[2:3], -1
	s_cbranch_scc0 .LBB230_653
; %bb.650:
	v_cvt_f32_i32_sdwa v2, sext(v4) dst_sel:DWORD dst_unused:UNUSED_PAD src0_sel:WORD_0
	s_movk_i32 s2, 0xff
	v_mov_b32_e32 v5, 0xff
	v_bfe_u32 v3, v2, 23, 8
	v_cmp_ne_u32_e32 vcc, s2, v3
	s_and_saveexec_b64 s[34:35], vcc
; %bb.651:
	s_mov_b32 s2, 0x3fffff
	v_lshrrev_b32_e32 v5, 23, v2
	v_and_b32_e32 v6, 0x400000, v2
	v_and_or_b32 v2, v2, s2, v3
	v_cmp_ne_u32_e32 vcc, 0, v6
	v_cmp_ne_u32_e64 s[2:3], 0, v2
	s_and_b64 s[2:3], vcc, s[2:3]
	v_cndmask_b32_e64 v2, 0, 1, s[2:3]
	v_add_u32_e32 v5, v5, v2
; %bb.652:
	s_or_b64 exec, exec, s[34:35]
	s_mov_b64 s[34:35], -1
	s_mov_b64 s[2:3], 0
	global_store_byte v[0:1], v5, off
.LBB230_653:
	s_mov_b64 s[36:37], 0
.LBB230_654:
	s_and_b64 vcc, exec, s[36:37]
	s_cbranch_vccz .LBB230_657
; %bb.655:
	s_cmp_eq_u32 s41, 29
	s_mov_b64 s[2:3], -1
	s_cbranch_scc0 .LBB230_657
; %bb.656:
	v_bfe_i32 v2, v4, 0, 16
	v_ashrrev_i32_e32 v3, 31, v2
	global_store_dwordx2 v[0:1], v[2:3], off
	s_mov_b64 s[34:35], -1
	s_mov_b64 s[2:3], 0
.LBB230_657:
	s_mov_b64 s[36:37], 0
.LBB230_658:
	s_and_b64 vcc, exec, s[36:37]
	s_cbranch_vccz .LBB230_674
; %bb.659:
	s_cmp_lt_i32 s41, 27
	s_mov_b64 s[34:35], -1
	s_cbranch_scc1 .LBB230_665
; %bb.660:
	s_cmp_gt_i32 s41, 27
	s_cbranch_scc0 .LBB230_662
; %bb.661:
	v_bfe_i32 v2, v4, 0, 16
	s_mov_b64 s[34:35], 0
	global_store_dword v[0:1], v2, off
.LBB230_662:
	s_andn2_b64 vcc, exec, s[34:35]
	s_cbranch_vccnz .LBB230_664
; %bb.663:
	global_store_short v[0:1], v4, off
.LBB230_664:
	s_mov_b64 s[34:35], 0
.LBB230_665:
	s_andn2_b64 vcc, exec, s[34:35]
	s_cbranch_vccnz .LBB230_673
; %bb.666:
	v_cvt_f32_i32_sdwa v2, sext(v4) dst_sel:DWORD dst_unused:UNUSED_PAD src0_sel:WORD_0
	s_mov_b32 s34, 0x43800000
	v_mov_b32_e32 v5, 0x80
	v_and_b32_e32 v3, 0x7fffffff, v2
	v_cmp_gt_u32_e32 vcc, s34, v3
	s_and_saveexec_b64 s[34:35], vcc
	s_cbranch_execz .LBB230_672
; %bb.667:
	s_mov_b32 s36, 0x3bffffff
	v_cmp_lt_u32_e32 vcc, s36, v3
	s_mov_b64 s[36:37], 0
                                        ; implicit-def: $vgpr3
	s_and_saveexec_b64 s[38:39], vcc
	s_xor_b64 s[38:39], exec, s[38:39]
	s_cbranch_execz .LBB230_773
; %bb.668:
	v_bfe_u32 v3, v2, 20, 1
	s_mov_b32 s43, 0x487ffff
	v_add3_u32 v3, v2, v3, s43
	s_mov_b64 s[36:37], exec
	v_lshrrev_b32_e32 v3, 20, v3
	s_andn2_saveexec_b64 s[38:39], s[38:39]
	s_cbranch_execnz .LBB230_774
.LBB230_669:
	s_or_b64 exec, exec, s[38:39]
	v_mov_b32_e32 v5, 0
	s_and_saveexec_b64 s[38:39], s[36:37]
.LBB230_670:
	v_lshrrev_b32_e32 v2, 24, v2
	s_movk_i32 s36, 0x80
	v_and_or_b32 v5, v2, s36, v3
.LBB230_671:
	s_or_b64 exec, exec, s[38:39]
.LBB230_672:
	s_or_b64 exec, exec, s[34:35]
	global_store_byte v[0:1], v5, off
.LBB230_673:
	s_mov_b64 s[34:35], -1
.LBB230_674:
	s_mov_b64 s[36:37], 0
.LBB230_675:
	s_and_b64 vcc, exec, s[36:37]
	s_cbranch_vccz .LBB230_716
; %bb.676:
	s_cmp_gt_i32 s41, 22
	s_mov_b64 s[36:37], -1
	s_cbranch_scc0 .LBB230_708
; %bb.677:
	s_cmp_lt_i32 s41, 24
	s_mov_b64 s[34:35], -1
	s_cbranch_scc1 .LBB230_697
; %bb.678:
	s_cmp_gt_i32 s41, 24
	s_cbranch_scc0 .LBB230_686
; %bb.679:
	v_cvt_f32_i32_sdwa v2, sext(v4) dst_sel:DWORD dst_unused:UNUSED_PAD src0_sel:WORD_0
	s_mov_b32 s34, 0x47800000
	v_mov_b32_e32 v5, 0x80
	v_and_b32_e32 v3, 0x7fffffff, v2
	v_cmp_gt_u32_e32 vcc, s34, v3
	s_and_saveexec_b64 s[34:35], vcc
	s_cbranch_execz .LBB230_685
; %bb.680:
	s_mov_b32 s36, 0x37ffffff
	v_cmp_lt_u32_e32 vcc, s36, v3
	s_mov_b64 s[36:37], 0
                                        ; implicit-def: $vgpr3
	s_and_saveexec_b64 s[38:39], vcc
	s_xor_b64 s[38:39], exec, s[38:39]
	s_cbranch_execz .LBB230_776
; %bb.681:
	v_bfe_u32 v3, v2, 21, 1
	s_mov_b32 s43, 0x88fffff
	v_add3_u32 v3, v2, v3, s43
	s_mov_b64 s[36:37], exec
	v_lshrrev_b32_e32 v3, 21, v3
	s_andn2_saveexec_b64 s[38:39], s[38:39]
	s_cbranch_execnz .LBB230_777
.LBB230_682:
	s_or_b64 exec, exec, s[38:39]
	v_mov_b32_e32 v5, 0
	s_and_saveexec_b64 s[38:39], s[36:37]
.LBB230_683:
	v_lshrrev_b32_e32 v2, 24, v2
	s_movk_i32 s36, 0x80
	v_and_or_b32 v5, v2, s36, v3
.LBB230_684:
	s_or_b64 exec, exec, s[38:39]
.LBB230_685:
	s_or_b64 exec, exec, s[34:35]
	s_mov_b64 s[34:35], 0
	global_store_byte v[0:1], v5, off
.LBB230_686:
	s_and_b64 vcc, exec, s[34:35]
	s_cbranch_vccz .LBB230_696
; %bb.687:
	v_cvt_f32_i32_sdwa v2, sext(v4) dst_sel:DWORD dst_unused:UNUSED_PAD src0_sel:WORD_0
	s_mov_b32 s34, 0x43f00000
                                        ; implicit-def: $vgpr3
	v_and_b32_e32 v5, 0x7fffffff, v2
	v_cmp_gt_u32_e32 vcc, s34, v5
	s_and_saveexec_b64 s[34:35], vcc
	s_xor_b64 s[34:35], exec, s[34:35]
	s_cbranch_execz .LBB230_693
; %bb.688:
	s_mov_b32 s36, 0x3c7fffff
	v_cmp_lt_u32_e32 vcc, s36, v5
                                        ; implicit-def: $vgpr3
	s_and_saveexec_b64 s[36:37], vcc
	s_xor_b64 s[36:37], exec, s[36:37]
; %bb.689:
	v_bfe_u32 v3, v2, 20, 1
	s_mov_b32 s38, 0x407ffff
	v_add3_u32 v3, v2, v3, s38
	v_lshrrev_b32_e32 v5, 20, v3
	v_and_b32_e32 v3, 0xff00000, v3
	s_mov_b32 s38, 0x7f00000
	v_mov_b32_e32 v6, 0x7e
	v_cmp_ne_u32_e32 vcc, s38, v3
	v_cndmask_b32_e32 v3, v6, v5, vcc
; %bb.690:
	s_andn2_saveexec_b64 s[36:37], s[36:37]
; %bb.691:
	s_mov_b32 s38, 0x46800000
	v_add_f32_e64 v3, |v2|, s38
; %bb.692:
	s_or_b64 exec, exec, s[36:37]
                                        ; implicit-def: $vgpr5
.LBB230_693:
	s_andn2_saveexec_b64 s[34:35], s[34:35]
; %bb.694:
	s_mov_b32 s36, 0x7f800000
	v_mov_b32_e32 v3, 0x7e
	v_mov_b32_e32 v6, 0x7f
	v_cmp_lt_u32_e32 vcc, s36, v5
	v_cndmask_b32_e32 v3, v3, v6, vcc
; %bb.695:
	s_or_b64 exec, exec, s[34:35]
	v_lshrrev_b32_e32 v2, 24, v2
	s_movk_i32 s34, 0x80
	v_and_or_b32 v2, v2, s34, v3
	global_store_byte v[0:1], v2, off
.LBB230_696:
	s_mov_b64 s[34:35], 0
.LBB230_697:
	s_andn2_b64 vcc, exec, s[34:35]
	s_cbranch_vccnz .LBB230_707
; %bb.698:
	v_cvt_f32_i32_sdwa v2, sext(v4) dst_sel:DWORD dst_unused:UNUSED_PAD src0_sel:WORD_0
	s_mov_b32 s34, 0x47800000
                                        ; implicit-def: $vgpr3
	v_and_b32_e32 v5, 0x7fffffff, v2
	v_cmp_gt_u32_e32 vcc, s34, v5
	s_and_saveexec_b64 s[34:35], vcc
	s_xor_b64 s[34:35], exec, s[34:35]
	s_cbranch_execz .LBB230_704
; %bb.699:
	s_mov_b32 s36, 0x387fffff
	v_cmp_lt_u32_e32 vcc, s36, v5
                                        ; implicit-def: $vgpr3
	s_and_saveexec_b64 s[36:37], vcc
	s_xor_b64 s[36:37], exec, s[36:37]
; %bb.700:
	v_bfe_u32 v3, v2, 21, 1
	s_mov_b32 s38, 0x80fffff
	v_add3_u32 v3, v2, v3, s38
	v_lshrrev_b32_e32 v3, 21, v3
; %bb.701:
	s_andn2_saveexec_b64 s[36:37], s[36:37]
; %bb.702:
	s_mov_b32 s38, 0x43000000
	v_add_f32_e64 v3, |v2|, s38
; %bb.703:
	s_or_b64 exec, exec, s[36:37]
                                        ; implicit-def: $vgpr5
.LBB230_704:
	s_andn2_saveexec_b64 s[34:35], s[34:35]
; %bb.705:
	s_mov_b32 s36, 0x7f800000
	v_mov_b32_e32 v3, 0x7c
	v_mov_b32_e32 v6, 0x7f
	v_cmp_lt_u32_e32 vcc, s36, v5
	v_cndmask_b32_e32 v3, v3, v6, vcc
; %bb.706:
	s_or_b64 exec, exec, s[34:35]
	v_lshrrev_b32_e32 v2, 24, v2
	s_movk_i32 s34, 0x80
	v_and_or_b32 v2, v2, s34, v3
	global_store_byte v[0:1], v2, off
.LBB230_707:
	s_mov_b64 s[36:37], 0
	s_mov_b64 s[34:35], -1
.LBB230_708:
	s_andn2_b64 vcc, exec, s[36:37]
	s_cbranch_vccnz .LBB230_716
; %bb.709:
	s_cmp_gt_i32 s41, 14
	s_mov_b64 s[36:37], -1
	s_cbranch_scc0 .LBB230_713
; %bb.710:
	s_cmp_eq_u32 s41, 15
	s_mov_b64 s[2:3], -1
	s_cbranch_scc0 .LBB230_712
; %bb.711:
	v_cvt_f32_i32_sdwa v2, sext(v4) dst_sel:DWORD dst_unused:UNUSED_PAD src0_sel:WORD_0
	s_movk_i32 s2, 0x7fff
	s_mov_b64 s[34:35], -1
	v_bfe_u32 v3, v2, 16, 1
	v_add3_u32 v2, v2, v3, s2
	global_store_short_d16_hi v[0:1], v2, off
	s_mov_b64 s[2:3], 0
.LBB230_712:
	s_mov_b64 s[36:37], 0
.LBB230_713:
	s_and_b64 vcc, exec, s[36:37]
	s_cbranch_vccz .LBB230_716
; %bb.714:
	s_cmp_eq_u32 s41, 11
	s_mov_b64 s[2:3], -1
	s_cbranch_scc0 .LBB230_716
; %bb.715:
	v_cmp_ne_u16_e32 vcc, 0, v4
	v_cndmask_b32_e64 v2, 0, 1, vcc
	s_mov_b64 s[34:35], -1
	s_mov_b64 s[2:3], 0
	global_store_byte v[0:1], v2, off
.LBB230_716:
	s_mov_b64 s[36:37], 0
.LBB230_717:
	s_and_b64 vcc, exec, s[36:37]
	s_cbranch_vccz .LBB230_756
; %bb.718:
	s_and_b32 s36, 0xffff, s40
	s_cmp_lt_i32 s36, 5
	s_mov_b64 s[34:35], -1
	s_cbranch_scc1 .LBB230_739
; %bb.719:
	s_cmp_lt_i32 s36, 8
	s_cbranch_scc1 .LBB230_729
; %bb.720:
	s_cmp_lt_i32 s36, 9
	s_cbranch_scc1 .LBB230_726
; %bb.721:
	s_cmp_gt_i32 s36, 9
	s_cbranch_scc0 .LBB230_723
; %bb.722:
	v_bfe_i32 v2, v4, 0, 16
	v_cvt_f64_i32_e32 v[5:6], v2
	v_mov_b32_e32 v7, 0
	v_mov_b32_e32 v8, v7
	s_mov_b64 s[34:35], 0
	global_store_dwordx4 v[0:1], v[5:8], off
.LBB230_723:
	s_andn2_b64 vcc, exec, s[34:35]
	s_cbranch_vccnz .LBB230_725
; %bb.724:
	v_cvt_f32_i32_sdwa v2, sext(v4) dst_sel:DWORD dst_unused:UNUSED_PAD src0_sel:WORD_0
	v_mov_b32_e32 v3, 0
	global_store_dwordx2 v[0:1], v[2:3], off
.LBB230_725:
	s_mov_b64 s[34:35], 0
.LBB230_726:
	s_andn2_b64 vcc, exec, s[34:35]
	s_cbranch_vccnz .LBB230_728
; %bb.727:
	v_cvt_f16_i16_e32 v2, v4
	global_store_dword v[0:1], v2, off
.LBB230_728:
	s_mov_b64 s[34:35], 0
.LBB230_729:
	s_andn2_b64 vcc, exec, s[34:35]
	s_cbranch_vccnz .LBB230_738
; %bb.730:
	s_cmp_lt_i32 s36, 6
	s_mov_b64 s[34:35], -1
	s_cbranch_scc1 .LBB230_736
; %bb.731:
	s_cmp_gt_i32 s36, 6
	s_cbranch_scc0 .LBB230_733
; %bb.732:
	v_bfe_i32 v2, v4, 0, 16
	v_cvt_f64_i32_e32 v[2:3], v2
	s_mov_b64 s[34:35], 0
	global_store_dwordx2 v[0:1], v[2:3], off
.LBB230_733:
	s_andn2_b64 vcc, exec, s[34:35]
	s_cbranch_vccnz .LBB230_735
; %bb.734:
	v_cvt_f32_i32_sdwa v2, sext(v4) dst_sel:DWORD dst_unused:UNUSED_PAD src0_sel:WORD_0
	global_store_dword v[0:1], v2, off
.LBB230_735:
	s_mov_b64 s[34:35], 0
.LBB230_736:
	s_andn2_b64 vcc, exec, s[34:35]
	s_cbranch_vccnz .LBB230_738
; %bb.737:
	v_cvt_f16_i16_e32 v2, v4
	global_store_short v[0:1], v2, off
.LBB230_738:
	s_mov_b64 s[34:35], 0
.LBB230_739:
	s_andn2_b64 vcc, exec, s[34:35]
	s_cbranch_vccnz .LBB230_755
; %bb.740:
	s_cmp_lt_i32 s36, 2
	s_mov_b64 s[34:35], -1
	s_cbranch_scc1 .LBB230_750
; %bb.741:
	s_cmp_lt_i32 s36, 3
	s_cbranch_scc1 .LBB230_747
; %bb.742:
	s_cmp_gt_i32 s36, 3
	v_bfe_i32 v2, v4, 0, 16
	s_cbranch_scc0 .LBB230_744
; %bb.743:
	v_ashrrev_i32_e32 v3, 31, v2
	s_mov_b64 s[34:35], 0
	global_store_dwordx2 v[0:1], v[2:3], off
.LBB230_744:
	s_andn2_b64 vcc, exec, s[34:35]
	s_cbranch_vccnz .LBB230_746
; %bb.745:
	global_store_dword v[0:1], v2, off
.LBB230_746:
	s_mov_b64 s[34:35], 0
.LBB230_747:
	s_andn2_b64 vcc, exec, s[34:35]
	s_cbranch_vccnz .LBB230_749
; %bb.748:
	global_store_short v[0:1], v4, off
.LBB230_749:
	s_mov_b64 s[34:35], 0
.LBB230_750:
	s_andn2_b64 vcc, exec, s[34:35]
	s_cbranch_vccnz .LBB230_755
; %bb.751:
	s_cmp_gt_i32 s36, 0
	s_mov_b64 s[34:35], -1
	s_cbranch_scc0 .LBB230_753
; %bb.752:
	s_mov_b64 s[34:35], 0
	global_store_byte v[0:1], v4, off
.LBB230_753:
	s_andn2_b64 vcc, exec, s[34:35]
	s_cbranch_vccnz .LBB230_755
; %bb.754:
	global_store_byte v[0:1], v4, off
.LBB230_755:
	s_mov_b64 s[34:35], -1
.LBB230_756:
	s_andn2_b64 vcc, exec, s[34:35]
	s_cbranch_vccnz .LBB230_758
; %bb.757:
	v_add_u32_e32 v9, 0x80, v9
	s_mov_b64 s[36:37], -1
	s_branch .LBB230_759
.LBB230_758:
	s_mov_b64 s[36:37], 0
                                        ; implicit-def: $vgpr9
.LBB230_759:
	s_andn2_b64 s[34:35], s[24:25], exec
	s_and_b64 s[2:3], s[2:3], exec
	s_or_b64 s[34:35], s[34:35], s[2:3]
	s_andn2_b64 s[2:3], s[22:23], exec
	s_and_b64 s[30:31], s[30:31], exec
	s_or_b64 s[2:3], s[2:3], s[30:31]
	s_orn2_b64 s[38:39], s[36:37], exec
.LBB230_760:
	s_or_b64 exec, exec, s[28:29]
	s_mov_b64 s[30:31], 0
	s_mov_b64 s[36:37], 0
	;; [unrolled: 1-line block ×3, first 2 shown]
                                        ; implicit-def: $vgpr0_vgpr1
                                        ; implicit-def: $vgpr2
	s_and_saveexec_b64 s[28:29], s[38:39]
	s_cbranch_execz .LBB230_841
; %bb.761:
	v_cmp_gt_i32_e32 vcc, s42, v9
	s_mov_b64 s[38:39], 0
	s_mov_b64 s[42:43], s[2:3]
	;; [unrolled: 1-line block ×3, first 2 shown]
                                        ; implicit-def: $vgpr0_vgpr1
                                        ; implicit-def: $vgpr2
	s_and_saveexec_b64 s[30:31], vcc
	s_cbranch_execz .LBB230_840
; %bb.762:
	v_mul_lo_u32 v0, v9, s13
	v_mov_b32_e32 v1, s11
	s_and_b32 s44, 0xffff, s33
	s_cmp_lt_i32 s44, 11
	s_waitcnt vmcnt(0)
	v_ashrrev_i32_e32 v2, 31, v0
	v_add_co_u32_e32 v0, vcc, s10, v0
	v_addc_co_u32_e32 v1, vcc, v1, v2, vcc
	s_cbranch_scc1 .LBB230_769
; %bb.763:
	s_cmp_gt_i32 s44, 25
	s_cbranch_scc0 .LBB230_770
; %bb.764:
	s_cmp_gt_i32 s44, 28
	s_cbranch_scc0 .LBB230_771
	;; [unrolled: 3-line block ×4, first 2 shown]
; %bb.767:
	s_cmp_eq_u32 s44, 46
	s_mov_b64 s[42:43], 0
	s_cbranch_scc0 .LBB230_778
; %bb.768:
	global_load_dword v2, v[0:1], off
	s_mov_b64 s[40:41], -1
	s_waitcnt vmcnt(0)
	v_lshlrev_b32_e32 v2, 16, v2
	v_cvt_i32_f32_e32 v2, v2
	s_branch .LBB230_780
.LBB230_769:
	s_mov_b64 s[42:43], -1
                                        ; implicit-def: $vgpr2
	s_mov_b64 s[36:37], s[2:3]
	s_branch .LBB230_839
.LBB230_770:
	s_mov_b64 s[42:43], -1
	s_mov_b64 s[36:37], s[2:3]
                                        ; implicit-def: $vgpr2
	s_branch .LBB230_807
.LBB230_771:
	s_mov_b64 s[42:43], -1
	s_mov_b64 s[36:37], s[2:3]
                                        ; implicit-def: $vgpr2
	s_branch .LBB230_790
.LBB230_772:
	s_mov_b64 s[42:43], -1
	s_mov_b64 s[36:37], s[2:3]
                                        ; implicit-def: $vgpr2
	s_branch .LBB230_785
.LBB230_773:
	s_andn2_saveexec_b64 s[38:39], s[38:39]
	s_cbranch_execz .LBB230_669
.LBB230_774:
	s_mov_b32 s43, 0x46000000
	v_add_f32_e64 v3, |v2|, s43
	v_and_b32_e32 v3, 0xff, v3
	v_cmp_ne_u32_e32 vcc, 0, v3
	s_andn2_b64 s[36:37], s[36:37], exec
	s_and_b64 s[44:45], vcc, exec
	s_or_b64 s[36:37], s[36:37], s[44:45]
	s_or_b64 exec, exec, s[38:39]
	v_mov_b32_e32 v5, 0
	s_and_saveexec_b64 s[38:39], s[36:37]
	s_cbranch_execnz .LBB230_670
	s_branch .LBB230_671
.LBB230_775:
	s_mov_b64 s[42:43], -1
	s_mov_b64 s[36:37], s[2:3]
	s_branch .LBB230_779
.LBB230_776:
	s_andn2_saveexec_b64 s[38:39], s[38:39]
	s_cbranch_execz .LBB230_682
.LBB230_777:
	s_mov_b32 s43, 0x42800000
	v_add_f32_e64 v3, |v2|, s43
	v_and_b32_e32 v3, 0xff, v3
	v_cmp_ne_u32_e32 vcc, 0, v3
	s_andn2_b64 s[36:37], s[36:37], exec
	s_and_b64 s[44:45], vcc, exec
	s_or_b64 s[36:37], s[36:37], s[44:45]
	s_or_b64 exec, exec, s[38:39]
	v_mov_b32_e32 v5, 0
	s_and_saveexec_b64 s[38:39], s[36:37]
	s_cbranch_execnz .LBB230_683
	s_branch .LBB230_684
.LBB230_778:
	s_mov_b64 s[36:37], -1
.LBB230_779:
                                        ; implicit-def: $vgpr2
.LBB230_780:
	s_and_b64 vcc, exec, s[42:43]
	s_cbranch_vccz .LBB230_784
; %bb.781:
	s_cmp_eq_u32 s44, 44
	s_cbranch_scc0 .LBB230_783
; %bb.782:
	global_load_ubyte v2, v[0:1], off
	s_mov_b64 s[36:37], 0
	s_mov_b64 s[40:41], -1
	s_waitcnt vmcnt(0)
	v_lshlrev_b32_e32 v3, 23, v2
	v_cvt_i32_f32_e32 v3, v3
	v_cmp_ne_u32_e32 vcc, 0, v2
	v_cndmask_b32_e32 v2, 0, v3, vcc
	s_branch .LBB230_784
.LBB230_783:
	s_mov_b64 s[36:37], -1
                                        ; implicit-def: $vgpr2
.LBB230_784:
	s_mov_b64 s[42:43], 0
.LBB230_785:
	s_and_b64 vcc, exec, s[42:43]
	s_cbranch_vccz .LBB230_789
; %bb.786:
	s_cmp_eq_u32 s44, 29
	s_cbranch_scc0 .LBB230_788
; %bb.787:
	global_load_dwordx2 v[2:3], v[0:1], off
	s_mov_b64 s[36:37], 0
	s_mov_b64 s[40:41], -1
	s_branch .LBB230_789
.LBB230_788:
	s_mov_b64 s[36:37], -1
                                        ; implicit-def: $vgpr2
.LBB230_789:
	s_mov_b64 s[42:43], 0
.LBB230_790:
	s_and_b64 vcc, exec, s[42:43]
	s_cbranch_vccz .LBB230_806
; %bb.791:
	s_cmp_lt_i32 s44, 27
	s_cbranch_scc1 .LBB230_794
; %bb.792:
	s_cmp_gt_i32 s44, 27
	s_cbranch_scc0 .LBB230_795
; %bb.793:
	global_load_dword v2, v[0:1], off
	s_mov_b64 s[40:41], 0
	s_branch .LBB230_796
.LBB230_794:
	s_mov_b64 s[40:41], -1
                                        ; implicit-def: $vgpr2
	s_branch .LBB230_799
.LBB230_795:
	s_mov_b64 s[40:41], -1
                                        ; implicit-def: $vgpr2
.LBB230_796:
	s_andn2_b64 vcc, exec, s[40:41]
	s_cbranch_vccnz .LBB230_798
; %bb.797:
	global_load_ushort v2, v[0:1], off
.LBB230_798:
	s_mov_b64 s[40:41], 0
.LBB230_799:
	s_andn2_b64 vcc, exec, s[40:41]
	s_cbranch_vccnz .LBB230_805
; %bb.800:
	global_load_ubyte v3, v[0:1], off
	s_movk_i32 s40, 0x7f
	s_mov_b64 s[42:43], 0
	s_waitcnt vmcnt(0)
	v_cmp_lt_i16_e32 vcc, s40, v3
	s_and_saveexec_b64 s[40:41], vcc
	s_xor_b64 s[40:41], exec, s[40:41]
	s_cbranch_execz .LBB230_817
; %bb.801:
	s_movk_i32 s42, 0x80
	v_cmp_ne_u16_e32 vcc, s42, v3
	s_and_b64 s[42:43], vcc, exec
	s_andn2_saveexec_b64 s[40:41], s[40:41]
	s_cbranch_execnz .LBB230_818
.LBB230_802:
	s_or_b64 exec, exec, s[40:41]
	v_mov_b32_e32 v2, 0
	s_and_saveexec_b64 s[40:41], s[42:43]
	s_cbranch_execz .LBB230_804
.LBB230_803:
	v_lshlrev_b32_e32 v2, 24, v3
	v_and_b32_e32 v3, 0xffff, v3
	v_and_b32_e32 v4, 7, v3
	v_ffbh_u32_e32 v6, v4
	v_min_u32_e32 v6, 32, v6
	v_subrev_u32_e32 v7, 28, v6
	v_bfe_u32 v5, v3, 3, 4
	v_lshlrev_b32_e32 v3, v7, v3
	v_sub_u32_e32 v6, 29, v6
	v_and_b32_e32 v3, 7, v3
	v_cmp_eq_u32_e32 vcc, 0, v5
	v_cndmask_b32_e32 v5, v5, v6, vcc
	v_cndmask_b32_e32 v3, v4, v3, vcc
	v_mov_b32_e32 v4, 0x3b800000
	v_lshlrev_b32_e32 v3, 20, v3
	v_and_b32_e32 v2, 0x80000000, v2
	v_lshl_add_u32 v4, v5, 23, v4
	v_or3_b32 v2, v2, v4, v3
	v_cvt_i32_f32_e32 v2, v2
.LBB230_804:
	s_or_b64 exec, exec, s[40:41]
.LBB230_805:
	s_mov_b64 s[40:41], -1
.LBB230_806:
	s_mov_b64 s[42:43], 0
.LBB230_807:
	s_and_b64 vcc, exec, s[42:43]
	s_cbranch_vccz .LBB230_838
; %bb.808:
	s_cmp_gt_i32 s44, 22
	s_cbranch_scc0 .LBB230_816
; %bb.809:
	s_cmp_lt_i32 s44, 24
	s_cbranch_scc1 .LBB230_819
; %bb.810:
	s_cmp_gt_i32 s44, 24
	s_cbranch_scc0 .LBB230_820
; %bb.811:
	global_load_ubyte v3, v[0:1], off
	s_movk_i32 s38, 0x7f
	s_mov_b64 s[40:41], 0
	s_waitcnt vmcnt(0)
	v_cmp_lt_i16_e32 vcc, s38, v3
	s_and_saveexec_b64 s[38:39], vcc
	s_xor_b64 s[38:39], exec, s[38:39]
	s_cbranch_execz .LBB230_832
; %bb.812:
	s_movk_i32 s40, 0x80
	v_cmp_ne_u16_e32 vcc, s40, v3
	s_and_b64 s[40:41], vcc, exec
	s_andn2_saveexec_b64 s[38:39], s[38:39]
	s_cbranch_execnz .LBB230_833
.LBB230_813:
	s_or_b64 exec, exec, s[38:39]
	v_mov_b32_e32 v2, 0
	s_and_saveexec_b64 s[38:39], s[40:41]
	s_cbranch_execz .LBB230_815
.LBB230_814:
	v_lshlrev_b32_e32 v2, 24, v3
	v_and_b32_e32 v3, 0xffff, v3
	v_and_b32_e32 v4, 3, v3
	v_ffbh_u32_e32 v6, v4
	v_min_u32_e32 v6, 32, v6
	v_subrev_u32_e32 v7, 29, v6
	v_bfe_u32 v5, v3, 2, 5
	v_lshlrev_b32_e32 v3, v7, v3
	v_sub_u32_e32 v6, 30, v6
	v_and_b32_e32 v3, 3, v3
	v_cmp_eq_u32_e32 vcc, 0, v5
	v_cndmask_b32_e32 v5, v5, v6, vcc
	v_cndmask_b32_e32 v3, v4, v3, vcc
	v_mov_b32_e32 v4, 0x37800000
	v_lshlrev_b32_e32 v3, 21, v3
	v_and_b32_e32 v2, 0x80000000, v2
	v_lshl_add_u32 v4, v5, 23, v4
	v_or3_b32 v2, v2, v4, v3
	v_cvt_i32_f32_e32 v2, v2
.LBB230_815:
	s_or_b64 exec, exec, s[38:39]
	s_mov_b64 s[38:39], 0
	s_branch .LBB230_821
.LBB230_816:
	s_mov_b64 s[38:39], -1
                                        ; implicit-def: $vgpr2
	s_branch .LBB230_827
.LBB230_817:
	s_andn2_saveexec_b64 s[40:41], s[40:41]
	s_cbranch_execz .LBB230_802
.LBB230_818:
	v_cmp_ne_u16_e32 vcc, 0, v3
	s_andn2_b64 s[42:43], s[42:43], exec
	s_and_b64 s[48:49], vcc, exec
	s_or_b64 s[42:43], s[42:43], s[48:49]
	s_or_b64 exec, exec, s[40:41]
	v_mov_b32_e32 v2, 0
	s_and_saveexec_b64 s[40:41], s[42:43]
	s_cbranch_execnz .LBB230_803
	s_branch .LBB230_804
.LBB230_819:
	s_mov_b64 s[38:39], -1
                                        ; implicit-def: $vgpr2
	s_branch .LBB230_824
.LBB230_820:
	s_mov_b64 s[38:39], -1
                                        ; implicit-def: $vgpr2
.LBB230_821:
	s_and_b64 vcc, exec, s[38:39]
	s_cbranch_vccz .LBB230_823
; %bb.822:
	global_load_ubyte v2, v[0:1], off
	s_mov_b32 s38, 0x7f800000
	s_waitcnt vmcnt(0)
	v_lshlrev_b32_e32 v2, 24, v2
	v_and_b32_e32 v3, 0x7f000000, v2
	v_ffbh_u32_e32 v4, v3
	v_min_u32_e32 v4, 32, v4
	v_sub_u32_e64 v4, v4, 4 clamp
	v_lshlrev_b32_e32 v6, v4, v3
	v_lshlrev_b32_e32 v4, 23, v4
	v_lshrrev_b32_e32 v6, 4, v6
	v_add_u32_e32 v5, 0x1000000, v3
	v_sub_u32_e32 v4, v6, v4
	v_ashrrev_i32_e32 v5, 8, v5
	v_add_u32_e32 v4, 0x3c000000, v4
	v_and_or_b32 v4, v5, s38, v4
	v_cmp_ne_u32_e32 vcc, 0, v3
	v_cndmask_b32_e32 v3, 0, v4, vcc
	s_brev_b32 s38, 1
	v_and_or_b32 v2, v2, s38, v3
	v_cvt_i32_f32_e32 v2, v2
.LBB230_823:
	s_mov_b64 s[38:39], 0
.LBB230_824:
	s_andn2_b64 vcc, exec, s[38:39]
	s_cbranch_vccnz .LBB230_826
; %bb.825:
	global_load_ubyte v2, v[0:1], off
	s_movk_i32 s38, 0x7f00
	s_brev_b32 s39, 16
	s_waitcnt vmcnt(0)
	v_lshlrev_b16_e32 v3, 8, v2
	v_lshlrev_b32_e32 v2, 25, v2
	v_lshrrev_b32_e32 v4, 4, v2
	v_and_or_b32 v5, v3, s38, 0.5
	v_or_b32_e32 v4, 0x70000000, v4
	v_add_f32_e32 v5, -0.5, v5
	v_mul_f32_e32 v4, 0x7800000, v4
	v_cmp_gt_u32_e32 vcc, s39, v2
	v_bfe_i32 v3, v3, 0, 16
	v_cndmask_b32_e32 v2, v4, v5, vcc
	s_brev_b32 s38, 1
	v_and_or_b32 v2, v3, s38, v2
	v_cvt_i32_f32_e32 v2, v2
.LBB230_826:
	s_mov_b64 s[38:39], 0
	s_mov_b64 s[40:41], -1
.LBB230_827:
	s_andn2_b64 vcc, exec, s[38:39]
	s_mov_b64 s[38:39], 0
	s_cbranch_vccnz .LBB230_838
; %bb.828:
	s_cmp_gt_i32 s44, 14
	s_cbranch_scc0 .LBB230_831
; %bb.829:
	s_cmp_eq_u32 s44, 15
	s_cbranch_scc0 .LBB230_834
; %bb.830:
	global_load_ushort v2, v[0:1], off
	s_mov_b64 s[36:37], 0
	s_mov_b64 s[40:41], -1
	s_waitcnt vmcnt(0)
	v_lshlrev_b32_e32 v2, 16, v2
	v_cvt_i32_f32_e32 v2, v2
	s_branch .LBB230_835
.LBB230_831:
	s_mov_b64 s[42:43], -1
                                        ; implicit-def: $vgpr2
	s_branch .LBB230_836
.LBB230_832:
	s_andn2_saveexec_b64 s[38:39], s[38:39]
	s_cbranch_execz .LBB230_813
.LBB230_833:
	v_cmp_ne_u16_e32 vcc, 0, v3
	s_andn2_b64 s[40:41], s[40:41], exec
	s_and_b64 s[42:43], vcc, exec
	s_or_b64 s[40:41], s[40:41], s[42:43]
	s_or_b64 exec, exec, s[38:39]
	v_mov_b32_e32 v2, 0
	s_and_saveexec_b64 s[38:39], s[40:41]
	s_cbranch_execnz .LBB230_814
	s_branch .LBB230_815
.LBB230_834:
	s_mov_b64 s[36:37], -1
                                        ; implicit-def: $vgpr2
.LBB230_835:
	s_mov_b64 s[42:43], 0
.LBB230_836:
	s_and_b64 vcc, exec, s[42:43]
	s_cbranch_vccz .LBB230_838
; %bb.837:
	s_cmp_lg_u32 s44, 11
	s_cselect_b64 s[42:43], -1, 0
	s_andn2_b64 s[36:37], s[36:37], exec
	s_and_b64 s[42:43], s[42:43], exec
	s_mov_b64 s[38:39], -1
	s_or_b64 s[36:37], s[36:37], s[42:43]
.LBB230_838:
	s_mov_b64 s[42:43], 0
.LBB230_839:
	s_and_b64 s[44:45], s[42:43], exec
	s_andn2_b64 s[42:43], s[2:3], exec
	s_and_b64 s[36:37], s[36:37], exec
	s_and_b64 s[40:41], s[40:41], exec
	;; [unrolled: 1-line block ×3, first 2 shown]
	s_or_b64 s[42:43], s[42:43], s[36:37]
.LBB230_840:
	s_or_b64 exec, exec, s[30:31]
	s_and_b64 s[30:31], s[38:39], exec
	s_andn2_b64 s[2:3], s[2:3], exec
	s_and_b64 s[38:39], s[42:43], exec
	s_and_b64 s[40:41], s[40:41], exec
	;; [unrolled: 1-line block ×3, first 2 shown]
	s_or_b64 s[2:3], s[2:3], s[38:39]
.LBB230_841:
	s_or_b64 exec, exec, s[28:29]
	s_andn2_b64 s[24:25], s[24:25], exec
	s_and_b64 s[28:29], s[34:35], exec
	s_andn2_b64 s[22:23], s[22:23], exec
	s_and_b64 s[2:3], s[2:3], exec
	s_or_b64 s[24:25], s[24:25], s[28:29]
	s_and_b64 s[34:35], s[40:41], exec
	s_and_b64 s[28:29], s[36:37], exec
	;; [unrolled: 1-line block ×3, first 2 shown]
	s_or_b64 s[22:23], s[22:23], s[2:3]
.LBB230_842:
	s_or_b64 exec, exec, s[26:27]
	s_andn2_b64 s[2:3], s[16:17], exec
	s_and_b64 s[16:17], s[24:25], exec
	s_or_b64 s[16:17], s[2:3], s[16:17]
	s_andn2_b64 s[2:3], s[18:19], exec
	s_and_b64 s[18:19], s[22:23], exec
	s_and_b64 s[26:27], s[34:35], exec
	;; [unrolled: 1-line block ×4, first 2 shown]
	s_or_b64 s[18:19], s[2:3], s[18:19]
	s_or_b64 exec, exec, s[20:21]
	s_mov_b64 s[2:3], 0
	s_and_saveexec_b64 s[20:21], s[18:19]
	s_cbranch_execz .LBB230_258
.LBB230_843:
	s_mov_b64 s[2:3], exec
	s_andn2_b64 s[24:25], s[24:25], exec
	s_trap 2
	s_or_b64 exec, exec, s[20:21]
	s_and_saveexec_b64 s[18:19], s[24:25]
	s_xor_b64 s[18:19], exec, s[18:19]
	s_cbranch_execnz .LBB230_259
.LBB230_844:
	s_or_b64 exec, exec, s[18:19]
	s_and_saveexec_b64 s[18:19], s[28:29]
	s_cbranch_execz .LBB230_890
.LBB230_845:
	s_sext_i32_i16 s20, s33
	s_cmp_lt_i32 s20, 5
	s_cbranch_scc1 .LBB230_850
; %bb.846:
	s_cmp_lt_i32 s20, 8
	s_cbranch_scc1 .LBB230_851
; %bb.847:
	;; [unrolled: 3-line block ×3, first 2 shown]
	s_cmp_gt_i32 s20, 9
	s_cbranch_scc0 .LBB230_853
; %bb.849:
	global_load_dwordx2 v[2:3], v[0:1], off
	s_mov_b64 s[20:21], 0
	s_waitcnt vmcnt(0)
	v_cvt_i32_f64_e32 v2, v[2:3]
	s_branch .LBB230_854
.LBB230_850:
                                        ; implicit-def: $vgpr2
	s_branch .LBB230_871
.LBB230_851:
                                        ; implicit-def: $vgpr2
	s_branch .LBB230_860
.LBB230_852:
	s_mov_b64 s[20:21], -1
                                        ; implicit-def: $vgpr2
	s_branch .LBB230_857
.LBB230_853:
	s_mov_b64 s[20:21], -1
                                        ; implicit-def: $vgpr2
.LBB230_854:
	s_andn2_b64 vcc, exec, s[20:21]
	s_cbranch_vccnz .LBB230_856
; %bb.855:
	global_load_dword v2, v[0:1], off
	s_waitcnt vmcnt(0)
	v_cvt_i32_f32_e32 v2, v2
.LBB230_856:
	s_mov_b64 s[20:21], 0
.LBB230_857:
	s_andn2_b64 vcc, exec, s[20:21]
	s_cbranch_vccnz .LBB230_859
; %bb.858:
	global_load_dword v2, v[0:1], off
	s_waitcnt vmcnt(0)
	v_cvt_i16_f16_e32 v2, v2
.LBB230_859:
	s_cbranch_execnz .LBB230_870
.LBB230_860:
	s_sext_i32_i16 s20, s33
	s_cmp_lt_i32 s20, 6
	s_cbranch_scc1 .LBB230_863
; %bb.861:
	s_cmp_gt_i32 s20, 6
	s_cbranch_scc0 .LBB230_864
; %bb.862:
	global_load_dwordx2 v[2:3], v[0:1], off
	s_mov_b64 s[20:21], 0
	s_waitcnt vmcnt(0)
	v_cvt_i32_f64_e32 v2, v[2:3]
	s_branch .LBB230_865
.LBB230_863:
	s_mov_b64 s[20:21], -1
                                        ; implicit-def: $vgpr2
	s_branch .LBB230_868
.LBB230_864:
	s_mov_b64 s[20:21], -1
                                        ; implicit-def: $vgpr2
.LBB230_865:
	s_andn2_b64 vcc, exec, s[20:21]
	s_cbranch_vccnz .LBB230_867
; %bb.866:
	global_load_dword v2, v[0:1], off
	s_waitcnt vmcnt(0)
	v_cvt_i32_f32_e32 v2, v2
.LBB230_867:
	s_mov_b64 s[20:21], 0
.LBB230_868:
	s_andn2_b64 vcc, exec, s[20:21]
	s_cbranch_vccnz .LBB230_870
; %bb.869:
	global_load_ushort v2, v[0:1], off
	s_waitcnt vmcnt(0)
	v_cvt_i16_f16_e32 v2, v2
.LBB230_870:
	s_cbranch_execnz .LBB230_889
.LBB230_871:
	s_sext_i32_i16 s20, s33
	s_cmp_lt_i32 s20, 2
	s_cbranch_scc1 .LBB230_875
; %bb.872:
	s_cmp_lt_i32 s20, 3
	s_cbranch_scc1 .LBB230_876
; %bb.873:
	s_cmp_gt_i32 s20, 3
	s_cbranch_scc0 .LBB230_877
; %bb.874:
	global_load_dwordx2 v[2:3], v[0:1], off
	s_mov_b64 s[20:21], 0
	s_branch .LBB230_878
.LBB230_875:
                                        ; implicit-def: $vgpr2
	s_branch .LBB230_884
.LBB230_876:
	s_mov_b64 s[20:21], -1
                                        ; implicit-def: $vgpr2
	s_branch .LBB230_881
.LBB230_877:
	s_mov_b64 s[20:21], -1
                                        ; implicit-def: $vgpr2
.LBB230_878:
	s_andn2_b64 vcc, exec, s[20:21]
	s_cbranch_vccnz .LBB230_880
; %bb.879:
	global_load_dword v2, v[0:1], off
.LBB230_880:
	s_mov_b64 s[20:21], 0
.LBB230_881:
	s_andn2_b64 vcc, exec, s[20:21]
	s_cbranch_vccnz .LBB230_883
; %bb.882:
	global_load_ushort v2, v[0:1], off
.LBB230_883:
	s_cbranch_execnz .LBB230_889
.LBB230_884:
	s_sext_i32_i16 s20, s33
	s_cmp_gt_i32 s20, 0
	s_cbranch_scc0 .LBB230_886
; %bb.885:
	global_load_sbyte v2, v[0:1], off
	s_mov_b64 s[20:21], 0
	s_branch .LBB230_887
.LBB230_886:
	s_mov_b64 s[20:21], -1
                                        ; implicit-def: $vgpr2
.LBB230_887:
	s_andn2_b64 vcc, exec, s[20:21]
	s_cbranch_vccnz .LBB230_889
; %bb.888:
	global_load_ubyte v2, v[0:1], off
.LBB230_889:
	s_or_b64 s[26:27], s[26:27], exec
.LBB230_890:
	s_or_b64 exec, exec, s[18:19]
	s_mov_b64 s[22:23], 0
	s_mov_b64 s[20:21], 0
                                        ; implicit-def: $sgpr28
                                        ; implicit-def: $vgpr0_vgpr1
                                        ; implicit-def: $vgpr4
	s_and_saveexec_b64 s[18:19], s[26:27]
	s_cbranch_execz .LBB230_898
; %bb.891:
	v_mul_lo_u32 v0, v9, s12
	s_waitcnt vmcnt(0)
	v_ashrrev_i16_e32 v1, 15, v2
	v_ashrrev_i32_sdwa v2, s46, sext(v2) dst_sel:DWORD dst_unused:UNUSED_PAD src0_sel:DWORD src1_sel:WORD_0
	v_cndmask_b32_e64 v4, v2, v1, s[0:1]
	v_ashrrev_i32_e32 v1, 31, v0
	v_mov_b32_e32 v2, s9
	s_and_b32 s28, s15, 0xff
	v_add_co_u32_e32 v0, vcc, s8, v0
	s_cmp_lt_i32 s28, 11
	v_addc_co_u32_e32 v1, vcc, v2, v1, vcc
	s_cbranch_scc1 .LBB230_901
; %bb.892:
	s_and_b32 s29, 0xffff, s28
	s_mov_b64 s[22:23], -1
	s_cmp_gt_i32 s29, 25
	s_mov_b64 s[0:1], s[16:17]
	s_cbranch_scc0 .LBB230_929
; %bb.893:
	s_mov_b64 s[20:21], -1
	s_cmp_gt_i32 s29, 28
	s_mov_b64 s[0:1], s[16:17]
	s_cbranch_scc0 .LBB230_913
; %bb.894:
	s_cmp_gt_i32 s29, 43
	s_mov_b64 s[0:1], s[16:17]
	s_cbranch_scc0 .LBB230_909
; %bb.895:
	;; [unrolled: 4-line block ×3, first 2 shown]
	s_cmp_eq_u32 s29, 46
	s_mov_b64 s[0:1], -1
	s_cbranch_scc0 .LBB230_902
; %bb.897:
	v_cvt_f32_i32_sdwa v2, sext(v4) dst_sel:DWORD dst_unused:UNUSED_PAD src0_sel:WORD_0
	s_movk_i32 s0, 0x7fff
	s_mov_b64 s[20:21], 0
	v_bfe_u32 v3, v2, 16, 1
	v_add3_u32 v2, v2, v3, s0
	v_lshrrev_b32_e32 v2, 16, v2
	global_store_dword v[0:1], v2, off
	s_mov_b64 s[0:1], 0
	s_branch .LBB230_903
.LBB230_898:
	s_or_b64 exec, exec, s[18:19]
	s_and_saveexec_b64 s[0:1], s[16:17]
	s_cbranch_execnz .LBB230_971
.LBB230_899:
	s_or_b64 exec, exec, s[0:1]
	s_and_saveexec_b64 s[0:1], s[22:23]
	s_xor_b64 s[0:1], exec, s[0:1]
	s_cbranch_execz .LBB230_972
.LBB230_900:
	v_cmp_ne_u16_e32 vcc, 0, v4
	s_waitcnt vmcnt(0)
	v_cndmask_b32_e64 v2, 0, 1, vcc
	global_store_byte v[0:1], v2, off
	s_or_b64 exec, exec, s[0:1]
	s_and_saveexec_b64 s[0:1], s[20:21]
	s_xor_b64 s[0:1], exec, s[0:1]
	s_cbranch_execz .LBB230_1010
	s_branch .LBB230_973
.LBB230_901:
	s_mov_b64 s[20:21], -1
	s_mov_b64 s[0:1], s[16:17]
	s_branch .LBB230_970
.LBB230_902:
	s_mov_b64 s[20:21], 0
.LBB230_903:
	s_and_b64 vcc, exec, s[20:21]
	s_cbranch_vccz .LBB230_908
; %bb.904:
	s_cmp_eq_u32 s29, 44
	s_mov_b64 s[0:1], -1
	s_cbranch_scc0 .LBB230_908
; %bb.905:
	v_cvt_f32_i32_sdwa v2, sext(v4) dst_sel:DWORD dst_unused:UNUSED_PAD src0_sel:WORD_0
	s_movk_i32 s0, 0xff
	v_mov_b32_e32 v5, 0xff
	v_bfe_u32 v3, v2, 23, 8
	v_cmp_ne_u32_e32 vcc, s0, v3
	s_and_saveexec_b64 s[20:21], vcc
; %bb.906:
	s_mov_b32 s0, 0x3fffff
	v_lshrrev_b32_e32 v5, 23, v2
	v_and_b32_e32 v6, 0x400000, v2
	v_and_or_b32 v2, v2, s0, v3
	v_cmp_ne_u32_e32 vcc, 0, v6
	v_cmp_ne_u32_e64 s[0:1], 0, v2
	s_and_b64 s[0:1], vcc, s[0:1]
	v_cndmask_b32_e64 v2, 0, 1, s[0:1]
	v_add_u32_e32 v5, v5, v2
; %bb.907:
	s_or_b64 exec, exec, s[20:21]
	s_mov_b64 s[0:1], 0
	global_store_byte v[0:1], v5, off
.LBB230_908:
	s_mov_b64 s[20:21], 0
.LBB230_909:
	s_and_b64 vcc, exec, s[20:21]
	s_cbranch_vccz .LBB230_912
; %bb.910:
	s_cmp_eq_u32 s29, 29
	s_mov_b64 s[0:1], -1
	s_cbranch_scc0 .LBB230_912
; %bb.911:
	v_bfe_i32 v2, v4, 0, 16
	v_ashrrev_i32_e32 v3, 31, v2
	global_store_dwordx2 v[0:1], v[2:3], off
	s_mov_b64 s[0:1], 0
.LBB230_912:
	s_mov_b64 s[20:21], 0
.LBB230_913:
	s_and_b64 vcc, exec, s[20:21]
	s_cbranch_vccz .LBB230_928
; %bb.914:
	s_cmp_lt_i32 s29, 27
	s_mov_b64 s[20:21], -1
	s_cbranch_scc1 .LBB230_920
; %bb.915:
	s_cmp_gt_i32 s29, 27
	s_cbranch_scc0 .LBB230_917
; %bb.916:
	v_bfe_i32 v2, v4, 0, 16
	s_mov_b64 s[20:21], 0
	global_store_dword v[0:1], v2, off
.LBB230_917:
	s_andn2_b64 vcc, exec, s[20:21]
	s_cbranch_vccnz .LBB230_919
; %bb.918:
	global_store_short v[0:1], v4, off
.LBB230_919:
	s_mov_b64 s[20:21], 0
.LBB230_920:
	s_andn2_b64 vcc, exec, s[20:21]
	s_cbranch_vccnz .LBB230_928
; %bb.921:
	v_cvt_f32_i32_sdwa v2, sext(v4) dst_sel:DWORD dst_unused:UNUSED_PAD src0_sel:WORD_0
	s_mov_b32 s20, 0x43800000
	v_mov_b32_e32 v5, 0x80
	v_and_b32_e32 v3, 0x7fffffff, v2
	v_cmp_gt_u32_e32 vcc, s20, v3
	s_and_saveexec_b64 s[20:21], vcc
	s_cbranch_execz .LBB230_927
; %bb.922:
	s_mov_b32 s22, 0x3bffffff
	v_cmp_lt_u32_e32 vcc, s22, v3
	s_mov_b64 s[22:23], 0
                                        ; implicit-def: $vgpr3
	s_and_saveexec_b64 s[24:25], vcc
	s_xor_b64 s[24:25], exec, s[24:25]
	s_cbranch_execz .LBB230_1025
; %bb.923:
	v_bfe_u32 v3, v2, 20, 1
	s_mov_b32 s26, 0x487ffff
	v_add3_u32 v3, v2, v3, s26
	s_mov_b64 s[22:23], exec
	v_lshrrev_b32_e32 v3, 20, v3
	s_andn2_saveexec_b64 s[24:25], s[24:25]
	s_cbranch_execnz .LBB230_1026
.LBB230_924:
	s_or_b64 exec, exec, s[24:25]
	v_mov_b32_e32 v5, 0
	s_and_saveexec_b64 s[24:25], s[22:23]
.LBB230_925:
	v_lshrrev_b32_e32 v2, 24, v2
	s_movk_i32 s22, 0x80
	v_and_or_b32 v5, v2, s22, v3
.LBB230_926:
	s_or_b64 exec, exec, s[24:25]
.LBB230_927:
	s_or_b64 exec, exec, s[20:21]
	global_store_byte v[0:1], v5, off
.LBB230_928:
	s_mov_b64 s[22:23], 0
.LBB230_929:
	s_mov_b64 s[20:21], 0
	s_and_b64 vcc, exec, s[22:23]
	s_cbranch_vccz .LBB230_969
; %bb.930:
	s_cmp_gt_i32 s29, 22
	s_mov_b64 s[22:23], -1
	s_cbranch_scc0 .LBB230_962
; %bb.931:
	s_cmp_lt_i32 s29, 24
	s_cbranch_scc1 .LBB230_951
; %bb.932:
	s_cmp_gt_i32 s29, 24
	s_cbranch_scc0 .LBB230_940
; %bb.933:
	v_cvt_f32_i32_sdwa v2, sext(v4) dst_sel:DWORD dst_unused:UNUSED_PAD src0_sel:WORD_0
	s_mov_b32 s22, 0x47800000
	v_mov_b32_e32 v5, 0x80
	v_and_b32_e32 v3, 0x7fffffff, v2
	v_cmp_gt_u32_e32 vcc, s22, v3
	s_and_saveexec_b64 s[22:23], vcc
	s_cbranch_execz .LBB230_939
; %bb.934:
	s_mov_b32 s24, 0x37ffffff
	v_cmp_lt_u32_e32 vcc, s24, v3
	s_mov_b64 s[24:25], 0
                                        ; implicit-def: $vgpr3
	s_and_saveexec_b64 s[26:27], vcc
	s_xor_b64 s[26:27], exec, s[26:27]
	s_cbranch_execz .LBB230_1146
; %bb.935:
	v_bfe_u32 v3, v2, 21, 1
	s_mov_b32 s30, 0x88fffff
	v_add3_u32 v3, v2, v3, s30
	s_mov_b64 s[24:25], exec
	v_lshrrev_b32_e32 v3, 21, v3
	s_andn2_saveexec_b64 s[26:27], s[26:27]
	s_cbranch_execnz .LBB230_1147
.LBB230_936:
	s_or_b64 exec, exec, s[26:27]
	v_mov_b32_e32 v5, 0
	s_and_saveexec_b64 s[26:27], s[24:25]
.LBB230_937:
	v_lshrrev_b32_e32 v2, 24, v2
	s_movk_i32 s24, 0x80
	v_and_or_b32 v5, v2, s24, v3
.LBB230_938:
	s_or_b64 exec, exec, s[26:27]
.LBB230_939:
	s_or_b64 exec, exec, s[22:23]
	s_mov_b64 s[22:23], 0
	global_store_byte v[0:1], v5, off
.LBB230_940:
	s_and_b64 vcc, exec, s[22:23]
	s_cbranch_vccz .LBB230_950
; %bb.941:
	v_cvt_f32_i32_sdwa v2, sext(v4) dst_sel:DWORD dst_unused:UNUSED_PAD src0_sel:WORD_0
	s_mov_b32 s22, 0x43f00000
                                        ; implicit-def: $vgpr3
	v_and_b32_e32 v5, 0x7fffffff, v2
	v_cmp_gt_u32_e32 vcc, s22, v5
	s_and_saveexec_b64 s[22:23], vcc
	s_xor_b64 s[22:23], exec, s[22:23]
	s_cbranch_execz .LBB230_947
; %bb.942:
	s_mov_b32 s24, 0x3c7fffff
	v_cmp_lt_u32_e32 vcc, s24, v5
                                        ; implicit-def: $vgpr3
	s_and_saveexec_b64 s[24:25], vcc
	s_xor_b64 s[24:25], exec, s[24:25]
; %bb.943:
	v_bfe_u32 v3, v2, 20, 1
	s_mov_b32 s26, 0x407ffff
	v_add3_u32 v3, v2, v3, s26
	v_lshrrev_b32_e32 v5, 20, v3
	v_and_b32_e32 v3, 0xff00000, v3
	s_mov_b32 s26, 0x7f00000
	v_mov_b32_e32 v6, 0x7e
	v_cmp_ne_u32_e32 vcc, s26, v3
	v_cndmask_b32_e32 v3, v6, v5, vcc
; %bb.944:
	s_andn2_saveexec_b64 s[24:25], s[24:25]
; %bb.945:
	s_mov_b32 s26, 0x46800000
	v_add_f32_e64 v3, |v2|, s26
; %bb.946:
	s_or_b64 exec, exec, s[24:25]
                                        ; implicit-def: $vgpr5
.LBB230_947:
	s_andn2_saveexec_b64 s[22:23], s[22:23]
; %bb.948:
	s_mov_b32 s24, 0x7f800000
	v_mov_b32_e32 v3, 0x7e
	v_mov_b32_e32 v6, 0x7f
	v_cmp_lt_u32_e32 vcc, s24, v5
	v_cndmask_b32_e32 v3, v3, v6, vcc
; %bb.949:
	s_or_b64 exec, exec, s[22:23]
	v_lshrrev_b32_e32 v2, 24, v2
	s_movk_i32 s22, 0x80
	v_and_or_b32 v2, v2, s22, v3
	global_store_byte v[0:1], v2, off
.LBB230_950:
	s_mov_b64 s[22:23], 0
.LBB230_951:
	s_andn2_b64 vcc, exec, s[22:23]
	s_cbranch_vccnz .LBB230_961
; %bb.952:
	v_cvt_f32_i32_sdwa v2, sext(v4) dst_sel:DWORD dst_unused:UNUSED_PAD src0_sel:WORD_0
	s_mov_b32 s22, 0x47800000
                                        ; implicit-def: $vgpr3
	v_and_b32_e32 v5, 0x7fffffff, v2
	v_cmp_gt_u32_e32 vcc, s22, v5
	s_and_saveexec_b64 s[22:23], vcc
	s_xor_b64 s[22:23], exec, s[22:23]
	s_cbranch_execz .LBB230_958
; %bb.953:
	s_mov_b32 s24, 0x387fffff
	v_cmp_lt_u32_e32 vcc, s24, v5
                                        ; implicit-def: $vgpr3
	s_and_saveexec_b64 s[24:25], vcc
	s_xor_b64 s[24:25], exec, s[24:25]
; %bb.954:
	v_bfe_u32 v3, v2, 21, 1
	s_mov_b32 s26, 0x80fffff
	v_add3_u32 v3, v2, v3, s26
	v_lshrrev_b32_e32 v3, 21, v3
; %bb.955:
	s_andn2_saveexec_b64 s[24:25], s[24:25]
; %bb.956:
	s_mov_b32 s26, 0x43000000
	v_add_f32_e64 v3, |v2|, s26
; %bb.957:
	s_or_b64 exec, exec, s[24:25]
                                        ; implicit-def: $vgpr5
.LBB230_958:
	s_andn2_saveexec_b64 s[22:23], s[22:23]
; %bb.959:
	s_mov_b32 s24, 0x7f800000
	v_mov_b32_e32 v3, 0x7c
	v_mov_b32_e32 v6, 0x7f
	v_cmp_lt_u32_e32 vcc, s24, v5
	v_cndmask_b32_e32 v3, v3, v6, vcc
; %bb.960:
	s_or_b64 exec, exec, s[22:23]
	v_lshrrev_b32_e32 v2, 24, v2
	s_movk_i32 s22, 0x80
	v_and_or_b32 v2, v2, s22, v3
	global_store_byte v[0:1], v2, off
.LBB230_961:
	s_mov_b64 s[22:23], 0
.LBB230_962:
	s_andn2_b64 vcc, exec, s[22:23]
	s_mov_b64 s[22:23], 0
	s_cbranch_vccnz .LBB230_970
; %bb.963:
	s_cmp_gt_i32 s29, 14
	s_mov_b64 s[24:25], -1
	s_cbranch_scc0 .LBB230_967
; %bb.964:
	s_cmp_eq_u32 s29, 15
	s_mov_b64 s[0:1], -1
	s_cbranch_scc0 .LBB230_966
; %bb.965:
	v_cvt_f32_i32_sdwa v2, sext(v4) dst_sel:DWORD dst_unused:UNUSED_PAD src0_sel:WORD_0
	s_movk_i32 s0, 0x7fff
	v_bfe_u32 v3, v2, 16, 1
	v_add3_u32 v2, v2, v3, s0
	global_store_short_d16_hi v[0:1], v2, off
	s_mov_b64 s[0:1], 0
.LBB230_966:
	s_mov_b64 s[24:25], 0
.LBB230_967:
	s_and_b64 vcc, exec, s[24:25]
	s_cbranch_vccz .LBB230_970
; %bb.968:
	s_cmp_lg_u32 s29, 11
	s_cselect_b64 s[24:25], -1, 0
	s_andn2_b64 s[0:1], s[0:1], exec
	s_and_b64 s[24:25], s[24:25], exec
	s_mov_b64 s[22:23], -1
	s_or_b64 s[0:1], s[0:1], s[24:25]
	s_branch .LBB230_970
.LBB230_969:
	s_mov_b64 s[22:23], 0
.LBB230_970:
	s_andn2_b64 s[16:17], s[16:17], exec
	s_and_b64 s[0:1], s[0:1], exec
	s_and_b64 s[20:21], s[20:21], exec
	;; [unrolled: 1-line block ×3, first 2 shown]
	s_or_b64 s[16:17], s[16:17], s[0:1]
	s_or_b64 exec, exec, s[18:19]
	s_and_saveexec_b64 s[0:1], s[16:17]
	s_cbranch_execz .LBB230_899
.LBB230_971:
	s_or_b64 s[2:3], s[2:3], exec
	s_andn2_b64 s[22:23], s[22:23], exec
	s_trap 2
	s_or_b64 exec, exec, s[0:1]
	s_and_saveexec_b64 s[0:1], s[22:23]
	s_xor_b64 s[0:1], exec, s[0:1]
	s_cbranch_execnz .LBB230_900
.LBB230_972:
	s_or_b64 exec, exec, s[0:1]
	s_and_saveexec_b64 s[0:1], s[20:21]
	s_xor_b64 s[0:1], exec, s[0:1]
	s_cbranch_execz .LBB230_1010
.LBB230_973:
	s_sext_i32_i16 s18, s28
	s_cmp_lt_i32 s18, 5
	s_mov_b64 s[16:17], -1
	s_cbranch_scc1 .LBB230_994
; %bb.974:
	s_cmp_lt_i32 s18, 8
	s_cbranch_scc1 .LBB230_984
; %bb.975:
	s_cmp_lt_i32 s18, 9
	s_cbranch_scc1 .LBB230_981
; %bb.976:
	s_cmp_gt_i32 s18, 9
	s_cbranch_scc0 .LBB230_978
; %bb.977:
	s_waitcnt vmcnt(0)
	v_bfe_i32 v2, v4, 0, 16
	v_cvt_f64_i32_e32 v[5:6], v2
	v_mov_b32_e32 v7, 0
	v_mov_b32_e32 v8, v7
	s_mov_b64 s[16:17], 0
	global_store_dwordx4 v[0:1], v[5:8], off
.LBB230_978:
	s_andn2_b64 vcc, exec, s[16:17]
	s_cbranch_vccnz .LBB230_980
; %bb.979:
	s_waitcnt vmcnt(0)
	v_cvt_f32_i32_sdwa v2, sext(v4) dst_sel:DWORD dst_unused:UNUSED_PAD src0_sel:WORD_0
	v_mov_b32_e32 v3, 0
	global_store_dwordx2 v[0:1], v[2:3], off
.LBB230_980:
	s_mov_b64 s[16:17], 0
.LBB230_981:
	s_andn2_b64 vcc, exec, s[16:17]
	s_cbranch_vccnz .LBB230_983
; %bb.982:
	s_waitcnt vmcnt(0)
	v_cvt_f16_i16_e32 v2, v4
	global_store_dword v[0:1], v2, off
.LBB230_983:
	s_mov_b64 s[16:17], 0
.LBB230_984:
	s_andn2_b64 vcc, exec, s[16:17]
	s_cbranch_vccnz .LBB230_993
; %bb.985:
	s_sext_i32_i16 s18, s28
	s_cmp_lt_i32 s18, 6
	s_mov_b64 s[16:17], -1
	s_cbranch_scc1 .LBB230_991
; %bb.986:
	s_cmp_gt_i32 s18, 6
	s_cbranch_scc0 .LBB230_988
; %bb.987:
	s_waitcnt vmcnt(0)
	v_bfe_i32 v2, v4, 0, 16
	v_cvt_f64_i32_e32 v[2:3], v2
	s_mov_b64 s[16:17], 0
	global_store_dwordx2 v[0:1], v[2:3], off
.LBB230_988:
	s_andn2_b64 vcc, exec, s[16:17]
	s_cbranch_vccnz .LBB230_990
; %bb.989:
	s_waitcnt vmcnt(0)
	v_cvt_f32_i32_sdwa v2, sext(v4) dst_sel:DWORD dst_unused:UNUSED_PAD src0_sel:WORD_0
	global_store_dword v[0:1], v2, off
.LBB230_990:
	s_mov_b64 s[16:17], 0
.LBB230_991:
	s_andn2_b64 vcc, exec, s[16:17]
	s_cbranch_vccnz .LBB230_993
; %bb.992:
	s_waitcnt vmcnt(0)
	v_cvt_f16_i16_e32 v2, v4
	global_store_short v[0:1], v2, off
.LBB230_993:
	s_mov_b64 s[16:17], 0
.LBB230_994:
	s_andn2_b64 vcc, exec, s[16:17]
	s_cbranch_vccnz .LBB230_1010
; %bb.995:
	s_sext_i32_i16 s18, s28
	s_cmp_lt_i32 s18, 2
	s_mov_b64 s[16:17], -1
	s_cbranch_scc1 .LBB230_1005
; %bb.996:
	s_cmp_lt_i32 s18, 3
	s_cbranch_scc1 .LBB230_1002
; %bb.997:
	s_cmp_gt_i32 s18, 3
	s_waitcnt vmcnt(0)
	v_bfe_i32 v2, v4, 0, 16
	s_cbranch_scc0 .LBB230_999
; %bb.998:
	v_ashrrev_i32_e32 v3, 31, v2
	s_mov_b64 s[16:17], 0
	global_store_dwordx2 v[0:1], v[2:3], off
.LBB230_999:
	s_andn2_b64 vcc, exec, s[16:17]
	s_cbranch_vccnz .LBB230_1001
; %bb.1000:
	global_store_dword v[0:1], v2, off
.LBB230_1001:
	s_mov_b64 s[16:17], 0
.LBB230_1002:
	s_andn2_b64 vcc, exec, s[16:17]
	s_cbranch_vccnz .LBB230_1004
; %bb.1003:
	global_store_short v[0:1], v4, off
.LBB230_1004:
	s_mov_b64 s[16:17], 0
.LBB230_1005:
	s_andn2_b64 vcc, exec, s[16:17]
	s_cbranch_vccnz .LBB230_1010
; %bb.1006:
	s_sext_i32_i16 s16, s28
	s_cmp_gt_i32 s16, 0
	s_mov_b64 s[16:17], -1
	s_cbranch_scc0 .LBB230_1008
; %bb.1007:
	s_mov_b64 s[16:17], 0
	global_store_byte v[0:1], v4, off
.LBB230_1008:
	s_andn2_b64 vcc, exec, s[16:17]
	s_cbranch_vccnz .LBB230_1010
; %bb.1009:
	global_store_byte v[0:1], v4, off
.LBB230_1010:
	s_or_b64 exec, exec, s[0:1]
	s_and_b64 s[16:17], s[2:3], exec
                                        ; implicit-def: $vgpr9
.LBB230_1011:
	s_or_saveexec_b64 s[6:7], s[6:7]
	s_mov_b64 s[0:1], 0
                                        ; implicit-def: $sgpr22
                                        ; implicit-def: $vgpr0_vgpr1
                                        ; implicit-def: $vgpr4
	s_xor_b64 exec, exec, s[6:7]
	s_cbranch_execz .LBB230_1943
; %bb.1012:
	s_waitcnt vmcnt(0)
	v_mul_lo_u32 v2, s13, v9
	v_mov_b32_e32 v1, s11
	s_and_b32 s22, 0xffff, s33
	s_cmp_lt_i32 s22, 11
	v_ashrrev_i32_e32 v3, 31, v2
	v_add_co_u32_e32 v0, vcc, s10, v2
	v_addc_co_u32_e32 v1, vcc, v1, v3, vcc
	s_cbranch_scc1 .LBB230_1019
; %bb.1013:
	s_cmp_gt_i32 s22, 25
	s_mov_b64 s[2:3], 0
	s_cbranch_scc0 .LBB230_1021
; %bb.1014:
	s_cmp_gt_i32 s22, 28
	s_cbranch_scc0 .LBB230_1022
; %bb.1015:
	s_cmp_gt_i32 s22, 43
	;; [unrolled: 3-line block ×3, first 2 shown]
	s_cbranch_scc0 .LBB230_1024
; %bb.1017:
	s_cmp_eq_u32 s22, 46
	s_mov_b64 s[18:19], 0
	s_cbranch_scc0 .LBB230_1027
; %bb.1018:
	global_load_dword v3, v[0:1], off
	s_mov_b64 s[4:5], -1
	s_waitcnt vmcnt(0)
	v_lshlrev_b32_e32 v3, 16, v3
	v_cvt_i32_f32_e32 v6, v3
	s_branch .LBB230_1029
.LBB230_1019:
                                        ; implicit-def: $vgpr6
	s_mov_b64 s[18:19], s[16:17]
	s_cbranch_execnz .LBB230_1087
.LBB230_1020:
	s_andn2_b64 vcc, exec, s[4:5]
	s_cbranch_vccz .LBB230_1132
	s_branch .LBB230_1941
.LBB230_1021:
                                        ; implicit-def: $vgpr6
	s_cbranch_execnz .LBB230_1054
	s_branch .LBB230_1083
.LBB230_1022:
                                        ; implicit-def: $vgpr6
	s_cbranch_execz .LBB230_1053
	s_branch .LBB230_1038
.LBB230_1023:
                                        ; implicit-def: $vgpr6
	s_cbranch_execnz .LBB230_1034
	s_branch .LBB230_1037
.LBB230_1024:
	s_mov_b64 s[18:19], -1
	s_branch .LBB230_1028
.LBB230_1025:
	s_andn2_saveexec_b64 s[24:25], s[24:25]
	s_cbranch_execz .LBB230_924
.LBB230_1026:
	s_mov_b32 s26, 0x46000000
	v_add_f32_e64 v3, |v2|, s26
	v_and_b32_e32 v3, 0xff, v3
	v_cmp_ne_u32_e32 vcc, 0, v3
	s_andn2_b64 s[22:23], s[22:23], exec
	s_and_b64 s[26:27], vcc, exec
	s_or_b64 s[22:23], s[22:23], s[26:27]
	s_or_b64 exec, exec, s[24:25]
	v_mov_b32_e32 v5, 0
	s_and_saveexec_b64 s[24:25], s[22:23]
	s_cbranch_execnz .LBB230_925
	s_branch .LBB230_926
.LBB230_1027:
	s_mov_b64 s[0:1], -1
.LBB230_1028:
                                        ; implicit-def: $vgpr6
.LBB230_1029:
	s_and_b64 vcc, exec, s[18:19]
	s_cbranch_vccz .LBB230_1032
; %bb.1030:
	s_cmp_eq_u32 s22, 44
	s_cbranch_scc0 .LBB230_1033
; %bb.1031:
	global_load_ubyte v3, v[0:1], off
	s_mov_b64 s[0:1], 0
	s_mov_b64 s[4:5], -1
	s_waitcnt vmcnt(0)
	v_lshlrev_b32_e32 v4, 23, v3
	v_cvt_i32_f32_e32 v4, v4
	v_cmp_ne_u32_e32 vcc, 0, v3
	v_cndmask_b32_e32 v6, 0, v4, vcc
.LBB230_1032:
	s_branch .LBB230_1037
.LBB230_1033:
	s_mov_b64 s[0:1], -1
                                        ; implicit-def: $vgpr6
	s_branch .LBB230_1037
.LBB230_1034:
	s_cmp_eq_u32 s22, 29
	s_cbranch_scc0 .LBB230_1036
; %bb.1035:
	global_load_dwordx2 v[6:7], v[0:1], off
	s_mov_b64 s[0:1], 0
	s_mov_b64 s[4:5], -1
	s_branch .LBB230_1037
.LBB230_1036:
	s_mov_b64 s[0:1], -1
                                        ; implicit-def: $vgpr6
.LBB230_1037:
	s_branch .LBB230_1053
.LBB230_1038:
	s_cmp_lt_i32 s22, 27
	s_cbranch_scc1 .LBB230_1041
; %bb.1039:
	s_cmp_gt_i32 s22, 27
	s_cbranch_scc0 .LBB230_1042
; %bb.1040:
	global_load_dword v6, v[0:1], off
	s_mov_b64 s[4:5], 0
	s_branch .LBB230_1043
.LBB230_1041:
	s_mov_b64 s[4:5], -1
                                        ; implicit-def: $vgpr6
	s_branch .LBB230_1046
.LBB230_1042:
	s_mov_b64 s[4:5], -1
                                        ; implicit-def: $vgpr6
.LBB230_1043:
	s_andn2_b64 vcc, exec, s[4:5]
	s_cbranch_vccnz .LBB230_1045
; %bb.1044:
	global_load_ushort v6, v[0:1], off
.LBB230_1045:
	s_mov_b64 s[4:5], 0
.LBB230_1046:
	s_andn2_b64 vcc, exec, s[4:5]
	s_cbranch_vccnz .LBB230_1052
; %bb.1047:
	global_load_ubyte v3, v[0:1], off
	s_movk_i32 s4, 0x7f
	s_mov_b64 s[18:19], 0
	s_waitcnt vmcnt(0)
	v_cmp_lt_i16_e32 vcc, s4, v3
	s_and_saveexec_b64 s[4:5], vcc
	s_xor_b64 s[4:5], exec, s[4:5]
	s_cbranch_execz .LBB230_1063
; %bb.1048:
	s_movk_i32 s18, 0x80
	v_cmp_ne_u16_e32 vcc, s18, v3
	s_and_b64 s[18:19], vcc, exec
	s_andn2_saveexec_b64 s[4:5], s[4:5]
	s_cbranch_execnz .LBB230_1064
.LBB230_1049:
	s_or_b64 exec, exec, s[4:5]
	v_mov_b32_e32 v6, 0
	s_and_saveexec_b64 s[4:5], s[18:19]
	s_cbranch_execz .LBB230_1051
.LBB230_1050:
	v_lshlrev_b32_e32 v4, 24, v3
	v_and_b32_e32 v3, 0xffff, v3
	v_and_b32_e32 v5, 7, v3
	v_ffbh_u32_e32 v7, v5
	v_min_u32_e32 v7, 32, v7
	v_subrev_u32_e32 v8, 28, v7
	v_bfe_u32 v6, v3, 3, 4
	v_lshlrev_b32_e32 v3, v8, v3
	v_sub_u32_e32 v7, 29, v7
	v_and_b32_e32 v3, 7, v3
	v_cmp_eq_u32_e32 vcc, 0, v6
	v_cndmask_b32_e32 v6, v6, v7, vcc
	v_cndmask_b32_e32 v3, v5, v3, vcc
	v_mov_b32_e32 v5, 0x3b800000
	v_lshlrev_b32_e32 v3, 20, v3
	v_and_b32_e32 v4, 0x80000000, v4
	v_lshl_add_u32 v5, v6, 23, v5
	v_or3_b32 v3, v4, v5, v3
	v_cvt_i32_f32_e32 v6, v3
.LBB230_1051:
	s_or_b64 exec, exec, s[4:5]
.LBB230_1052:
	s_mov_b64 s[4:5], -1
.LBB230_1053:
	s_branch .LBB230_1083
.LBB230_1054:
	s_cmp_gt_i32 s22, 22
	s_cbranch_scc0 .LBB230_1062
; %bb.1055:
	s_cmp_lt_i32 s22, 24
	s_cbranch_scc1 .LBB230_1065
; %bb.1056:
	s_cmp_gt_i32 s22, 24
	s_cbranch_scc0 .LBB230_1066
; %bb.1057:
	global_load_ubyte v3, v[0:1], off
	s_movk_i32 s2, 0x7f
	s_mov_b64 s[4:5], 0
	s_waitcnt vmcnt(0)
	v_cmp_lt_i16_e32 vcc, s2, v3
	s_and_saveexec_b64 s[2:3], vcc
	s_xor_b64 s[2:3], exec, s[2:3]
	s_cbranch_execz .LBB230_1077
; %bb.1058:
	s_movk_i32 s4, 0x80
	v_cmp_ne_u16_e32 vcc, s4, v3
	s_and_b64 s[4:5], vcc, exec
	s_andn2_saveexec_b64 s[2:3], s[2:3]
	s_cbranch_execnz .LBB230_1078
.LBB230_1059:
	s_or_b64 exec, exec, s[2:3]
	v_mov_b32_e32 v6, 0
	s_and_saveexec_b64 s[2:3], s[4:5]
	s_cbranch_execz .LBB230_1061
.LBB230_1060:
	v_lshlrev_b32_e32 v4, 24, v3
	v_and_b32_e32 v3, 0xffff, v3
	v_and_b32_e32 v5, 3, v3
	v_ffbh_u32_e32 v7, v5
	v_min_u32_e32 v7, 32, v7
	v_subrev_u32_e32 v8, 29, v7
	v_bfe_u32 v6, v3, 2, 5
	v_lshlrev_b32_e32 v3, v8, v3
	v_sub_u32_e32 v7, 30, v7
	v_and_b32_e32 v3, 3, v3
	v_cmp_eq_u32_e32 vcc, 0, v6
	v_cndmask_b32_e32 v6, v6, v7, vcc
	v_cndmask_b32_e32 v3, v5, v3, vcc
	v_mov_b32_e32 v5, 0x37800000
	v_lshlrev_b32_e32 v3, 21, v3
	v_and_b32_e32 v4, 0x80000000, v4
	v_lshl_add_u32 v5, v6, 23, v5
	v_or3_b32 v3, v4, v5, v3
	v_cvt_i32_f32_e32 v6, v3
.LBB230_1061:
	s_or_b64 exec, exec, s[2:3]
	s_mov_b64 s[2:3], 0
	s_branch .LBB230_1067
.LBB230_1062:
                                        ; implicit-def: $vgpr6
	s_mov_b64 s[2:3], 0
	s_branch .LBB230_1073
.LBB230_1063:
	s_andn2_saveexec_b64 s[4:5], s[4:5]
	s_cbranch_execz .LBB230_1049
.LBB230_1064:
	v_cmp_ne_u16_e32 vcc, 0, v3
	s_andn2_b64 s[18:19], s[18:19], exec
	s_and_b64 s[20:21], vcc, exec
	s_or_b64 s[18:19], s[18:19], s[20:21]
	s_or_b64 exec, exec, s[4:5]
	v_mov_b32_e32 v6, 0
	s_and_saveexec_b64 s[4:5], s[18:19]
	s_cbranch_execnz .LBB230_1050
	s_branch .LBB230_1051
.LBB230_1065:
	s_mov_b64 s[2:3], -1
                                        ; implicit-def: $vgpr6
	s_branch .LBB230_1070
.LBB230_1066:
	s_mov_b64 s[2:3], -1
                                        ; implicit-def: $vgpr6
.LBB230_1067:
	s_and_b64 vcc, exec, s[2:3]
	s_cbranch_vccz .LBB230_1069
; %bb.1068:
	global_load_ubyte v3, v[0:1], off
	s_mov_b32 s2, 0x7f800000
	s_waitcnt vmcnt(0)
	v_lshlrev_b32_e32 v3, 24, v3
	v_and_b32_e32 v4, 0x7f000000, v3
	v_ffbh_u32_e32 v5, v4
	v_min_u32_e32 v5, 32, v5
	v_sub_u32_e64 v5, v5, 4 clamp
	v_lshlrev_b32_e32 v7, v5, v4
	v_lshlrev_b32_e32 v5, 23, v5
	v_lshrrev_b32_e32 v7, 4, v7
	v_add_u32_e32 v6, 0x1000000, v4
	v_sub_u32_e32 v5, v7, v5
	v_ashrrev_i32_e32 v6, 8, v6
	v_add_u32_e32 v5, 0x3c000000, v5
	v_and_or_b32 v5, v6, s2, v5
	v_cmp_ne_u32_e32 vcc, 0, v4
	v_cndmask_b32_e32 v4, 0, v5, vcc
	s_brev_b32 s2, 1
	v_and_or_b32 v3, v3, s2, v4
	v_cvt_i32_f32_e32 v6, v3
.LBB230_1069:
	s_mov_b64 s[2:3], 0
.LBB230_1070:
	s_andn2_b64 vcc, exec, s[2:3]
	s_cbranch_vccnz .LBB230_1072
; %bb.1071:
	global_load_ubyte v3, v[0:1], off
	s_movk_i32 s2, 0x7f00
	s_brev_b32 s3, 16
	s_waitcnt vmcnt(0)
	v_lshlrev_b16_e32 v4, 8, v3
	v_lshlrev_b32_e32 v3, 25, v3
	v_lshrrev_b32_e32 v5, 4, v3
	v_and_or_b32 v6, v4, s2, 0.5
	v_or_b32_e32 v5, 0x70000000, v5
	v_add_f32_e32 v6, -0.5, v6
	v_mul_f32_e32 v5, 0x7800000, v5
	v_cmp_gt_u32_e32 vcc, s3, v3
	v_bfe_i32 v4, v4, 0, 16
	v_cndmask_b32_e32 v3, v5, v6, vcc
	s_brev_b32 s2, 1
	v_and_or_b32 v3, v4, s2, v3
	v_cvt_i32_f32_e32 v6, v3
.LBB230_1072:
	s_mov_b64 s[4:5], -1
	s_mov_b64 s[2:3], 0
	s_cbranch_execnz .LBB230_1083
.LBB230_1073:
	s_cmp_gt_i32 s22, 14
	s_cbranch_scc0 .LBB230_1076
; %bb.1074:
	s_cmp_eq_u32 s22, 15
	s_cbranch_scc0 .LBB230_1079
; %bb.1075:
	global_load_ushort v3, v[0:1], off
	s_mov_b64 s[0:1], 0
	s_mov_b64 s[4:5], -1
	s_waitcnt vmcnt(0)
	v_lshlrev_b32_e32 v3, 16, v3
	v_cvt_i32_f32_e32 v6, v3
	s_branch .LBB230_1080
.LBB230_1076:
	s_mov_b64 s[18:19], -1
                                        ; implicit-def: $vgpr6
	s_branch .LBB230_1081
.LBB230_1077:
	s_andn2_saveexec_b64 s[2:3], s[2:3]
	s_cbranch_execz .LBB230_1059
.LBB230_1078:
	v_cmp_ne_u16_e32 vcc, 0, v3
	s_andn2_b64 s[4:5], s[4:5], exec
	s_and_b64 s[18:19], vcc, exec
	s_or_b64 s[4:5], s[4:5], s[18:19]
	s_or_b64 exec, exec, s[2:3]
	v_mov_b32_e32 v6, 0
	s_and_saveexec_b64 s[2:3], s[4:5]
	s_cbranch_execnz .LBB230_1060
	s_branch .LBB230_1061
.LBB230_1079:
	s_mov_b64 s[0:1], -1
                                        ; implicit-def: $vgpr6
.LBB230_1080:
	s_mov_b64 s[18:19], 0
.LBB230_1081:
	s_and_b64 vcc, exec, s[18:19]
	s_cbranch_vccz .LBB230_1083
; %bb.1082:
	s_cmp_lg_u32 s22, 11
	s_mov_b64 s[2:3], -1
	s_cselect_b64 s[0:1], -1, 0
.LBB230_1083:
	s_and_b64 vcc, exec, s[0:1]
	s_mov_b64 s[18:19], s[16:17]
	s_cbranch_vccnz .LBB230_1144
; %bb.1084:
	s_andn2_b64 vcc, exec, s[2:3]
	s_cbranch_vccnz .LBB230_1086
.LBB230_1085:
	global_load_ubyte v3, v[0:1], off
	s_mov_b64 s[4:5], -1
	s_waitcnt vmcnt(0)
	v_cmp_ne_u16_e32 vcc, 0, v3
	v_cndmask_b32_e64 v6, 0, 1, vcc
.LBB230_1086:
	s_branch .LBB230_1020
.LBB230_1087:
	s_cmp_lt_i32 s22, 5
	s_cbranch_scc1 .LBB230_1092
; %bb.1088:
	s_cmp_lt_i32 s22, 8
	s_cbranch_scc1 .LBB230_1093
; %bb.1089:
	;; [unrolled: 3-line block ×3, first 2 shown]
	s_cmp_gt_i32 s22, 9
	s_cbranch_scc0 .LBB230_1095
; %bb.1091:
	global_load_dwordx2 v[3:4], v[0:1], off
	s_mov_b64 s[0:1], 0
	s_waitcnt vmcnt(0)
	v_cvt_i32_f64_e32 v6, v[3:4]
	s_branch .LBB230_1096
.LBB230_1092:
                                        ; implicit-def: $vgpr6
	s_branch .LBB230_1113
.LBB230_1093:
                                        ; implicit-def: $vgpr6
	s_branch .LBB230_1102
.LBB230_1094:
	s_mov_b64 s[0:1], -1
                                        ; implicit-def: $vgpr6
	s_branch .LBB230_1099
.LBB230_1095:
	s_mov_b64 s[0:1], -1
                                        ; implicit-def: $vgpr6
.LBB230_1096:
	s_andn2_b64 vcc, exec, s[0:1]
	s_cbranch_vccnz .LBB230_1098
; %bb.1097:
	global_load_dword v3, v[0:1], off
	s_waitcnt vmcnt(0)
	v_cvt_i32_f32_e32 v6, v3
.LBB230_1098:
	s_mov_b64 s[0:1], 0
.LBB230_1099:
	s_andn2_b64 vcc, exec, s[0:1]
	s_cbranch_vccnz .LBB230_1101
; %bb.1100:
	global_load_dword v3, v[0:1], off
	s_waitcnt vmcnt(0)
	v_cvt_i16_f16_e32 v6, v3
.LBB230_1101:
	s_cbranch_execnz .LBB230_1112
.LBB230_1102:
	s_cmp_lt_i32 s22, 6
	s_cbranch_scc1 .LBB230_1105
; %bb.1103:
	s_cmp_gt_i32 s22, 6
	s_cbranch_scc0 .LBB230_1106
; %bb.1104:
	global_load_dwordx2 v[3:4], v[0:1], off
	s_mov_b64 s[0:1], 0
	s_waitcnt vmcnt(0)
	v_cvt_i32_f64_e32 v6, v[3:4]
	s_branch .LBB230_1107
.LBB230_1105:
	s_mov_b64 s[0:1], -1
                                        ; implicit-def: $vgpr6
	s_branch .LBB230_1110
.LBB230_1106:
	s_mov_b64 s[0:1], -1
                                        ; implicit-def: $vgpr6
.LBB230_1107:
	s_andn2_b64 vcc, exec, s[0:1]
	s_cbranch_vccnz .LBB230_1109
; %bb.1108:
	global_load_dword v3, v[0:1], off
	s_waitcnt vmcnt(0)
	v_cvt_i32_f32_e32 v6, v3
.LBB230_1109:
	s_mov_b64 s[0:1], 0
.LBB230_1110:
	s_andn2_b64 vcc, exec, s[0:1]
	s_cbranch_vccnz .LBB230_1112
; %bb.1111:
	global_load_ushort v3, v[0:1], off
	s_waitcnt vmcnt(0)
	v_cvt_i16_f16_e32 v6, v3
.LBB230_1112:
	s_cbranch_execnz .LBB230_1131
.LBB230_1113:
	s_cmp_lt_i32 s22, 2
	s_cbranch_scc1 .LBB230_1117
; %bb.1114:
	s_cmp_lt_i32 s22, 3
	s_cbranch_scc1 .LBB230_1118
; %bb.1115:
	s_cmp_gt_i32 s22, 3
	s_cbranch_scc0 .LBB230_1119
; %bb.1116:
	global_load_dwordx2 v[6:7], v[0:1], off
	s_mov_b64 s[0:1], 0
	s_branch .LBB230_1120
.LBB230_1117:
                                        ; implicit-def: $vgpr6
	s_branch .LBB230_1126
.LBB230_1118:
	s_mov_b64 s[0:1], -1
                                        ; implicit-def: $vgpr6
	s_branch .LBB230_1123
.LBB230_1119:
	s_mov_b64 s[0:1], -1
                                        ; implicit-def: $vgpr6
.LBB230_1120:
	s_andn2_b64 vcc, exec, s[0:1]
	s_cbranch_vccnz .LBB230_1122
; %bb.1121:
	global_load_dword v6, v[0:1], off
.LBB230_1122:
	s_mov_b64 s[0:1], 0
.LBB230_1123:
	s_andn2_b64 vcc, exec, s[0:1]
	s_cbranch_vccnz .LBB230_1125
; %bb.1124:
	global_load_ushort v6, v[0:1], off
.LBB230_1125:
	s_cbranch_execnz .LBB230_1131
.LBB230_1126:
	s_cmp_gt_i32 s22, 0
	s_cbranch_scc0 .LBB230_1128
; %bb.1127:
	global_load_sbyte v6, v[0:1], off
	s_mov_b64 s[0:1], 0
	s_branch .LBB230_1129
.LBB230_1128:
	s_mov_b64 s[0:1], -1
                                        ; implicit-def: $vgpr6
.LBB230_1129:
	s_andn2_b64 vcc, exec, s[0:1]
	s_cbranch_vccnz .LBB230_1131
; %bb.1130:
	global_load_ubyte v6, v[0:1], off
.LBB230_1131:
.LBB230_1132:
	s_lshl_b32 s13, s13, 7
	v_add_u32_e32 v2, s13, v2
	v_ashrrev_i32_e32 v1, 31, v2
	v_mov_b32_e32 v3, s11
	v_add_co_u32_e32 v0, vcc, s10, v2
	s_cmp_lt_i32 s22, 11
	v_addc_co_u32_e32 v1, vcc, v3, v1, vcc
	s_cbranch_scc1 .LBB230_1139
; %bb.1133:
	s_cmp_gt_i32 s22, 25
	s_mov_b64 s[2:3], 0
	s_cbranch_scc0 .LBB230_1141
; %bb.1134:
	s_cmp_gt_i32 s22, 28
	s_cbranch_scc0 .LBB230_1142
; %bb.1135:
	s_cmp_gt_i32 s22, 43
	;; [unrolled: 3-line block ×3, first 2 shown]
	s_cbranch_scc0 .LBB230_1145
; %bb.1137:
	s_cmp_eq_u32 s22, 46
	s_mov_b64 s[20:21], 0
	s_cbranch_scc0 .LBB230_1148
; %bb.1138:
	global_load_dword v3, v[0:1], off
	s_mov_b64 s[0:1], 0
	s_mov_b64 s[4:5], -1
	s_waitcnt vmcnt(0)
	v_lshlrev_b32_e32 v3, 16, v3
	v_cvt_i32_f32_e32 v4, v3
	s_branch .LBB230_1149
.LBB230_1139:
	s_mov_b64 s[4:5], 0
                                        ; implicit-def: $vgpr4
	s_cbranch_execnz .LBB230_1210
.LBB230_1140:
	s_andn2_b64 vcc, exec, s[4:5]
	s_cbranch_vccnz .LBB230_1941
	s_branch .LBB230_1257
.LBB230_1141:
	s_mov_b64 s[4:5], 0
	s_mov_b64 s[0:1], 0
                                        ; implicit-def: $vgpr4
	s_cbranch_execnz .LBB230_1176
	s_branch .LBB230_1206
.LBB230_1142:
	s_mov_b64 s[20:21], -1
	s_mov_b64 s[4:5], 0
	s_mov_b64 s[0:1], 0
                                        ; implicit-def: $vgpr4
	s_branch .LBB230_1159
.LBB230_1143:
	s_mov_b64 s[20:21], -1
	s_mov_b64 s[4:5], 0
	s_mov_b64 s[0:1], 0
                                        ; implicit-def: $vgpr4
	s_branch .LBB230_1154
.LBB230_1144:
	s_or_b64 s[18:19], s[16:17], exec
	s_trap 2
	s_cbranch_execz .LBB230_1085
	s_branch .LBB230_1086
.LBB230_1145:
	s_mov_b64 s[20:21], -1
	s_mov_b64 s[4:5], 0
	s_mov_b64 s[0:1], 0
                                        ; implicit-def: $vgpr4
	s_branch .LBB230_1149
.LBB230_1146:
	s_andn2_saveexec_b64 s[26:27], s[26:27]
	s_cbranch_execz .LBB230_936
.LBB230_1147:
	s_mov_b32 s30, 0x42800000
	v_add_f32_e64 v3, |v2|, s30
	v_and_b32_e32 v3, 0xff, v3
	v_cmp_ne_u32_e32 vcc, 0, v3
	s_andn2_b64 s[24:25], s[24:25], exec
	s_and_b64 s[30:31], vcc, exec
	s_or_b64 s[24:25], s[24:25], s[30:31]
	s_or_b64 exec, exec, s[26:27]
	v_mov_b32_e32 v5, 0
	s_and_saveexec_b64 s[26:27], s[24:25]
	s_cbranch_execnz .LBB230_937
	s_branch .LBB230_938
.LBB230_1148:
	s_mov_b64 s[0:1], -1
                                        ; implicit-def: $vgpr4
	s_mov_b64 s[4:5], 0
.LBB230_1149:
	s_and_b64 vcc, exec, s[20:21]
	s_cbranch_vccz .LBB230_1153
; %bb.1150:
	s_cmp_eq_u32 s22, 44
	s_cbranch_scc0 .LBB230_1152
; %bb.1151:
	global_load_ubyte v3, v[0:1], off
	s_mov_b64 s[0:1], 0
	s_mov_b64 s[4:5], -1
	s_waitcnt vmcnt(0)
	v_lshlrev_b32_e32 v4, 23, v3
	v_cvt_i32_f32_e32 v4, v4
	v_cmp_ne_u32_e32 vcc, 0, v3
	v_cndmask_b32_e32 v4, 0, v4, vcc
	s_branch .LBB230_1153
.LBB230_1152:
	s_mov_b64 s[0:1], -1
                                        ; implicit-def: $vgpr4
.LBB230_1153:
	s_mov_b64 s[20:21], 0
.LBB230_1154:
	s_and_b64 vcc, exec, s[20:21]
	s_cbranch_vccz .LBB230_1158
; %bb.1155:
	s_cmp_eq_u32 s22, 29
	s_cbranch_scc0 .LBB230_1157
; %bb.1156:
	global_load_dwordx2 v[4:5], v[0:1], off
	s_mov_b64 s[0:1], 0
	s_mov_b64 s[4:5], -1
	s_branch .LBB230_1158
.LBB230_1157:
	s_mov_b64 s[0:1], -1
                                        ; implicit-def: $vgpr4
.LBB230_1158:
	s_mov_b64 s[20:21], 0
.LBB230_1159:
	s_and_b64 vcc, exec, s[20:21]
	s_cbranch_vccz .LBB230_1175
; %bb.1160:
	s_cmp_lt_i32 s22, 27
	s_cbranch_scc1 .LBB230_1163
; %bb.1161:
	s_cmp_gt_i32 s22, 27
	s_cbranch_scc0 .LBB230_1164
; %bb.1162:
	global_load_dword v4, v[0:1], off
	s_mov_b64 s[4:5], 0
	s_branch .LBB230_1165
.LBB230_1163:
	s_mov_b64 s[4:5], -1
                                        ; implicit-def: $vgpr4
	s_branch .LBB230_1168
.LBB230_1164:
	s_mov_b64 s[4:5], -1
                                        ; implicit-def: $vgpr4
.LBB230_1165:
	s_andn2_b64 vcc, exec, s[4:5]
	s_cbranch_vccnz .LBB230_1167
; %bb.1166:
	global_load_ushort v4, v[0:1], off
.LBB230_1167:
	s_mov_b64 s[4:5], 0
.LBB230_1168:
	s_andn2_b64 vcc, exec, s[4:5]
	s_cbranch_vccnz .LBB230_1174
; %bb.1169:
	global_load_ubyte v3, v[0:1], off
	s_movk_i32 s4, 0x7f
	s_mov_b64 s[20:21], 0
	s_waitcnt vmcnt(0)
	v_cmp_lt_i16_e32 vcc, s4, v3
	s_and_saveexec_b64 s[4:5], vcc
	s_xor_b64 s[4:5], exec, s[4:5]
	s_cbranch_execz .LBB230_1185
; %bb.1170:
	s_movk_i32 s20, 0x80
	v_cmp_ne_u16_e32 vcc, s20, v3
	s_and_b64 s[20:21], vcc, exec
	s_andn2_saveexec_b64 s[4:5], s[4:5]
	s_cbranch_execnz .LBB230_1186
.LBB230_1171:
	s_or_b64 exec, exec, s[4:5]
	v_mov_b32_e32 v4, 0
	s_and_saveexec_b64 s[4:5], s[20:21]
	s_cbranch_execz .LBB230_1173
.LBB230_1172:
	v_lshlrev_b32_e32 v4, 24, v3
	v_and_b32_e32 v3, 0xffff, v3
	v_and_b32_e32 v5, 7, v3
	v_ffbh_u32_e32 v8, v5
	v_min_u32_e32 v8, 32, v8
	v_subrev_u32_e32 v10, 28, v8
	v_bfe_u32 v7, v3, 3, 4
	v_lshlrev_b32_e32 v3, v10, v3
	v_sub_u32_e32 v8, 29, v8
	v_and_b32_e32 v3, 7, v3
	v_cmp_eq_u32_e32 vcc, 0, v7
	v_cndmask_b32_e32 v7, v7, v8, vcc
	v_cndmask_b32_e32 v3, v5, v3, vcc
	v_mov_b32_e32 v5, 0x3b800000
	v_lshlrev_b32_e32 v3, 20, v3
	v_and_b32_e32 v4, 0x80000000, v4
	v_lshl_add_u32 v5, v7, 23, v5
	v_or3_b32 v3, v4, v5, v3
	v_cvt_i32_f32_e32 v4, v3
.LBB230_1173:
	s_or_b64 exec, exec, s[4:5]
.LBB230_1174:
	s_mov_b64 s[4:5], -1
.LBB230_1175:
	s_branch .LBB230_1206
.LBB230_1176:
	s_cmp_gt_i32 s22, 22
	s_cbranch_scc0 .LBB230_1184
; %bb.1177:
	s_cmp_lt_i32 s22, 24
	s_cbranch_scc1 .LBB230_1187
; %bb.1178:
	s_cmp_gt_i32 s22, 24
	s_cbranch_scc0 .LBB230_1188
; %bb.1179:
	global_load_ubyte v3, v[0:1], off
	s_movk_i32 s2, 0x7f
	s_mov_b64 s[4:5], 0
	s_waitcnt vmcnt(0)
	v_cmp_lt_i16_e32 vcc, s2, v3
	s_and_saveexec_b64 s[2:3], vcc
	s_xor_b64 s[2:3], exec, s[2:3]
	s_cbranch_execz .LBB230_1200
; %bb.1180:
	s_movk_i32 s4, 0x80
	v_cmp_ne_u16_e32 vcc, s4, v3
	s_and_b64 s[4:5], vcc, exec
	s_andn2_saveexec_b64 s[2:3], s[2:3]
	s_cbranch_execnz .LBB230_1201
.LBB230_1181:
	s_or_b64 exec, exec, s[2:3]
	v_mov_b32_e32 v4, 0
	s_and_saveexec_b64 s[2:3], s[4:5]
	s_cbranch_execz .LBB230_1183
.LBB230_1182:
	v_lshlrev_b32_e32 v4, 24, v3
	v_and_b32_e32 v3, 0xffff, v3
	v_and_b32_e32 v5, 3, v3
	v_ffbh_u32_e32 v8, v5
	v_min_u32_e32 v8, 32, v8
	v_subrev_u32_e32 v10, 29, v8
	v_bfe_u32 v7, v3, 2, 5
	v_lshlrev_b32_e32 v3, v10, v3
	v_sub_u32_e32 v8, 30, v8
	v_and_b32_e32 v3, 3, v3
	v_cmp_eq_u32_e32 vcc, 0, v7
	v_cndmask_b32_e32 v7, v7, v8, vcc
	v_cndmask_b32_e32 v3, v5, v3, vcc
	v_mov_b32_e32 v5, 0x37800000
	v_lshlrev_b32_e32 v3, 21, v3
	v_and_b32_e32 v4, 0x80000000, v4
	v_lshl_add_u32 v5, v7, 23, v5
	v_or3_b32 v3, v4, v5, v3
	v_cvt_i32_f32_e32 v4, v3
.LBB230_1183:
	s_or_b64 exec, exec, s[2:3]
	s_mov_b64 s[2:3], 0
	s_branch .LBB230_1189
.LBB230_1184:
	s_mov_b64 s[2:3], -1
                                        ; implicit-def: $vgpr4
	s_branch .LBB230_1195
.LBB230_1185:
	s_andn2_saveexec_b64 s[4:5], s[4:5]
	s_cbranch_execz .LBB230_1171
.LBB230_1186:
	v_cmp_ne_u16_e32 vcc, 0, v3
	s_andn2_b64 s[20:21], s[20:21], exec
	s_and_b64 s[24:25], vcc, exec
	s_or_b64 s[20:21], s[20:21], s[24:25]
	s_or_b64 exec, exec, s[4:5]
	v_mov_b32_e32 v4, 0
	s_and_saveexec_b64 s[4:5], s[20:21]
	s_cbranch_execnz .LBB230_1172
	s_branch .LBB230_1173
.LBB230_1187:
	s_mov_b64 s[2:3], -1
                                        ; implicit-def: $vgpr4
	s_branch .LBB230_1192
.LBB230_1188:
	s_mov_b64 s[2:3], -1
                                        ; implicit-def: $vgpr4
.LBB230_1189:
	s_and_b64 vcc, exec, s[2:3]
	s_cbranch_vccz .LBB230_1191
; %bb.1190:
	global_load_ubyte v3, v[0:1], off
	s_mov_b32 s2, 0x7f800000
	s_waitcnt vmcnt(0)
	v_lshlrev_b32_e32 v3, 24, v3
	v_and_b32_e32 v4, 0x7f000000, v3
	v_ffbh_u32_e32 v5, v4
	v_min_u32_e32 v5, 32, v5
	v_sub_u32_e64 v5, v5, 4 clamp
	v_lshlrev_b32_e32 v8, v5, v4
	v_lshlrev_b32_e32 v5, 23, v5
	v_lshrrev_b32_e32 v8, 4, v8
	v_add_u32_e32 v7, 0x1000000, v4
	v_sub_u32_e32 v5, v8, v5
	v_ashrrev_i32_e32 v7, 8, v7
	v_add_u32_e32 v5, 0x3c000000, v5
	v_and_or_b32 v5, v7, s2, v5
	v_cmp_ne_u32_e32 vcc, 0, v4
	v_cndmask_b32_e32 v4, 0, v5, vcc
	s_brev_b32 s2, 1
	v_and_or_b32 v3, v3, s2, v4
	v_cvt_i32_f32_e32 v4, v3
.LBB230_1191:
	s_mov_b64 s[2:3], 0
.LBB230_1192:
	s_andn2_b64 vcc, exec, s[2:3]
	s_cbranch_vccnz .LBB230_1194
; %bb.1193:
	global_load_ubyte v3, v[0:1], off
	s_movk_i32 s2, 0x7f00
	s_brev_b32 s3, 16
	s_waitcnt vmcnt(0)
	v_lshlrev_b16_e32 v4, 8, v3
	v_lshlrev_b32_e32 v3, 25, v3
	v_lshrrev_b32_e32 v5, 4, v3
	v_and_or_b32 v7, v4, s2, 0.5
	v_or_b32_e32 v5, 0x70000000, v5
	v_add_f32_e32 v7, -0.5, v7
	v_mul_f32_e32 v5, 0x7800000, v5
	v_cmp_gt_u32_e32 vcc, s3, v3
	v_bfe_i32 v4, v4, 0, 16
	v_cndmask_b32_e32 v3, v5, v7, vcc
	s_brev_b32 s2, 1
	v_and_or_b32 v3, v4, s2, v3
	v_cvt_i32_f32_e32 v4, v3
.LBB230_1194:
	s_mov_b64 s[2:3], 0
	s_mov_b64 s[4:5], -1
.LBB230_1195:
	s_andn2_b64 vcc, exec, s[2:3]
	s_mov_b64 s[2:3], 0
	s_cbranch_vccnz .LBB230_1206
; %bb.1196:
	s_cmp_gt_i32 s22, 14
	s_cbranch_scc0 .LBB230_1199
; %bb.1197:
	s_cmp_eq_u32 s22, 15
	s_cbranch_scc0 .LBB230_1202
; %bb.1198:
	global_load_ushort v3, v[0:1], off
	s_mov_b64 s[0:1], 0
	s_mov_b64 s[4:5], -1
	s_waitcnt vmcnt(0)
	v_lshlrev_b32_e32 v3, 16, v3
	v_cvt_i32_f32_e32 v4, v3
	s_branch .LBB230_1203
.LBB230_1199:
	s_mov_b64 s[20:21], -1
                                        ; implicit-def: $vgpr4
	s_branch .LBB230_1204
.LBB230_1200:
	s_andn2_saveexec_b64 s[2:3], s[2:3]
	s_cbranch_execz .LBB230_1181
.LBB230_1201:
	v_cmp_ne_u16_e32 vcc, 0, v3
	s_andn2_b64 s[4:5], s[4:5], exec
	s_and_b64 s[20:21], vcc, exec
	s_or_b64 s[4:5], s[4:5], s[20:21]
	s_or_b64 exec, exec, s[2:3]
	v_mov_b32_e32 v4, 0
	s_and_saveexec_b64 s[2:3], s[4:5]
	s_cbranch_execnz .LBB230_1182
	s_branch .LBB230_1183
.LBB230_1202:
	s_mov_b64 s[0:1], -1
                                        ; implicit-def: $vgpr4
.LBB230_1203:
	s_mov_b64 s[20:21], 0
.LBB230_1204:
	s_and_b64 vcc, exec, s[20:21]
	s_cbranch_vccz .LBB230_1206
; %bb.1205:
	s_cmp_lg_u32 s22, 11
	s_mov_b64 s[2:3], -1
	s_cselect_b64 s[0:1], -1, 0
.LBB230_1206:
	s_and_b64 vcc, exec, s[0:1]
	s_cbranch_vccnz .LBB230_1269
; %bb.1207:
	s_andn2_b64 vcc, exec, s[2:3]
	s_cbranch_vccnz .LBB230_1209
.LBB230_1208:
	global_load_ubyte v3, v[0:1], off
	s_mov_b64 s[4:5], -1
	s_waitcnt vmcnt(0)
	v_cmp_ne_u16_e32 vcc, 0, v3
	v_cndmask_b32_e64 v4, 0, 1, vcc
.LBB230_1209:
	s_branch .LBB230_1140
.LBB230_1210:
	s_cmp_lt_i32 s22, 5
	s_cbranch_scc1 .LBB230_1215
; %bb.1211:
	s_cmp_lt_i32 s22, 8
	s_cbranch_scc1 .LBB230_1216
; %bb.1212:
	;; [unrolled: 3-line block ×3, first 2 shown]
	s_cmp_gt_i32 s22, 9
	s_cbranch_scc0 .LBB230_1218
; %bb.1214:
	global_load_dwordx2 v[3:4], v[0:1], off
	s_mov_b64 s[0:1], 0
	s_waitcnt vmcnt(0)
	v_cvt_i32_f64_e32 v4, v[3:4]
	s_branch .LBB230_1219
.LBB230_1215:
                                        ; implicit-def: $vgpr4
	s_branch .LBB230_1237
.LBB230_1216:
	s_mov_b64 s[0:1], -1
                                        ; implicit-def: $vgpr4
	s_branch .LBB230_1225
.LBB230_1217:
	s_mov_b64 s[0:1], -1
                                        ; implicit-def: $vgpr4
	s_branch .LBB230_1222
.LBB230_1218:
	s_mov_b64 s[0:1], -1
                                        ; implicit-def: $vgpr4
.LBB230_1219:
	s_andn2_b64 vcc, exec, s[0:1]
	s_cbranch_vccnz .LBB230_1221
; %bb.1220:
	global_load_dword v3, v[0:1], off
	s_waitcnt vmcnt(0)
	v_cvt_i32_f32_e32 v4, v3
.LBB230_1221:
	s_mov_b64 s[0:1], 0
.LBB230_1222:
	s_andn2_b64 vcc, exec, s[0:1]
	s_cbranch_vccnz .LBB230_1224
; %bb.1223:
	global_load_dword v3, v[0:1], off
	s_waitcnt vmcnt(0)
	v_cvt_i16_f16_e32 v4, v3
.LBB230_1224:
	s_mov_b64 s[0:1], 0
.LBB230_1225:
	s_andn2_b64 vcc, exec, s[0:1]
	s_cbranch_vccnz .LBB230_1236
; %bb.1226:
	s_cmp_lt_i32 s22, 6
	s_cbranch_scc1 .LBB230_1229
; %bb.1227:
	s_cmp_gt_i32 s22, 6
	s_cbranch_scc0 .LBB230_1230
; %bb.1228:
	global_load_dwordx2 v[3:4], v[0:1], off
	s_mov_b64 s[0:1], 0
	s_waitcnt vmcnt(0)
	v_cvt_i32_f64_e32 v4, v[3:4]
	s_branch .LBB230_1231
.LBB230_1229:
	s_mov_b64 s[0:1], -1
                                        ; implicit-def: $vgpr4
	s_branch .LBB230_1234
.LBB230_1230:
	s_mov_b64 s[0:1], -1
                                        ; implicit-def: $vgpr4
.LBB230_1231:
	s_andn2_b64 vcc, exec, s[0:1]
	s_cbranch_vccnz .LBB230_1233
; %bb.1232:
	global_load_dword v3, v[0:1], off
	s_waitcnt vmcnt(0)
	v_cvt_i32_f32_e32 v4, v3
.LBB230_1233:
	s_mov_b64 s[0:1], 0
.LBB230_1234:
	s_andn2_b64 vcc, exec, s[0:1]
	s_cbranch_vccnz .LBB230_1236
; %bb.1235:
	global_load_ushort v3, v[0:1], off
	s_waitcnt vmcnt(0)
	v_cvt_i16_f16_e32 v4, v3
.LBB230_1236:
	s_cbranch_execnz .LBB230_1256
.LBB230_1237:
	s_cmp_lt_i32 s22, 2
	s_cbranch_scc1 .LBB230_1241
; %bb.1238:
	s_cmp_lt_i32 s22, 3
	s_cbranch_scc1 .LBB230_1242
; %bb.1239:
	s_cmp_gt_i32 s22, 3
	s_cbranch_scc0 .LBB230_1243
; %bb.1240:
	global_load_dwordx2 v[4:5], v[0:1], off
	s_mov_b64 s[0:1], 0
	s_branch .LBB230_1244
.LBB230_1241:
	s_mov_b64 s[0:1], -1
                                        ; implicit-def: $vgpr4
	s_branch .LBB230_1250
.LBB230_1242:
	s_mov_b64 s[0:1], -1
                                        ; implicit-def: $vgpr4
	s_branch .LBB230_1247
.LBB230_1243:
	s_mov_b64 s[0:1], -1
                                        ; implicit-def: $vgpr4
.LBB230_1244:
	s_andn2_b64 vcc, exec, s[0:1]
	s_cbranch_vccnz .LBB230_1246
; %bb.1245:
	global_load_dword v4, v[0:1], off
.LBB230_1246:
	s_mov_b64 s[0:1], 0
.LBB230_1247:
	s_andn2_b64 vcc, exec, s[0:1]
	s_cbranch_vccnz .LBB230_1249
; %bb.1248:
	global_load_ushort v4, v[0:1], off
.LBB230_1249:
	s_mov_b64 s[0:1], 0
.LBB230_1250:
	s_andn2_b64 vcc, exec, s[0:1]
	s_cbranch_vccnz .LBB230_1256
; %bb.1251:
	s_cmp_gt_i32 s22, 0
	s_cbranch_scc0 .LBB230_1253
; %bb.1252:
	global_load_sbyte v4, v[0:1], off
	s_mov_b64 s[0:1], 0
	s_branch .LBB230_1254
.LBB230_1253:
	s_mov_b64 s[0:1], -1
                                        ; implicit-def: $vgpr4
.LBB230_1254:
	s_andn2_b64 vcc, exec, s[0:1]
	s_cbranch_vccnz .LBB230_1256
; %bb.1255:
	global_load_ubyte v4, v[0:1], off
.LBB230_1256:
.LBB230_1257:
	s_waitcnt vmcnt(0)
	v_add_u32_e32 v5, s13, v2
	v_ashrrev_i32_e32 v1, 31, v5
	v_mov_b32_e32 v2, s11
	v_add_co_u32_e32 v0, vcc, s10, v5
	s_cmp_lt_i32 s22, 11
	v_addc_co_u32_e32 v1, vcc, v2, v1, vcc
	s_cbranch_scc1 .LBB230_1264
; %bb.1258:
	s_cmp_gt_i32 s22, 25
	s_mov_b64 s[2:3], 0
	s_cbranch_scc0 .LBB230_1266
; %bb.1259:
	s_cmp_gt_i32 s22, 28
	s_cbranch_scc0 .LBB230_1267
; %bb.1260:
	s_cmp_gt_i32 s22, 43
	;; [unrolled: 3-line block ×3, first 2 shown]
	s_cbranch_scc0 .LBB230_1270
; %bb.1262:
	s_cmp_eq_u32 s22, 46
	s_mov_b64 s[20:21], 0
	s_cbranch_scc0 .LBB230_1271
; %bb.1263:
	global_load_dword v2, v[0:1], off
	s_mov_b64 s[0:1], 0
	s_mov_b64 s[4:5], -1
	s_waitcnt vmcnt(0)
	v_lshlrev_b32_e32 v2, 16, v2
	v_cvt_i32_f32_e32 v2, v2
	s_branch .LBB230_1272
.LBB230_1264:
	s_mov_b64 s[4:5], 0
                                        ; implicit-def: $vgpr2
	s_cbranch_execnz .LBB230_1334
.LBB230_1265:
	s_andn2_b64 vcc, exec, s[4:5]
	s_cbranch_vccnz .LBB230_1941
	s_branch .LBB230_1382
.LBB230_1266:
	s_mov_b64 s[20:21], -1
	s_mov_b64 s[4:5], 0
	s_mov_b64 s[0:1], 0
                                        ; implicit-def: $vgpr2
	s_branch .LBB230_1299
.LBB230_1267:
	s_mov_b64 s[20:21], -1
	s_mov_b64 s[4:5], 0
	s_mov_b64 s[0:1], 0
                                        ; implicit-def: $vgpr2
	s_branch .LBB230_1282
.LBB230_1268:
	s_mov_b64 s[20:21], -1
	s_mov_b64 s[4:5], 0
	s_mov_b64 s[0:1], 0
                                        ; implicit-def: $vgpr2
	s_branch .LBB230_1277
.LBB230_1269:
	s_trap 2
	s_or_b64 s[18:19], s[18:19], exec
	s_cbranch_execz .LBB230_1208
	s_branch .LBB230_1209
.LBB230_1270:
	s_mov_b64 s[20:21], -1
	s_mov_b64 s[4:5], 0
	s_mov_b64 s[0:1], 0
                                        ; implicit-def: $vgpr2
	s_branch .LBB230_1272
.LBB230_1271:
	s_mov_b64 s[0:1], -1
                                        ; implicit-def: $vgpr2
	s_mov_b64 s[4:5], 0
.LBB230_1272:
	s_and_b64 vcc, exec, s[20:21]
	s_cbranch_vccz .LBB230_1276
; %bb.1273:
	s_cmp_eq_u32 s22, 44
	s_cbranch_scc0 .LBB230_1275
; %bb.1274:
	global_load_ubyte v2, v[0:1], off
	s_mov_b64 s[0:1], 0
	s_mov_b64 s[4:5], -1
	s_waitcnt vmcnt(0)
	v_lshlrev_b32_e32 v3, 23, v2
	v_cvt_i32_f32_e32 v3, v3
	v_cmp_ne_u32_e32 vcc, 0, v2
	v_cndmask_b32_e32 v2, 0, v3, vcc
	s_branch .LBB230_1276
.LBB230_1275:
	s_mov_b64 s[0:1], -1
                                        ; implicit-def: $vgpr2
.LBB230_1276:
	s_mov_b64 s[20:21], 0
.LBB230_1277:
	s_and_b64 vcc, exec, s[20:21]
	s_cbranch_vccz .LBB230_1281
; %bb.1278:
	s_cmp_eq_u32 s22, 29
	s_cbranch_scc0 .LBB230_1280
; %bb.1279:
	global_load_dwordx2 v[2:3], v[0:1], off
	s_mov_b64 s[0:1], 0
	s_mov_b64 s[4:5], -1
	s_branch .LBB230_1281
.LBB230_1280:
	s_mov_b64 s[0:1], -1
                                        ; implicit-def: $vgpr2
.LBB230_1281:
	s_mov_b64 s[20:21], 0
.LBB230_1282:
	s_and_b64 vcc, exec, s[20:21]
	s_cbranch_vccz .LBB230_1298
; %bb.1283:
	s_cmp_lt_i32 s22, 27
	s_cbranch_scc1 .LBB230_1286
; %bb.1284:
	s_cmp_gt_i32 s22, 27
	s_cbranch_scc0 .LBB230_1287
; %bb.1285:
	global_load_dword v2, v[0:1], off
	s_mov_b64 s[4:5], 0
	s_branch .LBB230_1288
.LBB230_1286:
	s_mov_b64 s[4:5], -1
                                        ; implicit-def: $vgpr2
	s_branch .LBB230_1291
.LBB230_1287:
	s_mov_b64 s[4:5], -1
                                        ; implicit-def: $vgpr2
.LBB230_1288:
	s_andn2_b64 vcc, exec, s[4:5]
	s_cbranch_vccnz .LBB230_1290
; %bb.1289:
	global_load_ushort v2, v[0:1], off
.LBB230_1290:
	s_mov_b64 s[4:5], 0
.LBB230_1291:
	s_andn2_b64 vcc, exec, s[4:5]
	s_cbranch_vccnz .LBB230_1297
; %bb.1292:
	global_load_ubyte v3, v[0:1], off
	s_movk_i32 s4, 0x7f
	s_mov_b64 s[20:21], 0
	s_waitcnt vmcnt(0)
	v_cmp_lt_i16_e32 vcc, s4, v3
	s_and_saveexec_b64 s[4:5], vcc
	s_xor_b64 s[4:5], exec, s[4:5]
	s_cbranch_execz .LBB230_1309
; %bb.1293:
	s_movk_i32 s20, 0x80
	v_cmp_ne_u16_e32 vcc, s20, v3
	s_and_b64 s[20:21], vcc, exec
	s_andn2_saveexec_b64 s[4:5], s[4:5]
	s_cbranch_execnz .LBB230_1310
.LBB230_1294:
	s_or_b64 exec, exec, s[4:5]
	v_mov_b32_e32 v2, 0
	s_and_saveexec_b64 s[4:5], s[20:21]
	s_cbranch_execz .LBB230_1296
.LBB230_1295:
	v_lshlrev_b32_e32 v2, 24, v3
	v_and_b32_e32 v3, 0xffff, v3
	v_and_b32_e32 v7, 7, v3
	v_ffbh_u32_e32 v10, v7
	v_min_u32_e32 v10, 32, v10
	v_subrev_u32_e32 v11, 28, v10
	v_bfe_u32 v8, v3, 3, 4
	v_lshlrev_b32_e32 v3, v11, v3
	v_sub_u32_e32 v10, 29, v10
	v_and_b32_e32 v3, 7, v3
	v_cmp_eq_u32_e32 vcc, 0, v8
	v_cndmask_b32_e32 v8, v8, v10, vcc
	v_cndmask_b32_e32 v3, v7, v3, vcc
	v_mov_b32_e32 v7, 0x3b800000
	v_lshlrev_b32_e32 v3, 20, v3
	v_and_b32_e32 v2, 0x80000000, v2
	v_lshl_add_u32 v7, v8, 23, v7
	v_or3_b32 v2, v2, v7, v3
	v_cvt_i32_f32_e32 v2, v2
.LBB230_1296:
	s_or_b64 exec, exec, s[4:5]
.LBB230_1297:
	s_mov_b64 s[4:5], -1
.LBB230_1298:
	s_mov_b64 s[20:21], 0
.LBB230_1299:
	s_and_b64 vcc, exec, s[20:21]
	s_cbranch_vccz .LBB230_1330
; %bb.1300:
	s_cmp_gt_i32 s22, 22
	s_cbranch_scc0 .LBB230_1308
; %bb.1301:
	s_cmp_lt_i32 s22, 24
	s_cbranch_scc1 .LBB230_1311
; %bb.1302:
	s_cmp_gt_i32 s22, 24
	s_cbranch_scc0 .LBB230_1312
; %bb.1303:
	global_load_ubyte v3, v[0:1], off
	s_movk_i32 s2, 0x7f
	s_mov_b64 s[4:5], 0
	s_waitcnt vmcnt(0)
	v_cmp_lt_i16_e32 vcc, s2, v3
	s_and_saveexec_b64 s[2:3], vcc
	s_xor_b64 s[2:3], exec, s[2:3]
	s_cbranch_execz .LBB230_1324
; %bb.1304:
	s_movk_i32 s4, 0x80
	v_cmp_ne_u16_e32 vcc, s4, v3
	s_and_b64 s[4:5], vcc, exec
	s_andn2_saveexec_b64 s[2:3], s[2:3]
	s_cbranch_execnz .LBB230_1325
.LBB230_1305:
	s_or_b64 exec, exec, s[2:3]
	v_mov_b32_e32 v2, 0
	s_and_saveexec_b64 s[2:3], s[4:5]
	s_cbranch_execz .LBB230_1307
.LBB230_1306:
	v_lshlrev_b32_e32 v2, 24, v3
	v_and_b32_e32 v3, 0xffff, v3
	v_and_b32_e32 v7, 3, v3
	v_ffbh_u32_e32 v10, v7
	v_min_u32_e32 v10, 32, v10
	v_subrev_u32_e32 v11, 29, v10
	v_bfe_u32 v8, v3, 2, 5
	v_lshlrev_b32_e32 v3, v11, v3
	v_sub_u32_e32 v10, 30, v10
	v_and_b32_e32 v3, 3, v3
	v_cmp_eq_u32_e32 vcc, 0, v8
	v_cndmask_b32_e32 v8, v8, v10, vcc
	v_cndmask_b32_e32 v3, v7, v3, vcc
	v_mov_b32_e32 v7, 0x37800000
	v_lshlrev_b32_e32 v3, 21, v3
	v_and_b32_e32 v2, 0x80000000, v2
	v_lshl_add_u32 v7, v8, 23, v7
	v_or3_b32 v2, v2, v7, v3
	v_cvt_i32_f32_e32 v2, v2
.LBB230_1307:
	s_or_b64 exec, exec, s[2:3]
	s_mov_b64 s[2:3], 0
	s_branch .LBB230_1313
.LBB230_1308:
	s_mov_b64 s[2:3], -1
                                        ; implicit-def: $vgpr2
	s_branch .LBB230_1319
.LBB230_1309:
	s_andn2_saveexec_b64 s[4:5], s[4:5]
	s_cbranch_execz .LBB230_1294
.LBB230_1310:
	v_cmp_ne_u16_e32 vcc, 0, v3
	s_andn2_b64 s[20:21], s[20:21], exec
	s_and_b64 s[24:25], vcc, exec
	s_or_b64 s[20:21], s[20:21], s[24:25]
	s_or_b64 exec, exec, s[4:5]
	v_mov_b32_e32 v2, 0
	s_and_saveexec_b64 s[4:5], s[20:21]
	s_cbranch_execnz .LBB230_1295
	s_branch .LBB230_1296
.LBB230_1311:
	s_mov_b64 s[2:3], -1
                                        ; implicit-def: $vgpr2
	s_branch .LBB230_1316
.LBB230_1312:
	s_mov_b64 s[2:3], -1
                                        ; implicit-def: $vgpr2
.LBB230_1313:
	s_and_b64 vcc, exec, s[2:3]
	s_cbranch_vccz .LBB230_1315
; %bb.1314:
	global_load_ubyte v2, v[0:1], off
	s_mov_b32 s2, 0x7f800000
	s_waitcnt vmcnt(0)
	v_lshlrev_b32_e32 v2, 24, v2
	v_and_b32_e32 v3, 0x7f000000, v2
	v_ffbh_u32_e32 v7, v3
	v_min_u32_e32 v7, 32, v7
	v_sub_u32_e64 v7, v7, 4 clamp
	v_lshlrev_b32_e32 v10, v7, v3
	v_lshlrev_b32_e32 v7, 23, v7
	v_lshrrev_b32_e32 v10, 4, v10
	v_add_u32_e32 v8, 0x1000000, v3
	v_sub_u32_e32 v7, v10, v7
	v_ashrrev_i32_e32 v8, 8, v8
	v_add_u32_e32 v7, 0x3c000000, v7
	v_and_or_b32 v7, v8, s2, v7
	v_cmp_ne_u32_e32 vcc, 0, v3
	v_cndmask_b32_e32 v3, 0, v7, vcc
	s_brev_b32 s2, 1
	v_and_or_b32 v2, v2, s2, v3
	v_cvt_i32_f32_e32 v2, v2
.LBB230_1315:
	s_mov_b64 s[2:3], 0
.LBB230_1316:
	s_andn2_b64 vcc, exec, s[2:3]
	s_cbranch_vccnz .LBB230_1318
; %bb.1317:
	global_load_ubyte v2, v[0:1], off
	s_movk_i32 s2, 0x7f00
	s_brev_b32 s3, 16
	s_waitcnt vmcnt(0)
	v_lshlrev_b16_e32 v3, 8, v2
	v_lshlrev_b32_e32 v2, 25, v2
	v_lshrrev_b32_e32 v7, 4, v2
	v_and_or_b32 v8, v3, s2, 0.5
	v_or_b32_e32 v7, 0x70000000, v7
	v_add_f32_e32 v8, -0.5, v8
	v_mul_f32_e32 v7, 0x7800000, v7
	v_cmp_gt_u32_e32 vcc, s3, v2
	v_bfe_i32 v3, v3, 0, 16
	v_cndmask_b32_e32 v2, v7, v8, vcc
	s_brev_b32 s2, 1
	v_and_or_b32 v2, v3, s2, v2
	v_cvt_i32_f32_e32 v2, v2
.LBB230_1318:
	s_mov_b64 s[2:3], 0
	s_mov_b64 s[4:5], -1
.LBB230_1319:
	s_andn2_b64 vcc, exec, s[2:3]
	s_mov_b64 s[2:3], 0
	s_cbranch_vccnz .LBB230_1330
; %bb.1320:
	s_cmp_gt_i32 s22, 14
	s_cbranch_scc0 .LBB230_1323
; %bb.1321:
	s_cmp_eq_u32 s22, 15
	s_cbranch_scc0 .LBB230_1326
; %bb.1322:
	global_load_ushort v2, v[0:1], off
	s_mov_b64 s[0:1], 0
	s_mov_b64 s[4:5], -1
	s_waitcnt vmcnt(0)
	v_lshlrev_b32_e32 v2, 16, v2
	v_cvt_i32_f32_e32 v2, v2
	s_branch .LBB230_1327
.LBB230_1323:
	s_mov_b64 s[20:21], -1
                                        ; implicit-def: $vgpr2
	s_branch .LBB230_1328
.LBB230_1324:
	s_andn2_saveexec_b64 s[2:3], s[2:3]
	s_cbranch_execz .LBB230_1305
.LBB230_1325:
	v_cmp_ne_u16_e32 vcc, 0, v3
	s_andn2_b64 s[4:5], s[4:5], exec
	s_and_b64 s[20:21], vcc, exec
	s_or_b64 s[4:5], s[4:5], s[20:21]
	s_or_b64 exec, exec, s[2:3]
	v_mov_b32_e32 v2, 0
	s_and_saveexec_b64 s[2:3], s[4:5]
	s_cbranch_execnz .LBB230_1306
	s_branch .LBB230_1307
.LBB230_1326:
	s_mov_b64 s[0:1], -1
                                        ; implicit-def: $vgpr2
.LBB230_1327:
	s_mov_b64 s[20:21], 0
.LBB230_1328:
	s_and_b64 vcc, exec, s[20:21]
	s_cbranch_vccz .LBB230_1330
; %bb.1329:
	s_cmp_lg_u32 s22, 11
	s_mov_b64 s[2:3], -1
	s_cselect_b64 s[0:1], -1, 0
.LBB230_1330:
	s_and_b64 vcc, exec, s[0:1]
	s_cbranch_vccnz .LBB230_1393
; %bb.1331:
	s_andn2_b64 vcc, exec, s[2:3]
	s_cbranch_vccnz .LBB230_1333
.LBB230_1332:
	global_load_ubyte v2, v[0:1], off
	s_mov_b64 s[4:5], -1
	s_waitcnt vmcnt(0)
	v_cmp_ne_u16_e32 vcc, 0, v2
	v_cndmask_b32_e64 v2, 0, 1, vcc
.LBB230_1333:
	s_branch .LBB230_1265
.LBB230_1334:
	s_cmp_lt_i32 s22, 5
	s_cbranch_scc1 .LBB230_1339
; %bb.1335:
	s_cmp_lt_i32 s22, 8
	s_cbranch_scc1 .LBB230_1340
; %bb.1336:
	;; [unrolled: 3-line block ×3, first 2 shown]
	s_cmp_gt_i32 s22, 9
	s_cbranch_scc0 .LBB230_1342
; %bb.1338:
	global_load_dwordx2 v[2:3], v[0:1], off
	s_mov_b64 s[0:1], 0
	s_waitcnt vmcnt(0)
	v_cvt_i32_f64_e32 v2, v[2:3]
	s_branch .LBB230_1343
.LBB230_1339:
	s_mov_b64 s[0:1], -1
                                        ; implicit-def: $vgpr2
	s_branch .LBB230_1361
.LBB230_1340:
	s_mov_b64 s[0:1], -1
                                        ; implicit-def: $vgpr2
	s_branch .LBB230_1349
.LBB230_1341:
	s_mov_b64 s[0:1], -1
                                        ; implicit-def: $vgpr2
	s_branch .LBB230_1346
.LBB230_1342:
	s_mov_b64 s[0:1], -1
                                        ; implicit-def: $vgpr2
.LBB230_1343:
	s_andn2_b64 vcc, exec, s[0:1]
	s_cbranch_vccnz .LBB230_1345
; %bb.1344:
	global_load_dword v2, v[0:1], off
	s_waitcnt vmcnt(0)
	v_cvt_i32_f32_e32 v2, v2
.LBB230_1345:
	s_mov_b64 s[0:1], 0
.LBB230_1346:
	s_andn2_b64 vcc, exec, s[0:1]
	s_cbranch_vccnz .LBB230_1348
; %bb.1347:
	global_load_dword v2, v[0:1], off
	s_waitcnt vmcnt(0)
	v_cvt_i16_f16_e32 v2, v2
.LBB230_1348:
	s_mov_b64 s[0:1], 0
.LBB230_1349:
	s_andn2_b64 vcc, exec, s[0:1]
	s_cbranch_vccnz .LBB230_1360
; %bb.1350:
	s_cmp_lt_i32 s22, 6
	s_cbranch_scc1 .LBB230_1353
; %bb.1351:
	s_cmp_gt_i32 s22, 6
	s_cbranch_scc0 .LBB230_1354
; %bb.1352:
	global_load_dwordx2 v[2:3], v[0:1], off
	s_mov_b64 s[0:1], 0
	s_waitcnt vmcnt(0)
	v_cvt_i32_f64_e32 v2, v[2:3]
	s_branch .LBB230_1355
.LBB230_1353:
	s_mov_b64 s[0:1], -1
                                        ; implicit-def: $vgpr2
	s_branch .LBB230_1358
.LBB230_1354:
	s_mov_b64 s[0:1], -1
                                        ; implicit-def: $vgpr2
.LBB230_1355:
	s_andn2_b64 vcc, exec, s[0:1]
	s_cbranch_vccnz .LBB230_1357
; %bb.1356:
	global_load_dword v2, v[0:1], off
	s_waitcnt vmcnt(0)
	v_cvt_i32_f32_e32 v2, v2
.LBB230_1357:
	s_mov_b64 s[0:1], 0
.LBB230_1358:
	s_andn2_b64 vcc, exec, s[0:1]
	s_cbranch_vccnz .LBB230_1360
; %bb.1359:
	global_load_ushort v2, v[0:1], off
	s_waitcnt vmcnt(0)
	v_cvt_i16_f16_e32 v2, v2
.LBB230_1360:
	s_mov_b64 s[0:1], 0
.LBB230_1361:
	s_andn2_b64 vcc, exec, s[0:1]
	s_cbranch_vccnz .LBB230_1381
; %bb.1362:
	s_cmp_lt_i32 s22, 2
	s_cbranch_scc1 .LBB230_1366
; %bb.1363:
	s_cmp_lt_i32 s22, 3
	s_cbranch_scc1 .LBB230_1367
; %bb.1364:
	s_cmp_gt_i32 s22, 3
	s_cbranch_scc0 .LBB230_1368
; %bb.1365:
	global_load_dwordx2 v[2:3], v[0:1], off
	s_mov_b64 s[0:1], 0
	s_branch .LBB230_1369
.LBB230_1366:
	s_mov_b64 s[0:1], -1
                                        ; implicit-def: $vgpr2
	s_branch .LBB230_1375
.LBB230_1367:
	s_mov_b64 s[0:1], -1
                                        ; implicit-def: $vgpr2
	s_branch .LBB230_1372
.LBB230_1368:
	s_mov_b64 s[0:1], -1
                                        ; implicit-def: $vgpr2
.LBB230_1369:
	s_andn2_b64 vcc, exec, s[0:1]
	s_cbranch_vccnz .LBB230_1371
; %bb.1370:
	global_load_dword v2, v[0:1], off
.LBB230_1371:
	s_mov_b64 s[0:1], 0
.LBB230_1372:
	s_andn2_b64 vcc, exec, s[0:1]
	s_cbranch_vccnz .LBB230_1374
; %bb.1373:
	global_load_ushort v2, v[0:1], off
.LBB230_1374:
	s_mov_b64 s[0:1], 0
.LBB230_1375:
	s_andn2_b64 vcc, exec, s[0:1]
	s_cbranch_vccnz .LBB230_1381
; %bb.1376:
	s_cmp_gt_i32 s22, 0
	s_cbranch_scc0 .LBB230_1378
; %bb.1377:
	global_load_sbyte v2, v[0:1], off
	s_mov_b64 s[0:1], 0
	s_branch .LBB230_1379
.LBB230_1378:
	s_mov_b64 s[0:1], -1
                                        ; implicit-def: $vgpr2
.LBB230_1379:
	s_andn2_b64 vcc, exec, s[0:1]
	s_cbranch_vccnz .LBB230_1381
; %bb.1380:
	global_load_ubyte v2, v[0:1], off
.LBB230_1381:
.LBB230_1382:
	v_add_u32_e32 v0, s13, v5
	v_ashrrev_i32_e32 v1, 31, v0
	s_waitcnt vmcnt(0)
	v_mov_b32_e32 v3, s11
	v_add_co_u32_e32 v7, vcc, s10, v0
	s_cmp_lt_i32 s22, 11
	v_addc_co_u32_e32 v8, vcc, v3, v1, vcc
	s_cbranch_scc1 .LBB230_1389
; %bb.1383:
	s_cmp_gt_i32 s22, 25
	s_mov_b64 s[2:3], 0
	s_cbranch_scc0 .LBB230_1390
; %bb.1384:
	s_cmp_gt_i32 s22, 28
	s_cbranch_scc0 .LBB230_1391
; %bb.1385:
	s_cmp_gt_i32 s22, 43
	s_cbranch_scc0 .LBB230_1392
; %bb.1386:
	s_cmp_gt_i32 s22, 45
	s_cbranch_scc0 .LBB230_1394
; %bb.1387:
	s_cmp_eq_u32 s22, 46
	s_mov_b64 s[10:11], 0
	s_cbranch_scc0 .LBB230_1395
; %bb.1388:
	global_load_dword v0, v[7:8], off
	s_mov_b64 s[0:1], 0
	s_mov_b64 s[4:5], -1
	s_waitcnt vmcnt(0)
	v_lshlrev_b32_e32 v0, 16, v0
	v_cvt_i32_f32_e32 v0, v0
	s_branch .LBB230_1396
.LBB230_1389:
	s_mov_b64 s[0:1], -1
	s_mov_b64 s[4:5], 0
                                        ; implicit-def: $vgpr0
	s_branch .LBB230_1458
.LBB230_1390:
	s_mov_b64 s[10:11], -1
	s_mov_b64 s[4:5], 0
	s_mov_b64 s[0:1], 0
                                        ; implicit-def: $vgpr0
	s_branch .LBB230_1423
.LBB230_1391:
	s_mov_b64 s[10:11], -1
	s_mov_b64 s[4:5], 0
	s_mov_b64 s[0:1], 0
                                        ; implicit-def: $vgpr0
	s_branch .LBB230_1406
.LBB230_1392:
	s_mov_b64 s[10:11], -1
	s_mov_b64 s[4:5], 0
	s_mov_b64 s[0:1], 0
                                        ; implicit-def: $vgpr0
	s_branch .LBB230_1401
.LBB230_1393:
	s_trap 2
	s_or_b64 s[18:19], s[18:19], exec
	s_cbranch_execz .LBB230_1332
	s_branch .LBB230_1333
.LBB230_1394:
	s_mov_b64 s[10:11], -1
	s_mov_b64 s[4:5], 0
	s_mov_b64 s[0:1], 0
                                        ; implicit-def: $vgpr0
	s_branch .LBB230_1396
.LBB230_1395:
	s_mov_b64 s[0:1], -1
                                        ; implicit-def: $vgpr0
	s_mov_b64 s[4:5], 0
.LBB230_1396:
	s_and_b64 vcc, exec, s[10:11]
	s_cbranch_vccz .LBB230_1400
; %bb.1397:
	s_cmp_eq_u32 s22, 44
	s_cbranch_scc0 .LBB230_1399
; %bb.1398:
	global_load_ubyte v0, v[7:8], off
	s_mov_b64 s[0:1], 0
	s_mov_b64 s[4:5], -1
	s_waitcnt vmcnt(0)
	v_lshlrev_b32_e32 v1, 23, v0
	v_cvt_i32_f32_e32 v1, v1
	v_cmp_ne_u32_e32 vcc, 0, v0
	v_cndmask_b32_e32 v0, 0, v1, vcc
	s_branch .LBB230_1400
.LBB230_1399:
	s_mov_b64 s[0:1], -1
                                        ; implicit-def: $vgpr0
.LBB230_1400:
	s_mov_b64 s[10:11], 0
.LBB230_1401:
	s_and_b64 vcc, exec, s[10:11]
	s_cbranch_vccz .LBB230_1405
; %bb.1402:
	s_cmp_eq_u32 s22, 29
	s_cbranch_scc0 .LBB230_1404
; %bb.1403:
	global_load_dwordx2 v[0:1], v[7:8], off
	s_mov_b64 s[0:1], 0
	s_mov_b64 s[4:5], -1
	s_branch .LBB230_1405
.LBB230_1404:
	s_mov_b64 s[0:1], -1
                                        ; implicit-def: $vgpr0
.LBB230_1405:
	s_mov_b64 s[10:11], 0
.LBB230_1406:
	s_and_b64 vcc, exec, s[10:11]
	s_cbranch_vccz .LBB230_1422
; %bb.1407:
	s_cmp_lt_i32 s22, 27
	s_cbranch_scc1 .LBB230_1410
; %bb.1408:
	s_cmp_gt_i32 s22, 27
	s_cbranch_scc0 .LBB230_1411
; %bb.1409:
	global_load_dword v0, v[7:8], off
	s_mov_b64 s[4:5], 0
	s_branch .LBB230_1412
.LBB230_1410:
	s_mov_b64 s[4:5], -1
                                        ; implicit-def: $vgpr0
	s_branch .LBB230_1415
.LBB230_1411:
	s_mov_b64 s[4:5], -1
                                        ; implicit-def: $vgpr0
.LBB230_1412:
	s_andn2_b64 vcc, exec, s[4:5]
	s_cbranch_vccnz .LBB230_1414
; %bb.1413:
	global_load_ushort v0, v[7:8], off
.LBB230_1414:
	s_mov_b64 s[4:5], 0
.LBB230_1415:
	s_andn2_b64 vcc, exec, s[4:5]
	s_cbranch_vccnz .LBB230_1421
; %bb.1416:
	global_load_ubyte v1, v[7:8], off
	s_movk_i32 s4, 0x7f
	s_mov_b64 s[10:11], 0
	s_waitcnt vmcnt(0)
	v_cmp_lt_i16_e32 vcc, s4, v1
	s_and_saveexec_b64 s[4:5], vcc
	s_xor_b64 s[4:5], exec, s[4:5]
	s_cbranch_execz .LBB230_1433
; %bb.1417:
	s_movk_i32 s10, 0x80
	v_cmp_ne_u16_e32 vcc, s10, v1
	s_and_b64 s[10:11], vcc, exec
	s_andn2_saveexec_b64 s[4:5], s[4:5]
	s_cbranch_execnz .LBB230_1434
.LBB230_1418:
	s_or_b64 exec, exec, s[4:5]
	v_mov_b32_e32 v0, 0
	s_and_saveexec_b64 s[4:5], s[10:11]
	s_cbranch_execz .LBB230_1420
.LBB230_1419:
	v_lshlrev_b32_e32 v0, 24, v1
	v_and_b32_e32 v1, 0xffff, v1
	v_and_b32_e32 v3, 7, v1
	v_ffbh_u32_e32 v10, v3
	v_min_u32_e32 v10, 32, v10
	v_subrev_u32_e32 v11, 28, v10
	v_bfe_u32 v5, v1, 3, 4
	v_lshlrev_b32_e32 v1, v11, v1
	v_sub_u32_e32 v10, 29, v10
	v_and_b32_e32 v1, 7, v1
	v_cmp_eq_u32_e32 vcc, 0, v5
	v_cndmask_b32_e32 v5, v5, v10, vcc
	v_cndmask_b32_e32 v1, v3, v1, vcc
	v_mov_b32_e32 v3, 0x3b800000
	v_lshlrev_b32_e32 v1, 20, v1
	v_and_b32_e32 v0, 0x80000000, v0
	v_lshl_add_u32 v3, v5, 23, v3
	v_or3_b32 v0, v0, v3, v1
	v_cvt_i32_f32_e32 v0, v0
.LBB230_1420:
	s_or_b64 exec, exec, s[4:5]
.LBB230_1421:
	s_mov_b64 s[4:5], -1
.LBB230_1422:
	s_mov_b64 s[10:11], 0
.LBB230_1423:
	s_and_b64 vcc, exec, s[10:11]
	s_cbranch_vccz .LBB230_1454
; %bb.1424:
	s_cmp_gt_i32 s22, 22
	s_cbranch_scc0 .LBB230_1432
; %bb.1425:
	s_cmp_lt_i32 s22, 24
	s_cbranch_scc1 .LBB230_1435
; %bb.1426:
	s_cmp_gt_i32 s22, 24
	s_cbranch_scc0 .LBB230_1436
; %bb.1427:
	global_load_ubyte v1, v[7:8], off
	s_movk_i32 s2, 0x7f
	s_mov_b64 s[4:5], 0
	s_waitcnt vmcnt(0)
	v_cmp_lt_i16_e32 vcc, s2, v1
	s_and_saveexec_b64 s[2:3], vcc
	s_xor_b64 s[2:3], exec, s[2:3]
	s_cbranch_execz .LBB230_1448
; %bb.1428:
	s_movk_i32 s4, 0x80
	v_cmp_ne_u16_e32 vcc, s4, v1
	s_and_b64 s[4:5], vcc, exec
	s_andn2_saveexec_b64 s[2:3], s[2:3]
	s_cbranch_execnz .LBB230_1449
.LBB230_1429:
	s_or_b64 exec, exec, s[2:3]
	v_mov_b32_e32 v0, 0
	s_and_saveexec_b64 s[2:3], s[4:5]
	s_cbranch_execz .LBB230_1431
.LBB230_1430:
	v_lshlrev_b32_e32 v0, 24, v1
	v_and_b32_e32 v1, 0xffff, v1
	v_and_b32_e32 v3, 3, v1
	v_ffbh_u32_e32 v10, v3
	v_min_u32_e32 v10, 32, v10
	v_subrev_u32_e32 v11, 29, v10
	v_bfe_u32 v5, v1, 2, 5
	v_lshlrev_b32_e32 v1, v11, v1
	v_sub_u32_e32 v10, 30, v10
	v_and_b32_e32 v1, 3, v1
	v_cmp_eq_u32_e32 vcc, 0, v5
	v_cndmask_b32_e32 v5, v5, v10, vcc
	v_cndmask_b32_e32 v1, v3, v1, vcc
	v_mov_b32_e32 v3, 0x37800000
	v_lshlrev_b32_e32 v1, 21, v1
	v_and_b32_e32 v0, 0x80000000, v0
	v_lshl_add_u32 v3, v5, 23, v3
	v_or3_b32 v0, v0, v3, v1
	v_cvt_i32_f32_e32 v0, v0
.LBB230_1431:
	s_or_b64 exec, exec, s[2:3]
	s_mov_b64 s[2:3], 0
	s_branch .LBB230_1437
.LBB230_1432:
	s_mov_b64 s[2:3], -1
                                        ; implicit-def: $vgpr0
	s_branch .LBB230_1443
.LBB230_1433:
	s_andn2_saveexec_b64 s[4:5], s[4:5]
	s_cbranch_execz .LBB230_1418
.LBB230_1434:
	v_cmp_ne_u16_e32 vcc, 0, v1
	s_andn2_b64 s[10:11], s[10:11], exec
	s_and_b64 s[20:21], vcc, exec
	s_or_b64 s[10:11], s[10:11], s[20:21]
	s_or_b64 exec, exec, s[4:5]
	v_mov_b32_e32 v0, 0
	s_and_saveexec_b64 s[4:5], s[10:11]
	s_cbranch_execnz .LBB230_1419
	s_branch .LBB230_1420
.LBB230_1435:
	s_mov_b64 s[2:3], -1
                                        ; implicit-def: $vgpr0
	s_branch .LBB230_1440
.LBB230_1436:
	s_mov_b64 s[2:3], -1
                                        ; implicit-def: $vgpr0
.LBB230_1437:
	s_and_b64 vcc, exec, s[2:3]
	s_cbranch_vccz .LBB230_1439
; %bb.1438:
	global_load_ubyte v0, v[7:8], off
	s_mov_b32 s2, 0x7f800000
	s_waitcnt vmcnt(0)
	v_lshlrev_b32_e32 v0, 24, v0
	v_and_b32_e32 v1, 0x7f000000, v0
	v_ffbh_u32_e32 v3, v1
	v_min_u32_e32 v3, 32, v3
	v_sub_u32_e64 v3, v3, 4 clamp
	v_lshlrev_b32_e32 v10, v3, v1
	v_lshlrev_b32_e32 v3, 23, v3
	v_lshrrev_b32_e32 v10, 4, v10
	v_add_u32_e32 v5, 0x1000000, v1
	v_sub_u32_e32 v3, v10, v3
	v_ashrrev_i32_e32 v5, 8, v5
	v_add_u32_e32 v3, 0x3c000000, v3
	v_and_or_b32 v3, v5, s2, v3
	v_cmp_ne_u32_e32 vcc, 0, v1
	v_cndmask_b32_e32 v1, 0, v3, vcc
	s_brev_b32 s2, 1
	v_and_or_b32 v0, v0, s2, v1
	v_cvt_i32_f32_e32 v0, v0
.LBB230_1439:
	s_mov_b64 s[2:3], 0
.LBB230_1440:
	s_andn2_b64 vcc, exec, s[2:3]
	s_cbranch_vccnz .LBB230_1442
; %bb.1441:
	global_load_ubyte v0, v[7:8], off
	s_movk_i32 s2, 0x7f00
	s_brev_b32 s3, 16
	s_waitcnt vmcnt(0)
	v_lshlrev_b16_e32 v1, 8, v0
	v_lshlrev_b32_e32 v0, 25, v0
	v_lshrrev_b32_e32 v3, 4, v0
	v_and_or_b32 v5, v1, s2, 0.5
	v_or_b32_e32 v3, 0x70000000, v3
	v_add_f32_e32 v5, -0.5, v5
	v_mul_f32_e32 v3, 0x7800000, v3
	v_cmp_gt_u32_e32 vcc, s3, v0
	v_bfe_i32 v1, v1, 0, 16
	v_cndmask_b32_e32 v0, v3, v5, vcc
	s_brev_b32 s2, 1
	v_and_or_b32 v0, v1, s2, v0
	v_cvt_i32_f32_e32 v0, v0
.LBB230_1442:
	s_mov_b64 s[2:3], 0
	s_mov_b64 s[4:5], -1
.LBB230_1443:
	s_andn2_b64 vcc, exec, s[2:3]
	s_mov_b64 s[2:3], 0
	s_cbranch_vccnz .LBB230_1454
; %bb.1444:
	s_cmp_gt_i32 s22, 14
	s_cbranch_scc0 .LBB230_1447
; %bb.1445:
	s_cmp_eq_u32 s22, 15
	s_cbranch_scc0 .LBB230_1450
; %bb.1446:
	global_load_ushort v0, v[7:8], off
	s_mov_b64 s[0:1], 0
	s_mov_b64 s[4:5], -1
	s_waitcnt vmcnt(0)
	v_lshlrev_b32_e32 v0, 16, v0
	v_cvt_i32_f32_e32 v0, v0
	s_branch .LBB230_1451
.LBB230_1447:
	s_mov_b64 s[10:11], -1
                                        ; implicit-def: $vgpr0
	s_branch .LBB230_1452
.LBB230_1448:
	s_andn2_saveexec_b64 s[2:3], s[2:3]
	s_cbranch_execz .LBB230_1429
.LBB230_1449:
	v_cmp_ne_u16_e32 vcc, 0, v1
	s_andn2_b64 s[4:5], s[4:5], exec
	s_and_b64 s[10:11], vcc, exec
	s_or_b64 s[4:5], s[4:5], s[10:11]
	s_or_b64 exec, exec, s[2:3]
	v_mov_b32_e32 v0, 0
	s_and_saveexec_b64 s[2:3], s[4:5]
	s_cbranch_execnz .LBB230_1430
	s_branch .LBB230_1431
.LBB230_1450:
	s_mov_b64 s[0:1], -1
                                        ; implicit-def: $vgpr0
.LBB230_1451:
	s_mov_b64 s[10:11], 0
.LBB230_1452:
	s_and_b64 vcc, exec, s[10:11]
	s_cbranch_vccz .LBB230_1454
; %bb.1453:
	s_cmp_lg_u32 s22, 11
	s_mov_b64 s[2:3], -1
	s_cselect_b64 s[0:1], -1, 0
.LBB230_1454:
	s_and_b64 vcc, exec, s[0:1]
	s_cbranch_vccnz .LBB230_1987
; %bb.1455:
	s_andn2_b64 vcc, exec, s[2:3]
	s_cbranch_vccnz .LBB230_1457
.LBB230_1456:
	global_load_ubyte v0, v[7:8], off
	s_mov_b64 s[4:5], -1
	s_waitcnt vmcnt(0)
	v_cmp_ne_u16_e32 vcc, 0, v0
	v_cndmask_b32_e64 v0, 0, 1, vcc
.LBB230_1457:
	s_mov_b64 s[0:1], 0
.LBB230_1458:
	s_and_b64 vcc, exec, s[0:1]
	s_cbranch_vccz .LBB230_1507
; %bb.1459:
	s_cmp_lt_i32 s22, 5
	s_cbranch_scc1 .LBB230_1464
; %bb.1460:
	s_cmp_lt_i32 s22, 8
	s_cbranch_scc1 .LBB230_1465
	;; [unrolled: 3-line block ×3, first 2 shown]
; %bb.1462:
	s_cmp_gt_i32 s22, 9
	s_cbranch_scc0 .LBB230_1467
; %bb.1463:
	global_load_dwordx2 v[0:1], v[7:8], off
	s_mov_b64 s[0:1], 0
	s_waitcnt vmcnt(0)
	v_cvt_i32_f64_e32 v0, v[0:1]
	s_branch .LBB230_1468
.LBB230_1464:
	s_mov_b64 s[0:1], -1
                                        ; implicit-def: $vgpr0
	s_branch .LBB230_1486
.LBB230_1465:
	s_mov_b64 s[0:1], -1
                                        ; implicit-def: $vgpr0
	s_branch .LBB230_1474
.LBB230_1466:
	s_mov_b64 s[0:1], -1
                                        ; implicit-def: $vgpr0
	s_branch .LBB230_1471
.LBB230_1467:
	s_mov_b64 s[0:1], -1
                                        ; implicit-def: $vgpr0
.LBB230_1468:
	s_andn2_b64 vcc, exec, s[0:1]
	s_cbranch_vccnz .LBB230_1470
; %bb.1469:
	global_load_dword v0, v[7:8], off
	s_waitcnt vmcnt(0)
	v_cvt_i32_f32_e32 v0, v0
.LBB230_1470:
	s_mov_b64 s[0:1], 0
.LBB230_1471:
	s_andn2_b64 vcc, exec, s[0:1]
	s_cbranch_vccnz .LBB230_1473
; %bb.1472:
	global_load_dword v0, v[7:8], off
	s_waitcnt vmcnt(0)
	v_cvt_i16_f16_e32 v0, v0
.LBB230_1473:
	s_mov_b64 s[0:1], 0
.LBB230_1474:
	s_andn2_b64 vcc, exec, s[0:1]
	s_cbranch_vccnz .LBB230_1485
; %bb.1475:
	s_cmp_lt_i32 s22, 6
	s_cbranch_scc1 .LBB230_1478
; %bb.1476:
	s_cmp_gt_i32 s22, 6
	s_cbranch_scc0 .LBB230_1479
; %bb.1477:
	global_load_dwordx2 v[0:1], v[7:8], off
	s_mov_b64 s[0:1], 0
	s_waitcnt vmcnt(0)
	v_cvt_i32_f64_e32 v0, v[0:1]
	s_branch .LBB230_1480
.LBB230_1478:
	s_mov_b64 s[0:1], -1
                                        ; implicit-def: $vgpr0
	s_branch .LBB230_1483
.LBB230_1479:
	s_mov_b64 s[0:1], -1
                                        ; implicit-def: $vgpr0
.LBB230_1480:
	s_andn2_b64 vcc, exec, s[0:1]
	s_cbranch_vccnz .LBB230_1482
; %bb.1481:
	global_load_dword v0, v[7:8], off
	s_waitcnt vmcnt(0)
	v_cvt_i32_f32_e32 v0, v0
.LBB230_1482:
	s_mov_b64 s[0:1], 0
.LBB230_1483:
	s_andn2_b64 vcc, exec, s[0:1]
	s_cbranch_vccnz .LBB230_1485
; %bb.1484:
	global_load_ushort v0, v[7:8], off
	s_waitcnt vmcnt(0)
	v_cvt_i16_f16_e32 v0, v0
.LBB230_1485:
	s_mov_b64 s[0:1], 0
.LBB230_1486:
	s_andn2_b64 vcc, exec, s[0:1]
	s_cbranch_vccnz .LBB230_1506
; %bb.1487:
	s_cmp_lt_i32 s22, 2
	s_cbranch_scc1 .LBB230_1491
; %bb.1488:
	s_cmp_lt_i32 s22, 3
	s_cbranch_scc1 .LBB230_1492
; %bb.1489:
	s_cmp_gt_i32 s22, 3
	s_cbranch_scc0 .LBB230_1493
; %bb.1490:
	global_load_dwordx2 v[0:1], v[7:8], off
	s_mov_b64 s[0:1], 0
	s_branch .LBB230_1494
.LBB230_1491:
	s_mov_b64 s[0:1], -1
                                        ; implicit-def: $vgpr0
	s_branch .LBB230_1500
.LBB230_1492:
	s_mov_b64 s[0:1], -1
                                        ; implicit-def: $vgpr0
	s_branch .LBB230_1497
.LBB230_1493:
	s_mov_b64 s[0:1], -1
                                        ; implicit-def: $vgpr0
.LBB230_1494:
	s_andn2_b64 vcc, exec, s[0:1]
	s_cbranch_vccnz .LBB230_1496
; %bb.1495:
	global_load_dword v0, v[7:8], off
.LBB230_1496:
	s_mov_b64 s[0:1], 0
.LBB230_1497:
	s_andn2_b64 vcc, exec, s[0:1]
	s_cbranch_vccnz .LBB230_1499
; %bb.1498:
	global_load_ushort v0, v[7:8], off
.LBB230_1499:
	s_mov_b64 s[0:1], 0
.LBB230_1500:
	s_andn2_b64 vcc, exec, s[0:1]
	s_cbranch_vccnz .LBB230_1506
; %bb.1501:
	s_cmp_gt_i32 s22, 0
	s_cbranch_scc0 .LBB230_1503
; %bb.1502:
	global_load_sbyte v0, v[7:8], off
	s_mov_b64 s[0:1], 0
	s_branch .LBB230_1504
.LBB230_1503:
	s_mov_b64 s[0:1], -1
                                        ; implicit-def: $vgpr0
.LBB230_1504:
	s_andn2_b64 vcc, exec, s[0:1]
	s_cbranch_vccnz .LBB230_1506
; %bb.1505:
	global_load_ubyte v0, v[7:8], off
.LBB230_1506:
	s_mov_b64 s[4:5], -1
.LBB230_1507:
	s_andn2_b64 vcc, exec, s[4:5]
	s_cbranch_vccnz .LBB230_1941
; %bb.1508:
	s_waitcnt vmcnt(0)
	v_mul_lo_u32 v1, s12, v9
	s_and_b32 s23, 0xffff, s14
	s_cmp_gt_u32 s23, 14
	v_ashrrev_i16_e32 v3, 15, v6
	v_ashrrev_i32_sdwa v5, s23, sext(v6) dst_sel:DWORD dst_unused:UNUSED_PAD src0_sel:DWORD src1_sel:WORD_0
	s_cselect_b64 s[0:1], -1, 0
	v_cndmask_b32_e64 v3, v5, v3, s[0:1]
	v_ashrrev_i32_e32 v6, 31, v1
	v_mov_b32_e32 v7, s9
	s_and_b32 s22, s15, 0xff
	v_add_co_u32_e32 v5, vcc, s8, v1
	s_cmp_lt_i32 s22, 11
	v_addc_co_u32_e32 v6, vcc, v7, v6, vcc
	s_cbranch_scc1 .LBB230_1586
; %bb.1509:
	s_and_b32 s13, 0xffff, s22
	s_mov_b64 s[14:15], -1
	s_mov_b64 s[4:5], 0
	s_cmp_gt_i32 s13, 25
	s_mov_b64 s[10:11], 0
	s_mov_b64 s[2:3], 0
	s_cbranch_scc0 .LBB230_1542
; %bb.1510:
	s_cmp_gt_i32 s13, 28
	s_cbranch_scc0 .LBB230_1525
; %bb.1511:
	s_cmp_gt_i32 s13, 43
	;; [unrolled: 3-line block ×3, first 2 shown]
	s_cbranch_scc0 .LBB230_1515
; %bb.1513:
	s_mov_b64 s[2:3], -1
	s_mov_b64 s[14:15], 0
	s_cmp_eq_u32 s13, 46
	s_cbranch_scc0 .LBB230_1515
; %bb.1514:
	v_cvt_f32_i32_sdwa v7, sext(v3) dst_sel:DWORD dst_unused:UNUSED_PAD src0_sel:WORD_0
	s_movk_i32 s10, 0x7fff
	s_mov_b64 s[2:3], 0
	v_bfe_u32 v8, v7, 16, 1
	v_add3_u32 v7, v7, v8, s10
	v_lshrrev_b32_e32 v7, 16, v7
	global_store_dword v[5:6], v7, off
	s_mov_b64 s[10:11], -1
.LBB230_1515:
	s_and_b64 vcc, exec, s[14:15]
	s_cbranch_vccz .LBB230_1520
; %bb.1516:
	s_cmp_eq_u32 s13, 44
	s_mov_b64 s[2:3], -1
	s_cbranch_scc0 .LBB230_1520
; %bb.1517:
	v_cvt_f32_i32_sdwa v7, sext(v3) dst_sel:DWORD dst_unused:UNUSED_PAD src0_sel:WORD_0
	s_movk_i32 s2, 0xff
	v_mov_b32_e32 v9, 0xff
	v_bfe_u32 v8, v7, 23, 8
	v_cmp_ne_u32_e32 vcc, s2, v8
	s_and_saveexec_b64 s[10:11], vcc
; %bb.1518:
	s_mov_b32 s2, 0x3fffff
	v_lshrrev_b32_e32 v9, 23, v7
	v_and_b32_e32 v10, 0x400000, v7
	v_and_or_b32 v7, v7, s2, v8
	v_cmp_ne_u32_e32 vcc, 0, v10
	v_cmp_ne_u32_e64 s[2:3], 0, v7
	s_and_b64 s[2:3], vcc, s[2:3]
	v_cndmask_b32_e64 v7, 0, 1, s[2:3]
	v_add_u32_e32 v9, v9, v7
; %bb.1519:
	s_or_b64 exec, exec, s[10:11]
	s_mov_b64 s[2:3], 0
	s_mov_b64 s[10:11], -1
	global_store_byte v[5:6], v9, off
.LBB230_1520:
	s_mov_b64 s[14:15], 0
.LBB230_1521:
	s_and_b64 vcc, exec, s[14:15]
	s_cbranch_vccz .LBB230_1524
; %bb.1522:
	s_cmp_eq_u32 s13, 29
	s_mov_b64 s[2:3], -1
	s_cbranch_scc0 .LBB230_1524
; %bb.1523:
	v_bfe_i32 v7, v3, 0, 16
	v_ashrrev_i32_e32 v8, 31, v7
	global_store_dwordx2 v[5:6], v[7:8], off
	s_mov_b64 s[2:3], 0
	s_mov_b64 s[10:11], -1
.LBB230_1524:
	s_mov_b64 s[14:15], 0
.LBB230_1525:
	s_and_b64 vcc, exec, s[14:15]
	s_cbranch_vccz .LBB230_1541
; %bb.1526:
	s_cmp_lt_i32 s13, 27
	s_mov_b64 s[10:11], -1
	s_cbranch_scc1 .LBB230_1532
; %bb.1527:
	s_cmp_gt_i32 s13, 27
	s_cbranch_scc0 .LBB230_1529
; %bb.1528:
	v_bfe_i32 v7, v3, 0, 16
	s_mov_b64 s[10:11], 0
	global_store_dword v[5:6], v7, off
.LBB230_1529:
	s_andn2_b64 vcc, exec, s[10:11]
	s_cbranch_vccnz .LBB230_1531
; %bb.1530:
	global_store_short v[5:6], v3, off
.LBB230_1531:
	s_mov_b64 s[10:11], 0
.LBB230_1532:
	s_andn2_b64 vcc, exec, s[10:11]
	s_cbranch_vccnz .LBB230_1540
; %bb.1533:
	v_cvt_f32_i32_sdwa v7, sext(v3) dst_sel:DWORD dst_unused:UNUSED_PAD src0_sel:WORD_0
	s_mov_b32 s10, 0x43800000
	v_mov_b32_e32 v9, 0x80
	v_and_b32_e32 v8, 0x7fffffff, v7
	v_cmp_gt_u32_e32 vcc, s10, v8
	s_and_saveexec_b64 s[10:11], vcc
	s_cbranch_execz .LBB230_1539
; %bb.1534:
	s_mov_b32 s14, 0x3bffffff
	v_cmp_lt_u32_e32 vcc, s14, v8
	s_mov_b64 s[14:15], 0
                                        ; implicit-def: $vgpr8
	s_and_saveexec_b64 s[20:21], vcc
	s_xor_b64 s[20:21], exec, s[20:21]
	s_cbranch_execz .LBB230_1988
; %bb.1535:
	v_bfe_u32 v8, v7, 20, 1
	s_mov_b32 s24, 0x487ffff
	v_add3_u32 v8, v7, v8, s24
	s_mov_b64 s[14:15], exec
	v_lshrrev_b32_e32 v8, 20, v8
	s_andn2_saveexec_b64 s[20:21], s[20:21]
	s_cbranch_execnz .LBB230_1989
.LBB230_1536:
	s_or_b64 exec, exec, s[20:21]
	v_mov_b32_e32 v9, 0
	s_and_saveexec_b64 s[20:21], s[14:15]
.LBB230_1537:
	v_lshrrev_b32_e32 v7, 24, v7
	s_movk_i32 s14, 0x80
	v_and_or_b32 v9, v7, s14, v8
.LBB230_1538:
	s_or_b64 exec, exec, s[20:21]
.LBB230_1539:
	s_or_b64 exec, exec, s[10:11]
	global_store_byte v[5:6], v9, off
.LBB230_1540:
	s_mov_b64 s[10:11], -1
.LBB230_1541:
	s_mov_b64 s[14:15], 0
.LBB230_1542:
	s_and_b64 vcc, exec, s[14:15]
	s_cbranch_vccz .LBB230_1582
; %bb.1543:
	s_cmp_gt_i32 s13, 22
	s_mov_b64 s[4:5], -1
	s_cbranch_scc0 .LBB230_1575
; %bb.1544:
	s_cmp_lt_i32 s13, 24
	s_cbranch_scc1 .LBB230_1564
; %bb.1545:
	s_cmp_gt_i32 s13, 24
	s_cbranch_scc0 .LBB230_1553
; %bb.1546:
	v_cvt_f32_i32_sdwa v7, sext(v3) dst_sel:DWORD dst_unused:UNUSED_PAD src0_sel:WORD_0
	s_mov_b32 s4, 0x47800000
	v_mov_b32_e32 v9, 0x80
	v_and_b32_e32 v8, 0x7fffffff, v7
	v_cmp_gt_u32_e32 vcc, s4, v8
	s_and_saveexec_b64 s[4:5], vcc
	s_cbranch_execz .LBB230_1552
; %bb.1547:
	s_mov_b32 s10, 0x37ffffff
	v_cmp_lt_u32_e32 vcc, s10, v8
	s_mov_b64 s[10:11], 0
                                        ; implicit-def: $vgpr8
	s_and_saveexec_b64 s[14:15], vcc
	s_xor_b64 s[14:15], exec, s[14:15]
	s_cbranch_execz .LBB230_1991
; %bb.1548:
	v_bfe_u32 v8, v7, 21, 1
	s_mov_b32 s20, 0x88fffff
	v_add3_u32 v8, v7, v8, s20
	s_mov_b64 s[10:11], exec
	v_lshrrev_b32_e32 v8, 21, v8
	s_andn2_saveexec_b64 s[14:15], s[14:15]
	s_cbranch_execnz .LBB230_1992
.LBB230_1549:
	s_or_b64 exec, exec, s[14:15]
	v_mov_b32_e32 v9, 0
	s_and_saveexec_b64 s[14:15], s[10:11]
.LBB230_1550:
	v_lshrrev_b32_e32 v7, 24, v7
	s_movk_i32 s10, 0x80
	v_and_or_b32 v9, v7, s10, v8
.LBB230_1551:
	s_or_b64 exec, exec, s[14:15]
.LBB230_1552:
	s_or_b64 exec, exec, s[4:5]
	s_mov_b64 s[4:5], 0
	global_store_byte v[5:6], v9, off
.LBB230_1553:
	s_and_b64 vcc, exec, s[4:5]
	s_cbranch_vccz .LBB230_1563
; %bb.1554:
	v_cvt_f32_i32_sdwa v7, sext(v3) dst_sel:DWORD dst_unused:UNUSED_PAD src0_sel:WORD_0
	s_mov_b32 s4, 0x43f00000
                                        ; implicit-def: $vgpr8
	v_and_b32_e32 v9, 0x7fffffff, v7
	v_cmp_gt_u32_e32 vcc, s4, v9
	s_and_saveexec_b64 s[4:5], vcc
	s_xor_b64 s[4:5], exec, s[4:5]
	s_cbranch_execz .LBB230_1560
; %bb.1555:
	s_mov_b32 s10, 0x3c7fffff
	v_cmp_lt_u32_e32 vcc, s10, v9
                                        ; implicit-def: $vgpr8
	s_and_saveexec_b64 s[10:11], vcc
	s_xor_b64 s[10:11], exec, s[10:11]
; %bb.1556:
	v_bfe_u32 v8, v7, 20, 1
	s_mov_b32 s14, 0x407ffff
	v_add3_u32 v8, v7, v8, s14
	v_lshrrev_b32_e32 v9, 20, v8
	v_and_b32_e32 v8, 0xff00000, v8
	s_mov_b32 s14, 0x7f00000
	v_mov_b32_e32 v10, 0x7e
	v_cmp_ne_u32_e32 vcc, s14, v8
	v_cndmask_b32_e32 v8, v10, v9, vcc
; %bb.1557:
	s_andn2_saveexec_b64 s[10:11], s[10:11]
; %bb.1558:
	s_mov_b32 s14, 0x46800000
	v_add_f32_e64 v8, |v7|, s14
; %bb.1559:
	s_or_b64 exec, exec, s[10:11]
                                        ; implicit-def: $vgpr9
.LBB230_1560:
	s_andn2_saveexec_b64 s[4:5], s[4:5]
; %bb.1561:
	s_mov_b32 s10, 0x7f800000
	v_mov_b32_e32 v8, 0x7e
	v_mov_b32_e32 v10, 0x7f
	v_cmp_lt_u32_e32 vcc, s10, v9
	v_cndmask_b32_e32 v8, v8, v10, vcc
; %bb.1562:
	s_or_b64 exec, exec, s[4:5]
	v_lshrrev_b32_e32 v7, 24, v7
	s_movk_i32 s4, 0x80
	v_and_or_b32 v7, v7, s4, v8
	global_store_byte v[5:6], v7, off
.LBB230_1563:
	s_mov_b64 s[4:5], 0
.LBB230_1564:
	s_andn2_b64 vcc, exec, s[4:5]
	s_cbranch_vccnz .LBB230_1574
; %bb.1565:
	v_cvt_f32_i32_sdwa v7, sext(v3) dst_sel:DWORD dst_unused:UNUSED_PAD src0_sel:WORD_0
	s_mov_b32 s4, 0x47800000
                                        ; implicit-def: $vgpr8
	v_and_b32_e32 v9, 0x7fffffff, v7
	v_cmp_gt_u32_e32 vcc, s4, v9
	s_and_saveexec_b64 s[4:5], vcc
	s_xor_b64 s[4:5], exec, s[4:5]
	s_cbranch_execz .LBB230_1571
; %bb.1566:
	s_mov_b32 s10, 0x387fffff
	v_cmp_lt_u32_e32 vcc, s10, v9
                                        ; implicit-def: $vgpr8
	s_and_saveexec_b64 s[10:11], vcc
	s_xor_b64 s[10:11], exec, s[10:11]
; %bb.1567:
	v_bfe_u32 v8, v7, 21, 1
	s_mov_b32 s14, 0x80fffff
	v_add3_u32 v8, v7, v8, s14
	v_lshrrev_b32_e32 v8, 21, v8
; %bb.1568:
	s_andn2_saveexec_b64 s[10:11], s[10:11]
; %bb.1569:
	s_mov_b32 s14, 0x43000000
	v_add_f32_e64 v8, |v7|, s14
; %bb.1570:
	s_or_b64 exec, exec, s[10:11]
                                        ; implicit-def: $vgpr9
.LBB230_1571:
	s_andn2_saveexec_b64 s[4:5], s[4:5]
; %bb.1572:
	s_mov_b32 s10, 0x7f800000
	v_mov_b32_e32 v8, 0x7c
	v_mov_b32_e32 v10, 0x7f
	v_cmp_lt_u32_e32 vcc, s10, v9
	v_cndmask_b32_e32 v8, v8, v10, vcc
; %bb.1573:
	s_or_b64 exec, exec, s[4:5]
	v_lshrrev_b32_e32 v7, 24, v7
	s_movk_i32 s4, 0x80
	v_and_or_b32 v7, v7, s4, v8
	global_store_byte v[5:6], v7, off
.LBB230_1574:
	s_mov_b64 s[4:5], 0
	s_mov_b64 s[10:11], -1
.LBB230_1575:
	s_andn2_b64 vcc, exec, s[4:5]
	s_mov_b64 s[4:5], 0
	s_cbranch_vccnz .LBB230_1582
; %bb.1576:
	s_cmp_gt_i32 s13, 14
	s_mov_b64 s[14:15], -1
	s_cbranch_scc0 .LBB230_1580
; %bb.1577:
	s_cmp_eq_u32 s13, 15
	s_mov_b64 s[2:3], -1
	s_cbranch_scc0 .LBB230_1579
; %bb.1578:
	v_cvt_f32_i32_sdwa v7, sext(v3) dst_sel:DWORD dst_unused:UNUSED_PAD src0_sel:WORD_0
	s_movk_i32 s4, 0x7fff
	s_mov_b64 s[2:3], 0
	s_mov_b64 s[10:11], -1
	v_bfe_u32 v8, v7, 16, 1
	v_add3_u32 v7, v7, v8, s4
	global_store_short_d16_hi v[5:6], v7, off
.LBB230_1579:
	s_mov_b64 s[14:15], 0
.LBB230_1580:
	s_mov_b64 s[4:5], 0
	s_and_b64 vcc, exec, s[14:15]
	s_cbranch_vccz .LBB230_1582
; %bb.1581:
	s_cmp_lg_u32 s13, 11
	s_mov_b64 s[4:5], -1
	s_cselect_b64 s[2:3], -1, 0
.LBB230_1582:
	s_and_b64 vcc, exec, s[2:3]
	s_cbranch_vccnz .LBB230_1990
; %bb.1583:
	s_andn2_b64 vcc, exec, s[4:5]
	s_cbranch_vccnz .LBB230_1585
.LBB230_1584:
	v_cmp_ne_u16_e32 vcc, 0, v3
	v_cndmask_b32_e64 v7, 0, 1, vcc
	s_mov_b64 s[10:11], -1
	global_store_byte v[5:6], v7, off
.LBB230_1585:
	s_mov_b64 s[2:3], 0
	s_branch .LBB230_1587
.LBB230_1586:
	s_mov_b64 s[2:3], -1
	s_mov_b64 s[10:11], 0
.LBB230_1587:
	s_and_b64 vcc, exec, s[2:3]
	s_cbranch_vccz .LBB230_1626
; %bb.1588:
	s_and_b32 s4, 0xffff, s22
	s_cmp_lt_i32 s4, 5
	s_mov_b64 s[2:3], -1
	s_cbranch_scc1 .LBB230_1609
; %bb.1589:
	s_cmp_lt_i32 s4, 8
	s_cbranch_scc1 .LBB230_1599
; %bb.1590:
	s_cmp_lt_i32 s4, 9
	s_cbranch_scc1 .LBB230_1596
; %bb.1591:
	s_cmp_gt_i32 s4, 9
	s_cbranch_scc0 .LBB230_1593
; %bb.1592:
	v_bfe_i32 v7, v3, 0, 16
	v_cvt_f64_i32_e32 v[7:8], v7
	v_mov_b32_e32 v9, 0
	v_mov_b32_e32 v10, v9
	s_mov_b64 s[2:3], 0
	global_store_dwordx4 v[5:6], v[7:10], off
.LBB230_1593:
	s_andn2_b64 vcc, exec, s[2:3]
	s_cbranch_vccnz .LBB230_1595
; %bb.1594:
	v_cvt_f32_i32_sdwa v7, sext(v3) dst_sel:DWORD dst_unused:UNUSED_PAD src0_sel:WORD_0
	v_mov_b32_e32 v8, 0
	global_store_dwordx2 v[5:6], v[7:8], off
.LBB230_1595:
	s_mov_b64 s[2:3], 0
.LBB230_1596:
	s_andn2_b64 vcc, exec, s[2:3]
	s_cbranch_vccnz .LBB230_1598
; %bb.1597:
	v_cvt_f16_i16_e32 v7, v3
	global_store_dword v[5:6], v7, off
.LBB230_1598:
	s_mov_b64 s[2:3], 0
.LBB230_1599:
	s_andn2_b64 vcc, exec, s[2:3]
	s_cbranch_vccnz .LBB230_1608
; %bb.1600:
	s_cmp_lt_i32 s4, 6
	s_mov_b64 s[2:3], -1
	s_cbranch_scc1 .LBB230_1606
; %bb.1601:
	s_cmp_gt_i32 s4, 6
	s_cbranch_scc0 .LBB230_1603
; %bb.1602:
	v_bfe_i32 v7, v3, 0, 16
	v_cvt_f64_i32_e32 v[7:8], v7
	s_mov_b64 s[2:3], 0
	global_store_dwordx2 v[5:6], v[7:8], off
.LBB230_1603:
	s_andn2_b64 vcc, exec, s[2:3]
	s_cbranch_vccnz .LBB230_1605
; %bb.1604:
	v_cvt_f32_i32_sdwa v7, sext(v3) dst_sel:DWORD dst_unused:UNUSED_PAD src0_sel:WORD_0
	global_store_dword v[5:6], v7, off
.LBB230_1605:
	s_mov_b64 s[2:3], 0
.LBB230_1606:
	s_andn2_b64 vcc, exec, s[2:3]
	s_cbranch_vccnz .LBB230_1608
; %bb.1607:
	v_cvt_f16_i16_e32 v7, v3
	global_store_short v[5:6], v7, off
.LBB230_1608:
	s_mov_b64 s[2:3], 0
.LBB230_1609:
	s_andn2_b64 vcc, exec, s[2:3]
	s_cbranch_vccnz .LBB230_1625
; %bb.1610:
	s_cmp_lt_i32 s4, 2
	s_mov_b64 s[2:3], -1
	s_cbranch_scc1 .LBB230_1620
; %bb.1611:
	s_cmp_lt_i32 s4, 3
	s_cbranch_scc1 .LBB230_1617
; %bb.1612:
	s_cmp_gt_i32 s4, 3
	v_bfe_i32 v7, v3, 0, 16
	s_cbranch_scc0 .LBB230_1614
; %bb.1613:
	v_ashrrev_i32_e32 v8, 31, v7
	global_store_dwordx2 v[5:6], v[7:8], off
	s_mov_b64 s[2:3], 0
.LBB230_1614:
	s_andn2_b64 vcc, exec, s[2:3]
	s_cbranch_vccnz .LBB230_1616
; %bb.1615:
	global_store_dword v[5:6], v7, off
.LBB230_1616:
	s_mov_b64 s[2:3], 0
.LBB230_1617:
	s_andn2_b64 vcc, exec, s[2:3]
	s_cbranch_vccnz .LBB230_1619
; %bb.1618:
	global_store_short v[5:6], v3, off
.LBB230_1619:
	s_mov_b64 s[2:3], 0
.LBB230_1620:
	s_andn2_b64 vcc, exec, s[2:3]
	s_cbranch_vccnz .LBB230_1625
; %bb.1621:
	s_cmp_gt_i32 s4, 0
	s_mov_b64 s[2:3], -1
	s_cbranch_scc0 .LBB230_1623
; %bb.1622:
	global_store_byte v[5:6], v3, off
	s_mov_b64 s[2:3], 0
.LBB230_1623:
	s_andn2_b64 vcc, exec, s[2:3]
	s_cbranch_vccnz .LBB230_1625
; %bb.1624:
	global_store_byte v[5:6], v3, off
.LBB230_1625:
	s_mov_b64 s[10:11], -1
.LBB230_1626:
	s_andn2_b64 vcc, exec, s[10:11]
	s_cbranch_vccnz .LBB230_1941
; %bb.1627:
	s_lshl_b32 s20, s12, 7
	v_ashrrev_i16_e32 v3, 15, v4
	v_ashrrev_i32_sdwa v4, s23, sext(v4) dst_sel:DWORD dst_unused:UNUSED_PAD src0_sel:DWORD src1_sel:WORD_0
	v_add_u32_e32 v1, s20, v1
	v_cndmask_b32_e64 v7, v4, v3, s[0:1]
	v_ashrrev_i32_e32 v4, 31, v1
	v_mov_b32_e32 v5, s9
	v_add_co_u32_e32 v3, vcc, s8, v1
	s_cmp_lt_i32 s22, 11
	v_addc_co_u32_e32 v4, vcc, v5, v4, vcc
	s_cbranch_scc1 .LBB230_1705
; %bb.1628:
	s_and_b32 s21, 0xffff, s22
	s_mov_b64 s[12:13], -1
	s_mov_b64 s[4:5], 0
	s_cmp_gt_i32 s21, 25
	s_mov_b64 s[10:11], 0
	s_mov_b64 s[2:3], 0
	s_cbranch_scc0 .LBB230_1661
; %bb.1629:
	s_cmp_gt_i32 s21, 28
	s_cbranch_scc0 .LBB230_1644
; %bb.1630:
	s_cmp_gt_i32 s21, 43
	;; [unrolled: 3-line block ×3, first 2 shown]
	s_cbranch_scc0 .LBB230_1634
; %bb.1632:
	s_mov_b64 s[2:3], -1
	s_mov_b64 s[12:13], 0
	s_cmp_eq_u32 s21, 46
	s_cbranch_scc0 .LBB230_1634
; %bb.1633:
	v_cvt_f32_i32_sdwa v5, sext(v7) dst_sel:DWORD dst_unused:UNUSED_PAD src0_sel:WORD_0
	s_movk_i32 s10, 0x7fff
	s_mov_b64 s[2:3], 0
	v_bfe_u32 v6, v5, 16, 1
	v_add3_u32 v5, v5, v6, s10
	v_lshrrev_b32_e32 v5, 16, v5
	global_store_dword v[3:4], v5, off
	s_mov_b64 s[10:11], -1
.LBB230_1634:
	s_and_b64 vcc, exec, s[12:13]
	s_cbranch_vccz .LBB230_1639
; %bb.1635:
	s_cmp_eq_u32 s21, 44
	s_mov_b64 s[2:3], -1
	s_cbranch_scc0 .LBB230_1639
; %bb.1636:
	v_cvt_f32_i32_sdwa v5, sext(v7) dst_sel:DWORD dst_unused:UNUSED_PAD src0_sel:WORD_0
	s_movk_i32 s2, 0xff
	v_mov_b32_e32 v8, 0xff
	v_bfe_u32 v6, v5, 23, 8
	v_cmp_ne_u32_e32 vcc, s2, v6
	s_and_saveexec_b64 s[10:11], vcc
; %bb.1637:
	s_mov_b32 s2, 0x3fffff
	v_lshrrev_b32_e32 v8, 23, v5
	v_and_b32_e32 v9, 0x400000, v5
	v_and_or_b32 v5, v5, s2, v6
	v_cmp_ne_u32_e32 vcc, 0, v9
	v_cmp_ne_u32_e64 s[2:3], 0, v5
	s_and_b64 s[2:3], vcc, s[2:3]
	v_cndmask_b32_e64 v5, 0, 1, s[2:3]
	v_add_u32_e32 v8, v8, v5
; %bb.1638:
	s_or_b64 exec, exec, s[10:11]
	s_mov_b64 s[2:3], 0
	s_mov_b64 s[10:11], -1
	global_store_byte v[3:4], v8, off
.LBB230_1639:
	s_mov_b64 s[12:13], 0
.LBB230_1640:
	s_and_b64 vcc, exec, s[12:13]
	s_cbranch_vccz .LBB230_1643
; %bb.1641:
	s_cmp_eq_u32 s21, 29
	s_mov_b64 s[2:3], -1
	s_cbranch_scc0 .LBB230_1643
; %bb.1642:
	v_bfe_i32 v5, v7, 0, 16
	v_ashrrev_i32_e32 v6, 31, v5
	global_store_dwordx2 v[3:4], v[5:6], off
	s_mov_b64 s[2:3], 0
	s_mov_b64 s[10:11], -1
.LBB230_1643:
	s_mov_b64 s[12:13], 0
.LBB230_1644:
	s_and_b64 vcc, exec, s[12:13]
	s_cbranch_vccz .LBB230_1660
; %bb.1645:
	s_cmp_lt_i32 s21, 27
	s_mov_b64 s[10:11], -1
	s_cbranch_scc1 .LBB230_1651
; %bb.1646:
	s_cmp_gt_i32 s21, 27
	s_cbranch_scc0 .LBB230_1648
; %bb.1647:
	v_bfe_i32 v5, v7, 0, 16
	s_mov_b64 s[10:11], 0
	global_store_dword v[3:4], v5, off
.LBB230_1648:
	s_andn2_b64 vcc, exec, s[10:11]
	s_cbranch_vccnz .LBB230_1650
; %bb.1649:
	global_store_short v[3:4], v7, off
.LBB230_1650:
	s_mov_b64 s[10:11], 0
.LBB230_1651:
	s_andn2_b64 vcc, exec, s[10:11]
	s_cbranch_vccnz .LBB230_1659
; %bb.1652:
	v_cvt_f32_i32_sdwa v5, sext(v7) dst_sel:DWORD dst_unused:UNUSED_PAD src0_sel:WORD_0
	s_mov_b32 s10, 0x43800000
	v_mov_b32_e32 v8, 0x80
	v_and_b32_e32 v6, 0x7fffffff, v5
	v_cmp_gt_u32_e32 vcc, s10, v6
	s_and_saveexec_b64 s[10:11], vcc
	s_cbranch_execz .LBB230_1658
; %bb.1653:
	s_mov_b32 s12, 0x3bffffff
	v_cmp_lt_u32_e32 vcc, s12, v6
	s_mov_b64 s[12:13], 0
                                        ; implicit-def: $vgpr6
	s_and_saveexec_b64 s[14:15], vcc
	s_xor_b64 s[14:15], exec, s[14:15]
	s_cbranch_execz .LBB230_1993
; %bb.1654:
	v_bfe_u32 v6, v5, 20, 1
	s_mov_b32 s24, 0x487ffff
	v_add3_u32 v6, v5, v6, s24
	s_mov_b64 s[12:13], exec
	v_lshrrev_b32_e32 v6, 20, v6
	s_andn2_saveexec_b64 s[14:15], s[14:15]
	s_cbranch_execnz .LBB230_1994
.LBB230_1655:
	s_or_b64 exec, exec, s[14:15]
	v_mov_b32_e32 v8, 0
	s_and_saveexec_b64 s[14:15], s[12:13]
.LBB230_1656:
	v_lshrrev_b32_e32 v5, 24, v5
	s_movk_i32 s12, 0x80
	v_and_or_b32 v8, v5, s12, v6
.LBB230_1657:
	s_or_b64 exec, exec, s[14:15]
.LBB230_1658:
	s_or_b64 exec, exec, s[10:11]
	global_store_byte v[3:4], v8, off
.LBB230_1659:
	s_mov_b64 s[10:11], -1
.LBB230_1660:
	s_mov_b64 s[12:13], 0
.LBB230_1661:
	s_and_b64 vcc, exec, s[12:13]
	s_cbranch_vccz .LBB230_1701
; %bb.1662:
	s_cmp_gt_i32 s21, 22
	s_mov_b64 s[4:5], -1
	s_cbranch_scc0 .LBB230_1694
; %bb.1663:
	s_cmp_lt_i32 s21, 24
	s_cbranch_scc1 .LBB230_1683
; %bb.1664:
	s_cmp_gt_i32 s21, 24
	s_cbranch_scc0 .LBB230_1672
; %bb.1665:
	v_cvt_f32_i32_sdwa v5, sext(v7) dst_sel:DWORD dst_unused:UNUSED_PAD src0_sel:WORD_0
	s_mov_b32 s4, 0x47800000
	v_mov_b32_e32 v8, 0x80
	v_and_b32_e32 v6, 0x7fffffff, v5
	v_cmp_gt_u32_e32 vcc, s4, v6
	s_and_saveexec_b64 s[4:5], vcc
	s_cbranch_execz .LBB230_1671
; %bb.1666:
	s_mov_b32 s10, 0x37ffffff
	v_cmp_lt_u32_e32 vcc, s10, v6
	s_mov_b64 s[10:11], 0
                                        ; implicit-def: $vgpr6
	s_and_saveexec_b64 s[12:13], vcc
	s_xor_b64 s[12:13], exec, s[12:13]
	s_cbranch_execz .LBB230_1996
; %bb.1667:
	v_bfe_u32 v6, v5, 21, 1
	s_mov_b32 s14, 0x88fffff
	v_add3_u32 v6, v5, v6, s14
	s_mov_b64 s[10:11], exec
	v_lshrrev_b32_e32 v6, 21, v6
	s_andn2_saveexec_b64 s[12:13], s[12:13]
	s_cbranch_execnz .LBB230_1997
.LBB230_1668:
	s_or_b64 exec, exec, s[12:13]
	v_mov_b32_e32 v8, 0
	s_and_saveexec_b64 s[12:13], s[10:11]
.LBB230_1669:
	v_lshrrev_b32_e32 v5, 24, v5
	s_movk_i32 s10, 0x80
	v_and_or_b32 v8, v5, s10, v6
.LBB230_1670:
	s_or_b64 exec, exec, s[12:13]
.LBB230_1671:
	s_or_b64 exec, exec, s[4:5]
	s_mov_b64 s[4:5], 0
	global_store_byte v[3:4], v8, off
.LBB230_1672:
	s_and_b64 vcc, exec, s[4:5]
	s_cbranch_vccz .LBB230_1682
; %bb.1673:
	v_cvt_f32_i32_sdwa v5, sext(v7) dst_sel:DWORD dst_unused:UNUSED_PAD src0_sel:WORD_0
	s_mov_b32 s4, 0x43f00000
                                        ; implicit-def: $vgpr6
	v_and_b32_e32 v8, 0x7fffffff, v5
	v_cmp_gt_u32_e32 vcc, s4, v8
	s_and_saveexec_b64 s[4:5], vcc
	s_xor_b64 s[4:5], exec, s[4:5]
	s_cbranch_execz .LBB230_1679
; %bb.1674:
	s_mov_b32 s10, 0x3c7fffff
	v_cmp_lt_u32_e32 vcc, s10, v8
                                        ; implicit-def: $vgpr6
	s_and_saveexec_b64 s[10:11], vcc
	s_xor_b64 s[10:11], exec, s[10:11]
; %bb.1675:
	v_bfe_u32 v6, v5, 20, 1
	s_mov_b32 s12, 0x407ffff
	v_add3_u32 v6, v5, v6, s12
	v_lshrrev_b32_e32 v8, 20, v6
	v_and_b32_e32 v6, 0xff00000, v6
	s_mov_b32 s12, 0x7f00000
	v_mov_b32_e32 v9, 0x7e
	v_cmp_ne_u32_e32 vcc, s12, v6
	v_cndmask_b32_e32 v6, v9, v8, vcc
; %bb.1676:
	s_andn2_saveexec_b64 s[10:11], s[10:11]
; %bb.1677:
	s_mov_b32 s12, 0x46800000
	v_add_f32_e64 v6, |v5|, s12
; %bb.1678:
	s_or_b64 exec, exec, s[10:11]
                                        ; implicit-def: $vgpr8
.LBB230_1679:
	s_andn2_saveexec_b64 s[4:5], s[4:5]
; %bb.1680:
	s_mov_b32 s10, 0x7f800000
	v_mov_b32_e32 v6, 0x7e
	v_mov_b32_e32 v9, 0x7f
	v_cmp_lt_u32_e32 vcc, s10, v8
	v_cndmask_b32_e32 v6, v6, v9, vcc
; %bb.1681:
	s_or_b64 exec, exec, s[4:5]
	v_lshrrev_b32_e32 v5, 24, v5
	s_movk_i32 s4, 0x80
	v_and_or_b32 v5, v5, s4, v6
	global_store_byte v[3:4], v5, off
.LBB230_1682:
	s_mov_b64 s[4:5], 0
.LBB230_1683:
	s_andn2_b64 vcc, exec, s[4:5]
	s_cbranch_vccnz .LBB230_1693
; %bb.1684:
	v_cvt_f32_i32_sdwa v5, sext(v7) dst_sel:DWORD dst_unused:UNUSED_PAD src0_sel:WORD_0
	s_mov_b32 s4, 0x47800000
                                        ; implicit-def: $vgpr6
	v_and_b32_e32 v8, 0x7fffffff, v5
	v_cmp_gt_u32_e32 vcc, s4, v8
	s_and_saveexec_b64 s[4:5], vcc
	s_xor_b64 s[4:5], exec, s[4:5]
	s_cbranch_execz .LBB230_1690
; %bb.1685:
	s_mov_b32 s10, 0x387fffff
	v_cmp_lt_u32_e32 vcc, s10, v8
                                        ; implicit-def: $vgpr6
	s_and_saveexec_b64 s[10:11], vcc
	s_xor_b64 s[10:11], exec, s[10:11]
; %bb.1686:
	v_bfe_u32 v6, v5, 21, 1
	s_mov_b32 s12, 0x80fffff
	v_add3_u32 v6, v5, v6, s12
	v_lshrrev_b32_e32 v6, 21, v6
; %bb.1687:
	s_andn2_saveexec_b64 s[10:11], s[10:11]
; %bb.1688:
	s_mov_b32 s12, 0x43000000
	v_add_f32_e64 v6, |v5|, s12
; %bb.1689:
	s_or_b64 exec, exec, s[10:11]
                                        ; implicit-def: $vgpr8
.LBB230_1690:
	s_andn2_saveexec_b64 s[4:5], s[4:5]
; %bb.1691:
	s_mov_b32 s10, 0x7f800000
	v_mov_b32_e32 v6, 0x7c
	v_mov_b32_e32 v9, 0x7f
	v_cmp_lt_u32_e32 vcc, s10, v8
	v_cndmask_b32_e32 v6, v6, v9, vcc
; %bb.1692:
	s_or_b64 exec, exec, s[4:5]
	v_lshrrev_b32_e32 v5, 24, v5
	s_movk_i32 s4, 0x80
	v_and_or_b32 v5, v5, s4, v6
	global_store_byte v[3:4], v5, off
.LBB230_1693:
	s_mov_b64 s[4:5], 0
	s_mov_b64 s[10:11], -1
.LBB230_1694:
	s_andn2_b64 vcc, exec, s[4:5]
	s_mov_b64 s[4:5], 0
	s_cbranch_vccnz .LBB230_1701
; %bb.1695:
	s_cmp_gt_i32 s21, 14
	s_mov_b64 s[12:13], -1
	s_cbranch_scc0 .LBB230_1699
; %bb.1696:
	s_cmp_eq_u32 s21, 15
	s_mov_b64 s[2:3], -1
	s_cbranch_scc0 .LBB230_1698
; %bb.1697:
	v_cvt_f32_i32_sdwa v5, sext(v7) dst_sel:DWORD dst_unused:UNUSED_PAD src0_sel:WORD_0
	s_movk_i32 s4, 0x7fff
	s_mov_b64 s[2:3], 0
	s_mov_b64 s[10:11], -1
	v_bfe_u32 v6, v5, 16, 1
	v_add3_u32 v5, v5, v6, s4
	global_store_short_d16_hi v[3:4], v5, off
.LBB230_1698:
	s_mov_b64 s[12:13], 0
.LBB230_1699:
	s_mov_b64 s[4:5], 0
	s_and_b64 vcc, exec, s[12:13]
	s_cbranch_vccz .LBB230_1701
; %bb.1700:
	s_cmp_lg_u32 s21, 11
	s_mov_b64 s[4:5], -1
	s_cselect_b64 s[2:3], -1, 0
.LBB230_1701:
	s_and_b64 vcc, exec, s[2:3]
	s_cbranch_vccnz .LBB230_1995
; %bb.1702:
	s_andn2_b64 vcc, exec, s[4:5]
	s_cbranch_vccnz .LBB230_1704
.LBB230_1703:
	v_cmp_ne_u16_e32 vcc, 0, v7
	v_cndmask_b32_e64 v5, 0, 1, vcc
	s_mov_b64 s[10:11], -1
	global_store_byte v[3:4], v5, off
.LBB230_1704:
	s_mov_b64 s[2:3], 0
	s_branch .LBB230_1706
.LBB230_1705:
	s_mov_b64 s[2:3], -1
	s_mov_b64 s[10:11], 0
.LBB230_1706:
	s_and_b64 vcc, exec, s[2:3]
	s_cbranch_vccz .LBB230_1745
; %bb.1707:
	s_and_b32 s4, 0xffff, s22
	s_cmp_lt_i32 s4, 5
	s_mov_b64 s[2:3], -1
	s_cbranch_scc1 .LBB230_1728
; %bb.1708:
	s_cmp_lt_i32 s4, 8
	s_cbranch_scc1 .LBB230_1718
; %bb.1709:
	s_cmp_lt_i32 s4, 9
	s_cbranch_scc1 .LBB230_1715
; %bb.1710:
	s_cmp_gt_i32 s4, 9
	s_cbranch_scc0 .LBB230_1712
; %bb.1711:
	v_bfe_i32 v5, v7, 0, 16
	v_cvt_f64_i32_e32 v[8:9], v5
	v_mov_b32_e32 v10, 0
	v_mov_b32_e32 v11, v10
	s_mov_b64 s[2:3], 0
	global_store_dwordx4 v[3:4], v[8:11], off
.LBB230_1712:
	s_andn2_b64 vcc, exec, s[2:3]
	s_cbranch_vccnz .LBB230_1714
; %bb.1713:
	v_cvt_f32_i32_sdwa v5, sext(v7) dst_sel:DWORD dst_unused:UNUSED_PAD src0_sel:WORD_0
	v_mov_b32_e32 v6, 0
	global_store_dwordx2 v[3:4], v[5:6], off
.LBB230_1714:
	s_mov_b64 s[2:3], 0
.LBB230_1715:
	s_andn2_b64 vcc, exec, s[2:3]
	s_cbranch_vccnz .LBB230_1717
; %bb.1716:
	v_cvt_f16_i16_e32 v5, v7
	global_store_dword v[3:4], v5, off
.LBB230_1717:
	s_mov_b64 s[2:3], 0
.LBB230_1718:
	s_andn2_b64 vcc, exec, s[2:3]
	s_cbranch_vccnz .LBB230_1727
; %bb.1719:
	s_cmp_lt_i32 s4, 6
	s_mov_b64 s[2:3], -1
	s_cbranch_scc1 .LBB230_1725
; %bb.1720:
	s_cmp_gt_i32 s4, 6
	s_cbranch_scc0 .LBB230_1722
; %bb.1721:
	v_bfe_i32 v5, v7, 0, 16
	v_cvt_f64_i32_e32 v[5:6], v5
	s_mov_b64 s[2:3], 0
	global_store_dwordx2 v[3:4], v[5:6], off
.LBB230_1722:
	s_andn2_b64 vcc, exec, s[2:3]
	s_cbranch_vccnz .LBB230_1724
; %bb.1723:
	v_cvt_f32_i32_sdwa v5, sext(v7) dst_sel:DWORD dst_unused:UNUSED_PAD src0_sel:WORD_0
	global_store_dword v[3:4], v5, off
.LBB230_1724:
	s_mov_b64 s[2:3], 0
.LBB230_1725:
	s_andn2_b64 vcc, exec, s[2:3]
	s_cbranch_vccnz .LBB230_1727
; %bb.1726:
	v_cvt_f16_i16_e32 v5, v7
	global_store_short v[3:4], v5, off
.LBB230_1727:
	s_mov_b64 s[2:3], 0
.LBB230_1728:
	s_andn2_b64 vcc, exec, s[2:3]
	s_cbranch_vccnz .LBB230_1744
; %bb.1729:
	s_cmp_lt_i32 s4, 2
	s_mov_b64 s[2:3], -1
	s_cbranch_scc1 .LBB230_1739
; %bb.1730:
	s_cmp_lt_i32 s4, 3
	s_cbranch_scc1 .LBB230_1736
; %bb.1731:
	s_cmp_gt_i32 s4, 3
	v_bfe_i32 v5, v7, 0, 16
	s_cbranch_scc0 .LBB230_1733
; %bb.1732:
	v_ashrrev_i32_e32 v6, 31, v5
	global_store_dwordx2 v[3:4], v[5:6], off
	s_mov_b64 s[2:3], 0
.LBB230_1733:
	s_andn2_b64 vcc, exec, s[2:3]
	s_cbranch_vccnz .LBB230_1735
; %bb.1734:
	global_store_dword v[3:4], v5, off
.LBB230_1735:
	s_mov_b64 s[2:3], 0
.LBB230_1736:
	s_andn2_b64 vcc, exec, s[2:3]
	s_cbranch_vccnz .LBB230_1738
; %bb.1737:
	global_store_short v[3:4], v7, off
.LBB230_1738:
	s_mov_b64 s[2:3], 0
.LBB230_1739:
	s_andn2_b64 vcc, exec, s[2:3]
	s_cbranch_vccnz .LBB230_1744
; %bb.1740:
	s_cmp_gt_i32 s4, 0
	s_mov_b64 s[2:3], -1
	s_cbranch_scc0 .LBB230_1742
; %bb.1741:
	global_store_byte v[3:4], v7, off
	s_mov_b64 s[2:3], 0
.LBB230_1742:
	s_andn2_b64 vcc, exec, s[2:3]
	s_cbranch_vccnz .LBB230_1744
; %bb.1743:
	global_store_byte v[3:4], v7, off
.LBB230_1744:
	s_mov_b64 s[10:11], -1
.LBB230_1745:
	s_andn2_b64 vcc, exec, s[10:11]
	s_cbranch_vccnz .LBB230_1941
; %bb.1746:
	v_ashrrev_i16_e32 v3, 15, v2
	v_ashrrev_i32_sdwa v2, s23, sext(v2) dst_sel:DWORD dst_unused:UNUSED_PAD src0_sel:DWORD src1_sel:WORD_0
	v_add_u32_e32 v5, s20, v1
	v_cndmask_b32_e64 v6, v2, v3, s[0:1]
	v_ashrrev_i32_e32 v2, 31, v5
	v_mov_b32_e32 v3, s9
	v_add_co_u32_e32 v1, vcc, s8, v5
	s_cmp_lt_i32 s22, 11
	v_addc_co_u32_e32 v2, vcc, v3, v2, vcc
	s_cbranch_scc1 .LBB230_1824
; %bb.1747:
	s_and_b32 s21, 0xffff, s22
	s_mov_b64 s[12:13], -1
	s_mov_b64 s[4:5], 0
	s_cmp_gt_i32 s21, 25
	s_mov_b64 s[10:11], 0
	s_mov_b64 s[2:3], 0
	s_cbranch_scc0 .LBB230_1780
; %bb.1748:
	s_cmp_gt_i32 s21, 28
	s_cbranch_scc0 .LBB230_1763
; %bb.1749:
	s_cmp_gt_i32 s21, 43
	;; [unrolled: 3-line block ×3, first 2 shown]
	s_cbranch_scc0 .LBB230_1753
; %bb.1751:
	s_mov_b64 s[2:3], -1
	s_mov_b64 s[12:13], 0
	s_cmp_eq_u32 s21, 46
	s_cbranch_scc0 .LBB230_1753
; %bb.1752:
	v_cvt_f32_i32_sdwa v3, sext(v6) dst_sel:DWORD dst_unused:UNUSED_PAD src0_sel:WORD_0
	s_movk_i32 s10, 0x7fff
	s_mov_b64 s[2:3], 0
	v_bfe_u32 v4, v3, 16, 1
	v_add3_u32 v3, v3, v4, s10
	v_lshrrev_b32_e32 v3, 16, v3
	global_store_dword v[1:2], v3, off
	s_mov_b64 s[10:11], -1
.LBB230_1753:
	s_and_b64 vcc, exec, s[12:13]
	s_cbranch_vccz .LBB230_1758
; %bb.1754:
	s_cmp_eq_u32 s21, 44
	s_mov_b64 s[2:3], -1
	s_cbranch_scc0 .LBB230_1758
; %bb.1755:
	v_cvt_f32_i32_sdwa v3, sext(v6) dst_sel:DWORD dst_unused:UNUSED_PAD src0_sel:WORD_0
	s_movk_i32 s2, 0xff
	v_mov_b32_e32 v7, 0xff
	v_bfe_u32 v4, v3, 23, 8
	v_cmp_ne_u32_e32 vcc, s2, v4
	s_and_saveexec_b64 s[10:11], vcc
; %bb.1756:
	s_mov_b32 s2, 0x3fffff
	v_lshrrev_b32_e32 v7, 23, v3
	v_and_b32_e32 v8, 0x400000, v3
	v_and_or_b32 v3, v3, s2, v4
	v_cmp_ne_u32_e32 vcc, 0, v8
	v_cmp_ne_u32_e64 s[2:3], 0, v3
	s_and_b64 s[2:3], vcc, s[2:3]
	v_cndmask_b32_e64 v3, 0, 1, s[2:3]
	v_add_u32_e32 v7, v7, v3
; %bb.1757:
	s_or_b64 exec, exec, s[10:11]
	s_mov_b64 s[2:3], 0
	s_mov_b64 s[10:11], -1
	global_store_byte v[1:2], v7, off
.LBB230_1758:
	s_mov_b64 s[12:13], 0
.LBB230_1759:
	s_and_b64 vcc, exec, s[12:13]
	s_cbranch_vccz .LBB230_1762
; %bb.1760:
	s_cmp_eq_u32 s21, 29
	s_mov_b64 s[2:3], -1
	s_cbranch_scc0 .LBB230_1762
; %bb.1761:
	v_bfe_i32 v3, v6, 0, 16
	v_ashrrev_i32_e32 v4, 31, v3
	global_store_dwordx2 v[1:2], v[3:4], off
	s_mov_b64 s[2:3], 0
	s_mov_b64 s[10:11], -1
.LBB230_1762:
	s_mov_b64 s[12:13], 0
.LBB230_1763:
	s_and_b64 vcc, exec, s[12:13]
	s_cbranch_vccz .LBB230_1779
; %bb.1764:
	s_cmp_lt_i32 s21, 27
	s_mov_b64 s[10:11], -1
	s_cbranch_scc1 .LBB230_1770
; %bb.1765:
	s_cmp_gt_i32 s21, 27
	s_cbranch_scc0 .LBB230_1767
; %bb.1766:
	v_bfe_i32 v3, v6, 0, 16
	s_mov_b64 s[10:11], 0
	global_store_dword v[1:2], v3, off
.LBB230_1767:
	s_andn2_b64 vcc, exec, s[10:11]
	s_cbranch_vccnz .LBB230_1769
; %bb.1768:
	global_store_short v[1:2], v6, off
.LBB230_1769:
	s_mov_b64 s[10:11], 0
.LBB230_1770:
	s_andn2_b64 vcc, exec, s[10:11]
	s_cbranch_vccnz .LBB230_1778
; %bb.1771:
	v_cvt_f32_i32_sdwa v3, sext(v6) dst_sel:DWORD dst_unused:UNUSED_PAD src0_sel:WORD_0
	s_mov_b32 s10, 0x43800000
	v_mov_b32_e32 v7, 0x80
	v_and_b32_e32 v4, 0x7fffffff, v3
	v_cmp_gt_u32_e32 vcc, s10, v4
	s_and_saveexec_b64 s[10:11], vcc
	s_cbranch_execz .LBB230_1777
; %bb.1772:
	s_mov_b32 s12, 0x3bffffff
	v_cmp_lt_u32_e32 vcc, s12, v4
	s_mov_b64 s[12:13], 0
                                        ; implicit-def: $vgpr4
	s_and_saveexec_b64 s[14:15], vcc
	s_xor_b64 s[14:15], exec, s[14:15]
	s_cbranch_execz .LBB230_1998
; %bb.1773:
	v_bfe_u32 v4, v3, 20, 1
	s_mov_b32 s24, 0x487ffff
	v_add3_u32 v4, v3, v4, s24
	s_mov_b64 s[12:13], exec
	v_lshrrev_b32_e32 v4, 20, v4
	s_andn2_saveexec_b64 s[14:15], s[14:15]
	s_cbranch_execnz .LBB230_1999
.LBB230_1774:
	s_or_b64 exec, exec, s[14:15]
	v_mov_b32_e32 v7, 0
	s_and_saveexec_b64 s[14:15], s[12:13]
.LBB230_1775:
	v_lshrrev_b32_e32 v3, 24, v3
	s_movk_i32 s12, 0x80
	v_and_or_b32 v7, v3, s12, v4
.LBB230_1776:
	s_or_b64 exec, exec, s[14:15]
.LBB230_1777:
	s_or_b64 exec, exec, s[10:11]
	global_store_byte v[1:2], v7, off
.LBB230_1778:
	s_mov_b64 s[10:11], -1
.LBB230_1779:
	s_mov_b64 s[12:13], 0
.LBB230_1780:
	s_and_b64 vcc, exec, s[12:13]
	s_cbranch_vccz .LBB230_1820
; %bb.1781:
	s_cmp_gt_i32 s21, 22
	s_mov_b64 s[4:5], -1
	s_cbranch_scc0 .LBB230_1813
; %bb.1782:
	s_cmp_lt_i32 s21, 24
	s_cbranch_scc1 .LBB230_1802
; %bb.1783:
	s_cmp_gt_i32 s21, 24
	s_cbranch_scc0 .LBB230_1791
; %bb.1784:
	v_cvt_f32_i32_sdwa v3, sext(v6) dst_sel:DWORD dst_unused:UNUSED_PAD src0_sel:WORD_0
	s_mov_b32 s4, 0x47800000
	v_mov_b32_e32 v7, 0x80
	v_and_b32_e32 v4, 0x7fffffff, v3
	v_cmp_gt_u32_e32 vcc, s4, v4
	s_and_saveexec_b64 s[4:5], vcc
	s_cbranch_execz .LBB230_1790
; %bb.1785:
	s_mov_b32 s10, 0x37ffffff
	v_cmp_lt_u32_e32 vcc, s10, v4
	s_mov_b64 s[10:11], 0
                                        ; implicit-def: $vgpr4
	s_and_saveexec_b64 s[12:13], vcc
	s_xor_b64 s[12:13], exec, s[12:13]
	s_cbranch_execz .LBB230_2001
; %bb.1786:
	v_bfe_u32 v4, v3, 21, 1
	s_mov_b32 s14, 0x88fffff
	v_add3_u32 v4, v3, v4, s14
	s_mov_b64 s[10:11], exec
	v_lshrrev_b32_e32 v4, 21, v4
	s_andn2_saveexec_b64 s[12:13], s[12:13]
	s_cbranch_execnz .LBB230_2002
.LBB230_1787:
	s_or_b64 exec, exec, s[12:13]
	v_mov_b32_e32 v7, 0
	s_and_saveexec_b64 s[12:13], s[10:11]
.LBB230_1788:
	v_lshrrev_b32_e32 v3, 24, v3
	s_movk_i32 s10, 0x80
	v_and_or_b32 v7, v3, s10, v4
.LBB230_1789:
	s_or_b64 exec, exec, s[12:13]
.LBB230_1790:
	s_or_b64 exec, exec, s[4:5]
	s_mov_b64 s[4:5], 0
	global_store_byte v[1:2], v7, off
.LBB230_1791:
	s_and_b64 vcc, exec, s[4:5]
	s_cbranch_vccz .LBB230_1801
; %bb.1792:
	v_cvt_f32_i32_sdwa v3, sext(v6) dst_sel:DWORD dst_unused:UNUSED_PAD src0_sel:WORD_0
	s_mov_b32 s4, 0x43f00000
                                        ; implicit-def: $vgpr4
	v_and_b32_e32 v7, 0x7fffffff, v3
	v_cmp_gt_u32_e32 vcc, s4, v7
	s_and_saveexec_b64 s[4:5], vcc
	s_xor_b64 s[4:5], exec, s[4:5]
	s_cbranch_execz .LBB230_1798
; %bb.1793:
	s_mov_b32 s10, 0x3c7fffff
	v_cmp_lt_u32_e32 vcc, s10, v7
                                        ; implicit-def: $vgpr4
	s_and_saveexec_b64 s[10:11], vcc
	s_xor_b64 s[10:11], exec, s[10:11]
; %bb.1794:
	v_bfe_u32 v4, v3, 20, 1
	s_mov_b32 s12, 0x407ffff
	v_add3_u32 v4, v3, v4, s12
	v_lshrrev_b32_e32 v7, 20, v4
	v_and_b32_e32 v4, 0xff00000, v4
	s_mov_b32 s12, 0x7f00000
	v_mov_b32_e32 v8, 0x7e
	v_cmp_ne_u32_e32 vcc, s12, v4
	v_cndmask_b32_e32 v4, v8, v7, vcc
; %bb.1795:
	s_andn2_saveexec_b64 s[10:11], s[10:11]
; %bb.1796:
	s_mov_b32 s12, 0x46800000
	v_add_f32_e64 v4, |v3|, s12
; %bb.1797:
	s_or_b64 exec, exec, s[10:11]
                                        ; implicit-def: $vgpr7
.LBB230_1798:
	s_andn2_saveexec_b64 s[4:5], s[4:5]
; %bb.1799:
	s_mov_b32 s10, 0x7f800000
	v_mov_b32_e32 v4, 0x7e
	v_mov_b32_e32 v8, 0x7f
	v_cmp_lt_u32_e32 vcc, s10, v7
	v_cndmask_b32_e32 v4, v4, v8, vcc
; %bb.1800:
	s_or_b64 exec, exec, s[4:5]
	v_lshrrev_b32_e32 v3, 24, v3
	s_movk_i32 s4, 0x80
	v_and_or_b32 v3, v3, s4, v4
	global_store_byte v[1:2], v3, off
.LBB230_1801:
	s_mov_b64 s[4:5], 0
.LBB230_1802:
	s_andn2_b64 vcc, exec, s[4:5]
	s_cbranch_vccnz .LBB230_1812
; %bb.1803:
	v_cvt_f32_i32_sdwa v3, sext(v6) dst_sel:DWORD dst_unused:UNUSED_PAD src0_sel:WORD_0
	s_mov_b32 s4, 0x47800000
                                        ; implicit-def: $vgpr4
	v_and_b32_e32 v7, 0x7fffffff, v3
	v_cmp_gt_u32_e32 vcc, s4, v7
	s_and_saveexec_b64 s[4:5], vcc
	s_xor_b64 s[4:5], exec, s[4:5]
	s_cbranch_execz .LBB230_1809
; %bb.1804:
	s_mov_b32 s10, 0x387fffff
	v_cmp_lt_u32_e32 vcc, s10, v7
                                        ; implicit-def: $vgpr4
	s_and_saveexec_b64 s[10:11], vcc
	s_xor_b64 s[10:11], exec, s[10:11]
; %bb.1805:
	v_bfe_u32 v4, v3, 21, 1
	s_mov_b32 s12, 0x80fffff
	v_add3_u32 v4, v3, v4, s12
	v_lshrrev_b32_e32 v4, 21, v4
; %bb.1806:
	s_andn2_saveexec_b64 s[10:11], s[10:11]
; %bb.1807:
	s_mov_b32 s12, 0x43000000
	v_add_f32_e64 v4, |v3|, s12
; %bb.1808:
	s_or_b64 exec, exec, s[10:11]
                                        ; implicit-def: $vgpr7
.LBB230_1809:
	s_andn2_saveexec_b64 s[4:5], s[4:5]
; %bb.1810:
	s_mov_b32 s10, 0x7f800000
	v_mov_b32_e32 v4, 0x7c
	v_mov_b32_e32 v8, 0x7f
	v_cmp_lt_u32_e32 vcc, s10, v7
	v_cndmask_b32_e32 v4, v4, v8, vcc
; %bb.1811:
	s_or_b64 exec, exec, s[4:5]
	v_lshrrev_b32_e32 v3, 24, v3
	s_movk_i32 s4, 0x80
	v_and_or_b32 v3, v3, s4, v4
	global_store_byte v[1:2], v3, off
.LBB230_1812:
	s_mov_b64 s[4:5], 0
	s_mov_b64 s[10:11], -1
.LBB230_1813:
	s_andn2_b64 vcc, exec, s[4:5]
	s_mov_b64 s[4:5], 0
	s_cbranch_vccnz .LBB230_1820
; %bb.1814:
	s_cmp_gt_i32 s21, 14
	s_mov_b64 s[12:13], -1
	s_cbranch_scc0 .LBB230_1818
; %bb.1815:
	s_cmp_eq_u32 s21, 15
	s_mov_b64 s[2:3], -1
	s_cbranch_scc0 .LBB230_1817
; %bb.1816:
	v_cvt_f32_i32_sdwa v3, sext(v6) dst_sel:DWORD dst_unused:UNUSED_PAD src0_sel:WORD_0
	s_movk_i32 s4, 0x7fff
	s_mov_b64 s[2:3], 0
	s_mov_b64 s[10:11], -1
	v_bfe_u32 v4, v3, 16, 1
	v_add3_u32 v3, v3, v4, s4
	global_store_short_d16_hi v[1:2], v3, off
.LBB230_1817:
	s_mov_b64 s[12:13], 0
.LBB230_1818:
	s_mov_b64 s[4:5], 0
	s_and_b64 vcc, exec, s[12:13]
	s_cbranch_vccz .LBB230_1820
; %bb.1819:
	s_cmp_lg_u32 s21, 11
	s_mov_b64 s[4:5], -1
	s_cselect_b64 s[2:3], -1, 0
.LBB230_1820:
	s_and_b64 vcc, exec, s[2:3]
	s_cbranch_vccnz .LBB230_2000
; %bb.1821:
	s_andn2_b64 vcc, exec, s[4:5]
	s_cbranch_vccnz .LBB230_1823
.LBB230_1822:
	v_cmp_ne_u16_e32 vcc, 0, v6
	v_cndmask_b32_e64 v3, 0, 1, vcc
	s_mov_b64 s[10:11], -1
	global_store_byte v[1:2], v3, off
.LBB230_1823:
	s_mov_b64 s[2:3], 0
	s_branch .LBB230_1825
.LBB230_1824:
	s_mov_b64 s[2:3], -1
	s_mov_b64 s[10:11], 0
.LBB230_1825:
	s_and_b64 vcc, exec, s[2:3]
	s_cbranch_vccz .LBB230_1864
; %bb.1826:
	s_and_b32 s4, 0xffff, s22
	s_cmp_lt_i32 s4, 5
	s_mov_b64 s[2:3], -1
	s_cbranch_scc1 .LBB230_1847
; %bb.1827:
	s_cmp_lt_i32 s4, 8
	s_cbranch_scc1 .LBB230_1837
; %bb.1828:
	s_cmp_lt_i32 s4, 9
	s_cbranch_scc1 .LBB230_1834
; %bb.1829:
	s_cmp_gt_i32 s4, 9
	s_cbranch_scc0 .LBB230_1831
; %bb.1830:
	v_bfe_i32 v3, v6, 0, 16
	v_cvt_f64_i32_e32 v[7:8], v3
	v_mov_b32_e32 v9, 0
	v_mov_b32_e32 v10, v9
	s_mov_b64 s[2:3], 0
	global_store_dwordx4 v[1:2], v[7:10], off
.LBB230_1831:
	s_andn2_b64 vcc, exec, s[2:3]
	s_cbranch_vccnz .LBB230_1833
; %bb.1832:
	v_cvt_f32_i32_sdwa v3, sext(v6) dst_sel:DWORD dst_unused:UNUSED_PAD src0_sel:WORD_0
	v_mov_b32_e32 v4, 0
	global_store_dwordx2 v[1:2], v[3:4], off
.LBB230_1833:
	s_mov_b64 s[2:3], 0
.LBB230_1834:
	s_andn2_b64 vcc, exec, s[2:3]
	s_cbranch_vccnz .LBB230_1836
; %bb.1835:
	v_cvt_f16_i16_e32 v3, v6
	global_store_dword v[1:2], v3, off
.LBB230_1836:
	s_mov_b64 s[2:3], 0
.LBB230_1837:
	s_andn2_b64 vcc, exec, s[2:3]
	s_cbranch_vccnz .LBB230_1846
; %bb.1838:
	s_cmp_lt_i32 s4, 6
	s_mov_b64 s[2:3], -1
	s_cbranch_scc1 .LBB230_1844
; %bb.1839:
	s_cmp_gt_i32 s4, 6
	s_cbranch_scc0 .LBB230_1841
; %bb.1840:
	v_bfe_i32 v3, v6, 0, 16
	v_cvt_f64_i32_e32 v[3:4], v3
	s_mov_b64 s[2:3], 0
	global_store_dwordx2 v[1:2], v[3:4], off
.LBB230_1841:
	s_andn2_b64 vcc, exec, s[2:3]
	s_cbranch_vccnz .LBB230_1843
; %bb.1842:
	v_cvt_f32_i32_sdwa v3, sext(v6) dst_sel:DWORD dst_unused:UNUSED_PAD src0_sel:WORD_0
	global_store_dword v[1:2], v3, off
.LBB230_1843:
	s_mov_b64 s[2:3], 0
.LBB230_1844:
	s_andn2_b64 vcc, exec, s[2:3]
	s_cbranch_vccnz .LBB230_1846
; %bb.1845:
	v_cvt_f16_i16_e32 v3, v6
	global_store_short v[1:2], v3, off
.LBB230_1846:
	s_mov_b64 s[2:3], 0
.LBB230_1847:
	s_andn2_b64 vcc, exec, s[2:3]
	s_cbranch_vccnz .LBB230_1863
; %bb.1848:
	s_cmp_lt_i32 s4, 2
	s_mov_b64 s[2:3], -1
	s_cbranch_scc1 .LBB230_1858
; %bb.1849:
	s_cmp_lt_i32 s4, 3
	s_cbranch_scc1 .LBB230_1855
; %bb.1850:
	s_cmp_gt_i32 s4, 3
	v_bfe_i32 v3, v6, 0, 16
	s_cbranch_scc0 .LBB230_1852
; %bb.1851:
	v_ashrrev_i32_e32 v4, 31, v3
	global_store_dwordx2 v[1:2], v[3:4], off
	s_mov_b64 s[2:3], 0
.LBB230_1852:
	s_andn2_b64 vcc, exec, s[2:3]
	s_cbranch_vccnz .LBB230_1854
; %bb.1853:
	global_store_dword v[1:2], v3, off
.LBB230_1854:
	s_mov_b64 s[2:3], 0
.LBB230_1855:
	s_andn2_b64 vcc, exec, s[2:3]
	s_cbranch_vccnz .LBB230_1857
; %bb.1856:
	global_store_short v[1:2], v6, off
.LBB230_1857:
	s_mov_b64 s[2:3], 0
.LBB230_1858:
	s_andn2_b64 vcc, exec, s[2:3]
	s_cbranch_vccnz .LBB230_1863
; %bb.1859:
	s_cmp_gt_i32 s4, 0
	s_mov_b64 s[2:3], -1
	s_cbranch_scc0 .LBB230_1861
; %bb.1860:
	global_store_byte v[1:2], v6, off
	s_mov_b64 s[2:3], 0
.LBB230_1861:
	s_andn2_b64 vcc, exec, s[2:3]
	s_cbranch_vccnz .LBB230_1863
; %bb.1862:
	global_store_byte v[1:2], v6, off
.LBB230_1863:
	s_mov_b64 s[10:11], -1
.LBB230_1864:
	s_andn2_b64 vcc, exec, s[10:11]
	s_cbranch_vccnz .LBB230_1941
; %bb.1865:
	v_ashrrev_i16_e32 v1, 15, v0
	v_ashrrev_i32_sdwa v0, s23, sext(v0) dst_sel:DWORD dst_unused:UNUSED_PAD src0_sel:DWORD src1_sel:WORD_0
	v_cndmask_b32_e64 v4, v0, v1, s[0:1]
	v_add_u32_e32 v0, s20, v5
	v_ashrrev_i32_e32 v1, 31, v0
	v_mov_b32_e32 v2, s9
	v_add_co_u32_e32 v0, vcc, s8, v0
	s_cmp_lt_i32 s22, 11
	v_addc_co_u32_e32 v1, vcc, v2, v1, vcc
	s_cbranch_scc1 .LBB230_1986
; %bb.1866:
	s_and_b32 s12, 0xffff, s22
	s_mov_b64 s[4:5], -1
	s_mov_b64 s[2:3], 0
	s_cmp_gt_i32 s12, 25
	s_mov_b64 s[0:1], 0
	s_cbranch_scc0 .LBB230_1899
; %bb.1867:
	s_cmp_gt_i32 s12, 28
	s_cbranch_scc0 .LBB230_1883
; %bb.1868:
	s_cmp_gt_i32 s12, 43
	;; [unrolled: 3-line block ×3, first 2 shown]
	s_cbranch_scc0 .LBB230_1873
; %bb.1870:
	s_cmp_eq_u32 s12, 46
	s_mov_b64 s[0:1], -1
	s_cbranch_scc0 .LBB230_1872
; %bb.1871:
	v_cvt_f32_i32_sdwa v2, sext(v4) dst_sel:DWORD dst_unused:UNUSED_PAD src0_sel:WORD_0
	s_movk_i32 s0, 0x7fff
	v_bfe_u32 v3, v2, 16, 1
	v_add3_u32 v2, v2, v3, s0
	v_lshrrev_b32_e32 v2, 16, v2
	global_store_dword v[0:1], v2, off
	s_mov_b64 s[0:1], 0
.LBB230_1872:
	s_mov_b64 s[4:5], 0
.LBB230_1873:
	s_and_b64 vcc, exec, s[4:5]
	s_cbranch_vccz .LBB230_1878
; %bb.1874:
	s_cmp_eq_u32 s12, 44
	s_mov_b64 s[0:1], -1
	s_cbranch_scc0 .LBB230_1878
; %bb.1875:
	v_cvt_f32_i32_sdwa v2, sext(v4) dst_sel:DWORD dst_unused:UNUSED_PAD src0_sel:WORD_0
	s_movk_i32 s0, 0xff
	v_mov_b32_e32 v5, 0xff
	v_bfe_u32 v3, v2, 23, 8
	v_cmp_ne_u32_e32 vcc, s0, v3
	s_and_saveexec_b64 s[4:5], vcc
; %bb.1876:
	s_mov_b32 s0, 0x3fffff
	v_lshrrev_b32_e32 v5, 23, v2
	v_and_b32_e32 v6, 0x400000, v2
	v_and_or_b32 v2, v2, s0, v3
	v_cmp_ne_u32_e32 vcc, 0, v6
	v_cmp_ne_u32_e64 s[0:1], 0, v2
	s_and_b64 s[0:1], vcc, s[0:1]
	v_cndmask_b32_e64 v2, 0, 1, s[0:1]
	v_add_u32_e32 v5, v5, v2
; %bb.1877:
	s_or_b64 exec, exec, s[4:5]
	s_mov_b64 s[0:1], 0
	global_store_byte v[0:1], v5, off
.LBB230_1878:
	s_mov_b64 s[4:5], 0
.LBB230_1879:
	s_and_b64 vcc, exec, s[4:5]
	s_cbranch_vccz .LBB230_1882
; %bb.1880:
	s_cmp_eq_u32 s12, 29
	s_mov_b64 s[0:1], -1
	s_cbranch_scc0 .LBB230_1882
; %bb.1881:
	v_bfe_i32 v2, v4, 0, 16
	v_ashrrev_i32_e32 v3, 31, v2
	global_store_dwordx2 v[0:1], v[2:3], off
	s_mov_b64 s[0:1], 0
.LBB230_1882:
	s_mov_b64 s[4:5], 0
.LBB230_1883:
	s_and_b64 vcc, exec, s[4:5]
	s_cbranch_vccz .LBB230_1898
; %bb.1884:
	s_cmp_lt_i32 s12, 27
	s_mov_b64 s[4:5], -1
	s_cbranch_scc1 .LBB230_1890
; %bb.1885:
	s_cmp_gt_i32 s12, 27
	s_cbranch_scc0 .LBB230_1887
; %bb.1886:
	v_bfe_i32 v2, v4, 0, 16
	global_store_dword v[0:1], v2, off
	s_mov_b64 s[4:5], 0
.LBB230_1887:
	s_andn2_b64 vcc, exec, s[4:5]
	s_cbranch_vccnz .LBB230_1889
; %bb.1888:
	global_store_short v[0:1], v4, off
.LBB230_1889:
	s_mov_b64 s[4:5], 0
.LBB230_1890:
	s_andn2_b64 vcc, exec, s[4:5]
	s_cbranch_vccnz .LBB230_1898
; %bb.1891:
	v_cvt_f32_i32_sdwa v2, sext(v4) dst_sel:DWORD dst_unused:UNUSED_PAD src0_sel:WORD_0
	s_mov_b32 s4, 0x43800000
	v_mov_b32_e32 v5, 0x80
	v_and_b32_e32 v3, 0x7fffffff, v2
	v_cmp_gt_u32_e32 vcc, s4, v3
	s_and_saveexec_b64 s[4:5], vcc
	s_cbranch_execz .LBB230_1897
; %bb.1892:
	s_mov_b32 s8, 0x3bffffff
	v_cmp_lt_u32_e32 vcc, s8, v3
	s_mov_b64 s[8:9], 0
                                        ; implicit-def: $vgpr3
	s_and_saveexec_b64 s[10:11], vcc
	s_xor_b64 s[10:11], exec, s[10:11]
	s_cbranch_execz .LBB230_2003
; %bb.1893:
	v_bfe_u32 v3, v2, 20, 1
	s_mov_b32 s13, 0x487ffff
	v_add3_u32 v3, v2, v3, s13
	s_mov_b64 s[8:9], exec
	v_lshrrev_b32_e32 v3, 20, v3
	s_andn2_saveexec_b64 s[10:11], s[10:11]
	s_cbranch_execnz .LBB230_2004
.LBB230_1894:
	s_or_b64 exec, exec, s[10:11]
	v_mov_b32_e32 v5, 0
	s_and_saveexec_b64 s[10:11], s[8:9]
.LBB230_1895:
	v_lshrrev_b32_e32 v2, 24, v2
	s_movk_i32 s8, 0x80
	v_and_or_b32 v5, v2, s8, v3
.LBB230_1896:
	s_or_b64 exec, exec, s[10:11]
.LBB230_1897:
	s_or_b64 exec, exec, s[4:5]
	global_store_byte v[0:1], v5, off
.LBB230_1898:
	s_mov_b64 s[4:5], 0
.LBB230_1899:
	s_and_b64 vcc, exec, s[4:5]
	s_cbranch_vccz .LBB230_1939
; %bb.1900:
	s_cmp_gt_i32 s12, 22
	s_mov_b64 s[2:3], -1
	s_cbranch_scc0 .LBB230_1932
; %bb.1901:
	s_cmp_lt_i32 s12, 24
	s_cbranch_scc1 .LBB230_1921
; %bb.1902:
	s_cmp_gt_i32 s12, 24
	s_cbranch_scc0 .LBB230_1910
; %bb.1903:
	v_cvt_f32_i32_sdwa v2, sext(v4) dst_sel:DWORD dst_unused:UNUSED_PAD src0_sel:WORD_0
	s_mov_b32 s2, 0x47800000
	v_mov_b32_e32 v5, 0x80
	v_and_b32_e32 v3, 0x7fffffff, v2
	v_cmp_gt_u32_e32 vcc, s2, v3
	s_and_saveexec_b64 s[2:3], vcc
	s_cbranch_execz .LBB230_1909
; %bb.1904:
	s_mov_b32 s4, 0x37ffffff
	v_cmp_lt_u32_e32 vcc, s4, v3
	s_mov_b64 s[4:5], 0
                                        ; implicit-def: $vgpr3
	s_and_saveexec_b64 s[8:9], vcc
	s_xor_b64 s[8:9], exec, s[8:9]
	s_cbranch_execz .LBB230_2006
; %bb.1905:
	v_bfe_u32 v3, v2, 21, 1
	s_mov_b32 s10, 0x88fffff
	v_add3_u32 v3, v2, v3, s10
	s_mov_b64 s[4:5], exec
	v_lshrrev_b32_e32 v3, 21, v3
	s_andn2_saveexec_b64 s[8:9], s[8:9]
	s_cbranch_execnz .LBB230_2007
.LBB230_1906:
	s_or_b64 exec, exec, s[8:9]
	v_mov_b32_e32 v5, 0
	s_and_saveexec_b64 s[8:9], s[4:5]
.LBB230_1907:
	v_lshrrev_b32_e32 v2, 24, v2
	s_movk_i32 s4, 0x80
	v_and_or_b32 v5, v2, s4, v3
.LBB230_1908:
	s_or_b64 exec, exec, s[8:9]
.LBB230_1909:
	s_or_b64 exec, exec, s[2:3]
	s_mov_b64 s[2:3], 0
	global_store_byte v[0:1], v5, off
.LBB230_1910:
	s_and_b64 vcc, exec, s[2:3]
	s_cbranch_vccz .LBB230_1920
; %bb.1911:
	v_cvt_f32_i32_sdwa v2, sext(v4) dst_sel:DWORD dst_unused:UNUSED_PAD src0_sel:WORD_0
	s_mov_b32 s2, 0x43f00000
                                        ; implicit-def: $vgpr3
	v_and_b32_e32 v5, 0x7fffffff, v2
	v_cmp_gt_u32_e32 vcc, s2, v5
	s_and_saveexec_b64 s[2:3], vcc
	s_xor_b64 s[2:3], exec, s[2:3]
	s_cbranch_execz .LBB230_1917
; %bb.1912:
	s_mov_b32 s4, 0x3c7fffff
	v_cmp_lt_u32_e32 vcc, s4, v5
                                        ; implicit-def: $vgpr3
	s_and_saveexec_b64 s[4:5], vcc
	s_xor_b64 s[4:5], exec, s[4:5]
; %bb.1913:
	v_bfe_u32 v3, v2, 20, 1
	s_mov_b32 s8, 0x407ffff
	v_add3_u32 v3, v2, v3, s8
	v_lshrrev_b32_e32 v5, 20, v3
	v_and_b32_e32 v3, 0xff00000, v3
	s_mov_b32 s8, 0x7f00000
	v_mov_b32_e32 v6, 0x7e
	v_cmp_ne_u32_e32 vcc, s8, v3
	v_cndmask_b32_e32 v3, v6, v5, vcc
; %bb.1914:
	s_andn2_saveexec_b64 s[4:5], s[4:5]
; %bb.1915:
	s_mov_b32 s8, 0x46800000
	v_add_f32_e64 v3, |v2|, s8
; %bb.1916:
	s_or_b64 exec, exec, s[4:5]
                                        ; implicit-def: $vgpr5
.LBB230_1917:
	s_andn2_saveexec_b64 s[2:3], s[2:3]
; %bb.1918:
	s_mov_b32 s4, 0x7f800000
	v_mov_b32_e32 v3, 0x7e
	v_mov_b32_e32 v6, 0x7f
	v_cmp_lt_u32_e32 vcc, s4, v5
	v_cndmask_b32_e32 v3, v3, v6, vcc
; %bb.1919:
	s_or_b64 exec, exec, s[2:3]
	v_lshrrev_b32_e32 v2, 24, v2
	s_movk_i32 s2, 0x80
	v_and_or_b32 v2, v2, s2, v3
	global_store_byte v[0:1], v2, off
.LBB230_1920:
	s_mov_b64 s[2:3], 0
.LBB230_1921:
	s_andn2_b64 vcc, exec, s[2:3]
	s_cbranch_vccnz .LBB230_1931
; %bb.1922:
	v_cvt_f32_i32_sdwa v2, sext(v4) dst_sel:DWORD dst_unused:UNUSED_PAD src0_sel:WORD_0
	s_mov_b32 s2, 0x47800000
                                        ; implicit-def: $vgpr3
	v_and_b32_e32 v5, 0x7fffffff, v2
	v_cmp_gt_u32_e32 vcc, s2, v5
	s_and_saveexec_b64 s[2:3], vcc
	s_xor_b64 s[2:3], exec, s[2:3]
	s_cbranch_execz .LBB230_1928
; %bb.1923:
	s_mov_b32 s4, 0x387fffff
	v_cmp_lt_u32_e32 vcc, s4, v5
                                        ; implicit-def: $vgpr3
	s_and_saveexec_b64 s[4:5], vcc
	s_xor_b64 s[4:5], exec, s[4:5]
; %bb.1924:
	v_bfe_u32 v3, v2, 21, 1
	s_mov_b32 s8, 0x80fffff
	v_add3_u32 v3, v2, v3, s8
	v_lshrrev_b32_e32 v3, 21, v3
; %bb.1925:
	s_andn2_saveexec_b64 s[4:5], s[4:5]
; %bb.1926:
	s_mov_b32 s8, 0x43000000
	v_add_f32_e64 v3, |v2|, s8
; %bb.1927:
	s_or_b64 exec, exec, s[4:5]
                                        ; implicit-def: $vgpr5
.LBB230_1928:
	s_andn2_saveexec_b64 s[2:3], s[2:3]
; %bb.1929:
	s_mov_b32 s4, 0x7f800000
	v_mov_b32_e32 v3, 0x7c
	v_mov_b32_e32 v6, 0x7f
	v_cmp_lt_u32_e32 vcc, s4, v5
	v_cndmask_b32_e32 v3, v3, v6, vcc
; %bb.1930:
	s_or_b64 exec, exec, s[2:3]
	v_lshrrev_b32_e32 v2, 24, v2
	s_movk_i32 s2, 0x80
	v_and_or_b32 v2, v2, s2, v3
	global_store_byte v[0:1], v2, off
.LBB230_1931:
	s_mov_b64 s[2:3], 0
.LBB230_1932:
	s_andn2_b64 vcc, exec, s[2:3]
	s_mov_b64 s[2:3], 0
	s_cbranch_vccnz .LBB230_1939
; %bb.1933:
	s_cmp_gt_i32 s12, 14
	s_mov_b64 s[4:5], -1
	s_cbranch_scc0 .LBB230_1937
; %bb.1934:
	s_cmp_eq_u32 s12, 15
	s_mov_b64 s[0:1], -1
	s_cbranch_scc0 .LBB230_1936
; %bb.1935:
	v_cvt_f32_i32_sdwa v2, sext(v4) dst_sel:DWORD dst_unused:UNUSED_PAD src0_sel:WORD_0
	s_movk_i32 s0, 0x7fff
	v_bfe_u32 v3, v2, 16, 1
	v_add3_u32 v2, v2, v3, s0
	global_store_short_d16_hi v[0:1], v2, off
	s_mov_b64 s[0:1], 0
.LBB230_1936:
	s_mov_b64 s[4:5], 0
.LBB230_1937:
	s_and_b64 vcc, exec, s[4:5]
	s_cbranch_vccz .LBB230_1939
; %bb.1938:
	s_cmp_lg_u32 s12, 11
	s_mov_b64 s[2:3], -1
	s_cselect_b64 s[0:1], -1, 0
.LBB230_1939:
	s_and_b64 vcc, exec, s[0:1]
	s_cbranch_vccnz .LBB230_2005
.LBB230_1940:
	s_mov_b64 s[0:1], 0
	s_branch .LBB230_1942
.LBB230_1941:
	s_mov_b64 s[0:1], 0
	s_mov_b64 s[2:3], 0
                                        ; implicit-def: $sgpr22
                                        ; implicit-def: $vgpr0_vgpr1
                                        ; implicit-def: $vgpr4
.LBB230_1942:
	s_and_b64 s[4:5], s[2:3], exec
	s_andn2_b64 s[2:3], s[16:17], exec
	s_and_b64 s[8:9], s[18:19], exec
	s_and_b64 s[0:1], s[0:1], exec
	s_or_b64 s[16:17], s[2:3], s[8:9]
.LBB230_1943:
	s_or_b64 exec, exec, s[6:7]
	s_and_saveexec_b64 s[2:3], s[16:17]
	s_cbranch_execz .LBB230_1946
; %bb.1944:
	; divergent unreachable
	s_or_b64 exec, exec, s[2:3]
	s_and_saveexec_b64 s[2:3], s[4:5]
	s_xor_b64 s[2:3], exec, s[2:3]
	s_cbranch_execnz .LBB230_1947
.LBB230_1945:
	s_or_b64 exec, exec, s[2:3]
	s_and_saveexec_b64 s[2:3], s[0:1]
	s_cbranch_execnz .LBB230_1948
	s_branch .LBB230_1985
.LBB230_1946:
	s_or_b64 exec, exec, s[2:3]
	s_and_saveexec_b64 s[2:3], s[4:5]
	s_xor_b64 s[2:3], exec, s[2:3]
	s_cbranch_execz .LBB230_1945
.LBB230_1947:
	s_waitcnt vmcnt(0)
	v_cmp_ne_u16_e32 vcc, 0, v4
	v_cndmask_b32_e64 v2, 0, 1, vcc
	global_store_byte v[0:1], v2, off
	s_or_b64 exec, exec, s[2:3]
	s_and_saveexec_b64 s[2:3], s[0:1]
	s_cbranch_execz .LBB230_1985
.LBB230_1948:
	s_sext_i32_i16 s2, s22
	s_cmp_lt_i32 s2, 5
	s_mov_b64 s[0:1], -1
	s_cbranch_scc1 .LBB230_1969
; %bb.1949:
	s_cmp_lt_i32 s2, 8
	s_cbranch_scc1 .LBB230_1959
; %bb.1950:
	s_cmp_lt_i32 s2, 9
	s_cbranch_scc1 .LBB230_1956
; %bb.1951:
	s_cmp_gt_i32 s2, 9
	s_cbranch_scc0 .LBB230_1953
; %bb.1952:
	s_waitcnt vmcnt(0)
	v_bfe_i32 v2, v4, 0, 16
	v_cvt_f64_i32_e32 v[5:6], v2
	v_mov_b32_e32 v7, 0
	v_mov_b32_e32 v8, v7
	s_mov_b64 s[0:1], 0
	global_store_dwordx4 v[0:1], v[5:8], off
.LBB230_1953:
	s_andn2_b64 vcc, exec, s[0:1]
	s_cbranch_vccnz .LBB230_1955
; %bb.1954:
	s_waitcnt vmcnt(0)
	v_cvt_f32_i32_sdwa v2, sext(v4) dst_sel:DWORD dst_unused:UNUSED_PAD src0_sel:WORD_0
	v_mov_b32_e32 v3, 0
	global_store_dwordx2 v[0:1], v[2:3], off
.LBB230_1955:
	s_mov_b64 s[0:1], 0
.LBB230_1956:
	s_andn2_b64 vcc, exec, s[0:1]
	s_cbranch_vccnz .LBB230_1958
; %bb.1957:
	s_waitcnt vmcnt(0)
	v_cvt_f16_i16_e32 v2, v4
	global_store_dword v[0:1], v2, off
.LBB230_1958:
	s_mov_b64 s[0:1], 0
.LBB230_1959:
	s_andn2_b64 vcc, exec, s[0:1]
	s_cbranch_vccnz .LBB230_1968
; %bb.1960:
	s_sext_i32_i16 s2, s22
	s_cmp_lt_i32 s2, 6
	s_mov_b64 s[0:1], -1
	s_cbranch_scc1 .LBB230_1966
; %bb.1961:
	s_cmp_gt_i32 s2, 6
	s_cbranch_scc0 .LBB230_1963
; %bb.1962:
	s_waitcnt vmcnt(0)
	v_bfe_i32 v2, v4, 0, 16
	v_cvt_f64_i32_e32 v[2:3], v2
	s_mov_b64 s[0:1], 0
	global_store_dwordx2 v[0:1], v[2:3], off
.LBB230_1963:
	s_andn2_b64 vcc, exec, s[0:1]
	s_cbranch_vccnz .LBB230_1965
; %bb.1964:
	s_waitcnt vmcnt(0)
	v_cvt_f32_i32_sdwa v2, sext(v4) dst_sel:DWORD dst_unused:UNUSED_PAD src0_sel:WORD_0
	global_store_dword v[0:1], v2, off
.LBB230_1965:
	s_mov_b64 s[0:1], 0
.LBB230_1966:
	s_andn2_b64 vcc, exec, s[0:1]
	s_cbranch_vccnz .LBB230_1968
; %bb.1967:
	s_waitcnt vmcnt(0)
	v_cvt_f16_i16_e32 v2, v4
	global_store_short v[0:1], v2, off
.LBB230_1968:
	s_mov_b64 s[0:1], 0
.LBB230_1969:
	s_andn2_b64 vcc, exec, s[0:1]
	s_cbranch_vccnz .LBB230_1985
; %bb.1970:
	s_sext_i32_i16 s2, s22
	s_cmp_lt_i32 s2, 2
	s_mov_b64 s[0:1], -1
	s_cbranch_scc1 .LBB230_1980
; %bb.1971:
	s_cmp_lt_i32 s2, 3
	s_cbranch_scc1 .LBB230_1977
; %bb.1972:
	s_cmp_gt_i32 s2, 3
	s_waitcnt vmcnt(0)
	v_bfe_i32 v2, v4, 0, 16
	s_cbranch_scc0 .LBB230_1974
; %bb.1973:
	v_ashrrev_i32_e32 v3, 31, v2
	global_store_dwordx2 v[0:1], v[2:3], off
	s_mov_b64 s[0:1], 0
.LBB230_1974:
	s_andn2_b64 vcc, exec, s[0:1]
	s_cbranch_vccnz .LBB230_1976
; %bb.1975:
	global_store_dword v[0:1], v2, off
.LBB230_1976:
	s_mov_b64 s[0:1], 0
.LBB230_1977:
	s_andn2_b64 vcc, exec, s[0:1]
	s_cbranch_vccnz .LBB230_1979
; %bb.1978:
	s_waitcnt vmcnt(0)
	global_store_short v[0:1], v4, off
.LBB230_1979:
	s_mov_b64 s[0:1], 0
.LBB230_1980:
	s_andn2_b64 vcc, exec, s[0:1]
	s_cbranch_vccnz .LBB230_1985
; %bb.1981:
	s_sext_i32_i16 s0, s22
	s_cmp_gt_i32 s0, 0
	s_mov_b64 s[0:1], -1
	s_cbranch_scc0 .LBB230_1983
; %bb.1982:
	s_waitcnt vmcnt(0)
	global_store_byte v[0:1], v4, off
	s_mov_b64 s[0:1], 0
.LBB230_1983:
	s_andn2_b64 vcc, exec, s[0:1]
	s_cbranch_vccnz .LBB230_1985
; %bb.1984:
	s_waitcnt vmcnt(0)
	global_store_byte v[0:1], v4, off
	s_endpgm
.LBB230_1985:
	s_endpgm
.LBB230_1986:
	s_mov_b64 s[2:3], 0
	s_mov_b64 s[0:1], -1
	s_branch .LBB230_1942
.LBB230_1987:
	s_trap 2
	s_or_b64 s[18:19], s[18:19], exec
	s_cbranch_execz .LBB230_1456
	s_branch .LBB230_1457
.LBB230_1988:
	s_andn2_saveexec_b64 s[20:21], s[20:21]
	s_cbranch_execz .LBB230_1536
.LBB230_1989:
	s_mov_b32 s24, 0x46000000
	v_add_f32_e64 v8, |v7|, s24
	v_and_b32_e32 v8, 0xff, v8
	v_cmp_ne_u32_e32 vcc, 0, v8
	s_andn2_b64 s[14:15], s[14:15], exec
	s_and_b64 s[24:25], vcc, exec
	s_or_b64 s[14:15], s[14:15], s[24:25]
	s_or_b64 exec, exec, s[20:21]
	v_mov_b32_e32 v9, 0
	s_and_saveexec_b64 s[20:21], s[14:15]
	s_cbranch_execnz .LBB230_1537
	s_branch .LBB230_1538
.LBB230_1990:
	s_trap 2
	s_or_b64 s[18:19], s[18:19], exec
	s_cbranch_execz .LBB230_1584
	s_branch .LBB230_1585
.LBB230_1991:
	s_andn2_saveexec_b64 s[14:15], s[14:15]
	s_cbranch_execz .LBB230_1549
.LBB230_1992:
	s_mov_b32 s20, 0x42800000
	v_add_f32_e64 v8, |v7|, s20
	v_and_b32_e32 v8, 0xff, v8
	v_cmp_ne_u32_e32 vcc, 0, v8
	s_andn2_b64 s[10:11], s[10:11], exec
	s_and_b64 s[20:21], vcc, exec
	s_or_b64 s[10:11], s[10:11], s[20:21]
	s_or_b64 exec, exec, s[14:15]
	v_mov_b32_e32 v9, 0
	s_and_saveexec_b64 s[14:15], s[10:11]
	s_cbranch_execnz .LBB230_1550
	s_branch .LBB230_1551
.LBB230_1993:
	s_andn2_saveexec_b64 s[14:15], s[14:15]
	s_cbranch_execz .LBB230_1655
.LBB230_1994:
	s_mov_b32 s24, 0x46000000
	v_add_f32_e64 v6, |v5|, s24
	v_and_b32_e32 v6, 0xff, v6
	v_cmp_ne_u32_e32 vcc, 0, v6
	s_andn2_b64 s[12:13], s[12:13], exec
	s_and_b64 s[24:25], vcc, exec
	s_or_b64 s[12:13], s[12:13], s[24:25]
	s_or_b64 exec, exec, s[14:15]
	v_mov_b32_e32 v8, 0
	s_and_saveexec_b64 s[14:15], s[12:13]
	s_cbranch_execnz .LBB230_1656
	s_branch .LBB230_1657
.LBB230_1995:
	s_trap 2
	s_or_b64 s[18:19], s[18:19], exec
	s_cbranch_execz .LBB230_1703
	s_branch .LBB230_1704
.LBB230_1996:
	s_andn2_saveexec_b64 s[12:13], s[12:13]
	s_cbranch_execz .LBB230_1668
.LBB230_1997:
	s_mov_b32 s14, 0x42800000
	v_add_f32_e64 v6, |v5|, s14
	v_and_b32_e32 v6, 0xff, v6
	v_cmp_ne_u32_e32 vcc, 0, v6
	s_andn2_b64 s[10:11], s[10:11], exec
	s_and_b64 s[14:15], vcc, exec
	s_or_b64 s[10:11], s[10:11], s[14:15]
	s_or_b64 exec, exec, s[12:13]
	v_mov_b32_e32 v8, 0
	s_and_saveexec_b64 s[12:13], s[10:11]
	s_cbranch_execnz .LBB230_1669
	s_branch .LBB230_1670
.LBB230_1998:
	s_andn2_saveexec_b64 s[14:15], s[14:15]
	s_cbranch_execz .LBB230_1774
.LBB230_1999:
	s_mov_b32 s24, 0x46000000
	v_add_f32_e64 v4, |v3|, s24
	v_and_b32_e32 v4, 0xff, v4
	v_cmp_ne_u32_e32 vcc, 0, v4
	s_andn2_b64 s[12:13], s[12:13], exec
	s_and_b64 s[24:25], vcc, exec
	s_or_b64 s[12:13], s[12:13], s[24:25]
	s_or_b64 exec, exec, s[14:15]
	v_mov_b32_e32 v7, 0
	s_and_saveexec_b64 s[14:15], s[12:13]
	s_cbranch_execnz .LBB230_1775
	s_branch .LBB230_1776
.LBB230_2000:
	s_trap 2
	s_or_b64 s[18:19], s[18:19], exec
	s_cbranch_execz .LBB230_1822
	s_branch .LBB230_1823
.LBB230_2001:
	s_andn2_saveexec_b64 s[12:13], s[12:13]
	s_cbranch_execz .LBB230_1787
.LBB230_2002:
	s_mov_b32 s14, 0x42800000
	v_add_f32_e64 v4, |v3|, s14
	v_and_b32_e32 v4, 0xff, v4
	v_cmp_ne_u32_e32 vcc, 0, v4
	s_andn2_b64 s[10:11], s[10:11], exec
	s_and_b64 s[14:15], vcc, exec
	s_or_b64 s[10:11], s[10:11], s[14:15]
	s_or_b64 exec, exec, s[12:13]
	v_mov_b32_e32 v7, 0
	s_and_saveexec_b64 s[12:13], s[10:11]
	s_cbranch_execnz .LBB230_1788
	s_branch .LBB230_1789
.LBB230_2003:
	s_andn2_saveexec_b64 s[10:11], s[10:11]
	s_cbranch_execz .LBB230_1894
.LBB230_2004:
	s_mov_b32 s13, 0x46000000
	v_add_f32_e64 v3, |v2|, s13
	v_and_b32_e32 v3, 0xff, v3
	v_cmp_ne_u32_e32 vcc, 0, v3
	s_andn2_b64 s[8:9], s[8:9], exec
	s_and_b64 s[14:15], vcc, exec
	s_or_b64 s[8:9], s[8:9], s[14:15]
	s_or_b64 exec, exec, s[10:11]
	v_mov_b32_e32 v5, 0
	s_and_saveexec_b64 s[10:11], s[8:9]
	s_cbranch_execnz .LBB230_1895
	s_branch .LBB230_1896
.LBB230_2005:
	s_mov_b64 s[2:3], 0
	s_or_b64 s[18:19], s[18:19], exec
	s_trap 2
	s_branch .LBB230_1940
.LBB230_2006:
	s_andn2_saveexec_b64 s[8:9], s[8:9]
	s_cbranch_execz .LBB230_1906
.LBB230_2007:
	s_mov_b32 s10, 0x42800000
	v_add_f32_e64 v3, |v2|, s10
	v_and_b32_e32 v3, 0xff, v3
	v_cmp_ne_u32_e32 vcc, 0, v3
	s_andn2_b64 s[4:5], s[4:5], exec
	s_and_b64 s[10:11], vcc, exec
	s_or_b64 s[4:5], s[4:5], s[10:11]
	s_or_b64 exec, exec, s[8:9]
	v_mov_b32_e32 v5, 0
	s_and_saveexec_b64 s[8:9], s[4:5]
	s_cbranch_execnz .LBB230_1907
	s_branch .LBB230_1908
	.section	.rodata,"a",@progbits
	.p2align	6, 0x0
	.amdhsa_kernel _ZN2at6native32elementwise_kernel_manual_unrollILi128ELi4EZNS0_15gpu_kernel_implINS0_13BUnaryFunctorIsssZZZNS0_18rshift_kernel_cudaERNS_18TensorIteratorBaseEENKUlvE_clEvENKUlvE3_clEvEUlssE_EEEEvS5_RKT_EUlibE_EEviT1_
		.amdhsa_group_segment_fixed_size 0
		.amdhsa_private_segment_fixed_size 0
		.amdhsa_kernarg_size 40
		.amdhsa_user_sgpr_count 6
		.amdhsa_user_sgpr_private_segment_buffer 1
		.amdhsa_user_sgpr_dispatch_ptr 0
		.amdhsa_user_sgpr_queue_ptr 0
		.amdhsa_user_sgpr_kernarg_segment_ptr 1
		.amdhsa_user_sgpr_dispatch_id 0
		.amdhsa_user_sgpr_flat_scratch_init 0
		.amdhsa_user_sgpr_private_segment_size 0
		.amdhsa_uses_dynamic_stack 0
		.amdhsa_system_sgpr_private_segment_wavefront_offset 0
		.amdhsa_system_sgpr_workgroup_id_x 1
		.amdhsa_system_sgpr_workgroup_id_y 0
		.amdhsa_system_sgpr_workgroup_id_z 0
		.amdhsa_system_sgpr_workgroup_info 0
		.amdhsa_system_vgpr_workitem_id 0
		.amdhsa_next_free_vgpr 12
		.amdhsa_next_free_sgpr 50
		.amdhsa_reserve_vcc 1
		.amdhsa_reserve_flat_scratch 0
		.amdhsa_float_round_mode_32 0
		.amdhsa_float_round_mode_16_64 0
		.amdhsa_float_denorm_mode_32 3
		.amdhsa_float_denorm_mode_16_64 3
		.amdhsa_dx10_clamp 1
		.amdhsa_ieee_mode 1
		.amdhsa_fp16_overflow 0
		.amdhsa_exception_fp_ieee_invalid_op 0
		.amdhsa_exception_fp_denorm_src 0
		.amdhsa_exception_fp_ieee_div_zero 0
		.amdhsa_exception_fp_ieee_overflow 0
		.amdhsa_exception_fp_ieee_underflow 0
		.amdhsa_exception_fp_ieee_inexact 0
		.amdhsa_exception_int_div_zero 0
	.end_amdhsa_kernel
	.section	.text._ZN2at6native32elementwise_kernel_manual_unrollILi128ELi4EZNS0_15gpu_kernel_implINS0_13BUnaryFunctorIsssZZZNS0_18rshift_kernel_cudaERNS_18TensorIteratorBaseEENKUlvE_clEvENKUlvE3_clEvEUlssE_EEEEvS5_RKT_EUlibE_EEviT1_,"axG",@progbits,_ZN2at6native32elementwise_kernel_manual_unrollILi128ELi4EZNS0_15gpu_kernel_implINS0_13BUnaryFunctorIsssZZZNS0_18rshift_kernel_cudaERNS_18TensorIteratorBaseEENKUlvE_clEvENKUlvE3_clEvEUlssE_EEEEvS5_RKT_EUlibE_EEviT1_,comdat
.Lfunc_end230:
	.size	_ZN2at6native32elementwise_kernel_manual_unrollILi128ELi4EZNS0_15gpu_kernel_implINS0_13BUnaryFunctorIsssZZZNS0_18rshift_kernel_cudaERNS_18TensorIteratorBaseEENKUlvE_clEvENKUlvE3_clEvEUlssE_EEEEvS5_RKT_EUlibE_EEviT1_, .Lfunc_end230-_ZN2at6native32elementwise_kernel_manual_unrollILi128ELi4EZNS0_15gpu_kernel_implINS0_13BUnaryFunctorIsssZZZNS0_18rshift_kernel_cudaERNS_18TensorIteratorBaseEENKUlvE_clEvENKUlvE3_clEvEUlssE_EEEEvS5_RKT_EUlibE_EEviT1_
                                        ; -- End function
	.set _ZN2at6native32elementwise_kernel_manual_unrollILi128ELi4EZNS0_15gpu_kernel_implINS0_13BUnaryFunctorIsssZZZNS0_18rshift_kernel_cudaERNS_18TensorIteratorBaseEENKUlvE_clEvENKUlvE3_clEvEUlssE_EEEEvS5_RKT_EUlibE_EEviT1_.num_vgpr, 12
	.set _ZN2at6native32elementwise_kernel_manual_unrollILi128ELi4EZNS0_15gpu_kernel_implINS0_13BUnaryFunctorIsssZZZNS0_18rshift_kernel_cudaERNS_18TensorIteratorBaseEENKUlvE_clEvENKUlvE3_clEvEUlssE_EEEEvS5_RKT_EUlibE_EEviT1_.num_agpr, 0
	.set _ZN2at6native32elementwise_kernel_manual_unrollILi128ELi4EZNS0_15gpu_kernel_implINS0_13BUnaryFunctorIsssZZZNS0_18rshift_kernel_cudaERNS_18TensorIteratorBaseEENKUlvE_clEvENKUlvE3_clEvEUlssE_EEEEvS5_RKT_EUlibE_EEviT1_.numbered_sgpr, 50
	.set _ZN2at6native32elementwise_kernel_manual_unrollILi128ELi4EZNS0_15gpu_kernel_implINS0_13BUnaryFunctorIsssZZZNS0_18rshift_kernel_cudaERNS_18TensorIteratorBaseEENKUlvE_clEvENKUlvE3_clEvEUlssE_EEEEvS5_RKT_EUlibE_EEviT1_.num_named_barrier, 0
	.set _ZN2at6native32elementwise_kernel_manual_unrollILi128ELi4EZNS0_15gpu_kernel_implINS0_13BUnaryFunctorIsssZZZNS0_18rshift_kernel_cudaERNS_18TensorIteratorBaseEENKUlvE_clEvENKUlvE3_clEvEUlssE_EEEEvS5_RKT_EUlibE_EEviT1_.private_seg_size, 0
	.set _ZN2at6native32elementwise_kernel_manual_unrollILi128ELi4EZNS0_15gpu_kernel_implINS0_13BUnaryFunctorIsssZZZNS0_18rshift_kernel_cudaERNS_18TensorIteratorBaseEENKUlvE_clEvENKUlvE3_clEvEUlssE_EEEEvS5_RKT_EUlibE_EEviT1_.uses_vcc, 1
	.set _ZN2at6native32elementwise_kernel_manual_unrollILi128ELi4EZNS0_15gpu_kernel_implINS0_13BUnaryFunctorIsssZZZNS0_18rshift_kernel_cudaERNS_18TensorIteratorBaseEENKUlvE_clEvENKUlvE3_clEvEUlssE_EEEEvS5_RKT_EUlibE_EEviT1_.uses_flat_scratch, 0
	.set _ZN2at6native32elementwise_kernel_manual_unrollILi128ELi4EZNS0_15gpu_kernel_implINS0_13BUnaryFunctorIsssZZZNS0_18rshift_kernel_cudaERNS_18TensorIteratorBaseEENKUlvE_clEvENKUlvE3_clEvEUlssE_EEEEvS5_RKT_EUlibE_EEviT1_.has_dyn_sized_stack, 0
	.set _ZN2at6native32elementwise_kernel_manual_unrollILi128ELi4EZNS0_15gpu_kernel_implINS0_13BUnaryFunctorIsssZZZNS0_18rshift_kernel_cudaERNS_18TensorIteratorBaseEENKUlvE_clEvENKUlvE3_clEvEUlssE_EEEEvS5_RKT_EUlibE_EEviT1_.has_recursion, 0
	.set _ZN2at6native32elementwise_kernel_manual_unrollILi128ELi4EZNS0_15gpu_kernel_implINS0_13BUnaryFunctorIsssZZZNS0_18rshift_kernel_cudaERNS_18TensorIteratorBaseEENKUlvE_clEvENKUlvE3_clEvEUlssE_EEEEvS5_RKT_EUlibE_EEviT1_.has_indirect_call, 0
	.section	.AMDGPU.csdata,"",@progbits
; Kernel info:
; codeLenInByte = 29896
; TotalNumSgprs: 54
; NumVgprs: 12
; ScratchSize: 0
; MemoryBound: 1
; FloatMode: 240
; IeeeMode: 1
; LDSByteSize: 0 bytes/workgroup (compile time only)
; SGPRBlocks: 6
; VGPRBlocks: 2
; NumSGPRsForWavesPerEU: 54
; NumVGPRsForWavesPerEU: 12
; Occupancy: 10
; WaveLimiterHint : 0
; COMPUTE_PGM_RSRC2:SCRATCH_EN: 0
; COMPUTE_PGM_RSRC2:USER_SGPR: 6
; COMPUTE_PGM_RSRC2:TRAP_HANDLER: 0
; COMPUTE_PGM_RSRC2:TGID_X_EN: 1
; COMPUTE_PGM_RSRC2:TGID_Y_EN: 0
; COMPUTE_PGM_RSRC2:TGID_Z_EN: 0
; COMPUTE_PGM_RSRC2:TIDIG_COMP_CNT: 0
	.section	.text._ZN2at6native32elementwise_kernel_manual_unrollILi128ELi4EZNS0_15gpu_kernel_implINS0_13BUnaryFunctorIsssZZZNS0_18rshift_kernel_cudaERNS_18TensorIteratorBaseEENKUlvE_clEvENKUlvE3_clEvEUlssE_EEEEvS5_RKT_EUlibE0_EEviT1_,"axG",@progbits,_ZN2at6native32elementwise_kernel_manual_unrollILi128ELi4EZNS0_15gpu_kernel_implINS0_13BUnaryFunctorIsssZZZNS0_18rshift_kernel_cudaERNS_18TensorIteratorBaseEENKUlvE_clEvENKUlvE3_clEvEUlssE_EEEEvS5_RKT_EUlibE0_EEviT1_,comdat
	.globl	_ZN2at6native32elementwise_kernel_manual_unrollILi128ELi4EZNS0_15gpu_kernel_implINS0_13BUnaryFunctorIsssZZZNS0_18rshift_kernel_cudaERNS_18TensorIteratorBaseEENKUlvE_clEvENKUlvE3_clEvEUlssE_EEEEvS5_RKT_EUlibE0_EEviT1_ ; -- Begin function _ZN2at6native32elementwise_kernel_manual_unrollILi128ELi4EZNS0_15gpu_kernel_implINS0_13BUnaryFunctorIsssZZZNS0_18rshift_kernel_cudaERNS_18TensorIteratorBaseEENKUlvE_clEvENKUlvE3_clEvEUlssE_EEEEvS5_RKT_EUlibE0_EEviT1_
	.p2align	8
	.type	_ZN2at6native32elementwise_kernel_manual_unrollILi128ELi4EZNS0_15gpu_kernel_implINS0_13BUnaryFunctorIsssZZZNS0_18rshift_kernel_cudaERNS_18TensorIteratorBaseEENKUlvE_clEvENKUlvE3_clEvEUlssE_EEEEvS5_RKT_EUlibE0_EEviT1_,@function
_ZN2at6native32elementwise_kernel_manual_unrollILi128ELi4EZNS0_15gpu_kernel_implINS0_13BUnaryFunctorIsssZZZNS0_18rshift_kernel_cudaERNS_18TensorIteratorBaseEENKUlvE_clEvENKUlvE3_clEvEUlssE_EEEEvS5_RKT_EUlibE0_EEviT1_: ; @_ZN2at6native32elementwise_kernel_manual_unrollILi128ELi4EZNS0_15gpu_kernel_implINS0_13BUnaryFunctorIsssZZZNS0_18rshift_kernel_cudaERNS_18TensorIteratorBaseEENKUlvE_clEvENKUlvE3_clEvEUlssE_EEEEvS5_RKT_EUlibE0_EEviT1_
; %bb.0:
	s_load_dword s72, s[4:5], 0x0
	s_load_dword s33, s[4:5], 0x8
	s_add_u32 s34, s4, 8
	s_addc_u32 s35, s5, 0
	v_lshl_or_b32 v8, s6, 9, v0
	v_or_b32_e32 v15, 0x180, v8
	s_waitcnt lgkmcnt(0)
	s_add_i32 s74, s33, -1
	s_cmp_gt_u32 s74, 1
	v_cmp_le_i32_e32 vcc, s72, v15
	s_cselect_b64 s[44:45], -1, 0
	s_mov_b64 s[6:7], 0
	s_mov_b64 s[28:29], 0
	s_and_saveexec_b64 s[0:1], vcc
	s_xor_b64 s[46:47], exec, s[0:1]
	s_cbranch_execz .LBB231_1070
; %bb.1:
	s_load_dwordx4 s[28:31], s[34:35], 0x4
	s_load_dwordx2 s[48:49], s[34:35], 0x14
	s_load_dword s0, s[4:5], 0x160
	s_load_dword s75, s[34:35], 0x15c
	s_cmp_lg_u32 s33, 0
	s_cselect_b64 s[54:55], -1, 0
	s_add_u32 s52, s34, 0xc4
	s_addc_u32 s53, s35, 0
	s_min_u32 s78, s74, 15
	s_load_dwordx4 s[36:39], s[34:35], 0xc4
	s_load_dwordx4 s[24:27], s[34:35], 0x148
	s_cmp_gt_u32 s33, 1
	s_cselect_b64 s[50:51], -1, 0
	s_waitcnt lgkmcnt(0)
	s_lshr_b32 s76, s0, 16
	s_bfe_u32 s77, s75, 0x80008
	s_cmp_gt_u32 s76, 14
	s_cselect_b64 s[0:1], -1, 0
	v_cmp_gt_i32_e32 vcc, s72, v8
	s_mov_b64 s[2:3], -1
	s_mov_b64 s[64:65], 0
	s_mov_b64 s[58:59], 0
	;; [unrolled: 1-line block ×3, first 2 shown]
	s_and_saveexec_b64 s[60:61], vcc
	s_cbranch_execz .LBB231_262
; %bb.2:
	s_andn2_b64 vcc, exec, s[44:45]
	s_cbranch_vccnz .LBB231_7
; %bb.3:
	s_andn2_b64 vcc, exec, s[54:55]
	s_cbranch_vccnz .LBB231_8
; %bb.4:
	s_add_i32 s59, s78, 1
	s_cmp_eq_u32 s74, 2
	s_cbranch_scc1 .LBB231_9
; %bb.5:
	s_and_b32 s58, s59, 28
	v_mov_b32_e32 v2, 0
	s_mov_b32 s62, 0
	s_mov_b64 s[2:3], s[34:35]
	s_mov_b64 s[56:57], s[52:53]
	v_mov_b32_e32 v0, 0
	v_mov_b32_e32 v1, v8
.LBB231_6:                              ; =>This Inner Loop Header: Depth=1
	s_load_dwordx8 s[16:23], s[2:3], 0x4
	s_load_dwordx4 s[40:43], s[2:3], 0x24
	s_load_dwordx8 s[8:15], s[56:57], 0x0
	s_add_u32 s2, s2, 48
	s_addc_u32 s3, s3, 0
	s_waitcnt lgkmcnt(0)
	v_mul_hi_u32 v3, s17, v1
	s_add_i32 s62, s62, 4
	s_add_u32 s56, s56, 32
	s_addc_u32 s57, s57, 0
	v_add_u32_e32 v3, v1, v3
	v_lshrrev_b32_e32 v3, s18, v3
	v_mul_lo_u32 v4, v3, s16
	v_mul_hi_u32 v5, s20, v3
	s_cmp_lg_u32 s58, s62
	v_sub_u32_e32 v1, v1, v4
	v_add_u32_e32 v4, v3, v5
	v_mul_lo_u32 v5, v1, s8
	v_mul_lo_u32 v6, v1, s9
	v_lshrrev_b32_e32 v1, s21, v4
	v_mul_lo_u32 v4, v1, s19
	v_mul_hi_u32 v7, s23, v1
	v_sub_u32_e32 v3, v3, v4
	v_add_u32_e32 v4, v1, v7
	v_lshrrev_b32_e32 v4, s40, v4
	v_mul_hi_u32 v9, s42, v4
	v_mul_lo_u32 v10, v4, s22
	v_mul_lo_u32 v7, v3, s10
	;; [unrolled: 1-line block ×3, first 2 shown]
	v_sub_u32_e32 v10, v1, v10
	v_add_u32_e32 v1, v4, v9
	v_lshrrev_b32_e32 v1, s43, v1
	v_mul_lo_u32 v9, v1, s41
	v_mul_lo_u32 v11, v10, s12
	;; [unrolled: 1-line block ×3, first 2 shown]
	v_add3_u32 v0, v5, v0, v7
	v_sub_u32_e32 v4, v4, v9
	v_mul_lo_u32 v9, v4, s14
	v_mul_lo_u32 v4, v4, s15
	v_add3_u32 v2, v6, v2, v3
	v_add3_u32 v0, v11, v0, v9
	;; [unrolled: 1-line block ×3, first 2 shown]
	s_cbranch_scc1 .LBB231_6
	s_branch .LBB231_10
.LBB231_7:
                                        ; implicit-def: $vgpr0
                                        ; implicit-def: $vgpr2
	s_andn2_b64 vcc, exec, s[2:3]
	s_cbranch_vccz .LBB231_14
	s_branch .LBB231_16
.LBB231_8:
	v_mov_b32_e32 v0, 0
	v_mov_b32_e32 v2, 0
	s_branch .LBB231_13
.LBB231_9:
	s_mov_b32 s58, 0
	v_mov_b32_e32 v0, 0
	v_mov_b32_e32 v2, 0
	;; [unrolled: 1-line block ×3, first 2 shown]
.LBB231_10:
	s_and_b32 s10, s59, 3
	s_cmp_eq_u32 s10, 0
	s_cbranch_scc1 .LBB231_13
; %bb.11:
	s_lshl_b32 s2, s58, 3
	s_add_u32 s2, s34, s2
	s_addc_u32 s3, s35, 0
	s_add_u32 s2, s2, 0xc4
	s_addc_u32 s3, s3, 0
	s_mul_i32 s8, s58, 12
	s_add_u32 s8, s34, s8
	s_addc_u32 s9, s35, 0
.LBB231_12:                             ; =>This Inner Loop Header: Depth=1
	s_load_dwordx2 s[12:13], s[8:9], 0x4
	s_load_dword s11, s[8:9], 0xc
	s_load_dwordx2 s[14:15], s[2:3], 0x0
	s_add_u32 s8, s8, 12
	s_addc_u32 s9, s9, 0
	s_waitcnt lgkmcnt(0)
	v_mul_hi_u32 v3, s13, v1
	s_add_u32 s2, s2, 8
	s_addc_u32 s3, s3, 0
	s_add_i32 s10, s10, -1
	v_add_u32_e32 v3, v1, v3
	v_lshrrev_b32_e32 v4, s11, v3
	v_mul_lo_u32 v3, v4, s12
	s_cmp_lg_u32 s10, 0
	v_sub_u32_e32 v3, v1, v3
	v_mad_u64_u32 v[0:1], s[12:13], v3, s14, v[0:1]
	v_mad_u64_u32 v[2:3], s[12:13], v3, s15, v[2:3]
	v_mov_b32_e32 v1, v4
	s_cbranch_scc1 .LBB231_12
.LBB231_13:
	s_cbranch_execnz .LBB231_16
.LBB231_14:
	v_mul_hi_u32 v0, s29, v8
	s_andn2_b64 vcc, exec, s[50:51]
	v_add_u32_e32 v0, v8, v0
	v_lshrrev_b32_e32 v1, s30, v0
	v_mul_lo_u32 v0, v1, s28
	v_sub_u32_e32 v2, v8, v0
	v_mul_lo_u32 v0, v2, s36
	v_mul_lo_u32 v2, v2, s37
	s_cbranch_vccnz .LBB231_16
; %bb.15:
	v_mul_hi_u32 v3, s48, v1
	v_add_u32_e32 v3, v1, v3
	v_lshrrev_b32_e32 v3, s49, v3
	v_mul_lo_u32 v3, v3, s31
	v_sub_u32_e32 v3, v1, v3
	v_mad_u64_u32 v[0:1], s[2:3], v3, s38, v[0:1]
	v_mad_u64_u32 v[2:3], s[2:3], v3, s39, v[2:3]
.LBB231_16:
	v_mov_b32_e32 v3, s27
	s_and_b32 s12, 0xffff, s77
	v_add_co_u32_e32 v1, vcc, s26, v2
	s_cmp_lt_i32 s12, 11
	v_addc_co_u32_e32 v2, vcc, 0, v3, vcc
	s_cbranch_scc1 .LBB231_23
; %bb.17:
	s_cmp_gt_i32 s12, 25
	s_cbranch_scc0 .LBB231_32
; %bb.18:
	s_cmp_gt_i32 s12, 28
	s_cbranch_scc0 .LBB231_35
	;; [unrolled: 3-line block ×4, first 2 shown]
; %bb.21:
	s_cmp_eq_u32 s12, 46
	s_mov_b64 s[10:11], 0
	s_cbranch_scc0 .LBB231_41
; %bb.22:
	global_load_dword v3, v[1:2], off
	s_mov_b64 s[2:3], -1
	s_mov_b64 s[8:9], 0
	s_waitcnt vmcnt(0)
	v_lshlrev_b32_e32 v3, 16, v3
	v_cvt_i32_f32_e32 v3, v3
	s_branch .LBB231_43
.LBB231_23:
	s_mov_b64 s[8:9], 0
                                        ; implicit-def: $vgpr3
	s_mov_b64 s[2:3], 0
	s_cbranch_execnz .LBB231_212
.LBB231_24:
	s_andn2_b64 vcc, exec, s[2:3]
	s_cbranch_vccnz .LBB231_259
.LBB231_25:
	s_waitcnt vmcnt(0)
	v_ashrrev_i16_e32 v1, 15, v3
	v_ashrrev_i32_sdwa v2, s76, sext(v3) dst_sel:DWORD dst_unused:UNUSED_PAD src0_sel:DWORD src1_sel:WORD_0
	v_cndmask_b32_e64 v4, v2, v1, s[0:1]
	v_mov_b32_e32 v1, s25
	s_and_b32 s16, s75, 0xff
	v_add_co_u32_e32 v0, vcc, s24, v0
	s_cmp_lt_i32 s16, 11
	v_addc_co_u32_e32 v1, vcc, 0, v1, vcc
	s_cbranch_scc1 .LBB231_33
; %bb.26:
	s_and_b32 s17, 0xffff, s16
	s_cmp_gt_i32 s17, 25
	s_cbranch_scc0 .LBB231_36
; %bb.27:
	s_cmp_gt_i32 s17, 28
	s_cbranch_scc0 .LBB231_38
; %bb.28:
	;; [unrolled: 3-line block ×4, first 2 shown]
	s_mov_b64 s[12:13], 0
	s_mov_b64 s[2:3], -1
	s_cmp_eq_u32 s17, 46
	s_mov_b64 s[10:11], 0
	s_cbranch_scc0 .LBB231_47
; %bb.31:
	v_cvt_f32_i32_sdwa v2, sext(v4) dst_sel:DWORD dst_unused:UNUSED_PAD src0_sel:WORD_0
	s_movk_i32 s2, 0x7fff
	s_mov_b64 s[10:11], -1
	v_bfe_u32 v3, v2, 16, 1
	v_add3_u32 v2, v2, v3, s2
	v_lshrrev_b32_e32 v2, 16, v2
	global_store_dword v[0:1], v2, off
	s_mov_b64 s[2:3], 0
	s_branch .LBB231_47
.LBB231_32:
	s_mov_b64 s[8:9], 0
	s_mov_b64 s[2:3], 0
                                        ; implicit-def: $vgpr3
	s_cbranch_execnz .LBB231_179
	s_branch .LBB231_211
.LBB231_33:
	s_mov_b64 s[2:3], 0
	s_mov_b64 s[10:11], 0
	s_cbranch_execnz .LBB231_116
.LBB231_34:
	s_andn2_b64 vcc, exec, s[10:11]
	s_cbranch_vccnz .LBB231_260
	s_branch .LBB231_154
.LBB231_35:
	s_mov_b64 s[10:11], -1
	s_mov_b64 s[8:9], 0
	s_mov_b64 s[2:3], 0
                                        ; implicit-def: $vgpr3
	s_branch .LBB231_162
.LBB231_36:
	s_mov_b64 s[12:13], -1
	s_mov_b64 s[2:3], 0
	s_mov_b64 s[10:11], 0
	s_branch .LBB231_74
.LBB231_37:
	s_mov_b64 s[10:11], -1
	s_mov_b64 s[8:9], 0
	s_mov_b64 s[2:3], 0
                                        ; implicit-def: $vgpr3
	s_branch .LBB231_157
.LBB231_38:
	s_mov_b64 s[12:13], -1
	s_mov_b64 s[2:3], 0
	s_mov_b64 s[10:11], 0
	s_branch .LBB231_57
.LBB231_39:
	s_mov_b64 s[10:11], -1
	s_mov_b64 s[8:9], 0
	s_branch .LBB231_42
.LBB231_40:
	s_mov_b64 s[12:13], -1
	s_mov_b64 s[2:3], 0
	s_mov_b64 s[10:11], 0
	s_branch .LBB231_53
.LBB231_41:
	s_mov_b64 s[8:9], -1
.LBB231_42:
	s_mov_b64 s[2:3], 0
                                        ; implicit-def: $vgpr3
.LBB231_43:
	s_and_b64 vcc, exec, s[10:11]
	s_cbranch_vccz .LBB231_156
; %bb.44:
	s_cmp_eq_u32 s12, 44
	s_cbranch_scc0 .LBB231_155
; %bb.45:
	global_load_ubyte v3, v[1:2], off
	s_mov_b64 s[2:3], -1
	s_mov_b64 s[8:9], 0
	s_waitcnt vmcnt(0)
	v_lshlrev_b32_e32 v4, 23, v3
	v_cvt_i32_f32_e32 v4, v4
	v_cmp_ne_u32_e32 vcc, 0, v3
	v_cndmask_b32_e32 v3, 0, v4, vcc
	s_branch .LBB231_156
.LBB231_46:
	s_mov_b64 s[12:13], -1
	s_mov_b64 s[2:3], 0
	s_mov_b64 s[10:11], 0
.LBB231_47:
	s_and_b64 vcc, exec, s[12:13]
	s_cbranch_vccz .LBB231_52
; %bb.48:
	s_cmp_eq_u32 s17, 44
	s_mov_b64 s[2:3], -1
	s_cbranch_scc0 .LBB231_52
; %bb.49:
	v_cvt_f32_i32_sdwa v2, sext(v4) dst_sel:DWORD dst_unused:UNUSED_PAD src0_sel:WORD_0
	s_movk_i32 s2, 0xff
	v_mov_b32_e32 v5, 0xff
	v_bfe_u32 v3, v2, 23, 8
	v_cmp_ne_u32_e32 vcc, s2, v3
	s_and_saveexec_b64 s[10:11], vcc
; %bb.50:
	s_mov_b32 s2, 0x3fffff
	v_lshrrev_b32_e32 v5, 23, v2
	v_and_b32_e32 v6, 0x400000, v2
	v_and_or_b32 v2, v2, s2, v3
	v_cmp_ne_u32_e32 vcc, 0, v6
	v_cmp_ne_u32_e64 s[2:3], 0, v2
	s_and_b64 s[2:3], vcc, s[2:3]
	v_cndmask_b32_e64 v2, 0, 1, s[2:3]
	v_add_u32_e32 v5, v5, v2
; %bb.51:
	s_or_b64 exec, exec, s[10:11]
	s_mov_b64 s[10:11], -1
	s_mov_b64 s[2:3], 0
	global_store_byte v[0:1], v5, off
.LBB231_52:
	s_mov_b64 s[12:13], 0
.LBB231_53:
	s_and_b64 vcc, exec, s[12:13]
	s_cbranch_vccz .LBB231_56
; %bb.54:
	s_cmp_eq_u32 s17, 29
	s_mov_b64 s[2:3], -1
	s_cbranch_scc0 .LBB231_56
; %bb.55:
	v_bfe_i32 v2, v4, 0, 16
	v_ashrrev_i32_e32 v3, 31, v2
	global_store_dwordx2 v[0:1], v[2:3], off
	s_mov_b64 s[10:11], -1
	s_mov_b64 s[2:3], 0
.LBB231_56:
	s_mov_b64 s[12:13], 0
.LBB231_57:
	s_and_b64 vcc, exec, s[12:13]
	s_cbranch_vccz .LBB231_73
; %bb.58:
	s_cmp_lt_i32 s17, 27
	s_mov_b64 s[10:11], -1
	s_cbranch_scc1 .LBB231_64
; %bb.59:
	s_cmp_gt_i32 s17, 27
	s_cbranch_scc0 .LBB231_61
; %bb.60:
	v_bfe_i32 v2, v4, 0, 16
	s_mov_b64 s[10:11], 0
	global_store_dword v[0:1], v2, off
.LBB231_61:
	s_andn2_b64 vcc, exec, s[10:11]
	s_cbranch_vccnz .LBB231_63
; %bb.62:
	global_store_short v[0:1], v4, off
.LBB231_63:
	s_mov_b64 s[10:11], 0
.LBB231_64:
	s_andn2_b64 vcc, exec, s[10:11]
	s_cbranch_vccnz .LBB231_72
; %bb.65:
	v_cvt_f32_i32_sdwa v2, sext(v4) dst_sel:DWORD dst_unused:UNUSED_PAD src0_sel:WORD_0
	s_mov_b32 s10, 0x43800000
	v_mov_b32_e32 v5, 0x80
	v_and_b32_e32 v3, 0x7fffffff, v2
	v_cmp_gt_u32_e32 vcc, s10, v3
	s_and_saveexec_b64 s[10:11], vcc
	s_cbranch_execz .LBB231_71
; %bb.66:
	s_mov_b32 s12, 0x3bffffff
	v_cmp_lt_u32_e32 vcc, s12, v3
	s_mov_b64 s[12:13], 0
                                        ; implicit-def: $vgpr3
	s_and_saveexec_b64 s[14:15], vcc
	s_xor_b64 s[14:15], exec, s[14:15]
	s_cbranch_execz .LBB231_303
; %bb.67:
	v_bfe_u32 v3, v2, 20, 1
	s_mov_b32 s18, 0x487ffff
	v_add3_u32 v3, v2, v3, s18
	s_mov_b64 s[12:13], exec
	v_lshrrev_b32_e32 v3, 20, v3
	s_andn2_saveexec_b64 s[14:15], s[14:15]
	s_cbranch_execnz .LBB231_304
.LBB231_68:
	s_or_b64 exec, exec, s[14:15]
	v_mov_b32_e32 v5, 0
	s_and_saveexec_b64 s[14:15], s[12:13]
.LBB231_69:
	v_lshrrev_b32_e32 v2, 24, v2
	s_movk_i32 s12, 0x80
	v_and_or_b32 v5, v2, s12, v3
.LBB231_70:
	s_or_b64 exec, exec, s[14:15]
.LBB231_71:
	s_or_b64 exec, exec, s[10:11]
	global_store_byte v[0:1], v5, off
.LBB231_72:
	s_mov_b64 s[10:11], -1
.LBB231_73:
	s_mov_b64 s[12:13], 0
.LBB231_74:
	s_and_b64 vcc, exec, s[12:13]
	s_cbranch_vccz .LBB231_115
; %bb.75:
	s_cmp_gt_i32 s17, 22
	s_mov_b64 s[12:13], -1
	s_cbranch_scc0 .LBB231_107
; %bb.76:
	s_cmp_lt_i32 s17, 24
	s_mov_b64 s[10:11], -1
	s_cbranch_scc1 .LBB231_96
; %bb.77:
	s_cmp_gt_i32 s17, 24
	s_cbranch_scc0 .LBB231_85
; %bb.78:
	v_cvt_f32_i32_sdwa v2, sext(v4) dst_sel:DWORD dst_unused:UNUSED_PAD src0_sel:WORD_0
	s_mov_b32 s10, 0x47800000
	v_mov_b32_e32 v5, 0x80
	v_and_b32_e32 v3, 0x7fffffff, v2
	v_cmp_gt_u32_e32 vcc, s10, v3
	s_and_saveexec_b64 s[10:11], vcc
	s_cbranch_execz .LBB231_84
; %bb.79:
	s_mov_b32 s12, 0x37ffffff
	v_cmp_lt_u32_e32 vcc, s12, v3
	s_mov_b64 s[12:13], 0
                                        ; implicit-def: $vgpr3
	s_and_saveexec_b64 s[14:15], vcc
	s_xor_b64 s[14:15], exec, s[14:15]
	s_cbranch_execz .LBB231_307
; %bb.80:
	v_bfe_u32 v3, v2, 21, 1
	s_mov_b32 s18, 0x88fffff
	v_add3_u32 v3, v2, v3, s18
	s_mov_b64 s[12:13], exec
	v_lshrrev_b32_e32 v3, 21, v3
	s_andn2_saveexec_b64 s[14:15], s[14:15]
	s_cbranch_execnz .LBB231_308
.LBB231_81:
	s_or_b64 exec, exec, s[14:15]
	v_mov_b32_e32 v5, 0
	s_and_saveexec_b64 s[14:15], s[12:13]
.LBB231_82:
	v_lshrrev_b32_e32 v2, 24, v2
	s_movk_i32 s12, 0x80
	v_and_or_b32 v5, v2, s12, v3
.LBB231_83:
	s_or_b64 exec, exec, s[14:15]
.LBB231_84:
	s_or_b64 exec, exec, s[10:11]
	s_mov_b64 s[10:11], 0
	global_store_byte v[0:1], v5, off
.LBB231_85:
	s_and_b64 vcc, exec, s[10:11]
	s_cbranch_vccz .LBB231_95
; %bb.86:
	v_cvt_f32_i32_sdwa v2, sext(v4) dst_sel:DWORD dst_unused:UNUSED_PAD src0_sel:WORD_0
	s_mov_b32 s10, 0x43f00000
                                        ; implicit-def: $vgpr3
	v_and_b32_e32 v5, 0x7fffffff, v2
	v_cmp_gt_u32_e32 vcc, s10, v5
	s_and_saveexec_b64 s[10:11], vcc
	s_xor_b64 s[10:11], exec, s[10:11]
	s_cbranch_execz .LBB231_92
; %bb.87:
	s_mov_b32 s12, 0x3c7fffff
	v_cmp_lt_u32_e32 vcc, s12, v5
                                        ; implicit-def: $vgpr3
	s_and_saveexec_b64 s[12:13], vcc
	s_xor_b64 s[12:13], exec, s[12:13]
; %bb.88:
	v_bfe_u32 v3, v2, 20, 1
	s_mov_b32 s14, 0x407ffff
	v_add3_u32 v3, v2, v3, s14
	v_lshrrev_b32_e32 v5, 20, v3
	v_and_b32_e32 v3, 0xff00000, v3
	s_mov_b32 s14, 0x7f00000
	v_mov_b32_e32 v6, 0x7e
	v_cmp_ne_u32_e32 vcc, s14, v3
	v_cndmask_b32_e32 v3, v6, v5, vcc
; %bb.89:
	s_andn2_saveexec_b64 s[12:13], s[12:13]
; %bb.90:
	s_mov_b32 s14, 0x46800000
	v_add_f32_e64 v3, |v2|, s14
; %bb.91:
	s_or_b64 exec, exec, s[12:13]
                                        ; implicit-def: $vgpr5
.LBB231_92:
	s_andn2_saveexec_b64 s[10:11], s[10:11]
; %bb.93:
	s_mov_b32 s12, 0x7f800000
	v_mov_b32_e32 v3, 0x7e
	v_mov_b32_e32 v6, 0x7f
	v_cmp_lt_u32_e32 vcc, s12, v5
	v_cndmask_b32_e32 v3, v3, v6, vcc
; %bb.94:
	s_or_b64 exec, exec, s[10:11]
	v_lshrrev_b32_e32 v2, 24, v2
	s_movk_i32 s10, 0x80
	v_and_or_b32 v2, v2, s10, v3
	global_store_byte v[0:1], v2, off
.LBB231_95:
	s_mov_b64 s[10:11], 0
.LBB231_96:
	s_andn2_b64 vcc, exec, s[10:11]
	s_cbranch_vccnz .LBB231_106
; %bb.97:
	v_cvt_f32_i32_sdwa v2, sext(v4) dst_sel:DWORD dst_unused:UNUSED_PAD src0_sel:WORD_0
	s_mov_b32 s10, 0x47800000
                                        ; implicit-def: $vgpr3
	v_and_b32_e32 v5, 0x7fffffff, v2
	v_cmp_gt_u32_e32 vcc, s10, v5
	s_and_saveexec_b64 s[10:11], vcc
	s_xor_b64 s[10:11], exec, s[10:11]
	s_cbranch_execz .LBB231_103
; %bb.98:
	s_mov_b32 s12, 0x387fffff
	v_cmp_lt_u32_e32 vcc, s12, v5
                                        ; implicit-def: $vgpr3
	s_and_saveexec_b64 s[12:13], vcc
	s_xor_b64 s[12:13], exec, s[12:13]
; %bb.99:
	v_bfe_u32 v3, v2, 21, 1
	s_mov_b32 s14, 0x80fffff
	v_add3_u32 v3, v2, v3, s14
	v_lshrrev_b32_e32 v3, 21, v3
; %bb.100:
	s_andn2_saveexec_b64 s[12:13], s[12:13]
; %bb.101:
	s_mov_b32 s14, 0x43000000
	v_add_f32_e64 v3, |v2|, s14
; %bb.102:
	s_or_b64 exec, exec, s[12:13]
                                        ; implicit-def: $vgpr5
.LBB231_103:
	s_andn2_saveexec_b64 s[10:11], s[10:11]
; %bb.104:
	s_mov_b32 s12, 0x7f800000
	v_mov_b32_e32 v3, 0x7c
	v_mov_b32_e32 v6, 0x7f
	v_cmp_lt_u32_e32 vcc, s12, v5
	v_cndmask_b32_e32 v3, v3, v6, vcc
; %bb.105:
	s_or_b64 exec, exec, s[10:11]
	v_lshrrev_b32_e32 v2, 24, v2
	s_movk_i32 s10, 0x80
	v_and_or_b32 v2, v2, s10, v3
	global_store_byte v[0:1], v2, off
.LBB231_106:
	s_mov_b64 s[12:13], 0
	s_mov_b64 s[10:11], -1
.LBB231_107:
	s_andn2_b64 vcc, exec, s[12:13]
	s_cbranch_vccnz .LBB231_115
; %bb.108:
	s_cmp_gt_i32 s17, 14
	s_mov_b64 s[12:13], -1
	s_cbranch_scc0 .LBB231_112
; %bb.109:
	s_cmp_eq_u32 s17, 15
	s_mov_b64 s[2:3], -1
	s_cbranch_scc0 .LBB231_111
; %bb.110:
	v_cvt_f32_i32_sdwa v2, sext(v4) dst_sel:DWORD dst_unused:UNUSED_PAD src0_sel:WORD_0
	s_movk_i32 s2, 0x7fff
	s_mov_b64 s[10:11], -1
	v_bfe_u32 v3, v2, 16, 1
	v_add3_u32 v2, v2, v3, s2
	global_store_short_d16_hi v[0:1], v2, off
	s_mov_b64 s[2:3], 0
.LBB231_111:
	s_mov_b64 s[12:13], 0
.LBB231_112:
	s_and_b64 vcc, exec, s[12:13]
	s_cbranch_vccz .LBB231_115
; %bb.113:
	s_cmp_eq_u32 s17, 11
	s_mov_b64 s[2:3], -1
	s_cbranch_scc0 .LBB231_115
; %bb.114:
	v_cmp_ne_u16_e32 vcc, 0, v4
	v_cndmask_b32_e64 v2, 0, 1, vcc
	s_mov_b64 s[10:11], -1
	s_mov_b64 s[2:3], 0
	global_store_byte v[0:1], v2, off
.LBB231_115:
	s_branch .LBB231_34
.LBB231_116:
	s_and_b32 s12, 0xffff, s16
	s_cmp_lt_i32 s12, 5
	s_mov_b64 s[10:11], -1
	s_cbranch_scc1 .LBB231_137
; %bb.117:
	s_cmp_lt_i32 s12, 8
	s_cbranch_scc1 .LBB231_127
; %bb.118:
	s_cmp_lt_i32 s12, 9
	s_cbranch_scc1 .LBB231_124
; %bb.119:
	s_cmp_gt_i32 s12, 9
	s_cbranch_scc0 .LBB231_121
; %bb.120:
	v_bfe_i32 v2, v4, 0, 16
	v_cvt_f64_i32_e32 v[9:10], v2
	v_mov_b32_e32 v11, 0
	v_mov_b32_e32 v12, v11
	s_mov_b64 s[10:11], 0
	global_store_dwordx4 v[0:1], v[9:12], off
.LBB231_121:
	s_andn2_b64 vcc, exec, s[10:11]
	s_cbranch_vccnz .LBB231_123
; %bb.122:
	v_cvt_f32_i32_sdwa v2, sext(v4) dst_sel:DWORD dst_unused:UNUSED_PAD src0_sel:WORD_0
	v_mov_b32_e32 v3, 0
	global_store_dwordx2 v[0:1], v[2:3], off
.LBB231_123:
	s_mov_b64 s[10:11], 0
.LBB231_124:
	s_andn2_b64 vcc, exec, s[10:11]
	s_cbranch_vccnz .LBB231_126
; %bb.125:
	v_cvt_f16_i16_e32 v2, v4
	global_store_dword v[0:1], v2, off
.LBB231_126:
	s_mov_b64 s[10:11], 0
.LBB231_127:
	s_andn2_b64 vcc, exec, s[10:11]
	s_cbranch_vccnz .LBB231_136
; %bb.128:
	s_cmp_lt_i32 s12, 6
	s_mov_b64 s[10:11], -1
	s_cbranch_scc1 .LBB231_134
; %bb.129:
	s_cmp_gt_i32 s12, 6
	s_cbranch_scc0 .LBB231_131
; %bb.130:
	v_bfe_i32 v2, v4, 0, 16
	v_cvt_f64_i32_e32 v[2:3], v2
	s_mov_b64 s[10:11], 0
	global_store_dwordx2 v[0:1], v[2:3], off
.LBB231_131:
	s_andn2_b64 vcc, exec, s[10:11]
	s_cbranch_vccnz .LBB231_133
; %bb.132:
	v_cvt_f32_i32_sdwa v2, sext(v4) dst_sel:DWORD dst_unused:UNUSED_PAD src0_sel:WORD_0
	global_store_dword v[0:1], v2, off
.LBB231_133:
	s_mov_b64 s[10:11], 0
.LBB231_134:
	s_andn2_b64 vcc, exec, s[10:11]
	s_cbranch_vccnz .LBB231_136
; %bb.135:
	v_cvt_f16_i16_e32 v2, v4
	global_store_short v[0:1], v2, off
.LBB231_136:
	s_mov_b64 s[10:11], 0
.LBB231_137:
	s_andn2_b64 vcc, exec, s[10:11]
	s_cbranch_vccnz .LBB231_153
; %bb.138:
	s_cmp_lt_i32 s12, 2
	s_mov_b64 s[10:11], -1
	s_cbranch_scc1 .LBB231_148
; %bb.139:
	s_cmp_lt_i32 s12, 3
	s_cbranch_scc1 .LBB231_145
; %bb.140:
	s_cmp_gt_i32 s12, 3
	v_bfe_i32 v2, v4, 0, 16
	s_cbranch_scc0 .LBB231_142
; %bb.141:
	v_ashrrev_i32_e32 v3, 31, v2
	global_store_dwordx2 v[0:1], v[2:3], off
	s_mov_b64 s[10:11], 0
.LBB231_142:
	s_andn2_b64 vcc, exec, s[10:11]
	s_cbranch_vccnz .LBB231_144
; %bb.143:
	global_store_dword v[0:1], v2, off
.LBB231_144:
	s_mov_b64 s[10:11], 0
.LBB231_145:
	s_andn2_b64 vcc, exec, s[10:11]
	s_cbranch_vccnz .LBB231_147
; %bb.146:
	global_store_short v[0:1], v4, off
.LBB231_147:
	s_mov_b64 s[10:11], 0
.LBB231_148:
	s_andn2_b64 vcc, exec, s[10:11]
	s_cbranch_vccnz .LBB231_153
; %bb.149:
	s_cmp_gt_i32 s12, 0
	s_mov_b64 s[10:11], -1
	s_cbranch_scc0 .LBB231_151
; %bb.150:
	global_store_byte v[0:1], v4, off
	s_mov_b64 s[10:11], 0
.LBB231_151:
	s_andn2_b64 vcc, exec, s[10:11]
	s_cbranch_vccnz .LBB231_153
; %bb.152:
	global_store_byte v[0:1], v4, off
.LBB231_153:
.LBB231_154:
	v_add_u32_e32 v8, 0x80, v8
	s_mov_b64 s[10:11], -1
	s_branch .LBB231_261
.LBB231_155:
	s_mov_b64 s[8:9], -1
                                        ; implicit-def: $vgpr3
.LBB231_156:
	s_mov_b64 s[10:11], 0
.LBB231_157:
	s_and_b64 vcc, exec, s[10:11]
	s_cbranch_vccz .LBB231_161
; %bb.158:
	s_cmp_eq_u32 s12, 29
	s_cbranch_scc0 .LBB231_160
; %bb.159:
	global_load_dwordx2 v[3:4], v[1:2], off
	s_mov_b64 s[2:3], -1
	s_mov_b64 s[8:9], 0
	s_branch .LBB231_161
.LBB231_160:
	s_mov_b64 s[8:9], -1
                                        ; implicit-def: $vgpr3
.LBB231_161:
	s_mov_b64 s[10:11], 0
.LBB231_162:
	s_and_b64 vcc, exec, s[10:11]
	s_cbranch_vccz .LBB231_178
; %bb.163:
	s_cmp_lt_i32 s12, 27
	s_cbranch_scc1 .LBB231_166
; %bb.164:
	s_cmp_gt_i32 s12, 27
	s_cbranch_scc0 .LBB231_167
; %bb.165:
	global_load_dword v3, v[1:2], off
	s_mov_b64 s[2:3], 0
	s_branch .LBB231_168
.LBB231_166:
	s_mov_b64 s[2:3], -1
                                        ; implicit-def: $vgpr3
	s_branch .LBB231_171
.LBB231_167:
	s_mov_b64 s[2:3], -1
                                        ; implicit-def: $vgpr3
.LBB231_168:
	s_andn2_b64 vcc, exec, s[2:3]
	s_cbranch_vccnz .LBB231_170
; %bb.169:
	global_load_ushort v3, v[1:2], off
.LBB231_170:
	s_mov_b64 s[2:3], 0
.LBB231_171:
	s_andn2_b64 vcc, exec, s[2:3]
	s_cbranch_vccnz .LBB231_177
; %bb.172:
	global_load_ubyte v4, v[1:2], off
	s_movk_i32 s2, 0x7f
	s_mov_b64 s[10:11], 0
	s_waitcnt vmcnt(0)
	v_cmp_lt_i16_e32 vcc, s2, v4
	s_and_saveexec_b64 s[2:3], vcc
	s_xor_b64 s[2:3], exec, s[2:3]
	s_cbranch_execz .LBB231_188
; %bb.173:
	s_movk_i32 s10, 0x80
	v_cmp_ne_u16_e32 vcc, s10, v4
	s_and_b64 s[10:11], vcc, exec
	s_andn2_saveexec_b64 s[2:3], s[2:3]
	s_cbranch_execnz .LBB231_189
.LBB231_174:
	s_or_b64 exec, exec, s[2:3]
	v_mov_b32_e32 v3, 0
	s_and_saveexec_b64 s[2:3], s[10:11]
	s_cbranch_execz .LBB231_176
.LBB231_175:
	v_lshlrev_b32_e32 v3, 24, v4
	v_and_b32_e32 v4, 0xffff, v4
	v_and_b32_e32 v5, 7, v4
	v_ffbh_u32_e32 v7, v5
	v_min_u32_e32 v7, 32, v7
	v_subrev_u32_e32 v9, 28, v7
	v_bfe_u32 v6, v4, 3, 4
	v_lshlrev_b32_e32 v4, v9, v4
	v_sub_u32_e32 v7, 29, v7
	v_and_b32_e32 v4, 7, v4
	v_cmp_eq_u32_e32 vcc, 0, v6
	v_cndmask_b32_e32 v6, v6, v7, vcc
	v_cndmask_b32_e32 v4, v5, v4, vcc
	v_mov_b32_e32 v5, 0x3b800000
	v_lshlrev_b32_e32 v4, 20, v4
	v_and_b32_e32 v3, 0x80000000, v3
	v_lshl_add_u32 v5, v6, 23, v5
	v_or3_b32 v3, v3, v5, v4
	v_cvt_i32_f32_e32 v3, v3
.LBB231_176:
	s_or_b64 exec, exec, s[2:3]
.LBB231_177:
	s_mov_b64 s[2:3], -1
.LBB231_178:
	s_branch .LBB231_211
.LBB231_179:
	s_cmp_gt_i32 s12, 22
	s_cbranch_scc0 .LBB231_187
; %bb.180:
	s_cmp_lt_i32 s12, 24
	s_cbranch_scc1 .LBB231_190
; %bb.181:
	s_cmp_gt_i32 s12, 24
	s_cbranch_scc0 .LBB231_191
; %bb.182:
	global_load_ubyte v4, v[1:2], off
	s_movk_i32 s2, 0x7f
	s_mov_b64 s[10:11], 0
	s_waitcnt vmcnt(0)
	v_cmp_lt_i16_e32 vcc, s2, v4
	s_and_saveexec_b64 s[2:3], vcc
	s_xor_b64 s[2:3], exec, s[2:3]
	s_cbranch_execz .LBB231_203
; %bb.183:
	s_movk_i32 s10, 0x80
	v_cmp_ne_u16_e32 vcc, s10, v4
	s_and_b64 s[10:11], vcc, exec
	s_andn2_saveexec_b64 s[2:3], s[2:3]
	s_cbranch_execnz .LBB231_204
.LBB231_184:
	s_or_b64 exec, exec, s[2:3]
	v_mov_b32_e32 v3, 0
	s_and_saveexec_b64 s[2:3], s[10:11]
	s_cbranch_execz .LBB231_186
.LBB231_185:
	v_lshlrev_b32_e32 v3, 24, v4
	v_and_b32_e32 v4, 0xffff, v4
	v_and_b32_e32 v5, 3, v4
	v_ffbh_u32_e32 v7, v5
	v_min_u32_e32 v7, 32, v7
	v_subrev_u32_e32 v9, 29, v7
	v_bfe_u32 v6, v4, 2, 5
	v_lshlrev_b32_e32 v4, v9, v4
	v_sub_u32_e32 v7, 30, v7
	v_and_b32_e32 v4, 3, v4
	v_cmp_eq_u32_e32 vcc, 0, v6
	v_cndmask_b32_e32 v6, v6, v7, vcc
	v_cndmask_b32_e32 v4, v5, v4, vcc
	v_mov_b32_e32 v5, 0x37800000
	v_lshlrev_b32_e32 v4, 21, v4
	v_and_b32_e32 v3, 0x80000000, v3
	v_lshl_add_u32 v5, v6, 23, v5
	v_or3_b32 v3, v3, v5, v4
	v_cvt_i32_f32_e32 v3, v3
.LBB231_186:
	s_or_b64 exec, exec, s[2:3]
	s_mov_b64 s[2:3], 0
	s_branch .LBB231_192
.LBB231_187:
	s_mov_b64 s[10:11], -1
                                        ; implicit-def: $vgpr3
	s_branch .LBB231_198
.LBB231_188:
	s_andn2_saveexec_b64 s[2:3], s[2:3]
	s_cbranch_execz .LBB231_174
.LBB231_189:
	v_cmp_ne_u16_e32 vcc, 0, v4
	s_andn2_b64 s[10:11], s[10:11], exec
	s_and_b64 s[14:15], vcc, exec
	s_or_b64 s[10:11], s[10:11], s[14:15]
	s_or_b64 exec, exec, s[2:3]
	v_mov_b32_e32 v3, 0
	s_and_saveexec_b64 s[2:3], s[10:11]
	s_cbranch_execnz .LBB231_175
	s_branch .LBB231_176
.LBB231_190:
	s_mov_b64 s[2:3], -1
                                        ; implicit-def: $vgpr3
	s_branch .LBB231_195
.LBB231_191:
	s_mov_b64 s[2:3], -1
                                        ; implicit-def: $vgpr3
.LBB231_192:
	s_and_b64 vcc, exec, s[2:3]
	s_cbranch_vccz .LBB231_194
; %bb.193:
	global_load_ubyte v3, v[1:2], off
	s_mov_b32 s2, 0x7f800000
	s_waitcnt vmcnt(0)
	v_lshlrev_b32_e32 v3, 24, v3
	v_and_b32_e32 v4, 0x7f000000, v3
	v_ffbh_u32_e32 v5, v4
	v_min_u32_e32 v5, 32, v5
	v_sub_u32_e64 v5, v5, 4 clamp
	v_lshlrev_b32_e32 v7, v5, v4
	v_lshlrev_b32_e32 v5, 23, v5
	v_lshrrev_b32_e32 v7, 4, v7
	v_add_u32_e32 v6, 0x1000000, v4
	v_sub_u32_e32 v5, v7, v5
	v_ashrrev_i32_e32 v6, 8, v6
	v_add_u32_e32 v5, 0x3c000000, v5
	v_and_or_b32 v5, v6, s2, v5
	v_cmp_ne_u32_e32 vcc, 0, v4
	v_cndmask_b32_e32 v4, 0, v5, vcc
	s_brev_b32 s2, 1
	v_and_or_b32 v3, v3, s2, v4
	v_cvt_i32_f32_e32 v3, v3
.LBB231_194:
	s_mov_b64 s[2:3], 0
.LBB231_195:
	s_andn2_b64 vcc, exec, s[2:3]
	s_cbranch_vccnz .LBB231_197
; %bb.196:
	global_load_ubyte v3, v[1:2], off
	s_movk_i32 s2, 0x7f00
	s_brev_b32 s3, 16
	s_waitcnt vmcnt(0)
	v_lshlrev_b16_e32 v4, 8, v3
	v_lshlrev_b32_e32 v3, 25, v3
	v_lshrrev_b32_e32 v5, 4, v3
	v_and_or_b32 v6, v4, s2, 0.5
	v_or_b32_e32 v5, 0x70000000, v5
	v_add_f32_e32 v6, -0.5, v6
	v_mul_f32_e32 v5, 0x7800000, v5
	v_cmp_gt_u32_e32 vcc, s3, v3
	v_bfe_i32 v4, v4, 0, 16
	v_cndmask_b32_e32 v3, v5, v6, vcc
	s_brev_b32 s2, 1
	v_and_or_b32 v3, v4, s2, v3
	v_cvt_i32_f32_e32 v3, v3
.LBB231_197:
	s_mov_b64 s[10:11], 0
	s_mov_b64 s[2:3], -1
.LBB231_198:
	s_andn2_b64 vcc, exec, s[10:11]
	s_cbranch_vccnz .LBB231_211
; %bb.199:
	s_cmp_gt_i32 s12, 14
	s_cbranch_scc0 .LBB231_202
; %bb.200:
	s_cmp_eq_u32 s12, 15
	s_cbranch_scc0 .LBB231_205
; %bb.201:
	global_load_ushort v3, v[1:2], off
	s_mov_b64 s[2:3], -1
	s_mov_b64 s[8:9], 0
	s_waitcnt vmcnt(0)
	v_lshlrev_b32_e32 v3, 16, v3
	v_cvt_i32_f32_e32 v3, v3
	s_branch .LBB231_206
.LBB231_202:
	s_mov_b64 s[10:11], -1
                                        ; implicit-def: $vgpr3
	s_branch .LBB231_207
.LBB231_203:
	s_andn2_saveexec_b64 s[2:3], s[2:3]
	s_cbranch_execz .LBB231_184
.LBB231_204:
	v_cmp_ne_u16_e32 vcc, 0, v4
	s_andn2_b64 s[10:11], s[10:11], exec
	s_and_b64 s[14:15], vcc, exec
	s_or_b64 s[10:11], s[10:11], s[14:15]
	s_or_b64 exec, exec, s[2:3]
	v_mov_b32_e32 v3, 0
	s_and_saveexec_b64 s[2:3], s[10:11]
	s_cbranch_execnz .LBB231_185
	s_branch .LBB231_186
.LBB231_205:
	s_mov_b64 s[8:9], -1
                                        ; implicit-def: $vgpr3
.LBB231_206:
	s_mov_b64 s[10:11], 0
.LBB231_207:
	s_and_b64 vcc, exec, s[10:11]
	s_cbranch_vccz .LBB231_211
; %bb.208:
	s_cmp_eq_u32 s12, 11
	s_cbranch_scc0 .LBB231_210
; %bb.209:
	global_load_ubyte v3, v[1:2], off
	s_mov_b64 s[2:3], -1
	s_mov_b64 s[8:9], 0
	s_waitcnt vmcnt(0)
	v_cmp_ne_u16_e32 vcc, 0, v3
	v_cndmask_b32_e64 v3, 0, 1, vcc
	s_branch .LBB231_211
.LBB231_210:
	s_mov_b64 s[8:9], -1
                                        ; implicit-def: $vgpr3
.LBB231_211:
	s_branch .LBB231_24
.LBB231_212:
	s_cmp_lt_i32 s12, 5
	s_cbranch_scc1 .LBB231_217
; %bb.213:
	s_cmp_lt_i32 s12, 8
	s_cbranch_scc1 .LBB231_218
; %bb.214:
	;; [unrolled: 3-line block ×3, first 2 shown]
	s_cmp_gt_i32 s12, 9
	s_cbranch_scc0 .LBB231_220
; %bb.216:
	global_load_dwordx2 v[3:4], v[1:2], off
	s_mov_b64 s[2:3], 0
	s_waitcnt vmcnt(0)
	v_cvt_i32_f64_e32 v3, v[3:4]
	s_branch .LBB231_221
.LBB231_217:
                                        ; implicit-def: $vgpr3
	s_branch .LBB231_239
.LBB231_218:
	s_mov_b64 s[2:3], -1
                                        ; implicit-def: $vgpr3
	s_branch .LBB231_227
.LBB231_219:
	s_mov_b64 s[2:3], -1
                                        ; implicit-def: $vgpr3
	s_branch .LBB231_224
.LBB231_220:
	s_mov_b64 s[2:3], -1
                                        ; implicit-def: $vgpr3
.LBB231_221:
	s_andn2_b64 vcc, exec, s[2:3]
	s_cbranch_vccnz .LBB231_223
; %bb.222:
	global_load_dword v3, v[1:2], off
	s_waitcnt vmcnt(0)
	v_cvt_i32_f32_e32 v3, v3
.LBB231_223:
	s_mov_b64 s[2:3], 0
.LBB231_224:
	s_andn2_b64 vcc, exec, s[2:3]
	s_cbranch_vccnz .LBB231_226
; %bb.225:
	global_load_dword v3, v[1:2], off
	s_waitcnt vmcnt(0)
	v_cvt_i16_f16_e32 v3, v3
.LBB231_226:
	s_mov_b64 s[2:3], 0
.LBB231_227:
	s_andn2_b64 vcc, exec, s[2:3]
	s_cbranch_vccnz .LBB231_238
; %bb.228:
	s_cmp_lt_i32 s12, 6
	s_cbranch_scc1 .LBB231_231
; %bb.229:
	s_cmp_gt_i32 s12, 6
	s_cbranch_scc0 .LBB231_232
; %bb.230:
	global_load_dwordx2 v[3:4], v[1:2], off
	s_mov_b64 s[2:3], 0
	s_waitcnt vmcnt(0)
	v_cvt_i32_f64_e32 v3, v[3:4]
	s_branch .LBB231_233
.LBB231_231:
	s_mov_b64 s[2:3], -1
                                        ; implicit-def: $vgpr3
	s_branch .LBB231_236
.LBB231_232:
	s_mov_b64 s[2:3], -1
                                        ; implicit-def: $vgpr3
.LBB231_233:
	s_andn2_b64 vcc, exec, s[2:3]
	s_cbranch_vccnz .LBB231_235
; %bb.234:
	global_load_dword v3, v[1:2], off
	s_waitcnt vmcnt(0)
	v_cvt_i32_f32_e32 v3, v3
.LBB231_235:
	s_mov_b64 s[2:3], 0
.LBB231_236:
	s_andn2_b64 vcc, exec, s[2:3]
	s_cbranch_vccnz .LBB231_238
; %bb.237:
	global_load_ushort v3, v[1:2], off
	s_waitcnt vmcnt(0)
	v_cvt_i16_f16_e32 v3, v3
.LBB231_238:
	s_cbranch_execnz .LBB231_258
.LBB231_239:
	s_cmp_lt_i32 s12, 2
	s_cbranch_scc1 .LBB231_243
; %bb.240:
	s_cmp_lt_i32 s12, 3
	s_cbranch_scc1 .LBB231_244
; %bb.241:
	s_cmp_gt_i32 s12, 3
	s_cbranch_scc0 .LBB231_245
; %bb.242:
	global_load_dwordx2 v[3:4], v[1:2], off
	s_mov_b64 s[2:3], 0
	s_branch .LBB231_246
.LBB231_243:
	s_mov_b64 s[2:3], -1
                                        ; implicit-def: $vgpr3
	s_branch .LBB231_252
.LBB231_244:
	s_mov_b64 s[2:3], -1
                                        ; implicit-def: $vgpr3
	s_branch .LBB231_249
.LBB231_245:
	s_mov_b64 s[2:3], -1
                                        ; implicit-def: $vgpr3
.LBB231_246:
	s_andn2_b64 vcc, exec, s[2:3]
	s_cbranch_vccnz .LBB231_248
; %bb.247:
	global_load_dword v3, v[1:2], off
.LBB231_248:
	s_mov_b64 s[2:3], 0
.LBB231_249:
	s_andn2_b64 vcc, exec, s[2:3]
	s_cbranch_vccnz .LBB231_251
; %bb.250:
	global_load_ushort v3, v[1:2], off
.LBB231_251:
	s_mov_b64 s[2:3], 0
.LBB231_252:
	s_andn2_b64 vcc, exec, s[2:3]
	s_cbranch_vccnz .LBB231_258
; %bb.253:
	s_cmp_gt_i32 s12, 0
	s_cbranch_scc0 .LBB231_255
; %bb.254:
	global_load_sbyte v3, v[1:2], off
	s_mov_b64 s[2:3], 0
	s_branch .LBB231_256
.LBB231_255:
	s_mov_b64 s[2:3], -1
                                        ; implicit-def: $vgpr3
.LBB231_256:
	s_andn2_b64 vcc, exec, s[2:3]
	s_cbranch_vccnz .LBB231_258
; %bb.257:
	global_load_ubyte v3, v[1:2], off
.LBB231_258:
	s_branch .LBB231_25
.LBB231_259:
	s_mov_b64 s[2:3], 0
.LBB231_260:
	s_mov_b64 s[10:11], 0
                                        ; implicit-def: $vgpr8
.LBB231_261:
	s_and_b64 s[56:57], s[2:3], exec
	s_and_b64 s[58:59], s[8:9], exec
	s_orn2_b64 s[2:3], s[10:11], exec
.LBB231_262:
	s_or_b64 exec, exec, s[60:61]
	s_mov_b64 s[12:13], 0
	s_mov_b64 s[10:11], 0
                                        ; implicit-def: $vgpr1_vgpr2
                                        ; implicit-def: $vgpr0
                                        ; implicit-def: $vgpr3
	s_and_saveexec_b64 s[60:61], s[2:3]
	s_cbranch_execz .LBB231_269
; %bb.263:
	v_cmp_gt_i32_e32 vcc, s72, v8
	s_mov_b64 s[2:3], -1
	s_mov_b64 s[62:63], s[58:59]
	s_mov_b64 s[64:65], s[56:57]
	s_and_saveexec_b64 s[66:67], vcc
	s_cbranch_execz .LBB231_534
; %bb.264:
	s_andn2_b64 vcc, exec, s[44:45]
	s_cbranch_vccnz .LBB231_272
; %bb.265:
	s_andn2_b64 vcc, exec, s[54:55]
	s_cbranch_vccnz .LBB231_273
; %bb.266:
	s_add_i32 s65, s78, 1
	s_cmp_eq_u32 s74, 2
	s_cbranch_scc1 .LBB231_274
; %bb.267:
	s_and_b32 s64, s65, 28
	v_mov_b32_e32 v2, 0
	s_mov_b32 s68, 0
	s_mov_b64 s[2:3], s[34:35]
	s_mov_b64 s[62:63], s[52:53]
	v_mov_b32_e32 v0, 0
	v_mov_b32_e32 v1, v8
.LBB231_268:                            ; =>This Inner Loop Header: Depth=1
	s_load_dwordx8 s[16:23], s[2:3], 0x4
	s_load_dwordx4 s[40:43], s[2:3], 0x24
	s_load_dwordx8 s[8:15], s[62:63], 0x0
	s_add_u32 s2, s2, 48
	s_addc_u32 s3, s3, 0
	s_waitcnt vmcnt(0) lgkmcnt(0)
	v_mul_hi_u32 v3, s17, v1
	s_add_i32 s68, s68, 4
	s_add_u32 s62, s62, 32
	s_addc_u32 s63, s63, 0
	v_add_u32_e32 v3, v1, v3
	v_lshrrev_b32_e32 v3, s18, v3
	v_mul_lo_u32 v4, v3, s16
	v_mul_hi_u32 v5, s20, v3
	s_cmp_eq_u32 s64, s68
	v_sub_u32_e32 v1, v1, v4
	v_add_u32_e32 v4, v3, v5
	v_mul_lo_u32 v5, v1, s8
	v_mul_lo_u32 v6, v1, s9
	v_lshrrev_b32_e32 v1, s21, v4
	v_mul_lo_u32 v4, v1, s19
	v_mul_hi_u32 v7, s23, v1
	v_sub_u32_e32 v3, v3, v4
	v_add_u32_e32 v4, v1, v7
	v_lshrrev_b32_e32 v4, s40, v4
	v_mul_hi_u32 v9, s42, v4
	v_mul_lo_u32 v10, v4, s22
	v_mul_lo_u32 v7, v3, s10
	;; [unrolled: 1-line block ×3, first 2 shown]
	v_sub_u32_e32 v10, v1, v10
	v_add_u32_e32 v1, v4, v9
	v_lshrrev_b32_e32 v1, s43, v1
	v_mul_lo_u32 v9, v1, s41
	v_mul_lo_u32 v11, v10, s12
	;; [unrolled: 1-line block ×3, first 2 shown]
	v_add3_u32 v0, v5, v0, v7
	v_sub_u32_e32 v4, v4, v9
	v_mul_lo_u32 v9, v4, s14
	v_mul_lo_u32 v4, v4, s15
	v_add3_u32 v2, v6, v2, v3
	v_add3_u32 v0, v11, v0, v9
	;; [unrolled: 1-line block ×3, first 2 shown]
	s_cbranch_scc0 .LBB231_268
	s_branch .LBB231_275
.LBB231_269:
	s_or_b64 exec, exec, s[60:61]
	s_mov_b64 s[2:3], 0
	s_and_saveexec_b64 s[8:9], s[58:59]
	s_cbranch_execnz .LBB231_902
.LBB231_270:
	s_or_b64 exec, exec, s[8:9]
	s_and_saveexec_b64 s[8:9], s[64:65]
	s_xor_b64 s[8:9], exec, s[8:9]
	s_cbranch_execz .LBB231_903
.LBB231_271:
	global_load_ubyte v3, v[1:2], off
	s_or_b64 s[10:11], s[10:11], exec
	s_waitcnt vmcnt(0)
	v_cmp_ne_u16_e32 vcc, 0, v3
	v_cndmask_b32_e64 v3, 0, 1, vcc
	s_or_b64 exec, exec, s[8:9]
	s_and_saveexec_b64 s[8:9], s[12:13]
	s_cbranch_execz .LBB231_949
	s_branch .LBB231_904
.LBB231_272:
                                        ; implicit-def: $vgpr0
                                        ; implicit-def: $vgpr2
	s_andn2_b64 vcc, exec, s[2:3]
	s_cbranch_vccz .LBB231_279
	s_branch .LBB231_281
.LBB231_273:
	v_mov_b32_e32 v0, 0
	v_mov_b32_e32 v2, 0
	s_branch .LBB231_278
.LBB231_274:
	s_mov_b32 s64, 0
	v_mov_b32_e32 v0, 0
	v_mov_b32_e32 v2, 0
	;; [unrolled: 1-line block ×3, first 2 shown]
.LBB231_275:
	s_and_b32 s10, s65, 3
	s_cmp_eq_u32 s10, 0
	s_cbranch_scc1 .LBB231_278
; %bb.276:
	s_lshl_b32 s2, s64, 3
	s_add_u32 s2, s34, s2
	s_addc_u32 s3, s35, 0
	s_add_u32 s2, s2, 0xc4
	s_addc_u32 s3, s3, 0
	s_mul_i32 s8, s64, 12
	s_add_u32 s8, s34, s8
	s_addc_u32 s9, s35, 0
.LBB231_277:                            ; =>This Inner Loop Header: Depth=1
	s_load_dwordx2 s[12:13], s[8:9], 0x4
	s_load_dword s11, s[8:9], 0xc
	s_load_dwordx2 s[14:15], s[2:3], 0x0
	s_add_u32 s8, s8, 12
	s_addc_u32 s9, s9, 0
	s_waitcnt vmcnt(0) lgkmcnt(0)
	v_mul_hi_u32 v3, s13, v1
	s_add_u32 s2, s2, 8
	s_addc_u32 s3, s3, 0
	s_add_i32 s10, s10, -1
	v_add_u32_e32 v3, v1, v3
	v_lshrrev_b32_e32 v4, s11, v3
	v_mul_lo_u32 v3, v4, s12
	s_cmp_lg_u32 s10, 0
	v_sub_u32_e32 v3, v1, v3
	v_mad_u64_u32 v[0:1], s[12:13], v3, s14, v[0:1]
	v_mad_u64_u32 v[2:3], s[12:13], v3, s15, v[2:3]
	v_mov_b32_e32 v1, v4
	s_cbranch_scc1 .LBB231_277
.LBB231_278:
	s_cbranch_execnz .LBB231_281
.LBB231_279:
	v_mul_hi_u32 v0, s29, v8
	s_andn2_b64 vcc, exec, s[50:51]
	v_add_u32_e32 v0, v8, v0
	v_lshrrev_b32_e32 v1, s30, v0
	v_mul_lo_u32 v0, v1, s28
	v_sub_u32_e32 v2, v8, v0
	v_mul_lo_u32 v0, v2, s36
	v_mul_lo_u32 v2, v2, s37
	s_cbranch_vccnz .LBB231_281
; %bb.280:
	s_waitcnt vmcnt(0)
	v_mul_hi_u32 v3, s48, v1
	v_add_u32_e32 v3, v1, v3
	v_lshrrev_b32_e32 v3, s49, v3
	v_mul_lo_u32 v3, v3, s31
	v_sub_u32_e32 v3, v1, v3
	v_mad_u64_u32 v[0:1], s[2:3], v3, s38, v[0:1]
	v_mad_u64_u32 v[2:3], s[2:3], v3, s39, v[2:3]
.LBB231_281:
	s_waitcnt vmcnt(0)
	v_mov_b32_e32 v3, s27
	s_and_b32 s12, 0xffff, s77
	v_add_co_u32_e32 v1, vcc, s26, v2
	s_cmp_lt_i32 s12, 11
	v_addc_co_u32_e32 v2, vcc, 0, v3, vcc
	s_cbranch_scc1 .LBB231_288
; %bb.282:
	s_cmp_gt_i32 s12, 25
	s_cbranch_scc0 .LBB231_297
; %bb.283:
	s_cmp_gt_i32 s12, 28
	s_cbranch_scc0 .LBB231_299
	;; [unrolled: 3-line block ×4, first 2 shown]
; %bb.286:
	s_cmp_eq_u32 s12, 46
	s_mov_b64 s[10:11], 0
	s_cbranch_scc0 .LBB231_309
; %bb.287:
	global_load_dword v3, v[1:2], off
	s_mov_b64 s[2:3], -1
	s_mov_b64 s[8:9], 0
	s_waitcnt vmcnt(0)
	v_lshlrev_b32_e32 v3, 16, v3
	v_cvt_i32_f32_e32 v3, v3
	s_branch .LBB231_310
.LBB231_288:
	s_mov_b64 s[2:3], 0
                                        ; implicit-def: $vgpr3
	s_mov_b64 s[8:9], s[58:59]
	s_cbranch_execnz .LBB231_483
.LBB231_289:
	s_andn2_b64 vcc, exec, s[2:3]
	s_cbranch_vccnz .LBB231_531
.LBB231_290:
	s_waitcnt vmcnt(0)
	v_ashrrev_i16_e32 v1, 15, v3
	v_ashrrev_i32_sdwa v2, s76, sext(v3) dst_sel:DWORD dst_unused:UNUSED_PAD src0_sel:DWORD src1_sel:WORD_0
	v_cndmask_b32_e64 v4, v2, v1, s[0:1]
	v_mov_b32_e32 v1, s25
	s_and_b32 s16, s75, 0xff
	v_add_co_u32_e32 v0, vcc, s24, v0
	s_cmp_lt_i32 s16, 11
	v_addc_co_u32_e32 v1, vcc, 0, v1, vcc
	s_cbranch_scc1 .LBB231_298
; %bb.291:
	s_and_b32 s17, 0xffff, s16
	s_cmp_gt_i32 s17, 25
	s_cbranch_scc0 .LBB231_300
; %bb.292:
	s_cmp_gt_i32 s17, 28
	s_cbranch_scc0 .LBB231_302
; %bb.293:
	;; [unrolled: 3-line block ×4, first 2 shown]
	s_mov_b64 s[12:13], 0
	s_mov_b64 s[2:3], -1
	s_cmp_eq_u32 s17, 46
	s_mov_b64 s[10:11], 0
	s_cbranch_scc0 .LBB231_314
; %bb.296:
	v_cvt_f32_i32_sdwa v2, sext(v4) dst_sel:DWORD dst_unused:UNUSED_PAD src0_sel:WORD_0
	s_movk_i32 s2, 0x7fff
	s_mov_b64 s[10:11], -1
	v_bfe_u32 v3, v2, 16, 1
	v_add3_u32 v2, v2, v3, s2
	v_lshrrev_b32_e32 v2, 16, v2
	global_store_dword v[0:1], v2, off
	s_mov_b64 s[2:3], 0
	s_branch .LBB231_314
.LBB231_297:
	s_mov_b64 s[10:11], -1
	s_mov_b64 s[2:3], 0
	s_mov_b64 s[8:9], s[58:59]
                                        ; implicit-def: $vgpr3
	s_branch .LBB231_449
.LBB231_298:
	s_mov_b64 s[12:13], -1
	s_mov_b64 s[10:11], 0
	s_mov_b64 s[2:3], s[56:57]
	s_branch .LBB231_383
.LBB231_299:
	s_mov_b64 s[10:11], -1
	s_mov_b64 s[2:3], 0
	s_mov_b64 s[8:9], s[58:59]
                                        ; implicit-def: $vgpr3
	s_branch .LBB231_432
.LBB231_300:
	s_mov_b64 s[12:13], -1
	s_mov_b64 s[10:11], 0
	s_mov_b64 s[2:3], s[56:57]
	s_branch .LBB231_341
.LBB231_301:
	s_mov_b64 s[10:11], -1
	s_mov_b64 s[2:3], 0
	s_mov_b64 s[8:9], s[58:59]
                                        ; implicit-def: $vgpr3
	s_branch .LBB231_427
.LBB231_302:
	s_mov_b64 s[12:13], -1
	s_mov_b64 s[10:11], 0
	s_mov_b64 s[2:3], s[56:57]
	s_branch .LBB231_324
.LBB231_303:
	s_andn2_saveexec_b64 s[14:15], s[14:15]
	s_cbranch_execz .LBB231_68
.LBB231_304:
	s_mov_b32 s18, 0x46000000
	v_add_f32_e64 v3, |v2|, s18
	v_and_b32_e32 v3, 0xff, v3
	v_cmp_ne_u32_e32 vcc, 0, v3
	s_andn2_b64 s[12:13], s[12:13], exec
	s_and_b64 s[18:19], vcc, exec
	s_or_b64 s[12:13], s[12:13], s[18:19]
	s_or_b64 exec, exec, s[14:15]
	v_mov_b32_e32 v5, 0
	s_and_saveexec_b64 s[14:15], s[12:13]
	s_cbranch_execnz .LBB231_69
	s_branch .LBB231_70
.LBB231_305:
	s_mov_b64 s[10:11], -1
	s_mov_b64 s[2:3], 0
	s_mov_b64 s[8:9], s[58:59]
                                        ; implicit-def: $vgpr3
	s_branch .LBB231_310
.LBB231_306:
	s_mov_b64 s[12:13], -1
	s_mov_b64 s[10:11], 0
	s_mov_b64 s[2:3], s[56:57]
	s_branch .LBB231_320
.LBB231_307:
	s_andn2_saveexec_b64 s[14:15], s[14:15]
	s_cbranch_execz .LBB231_81
.LBB231_308:
	s_mov_b32 s18, 0x42800000
	v_add_f32_e64 v3, |v2|, s18
	v_and_b32_e32 v3, 0xff, v3
	v_cmp_ne_u32_e32 vcc, 0, v3
	s_andn2_b64 s[12:13], s[12:13], exec
	s_and_b64 s[18:19], vcc, exec
	s_or_b64 s[12:13], s[12:13], s[18:19]
	s_or_b64 exec, exec, s[14:15]
	v_mov_b32_e32 v5, 0
	s_and_saveexec_b64 s[14:15], s[12:13]
	s_cbranch_execnz .LBB231_82
	s_branch .LBB231_83
.LBB231_309:
	s_mov_b64 s[8:9], -1
                                        ; implicit-def: $vgpr3
	s_mov_b64 s[2:3], 0
.LBB231_310:
	s_and_b64 vcc, exec, s[10:11]
	s_cbranch_vccz .LBB231_426
; %bb.311:
	s_cmp_eq_u32 s12, 44
	s_cbranch_scc0 .LBB231_425
; %bb.312:
	global_load_ubyte v3, v[1:2], off
	s_mov_b64 s[2:3], -1
	s_mov_b64 s[8:9], 0
	s_waitcnt vmcnt(0)
	v_lshlrev_b32_e32 v4, 23, v3
	v_cvt_i32_f32_e32 v4, v4
	v_cmp_ne_u32_e32 vcc, 0, v3
	v_cndmask_b32_e32 v3, 0, v4, vcc
	s_branch .LBB231_426
.LBB231_313:
	s_mov_b64 s[12:13], -1
	s_mov_b64 s[10:11], 0
	s_mov_b64 s[2:3], s[56:57]
.LBB231_314:
	s_and_b64 vcc, exec, s[12:13]
	s_cbranch_vccz .LBB231_319
; %bb.315:
	s_cmp_eq_u32 s17, 44
	s_mov_b64 s[2:3], -1
	s_cbranch_scc0 .LBB231_319
; %bb.316:
	v_cvt_f32_i32_sdwa v2, sext(v4) dst_sel:DWORD dst_unused:UNUSED_PAD src0_sel:WORD_0
	s_movk_i32 s2, 0xff
	v_mov_b32_e32 v5, 0xff
	v_bfe_u32 v3, v2, 23, 8
	v_cmp_ne_u32_e32 vcc, s2, v3
	s_and_saveexec_b64 s[10:11], vcc
; %bb.317:
	s_mov_b32 s2, 0x3fffff
	v_lshrrev_b32_e32 v5, 23, v2
	v_and_b32_e32 v6, 0x400000, v2
	v_and_or_b32 v2, v2, s2, v3
	v_cmp_ne_u32_e32 vcc, 0, v6
	v_cmp_ne_u32_e64 s[2:3], 0, v2
	s_and_b64 s[2:3], vcc, s[2:3]
	v_cndmask_b32_e64 v2, 0, 1, s[2:3]
	v_add_u32_e32 v5, v5, v2
; %bb.318:
	s_or_b64 exec, exec, s[10:11]
	s_mov_b64 s[10:11], -1
	s_mov_b64 s[2:3], 0
	global_store_byte v[0:1], v5, off
.LBB231_319:
	s_mov_b64 s[12:13], 0
.LBB231_320:
	s_and_b64 vcc, exec, s[12:13]
	s_cbranch_vccz .LBB231_323
; %bb.321:
	s_cmp_eq_u32 s17, 29
	s_mov_b64 s[2:3], -1
	s_cbranch_scc0 .LBB231_323
; %bb.322:
	v_bfe_i32 v2, v4, 0, 16
	v_ashrrev_i32_e32 v3, 31, v2
	global_store_dwordx2 v[0:1], v[2:3], off
	s_mov_b64 s[10:11], -1
	s_mov_b64 s[2:3], 0
.LBB231_323:
	s_mov_b64 s[12:13], 0
.LBB231_324:
	s_and_b64 vcc, exec, s[12:13]
	s_cbranch_vccz .LBB231_340
; %bb.325:
	s_cmp_lt_i32 s17, 27
	s_mov_b64 s[10:11], -1
	s_cbranch_scc1 .LBB231_331
; %bb.326:
	s_cmp_gt_i32 s17, 27
	s_cbranch_scc0 .LBB231_328
; %bb.327:
	v_bfe_i32 v2, v4, 0, 16
	s_mov_b64 s[10:11], 0
	global_store_dword v[0:1], v2, off
.LBB231_328:
	s_andn2_b64 vcc, exec, s[10:11]
	s_cbranch_vccnz .LBB231_330
; %bb.329:
	global_store_short v[0:1], v4, off
.LBB231_330:
	s_mov_b64 s[10:11], 0
.LBB231_331:
	s_andn2_b64 vcc, exec, s[10:11]
	s_cbranch_vccnz .LBB231_339
; %bb.332:
	v_cvt_f32_i32_sdwa v2, sext(v4) dst_sel:DWORD dst_unused:UNUSED_PAD src0_sel:WORD_0
	s_mov_b32 s10, 0x43800000
	v_mov_b32_e32 v5, 0x80
	v_and_b32_e32 v3, 0x7fffffff, v2
	v_cmp_gt_u32_e32 vcc, s10, v3
	s_and_saveexec_b64 s[10:11], vcc
	s_cbranch_execz .LBB231_338
; %bb.333:
	s_mov_b32 s12, 0x3bffffff
	v_cmp_lt_u32_e32 vcc, s12, v3
	s_mov_b64 s[12:13], 0
                                        ; implicit-def: $vgpr3
	s_and_saveexec_b64 s[14:15], vcc
	s_xor_b64 s[14:15], exec, s[14:15]
	s_cbranch_execz .LBB231_562
; %bb.334:
	v_bfe_u32 v3, v2, 20, 1
	s_mov_b32 s18, 0x487ffff
	v_add3_u32 v3, v2, v3, s18
	s_mov_b64 s[12:13], exec
	v_lshrrev_b32_e32 v3, 20, v3
	s_andn2_saveexec_b64 s[14:15], s[14:15]
	s_cbranch_execnz .LBB231_563
.LBB231_335:
	s_or_b64 exec, exec, s[14:15]
	v_mov_b32_e32 v5, 0
	s_and_saveexec_b64 s[14:15], s[12:13]
.LBB231_336:
	v_lshrrev_b32_e32 v2, 24, v2
	s_movk_i32 s12, 0x80
	v_and_or_b32 v5, v2, s12, v3
.LBB231_337:
	s_or_b64 exec, exec, s[14:15]
.LBB231_338:
	s_or_b64 exec, exec, s[10:11]
	global_store_byte v[0:1], v5, off
.LBB231_339:
	s_mov_b64 s[10:11], -1
.LBB231_340:
	s_mov_b64 s[12:13], 0
.LBB231_341:
	s_and_b64 vcc, exec, s[12:13]
	s_cbranch_vccz .LBB231_382
; %bb.342:
	s_cmp_gt_i32 s17, 22
	s_mov_b64 s[12:13], -1
	s_cbranch_scc0 .LBB231_374
; %bb.343:
	s_cmp_lt_i32 s17, 24
	s_mov_b64 s[10:11], -1
	s_cbranch_scc1 .LBB231_363
; %bb.344:
	s_cmp_gt_i32 s17, 24
	s_cbranch_scc0 .LBB231_352
; %bb.345:
	v_cvt_f32_i32_sdwa v2, sext(v4) dst_sel:DWORD dst_unused:UNUSED_PAD src0_sel:WORD_0
	s_mov_b32 s10, 0x47800000
	v_mov_b32_e32 v5, 0x80
	v_and_b32_e32 v3, 0x7fffffff, v2
	v_cmp_gt_u32_e32 vcc, s10, v3
	s_and_saveexec_b64 s[10:11], vcc
	s_cbranch_execz .LBB231_351
; %bb.346:
	s_mov_b32 s12, 0x37ffffff
	v_cmp_lt_u32_e32 vcc, s12, v3
	s_mov_b64 s[12:13], 0
                                        ; implicit-def: $vgpr3
	s_and_saveexec_b64 s[14:15], vcc
	s_xor_b64 s[14:15], exec, s[14:15]
	s_cbranch_execz .LBB231_565
; %bb.347:
	v_bfe_u32 v3, v2, 21, 1
	s_mov_b32 s18, 0x88fffff
	v_add3_u32 v3, v2, v3, s18
	s_mov_b64 s[12:13], exec
	v_lshrrev_b32_e32 v3, 21, v3
	s_andn2_saveexec_b64 s[14:15], s[14:15]
	s_cbranch_execnz .LBB231_566
.LBB231_348:
	s_or_b64 exec, exec, s[14:15]
	v_mov_b32_e32 v5, 0
	s_and_saveexec_b64 s[14:15], s[12:13]
.LBB231_349:
	v_lshrrev_b32_e32 v2, 24, v2
	s_movk_i32 s12, 0x80
	v_and_or_b32 v5, v2, s12, v3
.LBB231_350:
	s_or_b64 exec, exec, s[14:15]
.LBB231_351:
	s_or_b64 exec, exec, s[10:11]
	s_mov_b64 s[10:11], 0
	global_store_byte v[0:1], v5, off
.LBB231_352:
	s_and_b64 vcc, exec, s[10:11]
	s_cbranch_vccz .LBB231_362
; %bb.353:
	v_cvt_f32_i32_sdwa v2, sext(v4) dst_sel:DWORD dst_unused:UNUSED_PAD src0_sel:WORD_0
	s_mov_b32 s10, 0x43f00000
                                        ; implicit-def: $vgpr3
	v_and_b32_e32 v5, 0x7fffffff, v2
	v_cmp_gt_u32_e32 vcc, s10, v5
	s_and_saveexec_b64 s[10:11], vcc
	s_xor_b64 s[10:11], exec, s[10:11]
	s_cbranch_execz .LBB231_359
; %bb.354:
	s_mov_b32 s12, 0x3c7fffff
	v_cmp_lt_u32_e32 vcc, s12, v5
                                        ; implicit-def: $vgpr3
	s_and_saveexec_b64 s[12:13], vcc
	s_xor_b64 s[12:13], exec, s[12:13]
; %bb.355:
	v_bfe_u32 v3, v2, 20, 1
	s_mov_b32 s14, 0x407ffff
	v_add3_u32 v3, v2, v3, s14
	v_lshrrev_b32_e32 v5, 20, v3
	v_and_b32_e32 v3, 0xff00000, v3
	s_mov_b32 s14, 0x7f00000
	v_mov_b32_e32 v6, 0x7e
	v_cmp_ne_u32_e32 vcc, s14, v3
	v_cndmask_b32_e32 v3, v6, v5, vcc
; %bb.356:
	s_andn2_saveexec_b64 s[12:13], s[12:13]
; %bb.357:
	s_mov_b32 s14, 0x46800000
	v_add_f32_e64 v3, |v2|, s14
; %bb.358:
	s_or_b64 exec, exec, s[12:13]
                                        ; implicit-def: $vgpr5
.LBB231_359:
	s_andn2_saveexec_b64 s[10:11], s[10:11]
; %bb.360:
	s_mov_b32 s12, 0x7f800000
	v_mov_b32_e32 v3, 0x7e
	v_mov_b32_e32 v6, 0x7f
	v_cmp_lt_u32_e32 vcc, s12, v5
	v_cndmask_b32_e32 v3, v3, v6, vcc
; %bb.361:
	s_or_b64 exec, exec, s[10:11]
	v_lshrrev_b32_e32 v2, 24, v2
	s_movk_i32 s10, 0x80
	v_and_or_b32 v2, v2, s10, v3
	global_store_byte v[0:1], v2, off
.LBB231_362:
	s_mov_b64 s[10:11], 0
.LBB231_363:
	s_andn2_b64 vcc, exec, s[10:11]
	s_cbranch_vccnz .LBB231_373
; %bb.364:
	v_cvt_f32_i32_sdwa v2, sext(v4) dst_sel:DWORD dst_unused:UNUSED_PAD src0_sel:WORD_0
	s_mov_b32 s10, 0x47800000
                                        ; implicit-def: $vgpr3
	v_and_b32_e32 v5, 0x7fffffff, v2
	v_cmp_gt_u32_e32 vcc, s10, v5
	s_and_saveexec_b64 s[10:11], vcc
	s_xor_b64 s[10:11], exec, s[10:11]
	s_cbranch_execz .LBB231_370
; %bb.365:
	s_mov_b32 s12, 0x387fffff
	v_cmp_lt_u32_e32 vcc, s12, v5
                                        ; implicit-def: $vgpr3
	s_and_saveexec_b64 s[12:13], vcc
	s_xor_b64 s[12:13], exec, s[12:13]
; %bb.366:
	v_bfe_u32 v3, v2, 21, 1
	s_mov_b32 s14, 0x80fffff
	v_add3_u32 v3, v2, v3, s14
	v_lshrrev_b32_e32 v3, 21, v3
; %bb.367:
	s_andn2_saveexec_b64 s[12:13], s[12:13]
; %bb.368:
	s_mov_b32 s14, 0x43000000
	v_add_f32_e64 v3, |v2|, s14
; %bb.369:
	s_or_b64 exec, exec, s[12:13]
                                        ; implicit-def: $vgpr5
.LBB231_370:
	s_andn2_saveexec_b64 s[10:11], s[10:11]
; %bb.371:
	s_mov_b32 s12, 0x7f800000
	v_mov_b32_e32 v3, 0x7c
	v_mov_b32_e32 v6, 0x7f
	v_cmp_lt_u32_e32 vcc, s12, v5
	v_cndmask_b32_e32 v3, v3, v6, vcc
; %bb.372:
	s_or_b64 exec, exec, s[10:11]
	v_lshrrev_b32_e32 v2, 24, v2
	s_movk_i32 s10, 0x80
	v_and_or_b32 v2, v2, s10, v3
	global_store_byte v[0:1], v2, off
.LBB231_373:
	s_mov_b64 s[12:13], 0
	s_mov_b64 s[10:11], -1
.LBB231_374:
	s_andn2_b64 vcc, exec, s[12:13]
	s_cbranch_vccnz .LBB231_382
; %bb.375:
	s_cmp_gt_i32 s17, 14
	s_mov_b64 s[12:13], -1
	s_cbranch_scc0 .LBB231_379
; %bb.376:
	s_cmp_eq_u32 s17, 15
	s_mov_b64 s[2:3], -1
	s_cbranch_scc0 .LBB231_378
; %bb.377:
	v_cvt_f32_i32_sdwa v2, sext(v4) dst_sel:DWORD dst_unused:UNUSED_PAD src0_sel:WORD_0
	s_movk_i32 s2, 0x7fff
	s_mov_b64 s[10:11], -1
	v_bfe_u32 v3, v2, 16, 1
	v_add3_u32 v2, v2, v3, s2
	global_store_short_d16_hi v[0:1], v2, off
	s_mov_b64 s[2:3], 0
.LBB231_378:
	s_mov_b64 s[12:13], 0
.LBB231_379:
	s_and_b64 vcc, exec, s[12:13]
	s_cbranch_vccz .LBB231_382
; %bb.380:
	s_cmp_eq_u32 s17, 11
	s_mov_b64 s[2:3], -1
	s_cbranch_scc0 .LBB231_382
; %bb.381:
	v_cmp_ne_u16_e32 vcc, 0, v4
	v_cndmask_b32_e64 v2, 0, 1, vcc
	s_mov_b64 s[10:11], -1
	s_mov_b64 s[2:3], 0
	global_store_byte v[0:1], v2, off
.LBB231_382:
	s_mov_b64 s[12:13], 0
.LBB231_383:
	s_and_b64 vcc, exec, s[12:13]
	s_cbranch_vccz .LBB231_422
; %bb.384:
	s_and_b32 s12, 0xffff, s16
	s_cmp_lt_i32 s12, 5
	s_mov_b64 s[10:11], -1
	s_cbranch_scc1 .LBB231_405
; %bb.385:
	s_cmp_lt_i32 s12, 8
	s_cbranch_scc1 .LBB231_395
; %bb.386:
	s_cmp_lt_i32 s12, 9
	s_cbranch_scc1 .LBB231_392
; %bb.387:
	s_cmp_gt_i32 s12, 9
	s_cbranch_scc0 .LBB231_389
; %bb.388:
	v_bfe_i32 v2, v4, 0, 16
	v_cvt_f64_i32_e32 v[9:10], v2
	v_mov_b32_e32 v11, 0
	v_mov_b32_e32 v12, v11
	s_mov_b64 s[10:11], 0
	global_store_dwordx4 v[0:1], v[9:12], off
.LBB231_389:
	s_andn2_b64 vcc, exec, s[10:11]
	s_cbranch_vccnz .LBB231_391
; %bb.390:
	v_cvt_f32_i32_sdwa v2, sext(v4) dst_sel:DWORD dst_unused:UNUSED_PAD src0_sel:WORD_0
	v_mov_b32_e32 v3, 0
	global_store_dwordx2 v[0:1], v[2:3], off
.LBB231_391:
	s_mov_b64 s[10:11], 0
.LBB231_392:
	s_andn2_b64 vcc, exec, s[10:11]
	s_cbranch_vccnz .LBB231_394
; %bb.393:
	v_cvt_f16_i16_e32 v2, v4
	global_store_dword v[0:1], v2, off
.LBB231_394:
	s_mov_b64 s[10:11], 0
.LBB231_395:
	s_andn2_b64 vcc, exec, s[10:11]
	s_cbranch_vccnz .LBB231_404
; %bb.396:
	s_cmp_lt_i32 s12, 6
	s_mov_b64 s[10:11], -1
	s_cbranch_scc1 .LBB231_402
; %bb.397:
	s_cmp_gt_i32 s12, 6
	s_cbranch_scc0 .LBB231_399
; %bb.398:
	v_bfe_i32 v2, v4, 0, 16
	v_cvt_f64_i32_e32 v[2:3], v2
	s_mov_b64 s[10:11], 0
	global_store_dwordx2 v[0:1], v[2:3], off
.LBB231_399:
	s_andn2_b64 vcc, exec, s[10:11]
	s_cbranch_vccnz .LBB231_401
; %bb.400:
	v_cvt_f32_i32_sdwa v2, sext(v4) dst_sel:DWORD dst_unused:UNUSED_PAD src0_sel:WORD_0
	global_store_dword v[0:1], v2, off
.LBB231_401:
	s_mov_b64 s[10:11], 0
.LBB231_402:
	s_andn2_b64 vcc, exec, s[10:11]
	s_cbranch_vccnz .LBB231_404
; %bb.403:
	v_cvt_f16_i16_e32 v2, v4
	global_store_short v[0:1], v2, off
.LBB231_404:
	s_mov_b64 s[10:11], 0
.LBB231_405:
	s_andn2_b64 vcc, exec, s[10:11]
	s_cbranch_vccnz .LBB231_421
; %bb.406:
	s_cmp_lt_i32 s12, 2
	s_mov_b64 s[10:11], -1
	s_cbranch_scc1 .LBB231_416
; %bb.407:
	s_cmp_lt_i32 s12, 3
	s_cbranch_scc1 .LBB231_413
; %bb.408:
	s_cmp_gt_i32 s12, 3
	v_bfe_i32 v2, v4, 0, 16
	s_cbranch_scc0 .LBB231_410
; %bb.409:
	v_ashrrev_i32_e32 v3, 31, v2
	s_mov_b64 s[10:11], 0
	global_store_dwordx2 v[0:1], v[2:3], off
.LBB231_410:
	s_andn2_b64 vcc, exec, s[10:11]
	s_cbranch_vccnz .LBB231_412
; %bb.411:
	global_store_dword v[0:1], v2, off
.LBB231_412:
	s_mov_b64 s[10:11], 0
.LBB231_413:
	s_andn2_b64 vcc, exec, s[10:11]
	s_cbranch_vccnz .LBB231_415
; %bb.414:
	global_store_short v[0:1], v4, off
.LBB231_415:
	s_mov_b64 s[10:11], 0
.LBB231_416:
	s_andn2_b64 vcc, exec, s[10:11]
	s_cbranch_vccnz .LBB231_421
; %bb.417:
	s_cmp_gt_i32 s12, 0
	s_mov_b64 s[10:11], -1
	s_cbranch_scc0 .LBB231_419
; %bb.418:
	s_mov_b64 s[10:11], 0
	global_store_byte v[0:1], v4, off
.LBB231_419:
	s_andn2_b64 vcc, exec, s[10:11]
	s_cbranch_vccnz .LBB231_421
; %bb.420:
	global_store_byte v[0:1], v4, off
.LBB231_421:
	s_mov_b64 s[10:11], -1
.LBB231_422:
	s_andn2_b64 vcc, exec, s[10:11]
	s_cbranch_vccnz .LBB231_424
; %bb.423:
	v_add_u32_e32 v8, 0x80, v8
	s_mov_b64 s[10:11], -1
	s_branch .LBB231_533
.LBB231_424:
	s_mov_b64 s[10:11], 0
	s_branch .LBB231_532
.LBB231_425:
	s_mov_b64 s[8:9], -1
                                        ; implicit-def: $vgpr3
.LBB231_426:
	s_mov_b64 s[10:11], 0
.LBB231_427:
	s_and_b64 vcc, exec, s[10:11]
	s_cbranch_vccz .LBB231_431
; %bb.428:
	s_cmp_eq_u32 s12, 29
	s_cbranch_scc0 .LBB231_430
; %bb.429:
	global_load_dwordx2 v[3:4], v[1:2], off
	s_mov_b64 s[2:3], -1
	s_mov_b64 s[8:9], 0
	s_branch .LBB231_431
.LBB231_430:
	s_mov_b64 s[8:9], -1
                                        ; implicit-def: $vgpr3
.LBB231_431:
	s_mov_b64 s[10:11], 0
.LBB231_432:
	s_and_b64 vcc, exec, s[10:11]
	s_cbranch_vccz .LBB231_448
; %bb.433:
	s_cmp_lt_i32 s12, 27
	s_cbranch_scc1 .LBB231_436
; %bb.434:
	s_cmp_gt_i32 s12, 27
	s_cbranch_scc0 .LBB231_437
; %bb.435:
	global_load_dword v3, v[1:2], off
	s_mov_b64 s[2:3], 0
	s_branch .LBB231_438
.LBB231_436:
	s_mov_b64 s[2:3], -1
                                        ; implicit-def: $vgpr3
	s_branch .LBB231_441
.LBB231_437:
	s_mov_b64 s[2:3], -1
                                        ; implicit-def: $vgpr3
.LBB231_438:
	s_andn2_b64 vcc, exec, s[2:3]
	s_cbranch_vccnz .LBB231_440
; %bb.439:
	global_load_ushort v3, v[1:2], off
.LBB231_440:
	s_mov_b64 s[2:3], 0
.LBB231_441:
	s_andn2_b64 vcc, exec, s[2:3]
	s_cbranch_vccnz .LBB231_447
; %bb.442:
	global_load_ubyte v4, v[1:2], off
	s_movk_i32 s2, 0x7f
	s_mov_b64 s[10:11], 0
	s_waitcnt vmcnt(0)
	v_cmp_lt_i16_e32 vcc, s2, v4
	s_and_saveexec_b64 s[2:3], vcc
	s_xor_b64 s[2:3], exec, s[2:3]
	s_cbranch_execz .LBB231_459
; %bb.443:
	s_movk_i32 s10, 0x80
	v_cmp_ne_u16_e32 vcc, s10, v4
	s_and_b64 s[10:11], vcc, exec
	s_andn2_saveexec_b64 s[2:3], s[2:3]
	s_cbranch_execnz .LBB231_460
.LBB231_444:
	s_or_b64 exec, exec, s[2:3]
	v_mov_b32_e32 v3, 0
	s_and_saveexec_b64 s[2:3], s[10:11]
	s_cbranch_execz .LBB231_446
.LBB231_445:
	v_lshlrev_b32_e32 v3, 24, v4
	v_and_b32_e32 v4, 0xffff, v4
	v_and_b32_e32 v5, 7, v4
	v_ffbh_u32_e32 v7, v5
	v_min_u32_e32 v7, 32, v7
	v_subrev_u32_e32 v9, 28, v7
	v_bfe_u32 v6, v4, 3, 4
	v_lshlrev_b32_e32 v4, v9, v4
	v_sub_u32_e32 v7, 29, v7
	v_and_b32_e32 v4, 7, v4
	v_cmp_eq_u32_e32 vcc, 0, v6
	v_cndmask_b32_e32 v6, v6, v7, vcc
	v_cndmask_b32_e32 v4, v5, v4, vcc
	v_mov_b32_e32 v5, 0x3b800000
	v_lshlrev_b32_e32 v4, 20, v4
	v_and_b32_e32 v3, 0x80000000, v3
	v_lshl_add_u32 v5, v6, 23, v5
	v_or3_b32 v3, v3, v5, v4
	v_cvt_i32_f32_e32 v3, v3
.LBB231_446:
	s_or_b64 exec, exec, s[2:3]
.LBB231_447:
	s_mov_b64 s[2:3], -1
.LBB231_448:
	s_mov_b64 s[10:11], 0
.LBB231_449:
	s_and_b64 vcc, exec, s[10:11]
	s_cbranch_vccz .LBB231_482
; %bb.450:
	s_cmp_gt_i32 s12, 22
	s_cbranch_scc0 .LBB231_458
; %bb.451:
	s_cmp_lt_i32 s12, 24
	s_cbranch_scc1 .LBB231_461
; %bb.452:
	s_cmp_gt_i32 s12, 24
	s_cbranch_scc0 .LBB231_462
; %bb.453:
	global_load_ubyte v4, v[1:2], off
	s_movk_i32 s2, 0x7f
	s_mov_b64 s[10:11], 0
	s_waitcnt vmcnt(0)
	v_cmp_lt_i16_e32 vcc, s2, v4
	s_and_saveexec_b64 s[2:3], vcc
	s_xor_b64 s[2:3], exec, s[2:3]
	s_cbranch_execz .LBB231_474
; %bb.454:
	s_movk_i32 s10, 0x80
	v_cmp_ne_u16_e32 vcc, s10, v4
	s_and_b64 s[10:11], vcc, exec
	s_andn2_saveexec_b64 s[2:3], s[2:3]
	s_cbranch_execnz .LBB231_475
.LBB231_455:
	s_or_b64 exec, exec, s[2:3]
	v_mov_b32_e32 v3, 0
	s_and_saveexec_b64 s[2:3], s[10:11]
	s_cbranch_execz .LBB231_457
.LBB231_456:
	v_lshlrev_b32_e32 v3, 24, v4
	v_and_b32_e32 v4, 0xffff, v4
	v_and_b32_e32 v5, 3, v4
	v_ffbh_u32_e32 v7, v5
	v_min_u32_e32 v7, 32, v7
	v_subrev_u32_e32 v9, 29, v7
	v_bfe_u32 v6, v4, 2, 5
	v_lshlrev_b32_e32 v4, v9, v4
	v_sub_u32_e32 v7, 30, v7
	v_and_b32_e32 v4, 3, v4
	v_cmp_eq_u32_e32 vcc, 0, v6
	v_cndmask_b32_e32 v6, v6, v7, vcc
	v_cndmask_b32_e32 v4, v5, v4, vcc
	v_mov_b32_e32 v5, 0x37800000
	v_lshlrev_b32_e32 v4, 21, v4
	v_and_b32_e32 v3, 0x80000000, v3
	v_lshl_add_u32 v5, v6, 23, v5
	v_or3_b32 v3, v3, v5, v4
	v_cvt_i32_f32_e32 v3, v3
.LBB231_457:
	s_or_b64 exec, exec, s[2:3]
	s_mov_b64 s[2:3], 0
	s_branch .LBB231_463
.LBB231_458:
	s_mov_b64 s[10:11], -1
                                        ; implicit-def: $vgpr3
	s_branch .LBB231_469
.LBB231_459:
	s_andn2_saveexec_b64 s[2:3], s[2:3]
	s_cbranch_execz .LBB231_444
.LBB231_460:
	v_cmp_ne_u16_e32 vcc, 0, v4
	s_andn2_b64 s[10:11], s[10:11], exec
	s_and_b64 s[14:15], vcc, exec
	s_or_b64 s[10:11], s[10:11], s[14:15]
	s_or_b64 exec, exec, s[2:3]
	v_mov_b32_e32 v3, 0
	s_and_saveexec_b64 s[2:3], s[10:11]
	s_cbranch_execnz .LBB231_445
	s_branch .LBB231_446
.LBB231_461:
	s_mov_b64 s[2:3], -1
                                        ; implicit-def: $vgpr3
	s_branch .LBB231_466
.LBB231_462:
	s_mov_b64 s[2:3], -1
                                        ; implicit-def: $vgpr3
.LBB231_463:
	s_and_b64 vcc, exec, s[2:3]
	s_cbranch_vccz .LBB231_465
; %bb.464:
	global_load_ubyte v3, v[1:2], off
	s_mov_b32 s2, 0x7f800000
	s_waitcnt vmcnt(0)
	v_lshlrev_b32_e32 v3, 24, v3
	v_and_b32_e32 v4, 0x7f000000, v3
	v_ffbh_u32_e32 v5, v4
	v_min_u32_e32 v5, 32, v5
	v_sub_u32_e64 v5, v5, 4 clamp
	v_lshlrev_b32_e32 v7, v5, v4
	v_lshlrev_b32_e32 v5, 23, v5
	v_lshrrev_b32_e32 v7, 4, v7
	v_add_u32_e32 v6, 0x1000000, v4
	v_sub_u32_e32 v5, v7, v5
	v_ashrrev_i32_e32 v6, 8, v6
	v_add_u32_e32 v5, 0x3c000000, v5
	v_and_or_b32 v5, v6, s2, v5
	v_cmp_ne_u32_e32 vcc, 0, v4
	v_cndmask_b32_e32 v4, 0, v5, vcc
	s_brev_b32 s2, 1
	v_and_or_b32 v3, v3, s2, v4
	v_cvt_i32_f32_e32 v3, v3
.LBB231_465:
	s_mov_b64 s[2:3], 0
.LBB231_466:
	s_andn2_b64 vcc, exec, s[2:3]
	s_cbranch_vccnz .LBB231_468
; %bb.467:
	global_load_ubyte v3, v[1:2], off
	s_movk_i32 s2, 0x7f00
	s_brev_b32 s3, 16
	s_waitcnt vmcnt(0)
	v_lshlrev_b16_e32 v4, 8, v3
	v_lshlrev_b32_e32 v3, 25, v3
	v_lshrrev_b32_e32 v5, 4, v3
	v_and_or_b32 v6, v4, s2, 0.5
	v_or_b32_e32 v5, 0x70000000, v5
	v_add_f32_e32 v6, -0.5, v6
	v_mul_f32_e32 v5, 0x7800000, v5
	v_cmp_gt_u32_e32 vcc, s3, v3
	v_bfe_i32 v4, v4, 0, 16
	v_cndmask_b32_e32 v3, v5, v6, vcc
	s_brev_b32 s2, 1
	v_and_or_b32 v3, v4, s2, v3
	v_cvt_i32_f32_e32 v3, v3
.LBB231_468:
	s_mov_b64 s[10:11], 0
	s_mov_b64 s[2:3], -1
.LBB231_469:
	s_andn2_b64 vcc, exec, s[10:11]
	s_cbranch_vccnz .LBB231_482
; %bb.470:
	s_cmp_gt_i32 s12, 14
	s_cbranch_scc0 .LBB231_473
; %bb.471:
	s_cmp_eq_u32 s12, 15
	s_cbranch_scc0 .LBB231_476
; %bb.472:
	global_load_ushort v3, v[1:2], off
	s_mov_b64 s[2:3], -1
	s_mov_b64 s[8:9], 0
	s_waitcnt vmcnt(0)
	v_lshlrev_b32_e32 v3, 16, v3
	v_cvt_i32_f32_e32 v3, v3
	s_branch .LBB231_477
.LBB231_473:
	s_mov_b64 s[10:11], -1
                                        ; implicit-def: $vgpr3
	s_branch .LBB231_478
.LBB231_474:
	s_andn2_saveexec_b64 s[2:3], s[2:3]
	s_cbranch_execz .LBB231_455
.LBB231_475:
	v_cmp_ne_u16_e32 vcc, 0, v4
	s_andn2_b64 s[10:11], s[10:11], exec
	s_and_b64 s[14:15], vcc, exec
	s_or_b64 s[10:11], s[10:11], s[14:15]
	s_or_b64 exec, exec, s[2:3]
	v_mov_b32_e32 v3, 0
	s_and_saveexec_b64 s[2:3], s[10:11]
	s_cbranch_execnz .LBB231_456
	s_branch .LBB231_457
.LBB231_476:
	s_mov_b64 s[8:9], -1
                                        ; implicit-def: $vgpr3
.LBB231_477:
	s_mov_b64 s[10:11], 0
.LBB231_478:
	s_and_b64 vcc, exec, s[10:11]
	s_cbranch_vccz .LBB231_482
; %bb.479:
	s_cmp_eq_u32 s12, 11
	s_cbranch_scc0 .LBB231_481
; %bb.480:
	global_load_ubyte v3, v[1:2], off
	s_mov_b64 s[2:3], -1
	s_mov_b64 s[8:9], 0
	s_waitcnt vmcnt(0)
	v_cmp_ne_u16_e32 vcc, 0, v3
	v_cndmask_b32_e64 v3, 0, 1, vcc
	s_branch .LBB231_482
.LBB231_481:
	s_mov_b64 s[8:9], -1
                                        ; implicit-def: $vgpr3
.LBB231_482:
	s_branch .LBB231_289
.LBB231_483:
	s_cmp_lt_i32 s12, 5
	s_cbranch_scc1 .LBB231_488
; %bb.484:
	s_cmp_lt_i32 s12, 8
	s_cbranch_scc1 .LBB231_489
; %bb.485:
	;; [unrolled: 3-line block ×3, first 2 shown]
	s_cmp_gt_i32 s12, 9
	s_cbranch_scc0 .LBB231_491
; %bb.487:
	global_load_dwordx2 v[3:4], v[1:2], off
	s_mov_b64 s[2:3], 0
	s_waitcnt vmcnt(0)
	v_cvt_i32_f64_e32 v3, v[3:4]
	s_branch .LBB231_492
.LBB231_488:
	s_mov_b64 s[2:3], -1
                                        ; implicit-def: $vgpr3
	s_branch .LBB231_510
.LBB231_489:
	s_mov_b64 s[2:3], -1
                                        ; implicit-def: $vgpr3
	s_branch .LBB231_498
.LBB231_490:
	s_mov_b64 s[2:3], -1
                                        ; implicit-def: $vgpr3
	s_branch .LBB231_495
.LBB231_491:
	s_mov_b64 s[2:3], -1
                                        ; implicit-def: $vgpr3
.LBB231_492:
	s_andn2_b64 vcc, exec, s[2:3]
	s_cbranch_vccnz .LBB231_494
; %bb.493:
	global_load_dword v3, v[1:2], off
	s_waitcnt vmcnt(0)
	v_cvt_i32_f32_e32 v3, v3
.LBB231_494:
	s_mov_b64 s[2:3], 0
.LBB231_495:
	s_andn2_b64 vcc, exec, s[2:3]
	s_cbranch_vccnz .LBB231_497
; %bb.496:
	global_load_dword v3, v[1:2], off
	s_waitcnt vmcnt(0)
	v_cvt_i16_f16_e32 v3, v3
.LBB231_497:
	s_mov_b64 s[2:3], 0
.LBB231_498:
	s_andn2_b64 vcc, exec, s[2:3]
	s_cbranch_vccnz .LBB231_509
; %bb.499:
	s_cmp_lt_i32 s12, 6
	s_cbranch_scc1 .LBB231_502
; %bb.500:
	s_cmp_gt_i32 s12, 6
	s_cbranch_scc0 .LBB231_503
; %bb.501:
	global_load_dwordx2 v[3:4], v[1:2], off
	s_mov_b64 s[2:3], 0
	s_waitcnt vmcnt(0)
	v_cvt_i32_f64_e32 v3, v[3:4]
	s_branch .LBB231_504
.LBB231_502:
	s_mov_b64 s[2:3], -1
                                        ; implicit-def: $vgpr3
	s_branch .LBB231_507
.LBB231_503:
	s_mov_b64 s[2:3], -1
                                        ; implicit-def: $vgpr3
.LBB231_504:
	s_andn2_b64 vcc, exec, s[2:3]
	s_cbranch_vccnz .LBB231_506
; %bb.505:
	global_load_dword v3, v[1:2], off
	s_waitcnt vmcnt(0)
	v_cvt_i32_f32_e32 v3, v3
.LBB231_506:
	s_mov_b64 s[2:3], 0
.LBB231_507:
	s_andn2_b64 vcc, exec, s[2:3]
	s_cbranch_vccnz .LBB231_509
; %bb.508:
	global_load_ushort v3, v[1:2], off
	s_waitcnt vmcnt(0)
	v_cvt_i16_f16_e32 v3, v3
.LBB231_509:
	s_mov_b64 s[2:3], 0
.LBB231_510:
	s_andn2_b64 vcc, exec, s[2:3]
	s_cbranch_vccnz .LBB231_530
; %bb.511:
	s_cmp_lt_i32 s12, 2
	s_cbranch_scc1 .LBB231_515
; %bb.512:
	s_cmp_lt_i32 s12, 3
	s_cbranch_scc1 .LBB231_516
; %bb.513:
	s_cmp_gt_i32 s12, 3
	s_cbranch_scc0 .LBB231_517
; %bb.514:
	global_load_dwordx2 v[3:4], v[1:2], off
	s_mov_b64 s[2:3], 0
	s_branch .LBB231_518
.LBB231_515:
	s_mov_b64 s[2:3], -1
                                        ; implicit-def: $vgpr3
	s_branch .LBB231_524
.LBB231_516:
	s_mov_b64 s[2:3], -1
                                        ; implicit-def: $vgpr3
	s_branch .LBB231_521
.LBB231_517:
	s_mov_b64 s[2:3], -1
                                        ; implicit-def: $vgpr3
.LBB231_518:
	s_andn2_b64 vcc, exec, s[2:3]
	s_cbranch_vccnz .LBB231_520
; %bb.519:
	global_load_dword v3, v[1:2], off
.LBB231_520:
	s_mov_b64 s[2:3], 0
.LBB231_521:
	s_andn2_b64 vcc, exec, s[2:3]
	s_cbranch_vccnz .LBB231_523
; %bb.522:
	global_load_ushort v3, v[1:2], off
.LBB231_523:
	s_mov_b64 s[2:3], 0
.LBB231_524:
	s_andn2_b64 vcc, exec, s[2:3]
	s_cbranch_vccnz .LBB231_530
; %bb.525:
	s_cmp_gt_i32 s12, 0
	s_cbranch_scc0 .LBB231_527
; %bb.526:
	global_load_sbyte v3, v[1:2], off
	s_mov_b64 s[2:3], 0
	s_branch .LBB231_528
.LBB231_527:
	s_mov_b64 s[2:3], -1
                                        ; implicit-def: $vgpr3
.LBB231_528:
	s_andn2_b64 vcc, exec, s[2:3]
	s_cbranch_vccnz .LBB231_530
; %bb.529:
	global_load_ubyte v3, v[1:2], off
.LBB231_530:
	s_branch .LBB231_290
.LBB231_531:
	s_mov_b64 s[10:11], 0
	s_mov_b64 s[2:3], s[56:57]
.LBB231_532:
                                        ; implicit-def: $vgpr8
.LBB231_533:
	s_andn2_b64 s[12:13], s[56:57], exec
	s_and_b64 s[2:3], s[2:3], exec
	s_or_b64 s[64:65], s[12:13], s[2:3]
	s_andn2_b64 s[2:3], s[58:59], exec
	s_and_b64 s[8:9], s[8:9], exec
	s_or_b64 s[62:63], s[2:3], s[8:9]
	s_orn2_b64 s[2:3], s[10:11], exec
.LBB231_534:
	s_or_b64 exec, exec, s[66:67]
	s_mov_b64 s[8:9], 0
	s_mov_b64 s[12:13], 0
	;; [unrolled: 1-line block ×3, first 2 shown]
                                        ; implicit-def: $vgpr1_vgpr2
                                        ; implicit-def: $vgpr0
                                        ; implicit-def: $vgpr3
	s_and_saveexec_b64 s[66:67], s[2:3]
	s_cbranch_execz .LBB231_901
; %bb.535:
	v_cmp_gt_i32_e32 vcc, s72, v8
	s_mov_b64 s[10:11], -1
	s_mov_b64 s[2:3], s[62:63]
	s_mov_b64 s[70:71], s[64:65]
	s_and_saveexec_b64 s[68:69], vcc
	s_cbranch_execz .LBB231_805
; %bb.536:
	s_andn2_b64 vcc, exec, s[44:45]
	s_cbranch_vccnz .LBB231_541
; %bb.537:
	s_andn2_b64 vcc, exec, s[54:55]
	s_cbranch_vccnz .LBB231_542
; %bb.538:
	s_add_i32 s79, s78, 1
	s_cmp_eq_u32 s74, 2
	s_cbranch_scc1 .LBB231_543
; %bb.539:
	s_and_b32 s73, s79, 28
	v_mov_b32_e32 v2, 0
	s_mov_b32 s80, 0
	s_mov_b64 s[2:3], s[34:35]
	s_mov_b64 s[70:71], s[52:53]
	v_mov_b32_e32 v0, 0
	v_mov_b32_e32 v1, v8
.LBB231_540:                            ; =>This Inner Loop Header: Depth=1
	s_load_dwordx8 s[16:23], s[2:3], 0x4
	s_load_dwordx4 s[40:43], s[2:3], 0x24
	s_load_dwordx8 s[8:15], s[70:71], 0x0
	s_add_u32 s2, s2, 48
	s_addc_u32 s3, s3, 0
	s_waitcnt vmcnt(0) lgkmcnt(0)
	v_mul_hi_u32 v3, s17, v1
	s_add_i32 s80, s80, 4
	s_add_u32 s70, s70, 32
	s_addc_u32 s71, s71, 0
	v_add_u32_e32 v3, v1, v3
	v_lshrrev_b32_e32 v3, s18, v3
	v_mul_lo_u32 v4, v3, s16
	v_mul_hi_u32 v5, s20, v3
	s_cmp_eq_u32 s73, s80
	v_sub_u32_e32 v1, v1, v4
	v_add_u32_e32 v4, v3, v5
	v_mul_lo_u32 v5, v1, s8
	v_mul_lo_u32 v6, v1, s9
	v_lshrrev_b32_e32 v1, s21, v4
	v_mul_lo_u32 v4, v1, s19
	v_mul_hi_u32 v7, s23, v1
	v_sub_u32_e32 v3, v3, v4
	v_add_u32_e32 v4, v1, v7
	v_lshrrev_b32_e32 v4, s40, v4
	v_mul_hi_u32 v9, s42, v4
	v_mul_lo_u32 v10, v4, s22
	v_mul_lo_u32 v7, v3, s10
	;; [unrolled: 1-line block ×3, first 2 shown]
	v_sub_u32_e32 v10, v1, v10
	v_add_u32_e32 v1, v4, v9
	v_lshrrev_b32_e32 v1, s43, v1
	v_mul_lo_u32 v9, v1, s41
	v_mul_lo_u32 v11, v10, s12
	;; [unrolled: 1-line block ×3, first 2 shown]
	v_add3_u32 v0, v5, v0, v7
	v_sub_u32_e32 v4, v4, v9
	v_mul_lo_u32 v9, v4, s14
	v_mul_lo_u32 v4, v4, s15
	v_add3_u32 v2, v6, v2, v3
	v_add3_u32 v0, v11, v0, v9
	;; [unrolled: 1-line block ×3, first 2 shown]
	s_cbranch_scc0 .LBB231_540
	s_branch .LBB231_544
.LBB231_541:
	s_mov_b64 s[2:3], -1
                                        ; implicit-def: $vgpr0
                                        ; implicit-def: $vgpr2
	s_branch .LBB231_548
.LBB231_542:
	v_mov_b32_e32 v0, 0
	v_mov_b32_e32 v2, 0
	s_branch .LBB231_547
.LBB231_543:
	s_mov_b32 s73, 0
	v_mov_b32_e32 v0, 0
	v_mov_b32_e32 v2, 0
	;; [unrolled: 1-line block ×3, first 2 shown]
.LBB231_544:
	s_and_b32 s10, s79, 3
	s_cmp_eq_u32 s10, 0
	s_cbranch_scc1 .LBB231_547
; %bb.545:
	s_lshl_b32 s2, s73, 3
	s_add_u32 s2, s34, s2
	s_addc_u32 s3, s35, 0
	s_add_u32 s2, s2, 0xc4
	s_addc_u32 s3, s3, 0
	s_mul_i32 s8, s73, 12
	s_add_u32 s8, s34, s8
	s_addc_u32 s9, s35, 0
.LBB231_546:                            ; =>This Inner Loop Header: Depth=1
	s_load_dwordx2 s[12:13], s[8:9], 0x4
	s_load_dword s11, s[8:9], 0xc
	s_load_dwordx2 s[14:15], s[2:3], 0x0
	s_add_u32 s8, s8, 12
	s_addc_u32 s9, s9, 0
	s_waitcnt vmcnt(0) lgkmcnt(0)
	v_mul_hi_u32 v3, s13, v1
	s_add_u32 s2, s2, 8
	s_addc_u32 s3, s3, 0
	s_add_i32 s10, s10, -1
	v_add_u32_e32 v3, v1, v3
	v_lshrrev_b32_e32 v4, s11, v3
	v_mul_lo_u32 v3, v4, s12
	s_cmp_lg_u32 s10, 0
	v_sub_u32_e32 v3, v1, v3
	v_mad_u64_u32 v[0:1], s[12:13], v3, s14, v[0:1]
	v_mad_u64_u32 v[2:3], s[12:13], v3, s15, v[2:3]
	v_mov_b32_e32 v1, v4
	s_cbranch_scc1 .LBB231_546
.LBB231_547:
	s_mov_b64 s[2:3], 0
.LBB231_548:
	s_andn2_b64 vcc, exec, s[2:3]
	s_cbranch_vccnz .LBB231_551
; %bb.549:
	v_mul_hi_u32 v0, s29, v8
	s_andn2_b64 vcc, exec, s[50:51]
	v_add_u32_e32 v0, v8, v0
	v_lshrrev_b32_e32 v1, s30, v0
	v_mul_lo_u32 v0, v1, s28
	v_sub_u32_e32 v2, v8, v0
	v_mul_lo_u32 v0, v2, s36
	v_mul_lo_u32 v2, v2, s37
	s_cbranch_vccnz .LBB231_551
; %bb.550:
	s_waitcnt vmcnt(0)
	v_mul_hi_u32 v3, s48, v1
	v_add_u32_e32 v3, v1, v3
	v_lshrrev_b32_e32 v3, s49, v3
	v_mul_lo_u32 v3, v3, s31
	v_sub_u32_e32 v3, v1, v3
	v_mad_u64_u32 v[0:1], s[2:3], v3, s38, v[0:1]
	v_mad_u64_u32 v[2:3], s[2:3], v3, s39, v[2:3]
.LBB231_551:
	s_waitcnt vmcnt(0)
	v_mov_b32_e32 v3, s27
	s_and_b32 s12, 0xffff, s77
	v_add_co_u32_e32 v1, vcc, s26, v2
	s_cmp_lt_i32 s12, 11
	v_addc_co_u32_e32 v2, vcc, 0, v3, vcc
	s_cbranch_scc1 .LBB231_558
; %bb.552:
	s_cmp_gt_i32 s12, 25
	s_cbranch_scc0 .LBB231_559
; %bb.553:
	s_cmp_gt_i32 s12, 28
	s_cbranch_scc0 .LBB231_560
; %bb.554:
	s_cmp_gt_i32 s12, 43
	s_cbranch_scc0 .LBB231_561
; %bb.555:
	s_cmp_gt_i32 s12, 45
	s_cbranch_scc0 .LBB231_564
; %bb.556:
	s_cmp_eq_u32 s12, 46
	s_mov_b64 s[10:11], 0
	s_cbranch_scc0 .LBB231_567
; %bb.557:
	global_load_dword v3, v[1:2], off
	s_mov_b64 s[2:3], -1
	s_mov_b64 s[8:9], 0
	s_waitcnt vmcnt(0)
	v_lshlrev_b32_e32 v3, 16, v3
	v_cvt_i32_f32_e32 v3, v3
	s_branch .LBB231_568
.LBB231_558:
	s_mov_b64 s[10:11], -1
	s_mov_b64 s[2:3], 0
                                        ; implicit-def: $vgpr3
	s_mov_b64 s[8:9], s[62:63]
	s_branch .LBB231_629
.LBB231_559:
	s_mov_b64 s[10:11], -1
	s_mov_b64 s[2:3], 0
	s_mov_b64 s[8:9], s[62:63]
                                        ; implicit-def: $vgpr3
	s_branch .LBB231_595
.LBB231_560:
	s_mov_b64 s[10:11], -1
	s_mov_b64 s[2:3], 0
	s_mov_b64 s[8:9], s[62:63]
                                        ; implicit-def: $vgpr3
	s_branch .LBB231_578
.LBB231_561:
	s_mov_b64 s[10:11], -1
	s_mov_b64 s[2:3], 0
	s_mov_b64 s[8:9], s[62:63]
                                        ; implicit-def: $vgpr3
	s_branch .LBB231_573
.LBB231_562:
	s_andn2_saveexec_b64 s[14:15], s[14:15]
	s_cbranch_execz .LBB231_335
.LBB231_563:
	s_mov_b32 s18, 0x46000000
	v_add_f32_e64 v3, |v2|, s18
	v_and_b32_e32 v3, 0xff, v3
	v_cmp_ne_u32_e32 vcc, 0, v3
	s_andn2_b64 s[12:13], s[12:13], exec
	s_and_b64 s[18:19], vcc, exec
	s_or_b64 s[12:13], s[12:13], s[18:19]
	s_or_b64 exec, exec, s[14:15]
	v_mov_b32_e32 v5, 0
	s_and_saveexec_b64 s[14:15], s[12:13]
	s_cbranch_execnz .LBB231_336
	s_branch .LBB231_337
.LBB231_564:
	s_mov_b64 s[10:11], -1
	s_mov_b64 s[2:3], 0
	s_mov_b64 s[8:9], s[62:63]
                                        ; implicit-def: $vgpr3
	s_branch .LBB231_568
.LBB231_565:
	s_andn2_saveexec_b64 s[14:15], s[14:15]
	s_cbranch_execz .LBB231_348
.LBB231_566:
	s_mov_b32 s18, 0x42800000
	v_add_f32_e64 v3, |v2|, s18
	v_and_b32_e32 v3, 0xff, v3
	v_cmp_ne_u32_e32 vcc, 0, v3
	s_andn2_b64 s[12:13], s[12:13], exec
	s_and_b64 s[18:19], vcc, exec
	s_or_b64 s[12:13], s[12:13], s[18:19]
	s_or_b64 exec, exec, s[14:15]
	v_mov_b32_e32 v5, 0
	s_and_saveexec_b64 s[14:15], s[12:13]
	s_cbranch_execnz .LBB231_349
	s_branch .LBB231_350
.LBB231_567:
	s_mov_b64 s[8:9], -1
                                        ; implicit-def: $vgpr3
	s_mov_b64 s[2:3], 0
.LBB231_568:
	s_and_b64 vcc, exec, s[10:11]
	s_cbranch_vccz .LBB231_572
; %bb.569:
	s_cmp_eq_u32 s12, 44
	s_cbranch_scc0 .LBB231_571
; %bb.570:
	global_load_ubyte v3, v[1:2], off
	s_mov_b64 s[2:3], -1
	s_mov_b64 s[8:9], 0
	s_waitcnt vmcnt(0)
	v_lshlrev_b32_e32 v4, 23, v3
	v_cvt_i32_f32_e32 v4, v4
	v_cmp_ne_u32_e32 vcc, 0, v3
	v_cndmask_b32_e32 v3, 0, v4, vcc
	s_branch .LBB231_572
.LBB231_571:
	s_mov_b64 s[8:9], -1
                                        ; implicit-def: $vgpr3
.LBB231_572:
	s_mov_b64 s[10:11], 0
.LBB231_573:
	s_and_b64 vcc, exec, s[10:11]
	s_cbranch_vccz .LBB231_577
; %bb.574:
	s_cmp_eq_u32 s12, 29
	s_cbranch_scc0 .LBB231_576
; %bb.575:
	global_load_dwordx2 v[3:4], v[1:2], off
	s_mov_b64 s[2:3], -1
	s_mov_b64 s[8:9], 0
	s_branch .LBB231_577
.LBB231_576:
	s_mov_b64 s[8:9], -1
                                        ; implicit-def: $vgpr3
.LBB231_577:
	s_mov_b64 s[10:11], 0
.LBB231_578:
	s_and_b64 vcc, exec, s[10:11]
	s_cbranch_vccz .LBB231_594
; %bb.579:
	s_cmp_lt_i32 s12, 27
	s_cbranch_scc1 .LBB231_582
; %bb.580:
	s_cmp_gt_i32 s12, 27
	s_cbranch_scc0 .LBB231_583
; %bb.581:
	global_load_dword v3, v[1:2], off
	s_mov_b64 s[2:3], 0
	s_branch .LBB231_584
.LBB231_582:
	s_mov_b64 s[2:3], -1
                                        ; implicit-def: $vgpr3
	s_branch .LBB231_587
.LBB231_583:
	s_mov_b64 s[2:3], -1
                                        ; implicit-def: $vgpr3
.LBB231_584:
	s_andn2_b64 vcc, exec, s[2:3]
	s_cbranch_vccnz .LBB231_586
; %bb.585:
	global_load_ushort v3, v[1:2], off
.LBB231_586:
	s_mov_b64 s[2:3], 0
.LBB231_587:
	s_andn2_b64 vcc, exec, s[2:3]
	s_cbranch_vccnz .LBB231_593
; %bb.588:
	global_load_ubyte v4, v[1:2], off
	s_movk_i32 s2, 0x7f
	s_mov_b64 s[10:11], 0
	s_waitcnt vmcnt(0)
	v_cmp_lt_i16_e32 vcc, s2, v4
	s_and_saveexec_b64 s[2:3], vcc
	s_xor_b64 s[2:3], exec, s[2:3]
	s_cbranch_execz .LBB231_605
; %bb.589:
	s_movk_i32 s10, 0x80
	v_cmp_ne_u16_e32 vcc, s10, v4
	s_and_b64 s[10:11], vcc, exec
	s_andn2_saveexec_b64 s[2:3], s[2:3]
	s_cbranch_execnz .LBB231_606
.LBB231_590:
	s_or_b64 exec, exec, s[2:3]
	v_mov_b32_e32 v3, 0
	s_and_saveexec_b64 s[2:3], s[10:11]
	s_cbranch_execz .LBB231_592
.LBB231_591:
	v_lshlrev_b32_e32 v3, 24, v4
	v_and_b32_e32 v4, 0xffff, v4
	v_and_b32_e32 v5, 7, v4
	v_ffbh_u32_e32 v7, v5
	v_min_u32_e32 v7, 32, v7
	v_subrev_u32_e32 v9, 28, v7
	v_bfe_u32 v6, v4, 3, 4
	v_lshlrev_b32_e32 v4, v9, v4
	v_sub_u32_e32 v7, 29, v7
	v_and_b32_e32 v4, 7, v4
	v_cmp_eq_u32_e32 vcc, 0, v6
	v_cndmask_b32_e32 v6, v6, v7, vcc
	v_cndmask_b32_e32 v4, v5, v4, vcc
	v_mov_b32_e32 v5, 0x3b800000
	v_lshlrev_b32_e32 v4, 20, v4
	v_and_b32_e32 v3, 0x80000000, v3
	v_lshl_add_u32 v5, v6, 23, v5
	v_or3_b32 v3, v3, v5, v4
	v_cvt_i32_f32_e32 v3, v3
.LBB231_592:
	s_or_b64 exec, exec, s[2:3]
.LBB231_593:
	s_mov_b64 s[2:3], -1
.LBB231_594:
	s_mov_b64 s[10:11], 0
.LBB231_595:
	s_and_b64 vcc, exec, s[10:11]
	s_cbranch_vccz .LBB231_628
; %bb.596:
	s_cmp_gt_i32 s12, 22
	s_cbranch_scc0 .LBB231_604
; %bb.597:
	s_cmp_lt_i32 s12, 24
	s_cbranch_scc1 .LBB231_607
; %bb.598:
	s_cmp_gt_i32 s12, 24
	s_cbranch_scc0 .LBB231_608
; %bb.599:
	global_load_ubyte v4, v[1:2], off
	s_movk_i32 s2, 0x7f
	s_mov_b64 s[10:11], 0
	s_waitcnt vmcnt(0)
	v_cmp_lt_i16_e32 vcc, s2, v4
	s_and_saveexec_b64 s[2:3], vcc
	s_xor_b64 s[2:3], exec, s[2:3]
	s_cbranch_execz .LBB231_620
; %bb.600:
	s_movk_i32 s10, 0x80
	v_cmp_ne_u16_e32 vcc, s10, v4
	s_and_b64 s[10:11], vcc, exec
	s_andn2_saveexec_b64 s[2:3], s[2:3]
	s_cbranch_execnz .LBB231_621
.LBB231_601:
	s_or_b64 exec, exec, s[2:3]
	v_mov_b32_e32 v3, 0
	s_and_saveexec_b64 s[2:3], s[10:11]
	s_cbranch_execz .LBB231_603
.LBB231_602:
	v_lshlrev_b32_e32 v3, 24, v4
	v_and_b32_e32 v4, 0xffff, v4
	v_and_b32_e32 v5, 3, v4
	v_ffbh_u32_e32 v7, v5
	v_min_u32_e32 v7, 32, v7
	v_subrev_u32_e32 v9, 29, v7
	v_bfe_u32 v6, v4, 2, 5
	v_lshlrev_b32_e32 v4, v9, v4
	v_sub_u32_e32 v7, 30, v7
	v_and_b32_e32 v4, 3, v4
	v_cmp_eq_u32_e32 vcc, 0, v6
	v_cndmask_b32_e32 v6, v6, v7, vcc
	v_cndmask_b32_e32 v4, v5, v4, vcc
	v_mov_b32_e32 v5, 0x37800000
	v_lshlrev_b32_e32 v4, 21, v4
	v_and_b32_e32 v3, 0x80000000, v3
	v_lshl_add_u32 v5, v6, 23, v5
	v_or3_b32 v3, v3, v5, v4
	v_cvt_i32_f32_e32 v3, v3
.LBB231_603:
	s_or_b64 exec, exec, s[2:3]
	s_mov_b64 s[2:3], 0
	s_branch .LBB231_609
.LBB231_604:
	s_mov_b64 s[10:11], -1
                                        ; implicit-def: $vgpr3
	s_branch .LBB231_615
.LBB231_605:
	s_andn2_saveexec_b64 s[2:3], s[2:3]
	s_cbranch_execz .LBB231_590
.LBB231_606:
	v_cmp_ne_u16_e32 vcc, 0, v4
	s_andn2_b64 s[10:11], s[10:11], exec
	s_and_b64 s[14:15], vcc, exec
	s_or_b64 s[10:11], s[10:11], s[14:15]
	s_or_b64 exec, exec, s[2:3]
	v_mov_b32_e32 v3, 0
	s_and_saveexec_b64 s[2:3], s[10:11]
	s_cbranch_execnz .LBB231_591
	s_branch .LBB231_592
.LBB231_607:
	s_mov_b64 s[2:3], -1
                                        ; implicit-def: $vgpr3
	s_branch .LBB231_612
.LBB231_608:
	s_mov_b64 s[2:3], -1
                                        ; implicit-def: $vgpr3
.LBB231_609:
	s_and_b64 vcc, exec, s[2:3]
	s_cbranch_vccz .LBB231_611
; %bb.610:
	global_load_ubyte v3, v[1:2], off
	s_mov_b32 s2, 0x7f800000
	s_waitcnt vmcnt(0)
	v_lshlrev_b32_e32 v3, 24, v3
	v_and_b32_e32 v4, 0x7f000000, v3
	v_ffbh_u32_e32 v5, v4
	v_min_u32_e32 v5, 32, v5
	v_sub_u32_e64 v5, v5, 4 clamp
	v_lshlrev_b32_e32 v7, v5, v4
	v_lshlrev_b32_e32 v5, 23, v5
	v_lshrrev_b32_e32 v7, 4, v7
	v_add_u32_e32 v6, 0x1000000, v4
	v_sub_u32_e32 v5, v7, v5
	v_ashrrev_i32_e32 v6, 8, v6
	v_add_u32_e32 v5, 0x3c000000, v5
	v_and_or_b32 v5, v6, s2, v5
	v_cmp_ne_u32_e32 vcc, 0, v4
	v_cndmask_b32_e32 v4, 0, v5, vcc
	s_brev_b32 s2, 1
	v_and_or_b32 v3, v3, s2, v4
	v_cvt_i32_f32_e32 v3, v3
.LBB231_611:
	s_mov_b64 s[2:3], 0
.LBB231_612:
	s_andn2_b64 vcc, exec, s[2:3]
	s_cbranch_vccnz .LBB231_614
; %bb.613:
	global_load_ubyte v3, v[1:2], off
	s_movk_i32 s2, 0x7f00
	s_brev_b32 s3, 16
	s_waitcnt vmcnt(0)
	v_lshlrev_b16_e32 v4, 8, v3
	v_lshlrev_b32_e32 v3, 25, v3
	v_lshrrev_b32_e32 v5, 4, v3
	v_and_or_b32 v6, v4, s2, 0.5
	v_or_b32_e32 v5, 0x70000000, v5
	v_add_f32_e32 v6, -0.5, v6
	v_mul_f32_e32 v5, 0x7800000, v5
	v_cmp_gt_u32_e32 vcc, s3, v3
	v_bfe_i32 v4, v4, 0, 16
	v_cndmask_b32_e32 v3, v5, v6, vcc
	s_brev_b32 s2, 1
	v_and_or_b32 v3, v4, s2, v3
	v_cvt_i32_f32_e32 v3, v3
.LBB231_614:
	s_mov_b64 s[10:11], 0
	s_mov_b64 s[2:3], -1
.LBB231_615:
	s_andn2_b64 vcc, exec, s[10:11]
	s_cbranch_vccnz .LBB231_628
; %bb.616:
	s_cmp_gt_i32 s12, 14
	s_cbranch_scc0 .LBB231_619
; %bb.617:
	s_cmp_eq_u32 s12, 15
	s_cbranch_scc0 .LBB231_622
; %bb.618:
	global_load_ushort v3, v[1:2], off
	s_mov_b64 s[2:3], -1
	s_mov_b64 s[8:9], 0
	s_waitcnt vmcnt(0)
	v_lshlrev_b32_e32 v3, 16, v3
	v_cvt_i32_f32_e32 v3, v3
	s_branch .LBB231_623
.LBB231_619:
	s_mov_b64 s[10:11], -1
                                        ; implicit-def: $vgpr3
	s_branch .LBB231_624
.LBB231_620:
	s_andn2_saveexec_b64 s[2:3], s[2:3]
	s_cbranch_execz .LBB231_601
.LBB231_621:
	v_cmp_ne_u16_e32 vcc, 0, v4
	s_andn2_b64 s[10:11], s[10:11], exec
	s_and_b64 s[14:15], vcc, exec
	s_or_b64 s[10:11], s[10:11], s[14:15]
	s_or_b64 exec, exec, s[2:3]
	v_mov_b32_e32 v3, 0
	s_and_saveexec_b64 s[2:3], s[10:11]
	s_cbranch_execnz .LBB231_602
	s_branch .LBB231_603
.LBB231_622:
	s_mov_b64 s[8:9], -1
                                        ; implicit-def: $vgpr3
.LBB231_623:
	s_mov_b64 s[10:11], 0
.LBB231_624:
	s_and_b64 vcc, exec, s[10:11]
	s_cbranch_vccz .LBB231_628
; %bb.625:
	s_cmp_eq_u32 s12, 11
	s_cbranch_scc0 .LBB231_627
; %bb.626:
	global_load_ubyte v3, v[1:2], off
	s_mov_b64 s[2:3], -1
	s_mov_b64 s[8:9], 0
	s_waitcnt vmcnt(0)
	v_cmp_ne_u16_e32 vcc, 0, v3
	v_cndmask_b32_e64 v3, 0, 1, vcc
	s_branch .LBB231_628
.LBB231_627:
	s_mov_b64 s[8:9], -1
                                        ; implicit-def: $vgpr3
.LBB231_628:
	s_mov_b64 s[10:11], 0
.LBB231_629:
	s_and_b64 vcc, exec, s[10:11]
	s_cbranch_vccz .LBB231_678
; %bb.630:
	s_cmp_lt_i32 s12, 5
	s_cbranch_scc1 .LBB231_635
; %bb.631:
	s_cmp_lt_i32 s12, 8
	s_cbranch_scc1 .LBB231_636
	;; [unrolled: 3-line block ×3, first 2 shown]
; %bb.633:
	s_cmp_gt_i32 s12, 9
	s_cbranch_scc0 .LBB231_638
; %bb.634:
	global_load_dwordx2 v[3:4], v[1:2], off
	s_mov_b64 s[2:3], 0
	s_waitcnt vmcnt(0)
	v_cvt_i32_f64_e32 v3, v[3:4]
	s_branch .LBB231_639
.LBB231_635:
	s_mov_b64 s[2:3], -1
                                        ; implicit-def: $vgpr3
	s_branch .LBB231_657
.LBB231_636:
	s_mov_b64 s[2:3], -1
                                        ; implicit-def: $vgpr3
	s_branch .LBB231_645
.LBB231_637:
	s_mov_b64 s[2:3], -1
                                        ; implicit-def: $vgpr3
	s_branch .LBB231_642
.LBB231_638:
	s_mov_b64 s[2:3], -1
                                        ; implicit-def: $vgpr3
.LBB231_639:
	s_andn2_b64 vcc, exec, s[2:3]
	s_cbranch_vccnz .LBB231_641
; %bb.640:
	global_load_dword v3, v[1:2], off
	s_waitcnt vmcnt(0)
	v_cvt_i32_f32_e32 v3, v3
.LBB231_641:
	s_mov_b64 s[2:3], 0
.LBB231_642:
	s_andn2_b64 vcc, exec, s[2:3]
	s_cbranch_vccnz .LBB231_644
; %bb.643:
	global_load_dword v3, v[1:2], off
	s_waitcnt vmcnt(0)
	v_cvt_i16_f16_e32 v3, v3
.LBB231_644:
	s_mov_b64 s[2:3], 0
.LBB231_645:
	s_andn2_b64 vcc, exec, s[2:3]
	s_cbranch_vccnz .LBB231_656
; %bb.646:
	s_cmp_lt_i32 s12, 6
	s_cbranch_scc1 .LBB231_649
; %bb.647:
	s_cmp_gt_i32 s12, 6
	s_cbranch_scc0 .LBB231_650
; %bb.648:
	global_load_dwordx2 v[3:4], v[1:2], off
	s_mov_b64 s[2:3], 0
	s_waitcnt vmcnt(0)
	v_cvt_i32_f64_e32 v3, v[3:4]
	s_branch .LBB231_651
.LBB231_649:
	s_mov_b64 s[2:3], -1
                                        ; implicit-def: $vgpr3
	s_branch .LBB231_654
.LBB231_650:
	s_mov_b64 s[2:3], -1
                                        ; implicit-def: $vgpr3
.LBB231_651:
	s_andn2_b64 vcc, exec, s[2:3]
	s_cbranch_vccnz .LBB231_653
; %bb.652:
	global_load_dword v3, v[1:2], off
	s_waitcnt vmcnt(0)
	v_cvt_i32_f32_e32 v3, v3
.LBB231_653:
	s_mov_b64 s[2:3], 0
.LBB231_654:
	s_andn2_b64 vcc, exec, s[2:3]
	s_cbranch_vccnz .LBB231_656
; %bb.655:
	global_load_ushort v3, v[1:2], off
	s_waitcnt vmcnt(0)
	v_cvt_i16_f16_e32 v3, v3
.LBB231_656:
	s_mov_b64 s[2:3], 0
.LBB231_657:
	s_andn2_b64 vcc, exec, s[2:3]
	s_cbranch_vccnz .LBB231_677
; %bb.658:
	s_cmp_lt_i32 s12, 2
	s_cbranch_scc1 .LBB231_662
; %bb.659:
	s_cmp_lt_i32 s12, 3
	s_cbranch_scc1 .LBB231_663
; %bb.660:
	s_cmp_gt_i32 s12, 3
	s_cbranch_scc0 .LBB231_664
; %bb.661:
	global_load_dwordx2 v[3:4], v[1:2], off
	s_mov_b64 s[2:3], 0
	s_branch .LBB231_665
.LBB231_662:
	s_mov_b64 s[2:3], -1
                                        ; implicit-def: $vgpr3
	s_branch .LBB231_671
.LBB231_663:
	s_mov_b64 s[2:3], -1
                                        ; implicit-def: $vgpr3
	s_branch .LBB231_668
.LBB231_664:
	s_mov_b64 s[2:3], -1
                                        ; implicit-def: $vgpr3
.LBB231_665:
	s_andn2_b64 vcc, exec, s[2:3]
	s_cbranch_vccnz .LBB231_667
; %bb.666:
	global_load_dword v3, v[1:2], off
.LBB231_667:
	s_mov_b64 s[2:3], 0
.LBB231_668:
	s_andn2_b64 vcc, exec, s[2:3]
	s_cbranch_vccnz .LBB231_670
; %bb.669:
	global_load_ushort v3, v[1:2], off
.LBB231_670:
	s_mov_b64 s[2:3], 0
.LBB231_671:
	s_andn2_b64 vcc, exec, s[2:3]
	s_cbranch_vccnz .LBB231_677
; %bb.672:
	s_cmp_gt_i32 s12, 0
	s_cbranch_scc0 .LBB231_674
; %bb.673:
	global_load_sbyte v3, v[1:2], off
	s_mov_b64 s[2:3], 0
	s_branch .LBB231_675
.LBB231_674:
	s_mov_b64 s[2:3], -1
                                        ; implicit-def: $vgpr3
.LBB231_675:
	s_andn2_b64 vcc, exec, s[2:3]
	s_cbranch_vccnz .LBB231_677
; %bb.676:
	global_load_ubyte v3, v[1:2], off
.LBB231_677:
	s_mov_b64 s[2:3], -1
.LBB231_678:
	s_andn2_b64 vcc, exec, s[2:3]
	s_cbranch_vccnz .LBB231_686
; %bb.679:
	s_waitcnt vmcnt(0)
	v_ashrrev_i16_e32 v1, 15, v3
	v_ashrrev_i32_sdwa v2, s76, sext(v3) dst_sel:DWORD dst_unused:UNUSED_PAD src0_sel:DWORD src1_sel:WORD_0
	v_cndmask_b32_e64 v4, v2, v1, s[0:1]
	v_mov_b32_e32 v1, s25
	s_and_b32 s16, s75, 0xff
	v_add_co_u32_e32 v0, vcc, s24, v0
	s_cmp_lt_i32 s16, 11
	v_addc_co_u32_e32 v1, vcc, 0, v1, vcc
	s_cbranch_scc1 .LBB231_687
; %bb.680:
	s_and_b32 s17, 0xffff, s16
	s_cmp_gt_i32 s17, 25
	s_cbranch_scc0 .LBB231_688
; %bb.681:
	s_cmp_gt_i32 s17, 28
	s_cbranch_scc0 .LBB231_689
; %bb.682:
	;; [unrolled: 3-line block ×4, first 2 shown]
	s_mov_b64 s[12:13], 0
	s_mov_b64 s[2:3], -1
	s_cmp_eq_u32 s17, 46
	s_mov_b64 s[10:11], 0
	s_cbranch_scc0 .LBB231_692
; %bb.685:
	v_cvt_f32_i32_sdwa v2, sext(v4) dst_sel:DWORD dst_unused:UNUSED_PAD src0_sel:WORD_0
	s_movk_i32 s2, 0x7fff
	s_mov_b64 s[10:11], -1
	v_bfe_u32 v3, v2, 16, 1
	v_add3_u32 v2, v2, v3, s2
	v_lshrrev_b32_e32 v2, 16, v2
	global_store_dword v[0:1], v2, off
	s_mov_b64 s[2:3], 0
	s_branch .LBB231_692
.LBB231_686:
	s_mov_b64 s[10:11], 0
	s_mov_b64 s[2:3], s[64:65]
	s_branch .LBB231_803
.LBB231_687:
	s_mov_b64 s[12:13], -1
	s_mov_b64 s[10:11], 0
	s_mov_b64 s[2:3], s[64:65]
	s_branch .LBB231_761
.LBB231_688:
	s_mov_b64 s[12:13], -1
	s_mov_b64 s[10:11], 0
	s_mov_b64 s[2:3], s[64:65]
	s_branch .LBB231_719
.LBB231_689:
	s_mov_b64 s[12:13], -1
	s_mov_b64 s[10:11], 0
	s_mov_b64 s[2:3], s[64:65]
	s_branch .LBB231_702
.LBB231_690:
	s_mov_b64 s[12:13], -1
	s_mov_b64 s[10:11], 0
	s_mov_b64 s[2:3], s[64:65]
	s_branch .LBB231_698
.LBB231_691:
	s_mov_b64 s[12:13], -1
	s_mov_b64 s[10:11], 0
	s_mov_b64 s[2:3], s[64:65]
.LBB231_692:
	s_and_b64 vcc, exec, s[12:13]
	s_cbranch_vccz .LBB231_697
; %bb.693:
	s_cmp_eq_u32 s17, 44
	s_mov_b64 s[2:3], -1
	s_cbranch_scc0 .LBB231_697
; %bb.694:
	v_cvt_f32_i32_sdwa v2, sext(v4) dst_sel:DWORD dst_unused:UNUSED_PAD src0_sel:WORD_0
	s_movk_i32 s2, 0xff
	v_mov_b32_e32 v5, 0xff
	v_bfe_u32 v3, v2, 23, 8
	v_cmp_ne_u32_e32 vcc, s2, v3
	s_and_saveexec_b64 s[10:11], vcc
; %bb.695:
	s_mov_b32 s2, 0x3fffff
	v_lshrrev_b32_e32 v5, 23, v2
	v_and_b32_e32 v6, 0x400000, v2
	v_and_or_b32 v2, v2, s2, v3
	v_cmp_ne_u32_e32 vcc, 0, v6
	v_cmp_ne_u32_e64 s[2:3], 0, v2
	s_and_b64 s[2:3], vcc, s[2:3]
	v_cndmask_b32_e64 v2, 0, 1, s[2:3]
	v_add_u32_e32 v5, v5, v2
; %bb.696:
	s_or_b64 exec, exec, s[10:11]
	s_mov_b64 s[10:11], -1
	s_mov_b64 s[2:3], 0
	global_store_byte v[0:1], v5, off
.LBB231_697:
	s_mov_b64 s[12:13], 0
.LBB231_698:
	s_and_b64 vcc, exec, s[12:13]
	s_cbranch_vccz .LBB231_701
; %bb.699:
	s_cmp_eq_u32 s17, 29
	s_mov_b64 s[2:3], -1
	s_cbranch_scc0 .LBB231_701
; %bb.700:
	v_bfe_i32 v2, v4, 0, 16
	v_ashrrev_i32_e32 v3, 31, v2
	global_store_dwordx2 v[0:1], v[2:3], off
	s_mov_b64 s[10:11], -1
	s_mov_b64 s[2:3], 0
.LBB231_701:
	s_mov_b64 s[12:13], 0
.LBB231_702:
	s_and_b64 vcc, exec, s[12:13]
	s_cbranch_vccz .LBB231_718
; %bb.703:
	s_cmp_lt_i32 s17, 27
	s_mov_b64 s[10:11], -1
	s_cbranch_scc1 .LBB231_709
; %bb.704:
	s_cmp_gt_i32 s17, 27
	s_cbranch_scc0 .LBB231_706
; %bb.705:
	v_bfe_i32 v2, v4, 0, 16
	s_mov_b64 s[10:11], 0
	global_store_dword v[0:1], v2, off
.LBB231_706:
	s_andn2_b64 vcc, exec, s[10:11]
	s_cbranch_vccnz .LBB231_708
; %bb.707:
	global_store_short v[0:1], v4, off
.LBB231_708:
	s_mov_b64 s[10:11], 0
.LBB231_709:
	s_andn2_b64 vcc, exec, s[10:11]
	s_cbranch_vccnz .LBB231_717
; %bb.710:
	v_cvt_f32_i32_sdwa v2, sext(v4) dst_sel:DWORD dst_unused:UNUSED_PAD src0_sel:WORD_0
	s_mov_b32 s10, 0x43800000
	v_mov_b32_e32 v5, 0x80
	v_and_b32_e32 v3, 0x7fffffff, v2
	v_cmp_gt_u32_e32 vcc, s10, v3
	s_and_saveexec_b64 s[10:11], vcc
	s_cbranch_execz .LBB231_716
; %bb.711:
	s_mov_b32 s12, 0x3bffffff
	v_cmp_lt_u32_e32 vcc, s12, v3
	s_mov_b64 s[12:13], 0
                                        ; implicit-def: $vgpr3
	s_and_saveexec_b64 s[14:15], vcc
	s_xor_b64 s[14:15], exec, s[14:15]
	s_cbranch_execz .LBB231_833
; %bb.712:
	v_bfe_u32 v3, v2, 20, 1
	s_mov_b32 s18, 0x487ffff
	v_add3_u32 v3, v2, v3, s18
	s_mov_b64 s[12:13], exec
	v_lshrrev_b32_e32 v3, 20, v3
	s_andn2_saveexec_b64 s[14:15], s[14:15]
	s_cbranch_execnz .LBB231_834
.LBB231_713:
	s_or_b64 exec, exec, s[14:15]
	v_mov_b32_e32 v5, 0
	s_and_saveexec_b64 s[14:15], s[12:13]
.LBB231_714:
	v_lshrrev_b32_e32 v2, 24, v2
	s_movk_i32 s12, 0x80
	v_and_or_b32 v5, v2, s12, v3
.LBB231_715:
	s_or_b64 exec, exec, s[14:15]
.LBB231_716:
	s_or_b64 exec, exec, s[10:11]
	global_store_byte v[0:1], v5, off
.LBB231_717:
	s_mov_b64 s[10:11], -1
.LBB231_718:
	s_mov_b64 s[12:13], 0
.LBB231_719:
	s_and_b64 vcc, exec, s[12:13]
	s_cbranch_vccz .LBB231_760
; %bb.720:
	s_cmp_gt_i32 s17, 22
	s_mov_b64 s[12:13], -1
	s_cbranch_scc0 .LBB231_752
; %bb.721:
	s_cmp_lt_i32 s17, 24
	s_mov_b64 s[10:11], -1
	s_cbranch_scc1 .LBB231_741
; %bb.722:
	s_cmp_gt_i32 s17, 24
	s_cbranch_scc0 .LBB231_730
; %bb.723:
	v_cvt_f32_i32_sdwa v2, sext(v4) dst_sel:DWORD dst_unused:UNUSED_PAD src0_sel:WORD_0
	s_mov_b32 s10, 0x47800000
	v_mov_b32_e32 v5, 0x80
	v_and_b32_e32 v3, 0x7fffffff, v2
	v_cmp_gt_u32_e32 vcc, s10, v3
	s_and_saveexec_b64 s[10:11], vcc
	s_cbranch_execz .LBB231_729
; %bb.724:
	s_mov_b32 s12, 0x37ffffff
	v_cmp_lt_u32_e32 vcc, s12, v3
	s_mov_b64 s[12:13], 0
                                        ; implicit-def: $vgpr3
	s_and_saveexec_b64 s[14:15], vcc
	s_xor_b64 s[14:15], exec, s[14:15]
	s_cbranch_execz .LBB231_836
; %bb.725:
	v_bfe_u32 v3, v2, 21, 1
	s_mov_b32 s18, 0x88fffff
	v_add3_u32 v3, v2, v3, s18
	s_mov_b64 s[12:13], exec
	v_lshrrev_b32_e32 v3, 21, v3
	s_andn2_saveexec_b64 s[14:15], s[14:15]
	s_cbranch_execnz .LBB231_837
.LBB231_726:
	s_or_b64 exec, exec, s[14:15]
	v_mov_b32_e32 v5, 0
	s_and_saveexec_b64 s[14:15], s[12:13]
.LBB231_727:
	v_lshrrev_b32_e32 v2, 24, v2
	s_movk_i32 s12, 0x80
	v_and_or_b32 v5, v2, s12, v3
.LBB231_728:
	s_or_b64 exec, exec, s[14:15]
.LBB231_729:
	s_or_b64 exec, exec, s[10:11]
	s_mov_b64 s[10:11], 0
	global_store_byte v[0:1], v5, off
.LBB231_730:
	s_and_b64 vcc, exec, s[10:11]
	s_cbranch_vccz .LBB231_740
; %bb.731:
	v_cvt_f32_i32_sdwa v2, sext(v4) dst_sel:DWORD dst_unused:UNUSED_PAD src0_sel:WORD_0
	s_mov_b32 s10, 0x43f00000
                                        ; implicit-def: $vgpr3
	v_and_b32_e32 v5, 0x7fffffff, v2
	v_cmp_gt_u32_e32 vcc, s10, v5
	s_and_saveexec_b64 s[10:11], vcc
	s_xor_b64 s[10:11], exec, s[10:11]
	s_cbranch_execz .LBB231_737
; %bb.732:
	s_mov_b32 s12, 0x3c7fffff
	v_cmp_lt_u32_e32 vcc, s12, v5
                                        ; implicit-def: $vgpr3
	s_and_saveexec_b64 s[12:13], vcc
	s_xor_b64 s[12:13], exec, s[12:13]
; %bb.733:
	v_bfe_u32 v3, v2, 20, 1
	s_mov_b32 s14, 0x407ffff
	v_add3_u32 v3, v2, v3, s14
	v_lshrrev_b32_e32 v5, 20, v3
	v_and_b32_e32 v3, 0xff00000, v3
	s_mov_b32 s14, 0x7f00000
	v_mov_b32_e32 v6, 0x7e
	v_cmp_ne_u32_e32 vcc, s14, v3
	v_cndmask_b32_e32 v3, v6, v5, vcc
; %bb.734:
	s_andn2_saveexec_b64 s[12:13], s[12:13]
; %bb.735:
	s_mov_b32 s14, 0x46800000
	v_add_f32_e64 v3, |v2|, s14
; %bb.736:
	s_or_b64 exec, exec, s[12:13]
                                        ; implicit-def: $vgpr5
.LBB231_737:
	s_andn2_saveexec_b64 s[10:11], s[10:11]
; %bb.738:
	s_mov_b32 s12, 0x7f800000
	v_mov_b32_e32 v3, 0x7e
	v_mov_b32_e32 v6, 0x7f
	v_cmp_lt_u32_e32 vcc, s12, v5
	v_cndmask_b32_e32 v3, v3, v6, vcc
; %bb.739:
	s_or_b64 exec, exec, s[10:11]
	v_lshrrev_b32_e32 v2, 24, v2
	s_movk_i32 s10, 0x80
	v_and_or_b32 v2, v2, s10, v3
	global_store_byte v[0:1], v2, off
.LBB231_740:
	s_mov_b64 s[10:11], 0
.LBB231_741:
	s_andn2_b64 vcc, exec, s[10:11]
	s_cbranch_vccnz .LBB231_751
; %bb.742:
	v_cvt_f32_i32_sdwa v2, sext(v4) dst_sel:DWORD dst_unused:UNUSED_PAD src0_sel:WORD_0
	s_mov_b32 s10, 0x47800000
                                        ; implicit-def: $vgpr3
	v_and_b32_e32 v5, 0x7fffffff, v2
	v_cmp_gt_u32_e32 vcc, s10, v5
	s_and_saveexec_b64 s[10:11], vcc
	s_xor_b64 s[10:11], exec, s[10:11]
	s_cbranch_execz .LBB231_748
; %bb.743:
	s_mov_b32 s12, 0x387fffff
	v_cmp_lt_u32_e32 vcc, s12, v5
                                        ; implicit-def: $vgpr3
	s_and_saveexec_b64 s[12:13], vcc
	s_xor_b64 s[12:13], exec, s[12:13]
; %bb.744:
	v_bfe_u32 v3, v2, 21, 1
	s_mov_b32 s14, 0x80fffff
	v_add3_u32 v3, v2, v3, s14
	v_lshrrev_b32_e32 v3, 21, v3
; %bb.745:
	s_andn2_saveexec_b64 s[12:13], s[12:13]
; %bb.746:
	s_mov_b32 s14, 0x43000000
	v_add_f32_e64 v3, |v2|, s14
; %bb.747:
	s_or_b64 exec, exec, s[12:13]
                                        ; implicit-def: $vgpr5
.LBB231_748:
	s_andn2_saveexec_b64 s[10:11], s[10:11]
; %bb.749:
	s_mov_b32 s12, 0x7f800000
	v_mov_b32_e32 v3, 0x7c
	v_mov_b32_e32 v6, 0x7f
	v_cmp_lt_u32_e32 vcc, s12, v5
	v_cndmask_b32_e32 v3, v3, v6, vcc
; %bb.750:
	s_or_b64 exec, exec, s[10:11]
	v_lshrrev_b32_e32 v2, 24, v2
	s_movk_i32 s10, 0x80
	v_and_or_b32 v2, v2, s10, v3
	global_store_byte v[0:1], v2, off
.LBB231_751:
	s_mov_b64 s[12:13], 0
	s_mov_b64 s[10:11], -1
.LBB231_752:
	s_andn2_b64 vcc, exec, s[12:13]
	s_cbranch_vccnz .LBB231_760
; %bb.753:
	s_cmp_gt_i32 s17, 14
	s_mov_b64 s[12:13], -1
	s_cbranch_scc0 .LBB231_757
; %bb.754:
	s_cmp_eq_u32 s17, 15
	s_mov_b64 s[2:3], -1
	s_cbranch_scc0 .LBB231_756
; %bb.755:
	v_cvt_f32_i32_sdwa v2, sext(v4) dst_sel:DWORD dst_unused:UNUSED_PAD src0_sel:WORD_0
	s_movk_i32 s2, 0x7fff
	s_mov_b64 s[10:11], -1
	v_bfe_u32 v3, v2, 16, 1
	v_add3_u32 v2, v2, v3, s2
	global_store_short_d16_hi v[0:1], v2, off
	s_mov_b64 s[2:3], 0
.LBB231_756:
	s_mov_b64 s[12:13], 0
.LBB231_757:
	s_and_b64 vcc, exec, s[12:13]
	s_cbranch_vccz .LBB231_760
; %bb.758:
	s_cmp_eq_u32 s17, 11
	s_mov_b64 s[2:3], -1
	s_cbranch_scc0 .LBB231_760
; %bb.759:
	v_cmp_ne_u16_e32 vcc, 0, v4
	v_cndmask_b32_e64 v2, 0, 1, vcc
	s_mov_b64 s[10:11], -1
	s_mov_b64 s[2:3], 0
	global_store_byte v[0:1], v2, off
.LBB231_760:
	s_mov_b64 s[12:13], 0
.LBB231_761:
	s_and_b64 vcc, exec, s[12:13]
	s_cbranch_vccz .LBB231_800
; %bb.762:
	s_and_b32 s12, 0xffff, s16
	s_cmp_lt_i32 s12, 5
	s_mov_b64 s[10:11], -1
	s_cbranch_scc1 .LBB231_783
; %bb.763:
	s_cmp_lt_i32 s12, 8
	s_cbranch_scc1 .LBB231_773
; %bb.764:
	s_cmp_lt_i32 s12, 9
	s_cbranch_scc1 .LBB231_770
; %bb.765:
	s_cmp_gt_i32 s12, 9
	s_cbranch_scc0 .LBB231_767
; %bb.766:
	v_bfe_i32 v2, v4, 0, 16
	v_cvt_f64_i32_e32 v[9:10], v2
	v_mov_b32_e32 v11, 0
	v_mov_b32_e32 v12, v11
	s_mov_b64 s[10:11], 0
	global_store_dwordx4 v[0:1], v[9:12], off
.LBB231_767:
	s_andn2_b64 vcc, exec, s[10:11]
	s_cbranch_vccnz .LBB231_769
; %bb.768:
	v_cvt_f32_i32_sdwa v2, sext(v4) dst_sel:DWORD dst_unused:UNUSED_PAD src0_sel:WORD_0
	v_mov_b32_e32 v3, 0
	global_store_dwordx2 v[0:1], v[2:3], off
.LBB231_769:
	s_mov_b64 s[10:11], 0
.LBB231_770:
	s_andn2_b64 vcc, exec, s[10:11]
	s_cbranch_vccnz .LBB231_772
; %bb.771:
	v_cvt_f16_i16_e32 v2, v4
	global_store_dword v[0:1], v2, off
.LBB231_772:
	s_mov_b64 s[10:11], 0
.LBB231_773:
	s_andn2_b64 vcc, exec, s[10:11]
	s_cbranch_vccnz .LBB231_782
; %bb.774:
	s_cmp_lt_i32 s12, 6
	s_mov_b64 s[10:11], -1
	s_cbranch_scc1 .LBB231_780
; %bb.775:
	s_cmp_gt_i32 s12, 6
	s_cbranch_scc0 .LBB231_777
; %bb.776:
	v_bfe_i32 v2, v4, 0, 16
	v_cvt_f64_i32_e32 v[2:3], v2
	s_mov_b64 s[10:11], 0
	global_store_dwordx2 v[0:1], v[2:3], off
.LBB231_777:
	s_andn2_b64 vcc, exec, s[10:11]
	s_cbranch_vccnz .LBB231_779
; %bb.778:
	v_cvt_f32_i32_sdwa v2, sext(v4) dst_sel:DWORD dst_unused:UNUSED_PAD src0_sel:WORD_0
	global_store_dword v[0:1], v2, off
.LBB231_779:
	s_mov_b64 s[10:11], 0
.LBB231_780:
	s_andn2_b64 vcc, exec, s[10:11]
	s_cbranch_vccnz .LBB231_782
; %bb.781:
	v_cvt_f16_i16_e32 v2, v4
	global_store_short v[0:1], v2, off
.LBB231_782:
	s_mov_b64 s[10:11], 0
.LBB231_783:
	s_andn2_b64 vcc, exec, s[10:11]
	s_cbranch_vccnz .LBB231_799
; %bb.784:
	s_cmp_lt_i32 s12, 2
	s_mov_b64 s[10:11], -1
	s_cbranch_scc1 .LBB231_794
; %bb.785:
	s_cmp_lt_i32 s12, 3
	s_cbranch_scc1 .LBB231_791
; %bb.786:
	s_cmp_gt_i32 s12, 3
	v_bfe_i32 v2, v4, 0, 16
	s_cbranch_scc0 .LBB231_788
; %bb.787:
	v_ashrrev_i32_e32 v3, 31, v2
	s_mov_b64 s[10:11], 0
	global_store_dwordx2 v[0:1], v[2:3], off
.LBB231_788:
	s_andn2_b64 vcc, exec, s[10:11]
	s_cbranch_vccnz .LBB231_790
; %bb.789:
	global_store_dword v[0:1], v2, off
.LBB231_790:
	s_mov_b64 s[10:11], 0
.LBB231_791:
	s_andn2_b64 vcc, exec, s[10:11]
	s_cbranch_vccnz .LBB231_793
; %bb.792:
	global_store_short v[0:1], v4, off
.LBB231_793:
	s_mov_b64 s[10:11], 0
.LBB231_794:
	s_andn2_b64 vcc, exec, s[10:11]
	s_cbranch_vccnz .LBB231_799
; %bb.795:
	s_cmp_gt_i32 s12, 0
	s_mov_b64 s[10:11], -1
	s_cbranch_scc0 .LBB231_797
; %bb.796:
	s_mov_b64 s[10:11], 0
	global_store_byte v[0:1], v4, off
.LBB231_797:
	s_andn2_b64 vcc, exec, s[10:11]
	s_cbranch_vccnz .LBB231_799
; %bb.798:
	global_store_byte v[0:1], v4, off
.LBB231_799:
	s_mov_b64 s[10:11], -1
.LBB231_800:
	s_andn2_b64 vcc, exec, s[10:11]
	s_cbranch_vccnz .LBB231_802
; %bb.801:
	v_add_u32_e32 v8, 0x80, v8
	s_mov_b64 s[10:11], -1
	s_branch .LBB231_804
.LBB231_802:
	s_mov_b64 s[10:11], 0
.LBB231_803:
                                        ; implicit-def: $vgpr8
.LBB231_804:
	s_andn2_b64 s[12:13], s[64:65], exec
	s_and_b64 s[2:3], s[2:3], exec
	s_or_b64 s[70:71], s[12:13], s[2:3]
	s_andn2_b64 s[2:3], s[62:63], exec
	s_and_b64 s[8:9], s[8:9], exec
	s_or_b64 s[2:3], s[2:3], s[8:9]
	s_orn2_b64 s[10:11], s[10:11], exec
.LBB231_805:
	s_or_b64 exec, exec, s[68:69]
	s_mov_b64 s[8:9], 0
	s_mov_b64 s[12:13], 0
	;; [unrolled: 1-line block ×3, first 2 shown]
                                        ; implicit-def: $vgpr1_vgpr2
                                        ; implicit-def: $vgpr0
                                        ; implicit-def: $vgpr3
	s_and_saveexec_b64 s[68:69], s[10:11]
	s_cbranch_execz .LBB231_900
; %bb.806:
	v_cmp_gt_i32_e32 vcc, s72, v8
	s_mov_b64 s[10:11], 0
	s_mov_b64 s[16:17], s[2:3]
                                        ; implicit-def: $vgpr1_vgpr2
                                        ; implicit-def: $vgpr0
                                        ; implicit-def: $vgpr3
	s_and_saveexec_b64 s[72:73], vcc
	s_cbranch_execz .LBB231_899
; %bb.807:
	s_andn2_b64 vcc, exec, s[44:45]
	s_cbranch_vccnz .LBB231_812
; %bb.808:
	s_andn2_b64 vcc, exec, s[54:55]
	s_cbranch_vccnz .LBB231_813
; %bb.809:
	s_add_i32 s79, s78, 1
	s_cmp_eq_u32 s74, 2
	s_cbranch_scc1 .LBB231_814
; %bb.810:
	s_and_b32 s78, s79, 28
	v_mov_b32_e32 v2, 0
	s_mov_b32 s80, 0
	s_mov_b64 s[54:55], s[34:35]
	v_mov_b32_e32 v0, 0
	v_mov_b32_e32 v1, v8
.LBB231_811:                            ; =>This Inner Loop Header: Depth=1
	s_load_dwordx8 s[16:23], s[54:55], 0x4
	s_load_dwordx4 s[40:43], s[54:55], 0x24
	s_load_dwordx8 s[8:15], s[52:53], 0x0
	s_add_u32 s54, s54, 48
	s_addc_u32 s55, s55, 0
	s_waitcnt vmcnt(0) lgkmcnt(0)
	v_mul_hi_u32 v3, s17, v1
	s_add_i32 s80, s80, 4
	s_add_u32 s52, s52, 32
	s_addc_u32 s53, s53, 0
	v_add_u32_e32 v3, v1, v3
	v_lshrrev_b32_e32 v3, s18, v3
	v_mul_lo_u32 v4, v3, s16
	v_mul_hi_u32 v5, s20, v3
	s_cmp_eq_u32 s78, s80
	v_sub_u32_e32 v1, v1, v4
	v_add_u32_e32 v4, v3, v5
	v_mul_lo_u32 v5, v1, s8
	v_mul_lo_u32 v6, v1, s9
	v_lshrrev_b32_e32 v1, s21, v4
	v_mul_lo_u32 v4, v1, s19
	v_mul_hi_u32 v7, s23, v1
	v_sub_u32_e32 v3, v3, v4
	v_add_u32_e32 v4, v1, v7
	v_lshrrev_b32_e32 v4, s40, v4
	v_mul_hi_u32 v9, s42, v4
	v_mul_lo_u32 v10, v4, s22
	v_mul_lo_u32 v7, v3, s10
	;; [unrolled: 1-line block ×3, first 2 shown]
	v_sub_u32_e32 v10, v1, v10
	v_add_u32_e32 v1, v4, v9
	v_lshrrev_b32_e32 v1, s43, v1
	v_mul_lo_u32 v9, v1, s41
	v_mul_lo_u32 v11, v10, s12
	;; [unrolled: 1-line block ×3, first 2 shown]
	v_add3_u32 v0, v5, v0, v7
	v_sub_u32_e32 v4, v4, v9
	v_mul_lo_u32 v9, v4, s14
	v_mul_lo_u32 v4, v4, s15
	v_add3_u32 v2, v6, v2, v3
	v_add3_u32 v0, v11, v0, v9
	;; [unrolled: 1-line block ×3, first 2 shown]
	s_cbranch_scc0 .LBB231_811
	s_branch .LBB231_815
.LBB231_812:
	s_mov_b64 s[8:9], -1
                                        ; implicit-def: $vgpr0
                                        ; implicit-def: $vgpr2
	s_branch .LBB231_819
.LBB231_813:
	v_mov_b32_e32 v0, 0
	v_mov_b32_e32 v2, 0
	s_branch .LBB231_818
.LBB231_814:
	s_mov_b32 s78, 0
	v_mov_b32_e32 v0, 0
	v_mov_b32_e32 v2, 0
	;; [unrolled: 1-line block ×3, first 2 shown]
.LBB231_815:
	s_and_b32 s12, s79, 3
	s_cmp_eq_u32 s12, 0
	s_cbranch_scc1 .LBB231_818
; %bb.816:
	s_lshl_b32 s8, s78, 3
	s_add_u32 s8, s34, s8
	s_addc_u32 s9, s35, 0
	s_add_u32 s8, s8, 0xc4
	s_addc_u32 s9, s9, 0
	s_mul_i32 s10, s78, 12
	s_add_u32 s10, s34, s10
	s_addc_u32 s11, s35, 0
.LBB231_817:                            ; =>This Inner Loop Header: Depth=1
	s_load_dwordx2 s[14:15], s[10:11], 0x4
	s_load_dword s13, s[10:11], 0xc
	s_load_dwordx2 s[16:17], s[8:9], 0x0
	s_add_u32 s10, s10, 12
	s_addc_u32 s11, s11, 0
	s_waitcnt vmcnt(0) lgkmcnt(0)
	v_mul_hi_u32 v3, s15, v1
	s_add_u32 s8, s8, 8
	s_addc_u32 s9, s9, 0
	s_add_i32 s12, s12, -1
	v_add_u32_e32 v3, v1, v3
	v_lshrrev_b32_e32 v4, s13, v3
	v_mul_lo_u32 v3, v4, s14
	s_cmp_lg_u32 s12, 0
	v_sub_u32_e32 v3, v1, v3
	v_mad_u64_u32 v[0:1], s[14:15], v3, s16, v[0:1]
	v_mad_u64_u32 v[2:3], s[14:15], v3, s17, v[2:3]
	v_mov_b32_e32 v1, v4
	s_cbranch_scc1 .LBB231_817
.LBB231_818:
	s_mov_b64 s[8:9], 0
.LBB231_819:
	s_andn2_b64 vcc, exec, s[8:9]
	s_cbranch_vccnz .LBB231_822
; %bb.820:
	v_mul_hi_u32 v0, s29, v8
	s_andn2_b64 vcc, exec, s[50:51]
	v_add_u32_e32 v0, v8, v0
	v_lshrrev_b32_e32 v1, s30, v0
	v_mul_lo_u32 v0, v1, s28
	v_sub_u32_e32 v2, v8, v0
	v_mul_lo_u32 v0, v2, s36
	v_mul_lo_u32 v2, v2, s37
	s_cbranch_vccnz .LBB231_822
; %bb.821:
	s_waitcnt vmcnt(0)
	v_mul_hi_u32 v3, s48, v1
	v_add_u32_e32 v3, v1, v3
	v_lshrrev_b32_e32 v3, s49, v3
	v_mul_lo_u32 v3, v3, s31
	v_sub_u32_e32 v3, v1, v3
	v_mad_u64_u32 v[0:1], s[8:9], v3, s38, v[0:1]
	v_mad_u64_u32 v[2:3], s[8:9], v3, s39, v[2:3]
.LBB231_822:
	s_waitcnt vmcnt(0)
	v_mov_b32_e32 v3, s27
	s_and_b32 s16, 0xffff, s77
	v_add_co_u32_e32 v1, vcc, s26, v2
	s_cmp_lt_i32 s16, 11
	v_addc_co_u32_e32 v2, vcc, 0, v3, vcc
	s_cbranch_scc1 .LBB231_829
; %bb.823:
	s_cmp_gt_i32 s16, 25
	s_mov_b64 s[10:11], 0
	s_cbranch_scc0 .LBB231_830
; %bb.824:
	s_cmp_gt_i32 s16, 28
	s_cbranch_scc0 .LBB231_831
; %bb.825:
	s_cmp_gt_i32 s16, 43
	;; [unrolled: 3-line block ×3, first 2 shown]
	s_cbranch_scc0 .LBB231_835
; %bb.827:
	s_cmp_eq_u32 s16, 46
	s_mov_b64 s[14:15], 0
	s_cbranch_scc0 .LBB231_838
; %bb.828:
	global_load_dword v3, v[1:2], off
	s_mov_b64 s[8:9], 0
	s_mov_b64 s[12:13], -1
	s_waitcnt vmcnt(0)
	v_lshlrev_b32_e32 v3, 16, v3
	v_cvt_i32_f32_e32 v3, v3
	s_branch .LBB231_839
.LBB231_829:
	s_mov_b64 s[16:17], -1
	s_mov_b64 s[12:13], 0
	s_mov_b64 s[10:11], 0
	;; [unrolled: 1-line block ×3, first 2 shown]
                                        ; implicit-def: $vgpr3
	s_branch .LBB231_898
.LBB231_830:
	s_mov_b64 s[14:15], -1
	s_mov_b64 s[12:13], 0
	s_mov_b64 s[8:9], s[2:3]
                                        ; implicit-def: $vgpr3
	s_branch .LBB231_866
.LBB231_831:
	s_mov_b64 s[14:15], -1
	s_mov_b64 s[12:13], 0
	s_mov_b64 s[8:9], s[2:3]
                                        ; implicit-def: $vgpr3
	s_branch .LBB231_849
.LBB231_832:
	s_mov_b64 s[14:15], -1
	s_mov_b64 s[12:13], 0
	s_mov_b64 s[8:9], s[2:3]
                                        ; implicit-def: $vgpr3
	s_branch .LBB231_844
.LBB231_833:
	s_andn2_saveexec_b64 s[14:15], s[14:15]
	s_cbranch_execz .LBB231_713
.LBB231_834:
	s_mov_b32 s18, 0x46000000
	v_add_f32_e64 v3, |v2|, s18
	v_and_b32_e32 v3, 0xff, v3
	v_cmp_ne_u32_e32 vcc, 0, v3
	s_andn2_b64 s[12:13], s[12:13], exec
	s_and_b64 s[18:19], vcc, exec
	s_or_b64 s[12:13], s[12:13], s[18:19]
	s_or_b64 exec, exec, s[14:15]
	v_mov_b32_e32 v5, 0
	s_and_saveexec_b64 s[14:15], s[12:13]
	s_cbranch_execnz .LBB231_714
	s_branch .LBB231_715
.LBB231_835:
	s_mov_b64 s[14:15], -1
	s_mov_b64 s[12:13], 0
	s_mov_b64 s[8:9], s[2:3]
                                        ; implicit-def: $vgpr3
	s_branch .LBB231_839
.LBB231_836:
	s_andn2_saveexec_b64 s[14:15], s[14:15]
	s_cbranch_execz .LBB231_726
.LBB231_837:
	s_mov_b32 s18, 0x42800000
	v_add_f32_e64 v3, |v2|, s18
	v_and_b32_e32 v3, 0xff, v3
	v_cmp_ne_u32_e32 vcc, 0, v3
	s_andn2_b64 s[12:13], s[12:13], exec
	s_and_b64 s[18:19], vcc, exec
	s_or_b64 s[12:13], s[12:13], s[18:19]
	s_or_b64 exec, exec, s[14:15]
	v_mov_b32_e32 v5, 0
	s_and_saveexec_b64 s[14:15], s[12:13]
	s_cbranch_execnz .LBB231_727
	s_branch .LBB231_728
.LBB231_838:
	s_mov_b64 s[8:9], -1
                                        ; implicit-def: $vgpr3
	s_mov_b64 s[12:13], 0
.LBB231_839:
	s_and_b64 vcc, exec, s[14:15]
	s_cbranch_vccz .LBB231_843
; %bb.840:
	s_cmp_eq_u32 s16, 44
	s_cbranch_scc0 .LBB231_842
; %bb.841:
	global_load_ubyte v3, v[1:2], off
	s_mov_b64 s[8:9], 0
	s_mov_b64 s[12:13], -1
	s_waitcnt vmcnt(0)
	v_lshlrev_b32_e32 v4, 23, v3
	v_cvt_i32_f32_e32 v4, v4
	v_cmp_ne_u32_e32 vcc, 0, v3
	v_cndmask_b32_e32 v3, 0, v4, vcc
	s_branch .LBB231_843
.LBB231_842:
	s_mov_b64 s[8:9], -1
                                        ; implicit-def: $vgpr3
.LBB231_843:
	s_mov_b64 s[14:15], 0
.LBB231_844:
	s_and_b64 vcc, exec, s[14:15]
	s_cbranch_vccz .LBB231_848
; %bb.845:
	s_cmp_eq_u32 s16, 29
	s_cbranch_scc0 .LBB231_847
; %bb.846:
	global_load_dwordx2 v[3:4], v[1:2], off
	s_mov_b64 s[8:9], 0
	s_mov_b64 s[12:13], -1
	s_branch .LBB231_848
.LBB231_847:
	s_mov_b64 s[8:9], -1
                                        ; implicit-def: $vgpr3
.LBB231_848:
	s_mov_b64 s[14:15], 0
.LBB231_849:
	s_and_b64 vcc, exec, s[14:15]
	s_cbranch_vccz .LBB231_865
; %bb.850:
	s_cmp_lt_i32 s16, 27
	s_cbranch_scc1 .LBB231_853
; %bb.851:
	s_cmp_gt_i32 s16, 27
	s_cbranch_scc0 .LBB231_854
; %bb.852:
	global_load_dword v3, v[1:2], off
	s_mov_b64 s[12:13], 0
	s_branch .LBB231_855
.LBB231_853:
	s_mov_b64 s[12:13], -1
                                        ; implicit-def: $vgpr3
	s_branch .LBB231_858
.LBB231_854:
	s_mov_b64 s[12:13], -1
                                        ; implicit-def: $vgpr3
.LBB231_855:
	s_andn2_b64 vcc, exec, s[12:13]
	s_cbranch_vccnz .LBB231_857
; %bb.856:
	global_load_ushort v3, v[1:2], off
.LBB231_857:
	s_mov_b64 s[12:13], 0
.LBB231_858:
	s_andn2_b64 vcc, exec, s[12:13]
	s_cbranch_vccnz .LBB231_864
; %bb.859:
	global_load_ubyte v4, v[1:2], off
	s_movk_i32 s12, 0x7f
	s_mov_b64 s[14:15], 0
	s_waitcnt vmcnt(0)
	v_cmp_lt_i16_e32 vcc, s12, v4
	s_and_saveexec_b64 s[12:13], vcc
	s_xor_b64 s[12:13], exec, s[12:13]
	s_cbranch_execz .LBB231_876
; %bb.860:
	s_movk_i32 s14, 0x80
	v_cmp_ne_u16_e32 vcc, s14, v4
	s_and_b64 s[14:15], vcc, exec
	s_andn2_saveexec_b64 s[12:13], s[12:13]
	s_cbranch_execnz .LBB231_877
.LBB231_861:
	s_or_b64 exec, exec, s[12:13]
	v_mov_b32_e32 v3, 0
	s_and_saveexec_b64 s[12:13], s[14:15]
	s_cbranch_execz .LBB231_863
.LBB231_862:
	v_lshlrev_b32_e32 v3, 24, v4
	v_and_b32_e32 v4, 0xffff, v4
	v_and_b32_e32 v5, 7, v4
	v_ffbh_u32_e32 v7, v5
	v_min_u32_e32 v7, 32, v7
	v_subrev_u32_e32 v8, 28, v7
	v_bfe_u32 v6, v4, 3, 4
	v_lshlrev_b32_e32 v4, v8, v4
	v_sub_u32_e32 v7, 29, v7
	v_and_b32_e32 v4, 7, v4
	v_cmp_eq_u32_e32 vcc, 0, v6
	v_cndmask_b32_e32 v6, v6, v7, vcc
	v_cndmask_b32_e32 v4, v5, v4, vcc
	v_mov_b32_e32 v5, 0x3b800000
	v_lshlrev_b32_e32 v4, 20, v4
	v_and_b32_e32 v3, 0x80000000, v3
	v_lshl_add_u32 v5, v6, 23, v5
	v_or3_b32 v3, v3, v5, v4
	v_cvt_i32_f32_e32 v3, v3
.LBB231_863:
	s_or_b64 exec, exec, s[12:13]
.LBB231_864:
	s_mov_b64 s[12:13], -1
.LBB231_865:
	s_mov_b64 s[14:15], 0
.LBB231_866:
	s_and_b64 vcc, exec, s[14:15]
	s_cbranch_vccz .LBB231_897
; %bb.867:
	s_cmp_gt_i32 s16, 22
	s_cbranch_scc0 .LBB231_875
; %bb.868:
	s_cmp_lt_i32 s16, 24
	s_cbranch_scc1 .LBB231_878
; %bb.869:
	s_cmp_gt_i32 s16, 24
	s_cbranch_scc0 .LBB231_879
; %bb.870:
	global_load_ubyte v4, v[1:2], off
	s_movk_i32 s10, 0x7f
	s_mov_b64 s[12:13], 0
	s_waitcnt vmcnt(0)
	v_cmp_lt_i16_e32 vcc, s10, v4
	s_and_saveexec_b64 s[10:11], vcc
	s_xor_b64 s[10:11], exec, s[10:11]
	s_cbranch_execz .LBB231_891
; %bb.871:
	s_movk_i32 s12, 0x80
	v_cmp_ne_u16_e32 vcc, s12, v4
	s_and_b64 s[12:13], vcc, exec
	s_andn2_saveexec_b64 s[10:11], s[10:11]
	s_cbranch_execnz .LBB231_892
.LBB231_872:
	s_or_b64 exec, exec, s[10:11]
	v_mov_b32_e32 v3, 0
	s_and_saveexec_b64 s[10:11], s[12:13]
	s_cbranch_execz .LBB231_874
.LBB231_873:
	v_lshlrev_b32_e32 v3, 24, v4
	v_and_b32_e32 v4, 0xffff, v4
	v_and_b32_e32 v5, 3, v4
	v_ffbh_u32_e32 v7, v5
	v_min_u32_e32 v7, 32, v7
	v_subrev_u32_e32 v8, 29, v7
	v_bfe_u32 v6, v4, 2, 5
	v_lshlrev_b32_e32 v4, v8, v4
	v_sub_u32_e32 v7, 30, v7
	v_and_b32_e32 v4, 3, v4
	v_cmp_eq_u32_e32 vcc, 0, v6
	v_cndmask_b32_e32 v6, v6, v7, vcc
	v_cndmask_b32_e32 v4, v5, v4, vcc
	v_mov_b32_e32 v5, 0x37800000
	v_lshlrev_b32_e32 v4, 21, v4
	v_and_b32_e32 v3, 0x80000000, v3
	v_lshl_add_u32 v5, v6, 23, v5
	v_or3_b32 v3, v3, v5, v4
	v_cvt_i32_f32_e32 v3, v3
.LBB231_874:
	s_or_b64 exec, exec, s[10:11]
	s_mov_b64 s[10:11], 0
	s_branch .LBB231_880
.LBB231_875:
	s_mov_b64 s[10:11], -1
                                        ; implicit-def: $vgpr3
	s_branch .LBB231_886
.LBB231_876:
	s_andn2_saveexec_b64 s[12:13], s[12:13]
	s_cbranch_execz .LBB231_861
.LBB231_877:
	v_cmp_ne_u16_e32 vcc, 0, v4
	s_andn2_b64 s[14:15], s[14:15], exec
	s_and_b64 s[18:19], vcc, exec
	s_or_b64 s[14:15], s[14:15], s[18:19]
	s_or_b64 exec, exec, s[12:13]
	v_mov_b32_e32 v3, 0
	s_and_saveexec_b64 s[12:13], s[14:15]
	s_cbranch_execnz .LBB231_862
	s_branch .LBB231_863
.LBB231_878:
	s_mov_b64 s[10:11], -1
                                        ; implicit-def: $vgpr3
	s_branch .LBB231_883
.LBB231_879:
	s_mov_b64 s[10:11], -1
                                        ; implicit-def: $vgpr3
.LBB231_880:
	s_and_b64 vcc, exec, s[10:11]
	s_cbranch_vccz .LBB231_882
; %bb.881:
	global_load_ubyte v3, v[1:2], off
	s_mov_b32 s10, 0x7f800000
	s_waitcnt vmcnt(0)
	v_lshlrev_b32_e32 v3, 24, v3
	v_and_b32_e32 v4, 0x7f000000, v3
	v_ffbh_u32_e32 v5, v4
	v_min_u32_e32 v5, 32, v5
	v_sub_u32_e64 v5, v5, 4 clamp
	v_lshlrev_b32_e32 v7, v5, v4
	v_lshlrev_b32_e32 v5, 23, v5
	v_lshrrev_b32_e32 v7, 4, v7
	v_add_u32_e32 v6, 0x1000000, v4
	v_sub_u32_e32 v5, v7, v5
	v_ashrrev_i32_e32 v6, 8, v6
	v_add_u32_e32 v5, 0x3c000000, v5
	v_and_or_b32 v5, v6, s10, v5
	v_cmp_ne_u32_e32 vcc, 0, v4
	v_cndmask_b32_e32 v4, 0, v5, vcc
	s_brev_b32 s10, 1
	v_and_or_b32 v3, v3, s10, v4
	v_cvt_i32_f32_e32 v3, v3
.LBB231_882:
	s_mov_b64 s[10:11], 0
.LBB231_883:
	s_andn2_b64 vcc, exec, s[10:11]
	s_cbranch_vccnz .LBB231_885
; %bb.884:
	global_load_ubyte v3, v[1:2], off
	s_movk_i32 s10, 0x7f00
	s_brev_b32 s11, 16
	s_waitcnt vmcnt(0)
	v_lshlrev_b16_e32 v4, 8, v3
	v_lshlrev_b32_e32 v3, 25, v3
	v_lshrrev_b32_e32 v5, 4, v3
	v_and_or_b32 v6, v4, s10, 0.5
	v_or_b32_e32 v5, 0x70000000, v5
	v_add_f32_e32 v6, -0.5, v6
	v_mul_f32_e32 v5, 0x7800000, v5
	v_cmp_gt_u32_e32 vcc, s11, v3
	v_bfe_i32 v4, v4, 0, 16
	v_cndmask_b32_e32 v3, v5, v6, vcc
	s_brev_b32 s10, 1
	v_and_or_b32 v3, v4, s10, v3
	v_cvt_i32_f32_e32 v3, v3
.LBB231_885:
	s_mov_b64 s[10:11], 0
	s_mov_b64 s[12:13], -1
.LBB231_886:
	s_andn2_b64 vcc, exec, s[10:11]
	s_mov_b64 s[10:11], 0
	s_cbranch_vccnz .LBB231_897
; %bb.887:
	s_cmp_gt_i32 s16, 14
	s_cbranch_scc0 .LBB231_890
; %bb.888:
	s_cmp_eq_u32 s16, 15
	s_cbranch_scc0 .LBB231_893
; %bb.889:
	global_load_ushort v3, v[1:2], off
	s_mov_b64 s[8:9], 0
	s_mov_b64 s[12:13], -1
	s_waitcnt vmcnt(0)
	v_lshlrev_b32_e32 v3, 16, v3
	v_cvt_i32_f32_e32 v3, v3
	s_branch .LBB231_894
.LBB231_890:
	s_mov_b64 s[14:15], -1
                                        ; implicit-def: $vgpr3
	s_branch .LBB231_895
.LBB231_891:
	s_andn2_saveexec_b64 s[10:11], s[10:11]
	s_cbranch_execz .LBB231_872
.LBB231_892:
	v_cmp_ne_u16_e32 vcc, 0, v4
	s_andn2_b64 s[12:13], s[12:13], exec
	s_and_b64 s[14:15], vcc, exec
	s_or_b64 s[12:13], s[12:13], s[14:15]
	s_or_b64 exec, exec, s[10:11]
	v_mov_b32_e32 v3, 0
	s_and_saveexec_b64 s[10:11], s[12:13]
	s_cbranch_execnz .LBB231_873
	s_branch .LBB231_874
.LBB231_893:
	s_mov_b64 s[8:9], -1
                                        ; implicit-def: $vgpr3
.LBB231_894:
	s_mov_b64 s[14:15], 0
.LBB231_895:
	s_and_b64 vcc, exec, s[14:15]
	s_cbranch_vccz .LBB231_897
; %bb.896:
	s_cmp_lg_u32 s16, 11
	s_cselect_b64 s[14:15], -1, 0
	s_andn2_b64 s[8:9], s[8:9], exec
	s_and_b64 s[14:15], s[14:15], exec
	s_mov_b64 s[10:11], -1
	s_or_b64 s[8:9], s[8:9], s[14:15]
.LBB231_897:
	s_mov_b64 s[16:17], 0
.LBB231_898:
	s_and_b64 s[14:15], s[12:13], exec
	s_and_b64 s[12:13], s[16:17], exec
	s_andn2_b64 s[16:17], s[2:3], exec
	s_and_b64 s[8:9], s[8:9], exec
	s_and_b64 s[10:11], s[10:11], exec
	s_or_b64 s[16:17], s[16:17], s[8:9]
.LBB231_899:
	s_or_b64 exec, exec, s[72:73]
	s_and_b64 s[8:9], s[10:11], exec
	s_andn2_b64 s[2:3], s[2:3], exec
	s_and_b64 s[10:11], s[16:17], exec
	s_and_b64 s[14:15], s[14:15], exec
	;; [unrolled: 1-line block ×3, first 2 shown]
	s_or_b64 s[2:3], s[2:3], s[10:11]
.LBB231_900:
	s_or_b64 exec, exec, s[68:69]
	s_andn2_b64 s[10:11], s[64:65], exec
	s_and_b64 s[16:17], s[70:71], exec
	s_or_b64 s[64:65], s[10:11], s[16:17]
	s_and_b64 s[10:11], s[14:15], exec
	s_andn2_b64 s[14:15], s[62:63], exec
	s_and_b64 s[2:3], s[2:3], exec
	s_and_b64 s[12:13], s[12:13], exec
	;; [unrolled: 1-line block ×3, first 2 shown]
	s_or_b64 s[62:63], s[14:15], s[2:3]
.LBB231_901:
	s_or_b64 exec, exec, s[66:67]
	s_andn2_b64 s[2:3], s[56:57], exec
	s_and_b64 s[14:15], s[64:65], exec
	s_or_b64 s[56:57], s[2:3], s[14:15]
	s_and_b64 s[64:65], s[8:9], exec
	s_andn2_b64 s[2:3], s[58:59], exec
	s_and_b64 s[8:9], s[62:63], exec
	s_and_b64 s[10:11], s[10:11], exec
	;; [unrolled: 1-line block ×3, first 2 shown]
	s_or_b64 s[58:59], s[2:3], s[8:9]
	s_or_b64 exec, exec, s[60:61]
	s_mov_b64 s[2:3], 0
	s_and_saveexec_b64 s[8:9], s[58:59]
	s_cbranch_execz .LBB231_270
.LBB231_902:
	s_mov_b64 s[2:3], exec
	s_andn2_b64 s[64:65], s[64:65], exec
	s_trap 2
	s_or_b64 exec, exec, s[8:9]
	s_and_saveexec_b64 s[8:9], s[64:65]
	s_xor_b64 s[8:9], exec, s[8:9]
	s_cbranch_execnz .LBB231_271
.LBB231_903:
	s_or_b64 exec, exec, s[8:9]
	s_and_saveexec_b64 s[8:9], s[12:13]
	s_cbranch_execz .LBB231_949
.LBB231_904:
	s_sext_i32_i16 s12, s77
	s_cmp_lt_i32 s12, 5
	s_cbranch_scc1 .LBB231_909
; %bb.905:
	s_cmp_lt_i32 s12, 8
	s_cbranch_scc1 .LBB231_910
; %bb.906:
	;; [unrolled: 3-line block ×3, first 2 shown]
	s_cmp_gt_i32 s12, 9
	s_cbranch_scc0 .LBB231_912
; %bb.908:
	global_load_dwordx2 v[3:4], v[1:2], off
	s_mov_b64 s[12:13], 0
	s_waitcnt vmcnt(0)
	v_cvt_i32_f64_e32 v3, v[3:4]
	s_branch .LBB231_913
.LBB231_909:
                                        ; implicit-def: $vgpr3
	s_branch .LBB231_930
.LBB231_910:
                                        ; implicit-def: $vgpr3
	s_branch .LBB231_919
.LBB231_911:
	s_mov_b64 s[12:13], -1
                                        ; implicit-def: $vgpr3
	s_branch .LBB231_916
.LBB231_912:
	s_mov_b64 s[12:13], -1
                                        ; implicit-def: $vgpr3
.LBB231_913:
	s_andn2_b64 vcc, exec, s[12:13]
	s_cbranch_vccnz .LBB231_915
; %bb.914:
	global_load_dword v3, v[1:2], off
	s_waitcnt vmcnt(0)
	v_cvt_i32_f32_e32 v3, v3
.LBB231_915:
	s_mov_b64 s[12:13], 0
.LBB231_916:
	s_andn2_b64 vcc, exec, s[12:13]
	s_cbranch_vccnz .LBB231_918
; %bb.917:
	global_load_dword v3, v[1:2], off
	s_waitcnt vmcnt(0)
	v_cvt_i16_f16_e32 v3, v3
.LBB231_918:
	s_cbranch_execnz .LBB231_929
.LBB231_919:
	s_sext_i32_i16 s12, s77
	s_cmp_lt_i32 s12, 6
	s_cbranch_scc1 .LBB231_922
; %bb.920:
	s_cmp_gt_i32 s12, 6
	s_cbranch_scc0 .LBB231_923
; %bb.921:
	global_load_dwordx2 v[3:4], v[1:2], off
	s_mov_b64 s[12:13], 0
	s_waitcnt vmcnt(0)
	v_cvt_i32_f64_e32 v3, v[3:4]
	s_branch .LBB231_924
.LBB231_922:
	s_mov_b64 s[12:13], -1
                                        ; implicit-def: $vgpr3
	s_branch .LBB231_927
.LBB231_923:
	s_mov_b64 s[12:13], -1
                                        ; implicit-def: $vgpr3
.LBB231_924:
	s_andn2_b64 vcc, exec, s[12:13]
	s_cbranch_vccnz .LBB231_926
; %bb.925:
	global_load_dword v3, v[1:2], off
	s_waitcnt vmcnt(0)
	v_cvt_i32_f32_e32 v3, v3
.LBB231_926:
	s_mov_b64 s[12:13], 0
.LBB231_927:
	s_andn2_b64 vcc, exec, s[12:13]
	s_cbranch_vccnz .LBB231_929
; %bb.928:
	global_load_ushort v3, v[1:2], off
	s_waitcnt vmcnt(0)
	v_cvt_i16_f16_e32 v3, v3
.LBB231_929:
	s_cbranch_execnz .LBB231_948
.LBB231_930:
	s_sext_i32_i16 s12, s77
	s_cmp_lt_i32 s12, 2
	s_cbranch_scc1 .LBB231_934
; %bb.931:
	s_cmp_lt_i32 s12, 3
	s_cbranch_scc1 .LBB231_935
; %bb.932:
	s_cmp_gt_i32 s12, 3
	s_cbranch_scc0 .LBB231_936
; %bb.933:
	global_load_dwordx2 v[3:4], v[1:2], off
	s_mov_b64 s[12:13], 0
	s_branch .LBB231_937
.LBB231_934:
                                        ; implicit-def: $vgpr3
	s_branch .LBB231_943
.LBB231_935:
	s_mov_b64 s[12:13], -1
                                        ; implicit-def: $vgpr3
	s_branch .LBB231_940
.LBB231_936:
	s_mov_b64 s[12:13], -1
                                        ; implicit-def: $vgpr3
.LBB231_937:
	s_andn2_b64 vcc, exec, s[12:13]
	s_cbranch_vccnz .LBB231_939
; %bb.938:
	global_load_dword v3, v[1:2], off
.LBB231_939:
	s_mov_b64 s[12:13], 0
.LBB231_940:
	s_andn2_b64 vcc, exec, s[12:13]
	s_cbranch_vccnz .LBB231_942
; %bb.941:
	global_load_ushort v3, v[1:2], off
.LBB231_942:
	s_cbranch_execnz .LBB231_948
.LBB231_943:
	s_sext_i32_i16 s12, s77
	s_cmp_gt_i32 s12, 0
	s_cbranch_scc0 .LBB231_945
; %bb.944:
	global_load_sbyte v3, v[1:2], off
	s_mov_b64 s[12:13], 0
	s_branch .LBB231_946
.LBB231_945:
	s_mov_b64 s[12:13], -1
                                        ; implicit-def: $vgpr3
.LBB231_946:
	s_andn2_b64 vcc, exec, s[12:13]
	s_cbranch_vccnz .LBB231_948
; %bb.947:
	global_load_ubyte v3, v[1:2], off
.LBB231_948:
	s_or_b64 s[10:11], s[10:11], exec
.LBB231_949:
	s_or_b64 exec, exec, s[8:9]
	s_mov_b64 s[14:15], 0
	s_mov_b64 s[12:13], 0
                                        ; implicit-def: $sgpr18
                                        ; implicit-def: $vgpr1_vgpr2
                                        ; implicit-def: $vgpr4
	s_and_saveexec_b64 s[8:9], s[10:11]
	s_cbranch_execz .LBB231_957
; %bb.950:
	s_waitcnt vmcnt(0)
	v_ashrrev_i16_e32 v1, 15, v3
	v_ashrrev_i32_sdwa v2, s76, sext(v3) dst_sel:DWORD dst_unused:UNUSED_PAD src0_sel:DWORD src1_sel:WORD_0
	v_cndmask_b32_e64 v4, v2, v1, s[0:1]
	v_mov_b32_e32 v2, s25
	s_and_b32 s18, s75, 0xff
	v_add_co_u32_e32 v1, vcc, s24, v0
	s_cmp_lt_i32 s18, 11
	v_addc_co_u32_e32 v2, vcc, 0, v2, vcc
	s_cbranch_scc1 .LBB231_960
; %bb.951:
	s_and_b32 s19, 0xffff, s18
	s_mov_b64 s[12:13], -1
	s_cmp_gt_i32 s19, 25
	s_mov_b64 s[0:1], s[56:57]
	s_cbranch_scc0 .LBB231_988
; %bb.952:
	s_mov_b64 s[10:11], -1
	s_cmp_gt_i32 s19, 28
	s_mov_b64 s[0:1], s[56:57]
	s_cbranch_scc0 .LBB231_972
; %bb.953:
	s_cmp_gt_i32 s19, 43
	s_mov_b64 s[0:1], s[56:57]
	s_cbranch_scc0 .LBB231_968
; %bb.954:
	;; [unrolled: 4-line block ×3, first 2 shown]
	s_cmp_eq_u32 s19, 46
	s_mov_b64 s[0:1], -1
	s_cbranch_scc0 .LBB231_961
; %bb.956:
	v_cvt_f32_i32_sdwa v0, sext(v4) dst_sel:DWORD dst_unused:UNUSED_PAD src0_sel:WORD_0
	s_movk_i32 s0, 0x7fff
	s_mov_b64 s[10:11], 0
	v_bfe_u32 v3, v0, 16, 1
	v_add3_u32 v0, v0, v3, s0
	v_lshrrev_b32_e32 v0, 16, v0
	global_store_dword v[1:2], v0, off
	s_mov_b64 s[0:1], 0
	s_branch .LBB231_962
.LBB231_957:
	s_or_b64 exec, exec, s[8:9]
	s_and_saveexec_b64 s[0:1], s[56:57]
	s_cbranch_execnz .LBB231_1030
.LBB231_958:
	s_or_b64 exec, exec, s[0:1]
	s_and_saveexec_b64 s[0:1], s[14:15]
	s_xor_b64 s[0:1], exec, s[0:1]
	s_cbranch_execz .LBB231_1031
.LBB231_959:
	s_waitcnt vmcnt(0)
	v_cmp_ne_u16_e32 vcc, 0, v4
	v_cndmask_b32_e64 v0, 0, 1, vcc
	global_store_byte v[1:2], v0, off
	s_or_b64 exec, exec, s[0:1]
	s_and_saveexec_b64 s[0:1], s[12:13]
	s_xor_b64 s[0:1], exec, s[0:1]
	s_cbranch_execz .LBB231_1069
	s_branch .LBB231_1032
.LBB231_960:
	s_mov_b64 s[10:11], -1
	s_mov_b64 s[0:1], s[56:57]
	s_branch .LBB231_1029
.LBB231_961:
	s_mov_b64 s[10:11], 0
.LBB231_962:
	s_and_b64 vcc, exec, s[10:11]
	s_cbranch_vccz .LBB231_967
; %bb.963:
	s_cmp_eq_u32 s19, 44
	s_mov_b64 s[0:1], -1
	s_cbranch_scc0 .LBB231_967
; %bb.964:
	v_cvt_f32_i32_sdwa v0, sext(v4) dst_sel:DWORD dst_unused:UNUSED_PAD src0_sel:WORD_0
	s_movk_i32 s0, 0xff
	v_mov_b32_e32 v5, 0xff
	v_bfe_u32 v3, v0, 23, 8
	v_cmp_ne_u32_e32 vcc, s0, v3
	s_and_saveexec_b64 s[10:11], vcc
; %bb.965:
	s_mov_b32 s0, 0x3fffff
	v_lshrrev_b32_e32 v5, 23, v0
	v_and_b32_e32 v6, 0x400000, v0
	v_and_or_b32 v0, v0, s0, v3
	v_cmp_ne_u32_e32 vcc, 0, v6
	v_cmp_ne_u32_e64 s[0:1], 0, v0
	s_and_b64 s[0:1], vcc, s[0:1]
	v_cndmask_b32_e64 v0, 0, 1, s[0:1]
	v_add_u32_e32 v5, v5, v0
; %bb.966:
	s_or_b64 exec, exec, s[10:11]
	s_mov_b64 s[0:1], 0
	global_store_byte v[1:2], v5, off
.LBB231_967:
	s_mov_b64 s[10:11], 0
.LBB231_968:
	s_and_b64 vcc, exec, s[10:11]
	s_cbranch_vccz .LBB231_971
; %bb.969:
	s_cmp_eq_u32 s19, 29
	s_mov_b64 s[0:1], -1
	s_cbranch_scc0 .LBB231_971
; %bb.970:
	v_bfe_i32 v5, v4, 0, 16
	v_ashrrev_i32_e32 v6, 31, v5
	global_store_dwordx2 v[1:2], v[5:6], off
	s_mov_b64 s[0:1], 0
.LBB231_971:
	s_mov_b64 s[10:11], 0
.LBB231_972:
	s_and_b64 vcc, exec, s[10:11]
	s_cbranch_vccz .LBB231_987
; %bb.973:
	s_cmp_lt_i32 s19, 27
	s_mov_b64 s[10:11], -1
	s_cbranch_scc1 .LBB231_979
; %bb.974:
	s_cmp_gt_i32 s19, 27
	s_cbranch_scc0 .LBB231_976
; %bb.975:
	v_bfe_i32 v0, v4, 0, 16
	s_mov_b64 s[10:11], 0
	global_store_dword v[1:2], v0, off
.LBB231_976:
	s_andn2_b64 vcc, exec, s[10:11]
	s_cbranch_vccnz .LBB231_978
; %bb.977:
	global_store_short v[1:2], v4, off
.LBB231_978:
	s_mov_b64 s[10:11], 0
.LBB231_979:
	s_andn2_b64 vcc, exec, s[10:11]
	s_cbranch_vccnz .LBB231_987
; %bb.980:
	v_cvt_f32_i32_sdwa v0, sext(v4) dst_sel:DWORD dst_unused:UNUSED_PAD src0_sel:WORD_0
	s_mov_b32 s10, 0x43800000
	v_mov_b32_e32 v5, 0x80
	v_and_b32_e32 v3, 0x7fffffff, v0
	v_cmp_gt_u32_e32 vcc, s10, v3
	s_and_saveexec_b64 s[10:11], vcc
	s_cbranch_execz .LBB231_986
; %bb.981:
	s_mov_b32 s12, 0x3bffffff
	v_cmp_lt_u32_e32 vcc, s12, v3
	s_mov_b64 s[12:13], 0
                                        ; implicit-def: $vgpr3
	s_and_saveexec_b64 s[14:15], vcc
	s_xor_b64 s[14:15], exec, s[14:15]
	s_cbranch_execz .LBB231_1140
; %bb.982:
	v_bfe_u32 v3, v0, 20, 1
	s_mov_b32 s16, 0x487ffff
	v_add3_u32 v3, v0, v3, s16
	s_mov_b64 s[12:13], exec
	v_lshrrev_b32_e32 v3, 20, v3
	s_andn2_saveexec_b64 s[14:15], s[14:15]
	s_cbranch_execnz .LBB231_1141
.LBB231_983:
	s_or_b64 exec, exec, s[14:15]
	v_mov_b32_e32 v5, 0
	s_and_saveexec_b64 s[14:15], s[12:13]
.LBB231_984:
	v_lshrrev_b32_e32 v0, 24, v0
	s_movk_i32 s12, 0x80
	v_and_or_b32 v5, v0, s12, v3
.LBB231_985:
	s_or_b64 exec, exec, s[14:15]
.LBB231_986:
	s_or_b64 exec, exec, s[10:11]
	global_store_byte v[1:2], v5, off
.LBB231_987:
	s_mov_b64 s[12:13], 0
.LBB231_988:
	s_mov_b64 s[10:11], 0
	s_and_b64 vcc, exec, s[12:13]
	s_cbranch_vccz .LBB231_1028
; %bb.989:
	s_cmp_gt_i32 s19, 22
	s_mov_b64 s[12:13], -1
	s_cbranch_scc0 .LBB231_1021
; %bb.990:
	s_cmp_lt_i32 s19, 24
	s_cbranch_scc1 .LBB231_1010
; %bb.991:
	s_cmp_gt_i32 s19, 24
	s_cbranch_scc0 .LBB231_999
; %bb.992:
	v_cvt_f32_i32_sdwa v0, sext(v4) dst_sel:DWORD dst_unused:UNUSED_PAD src0_sel:WORD_0
	s_mov_b32 s12, 0x47800000
	v_mov_b32_e32 v5, 0x80
	v_and_b32_e32 v3, 0x7fffffff, v0
	v_cmp_gt_u32_e32 vcc, s12, v3
	s_and_saveexec_b64 s[12:13], vcc
	s_cbranch_execz .LBB231_998
; %bb.993:
	s_mov_b32 s14, 0x37ffffff
	v_cmp_lt_u32_e32 vcc, s14, v3
	s_mov_b64 s[14:15], 0
                                        ; implicit-def: $vgpr3
	s_and_saveexec_b64 s[16:17], vcc
	s_xor_b64 s[16:17], exec, s[16:17]
	s_cbranch_execz .LBB231_1260
; %bb.994:
	v_bfe_u32 v3, v0, 21, 1
	s_mov_b32 s20, 0x88fffff
	v_add3_u32 v3, v0, v3, s20
	s_mov_b64 s[14:15], exec
	v_lshrrev_b32_e32 v3, 21, v3
	s_andn2_saveexec_b64 s[16:17], s[16:17]
	s_cbranch_execnz .LBB231_1261
.LBB231_995:
	s_or_b64 exec, exec, s[16:17]
	v_mov_b32_e32 v5, 0
	s_and_saveexec_b64 s[16:17], s[14:15]
.LBB231_996:
	v_lshrrev_b32_e32 v0, 24, v0
	s_movk_i32 s14, 0x80
	v_and_or_b32 v5, v0, s14, v3
.LBB231_997:
	s_or_b64 exec, exec, s[16:17]
.LBB231_998:
	s_or_b64 exec, exec, s[12:13]
	s_mov_b64 s[12:13], 0
	global_store_byte v[1:2], v5, off
.LBB231_999:
	s_and_b64 vcc, exec, s[12:13]
	s_cbranch_vccz .LBB231_1009
; %bb.1000:
	v_cvt_f32_i32_sdwa v0, sext(v4) dst_sel:DWORD dst_unused:UNUSED_PAD src0_sel:WORD_0
	s_mov_b32 s12, 0x43f00000
                                        ; implicit-def: $vgpr3
	v_and_b32_e32 v5, 0x7fffffff, v0
	v_cmp_gt_u32_e32 vcc, s12, v5
	s_and_saveexec_b64 s[12:13], vcc
	s_xor_b64 s[12:13], exec, s[12:13]
	s_cbranch_execz .LBB231_1006
; %bb.1001:
	s_mov_b32 s14, 0x3c7fffff
	v_cmp_lt_u32_e32 vcc, s14, v5
                                        ; implicit-def: $vgpr3
	s_and_saveexec_b64 s[14:15], vcc
	s_xor_b64 s[14:15], exec, s[14:15]
; %bb.1002:
	v_bfe_u32 v3, v0, 20, 1
	s_mov_b32 s16, 0x407ffff
	v_add3_u32 v3, v0, v3, s16
	v_lshrrev_b32_e32 v5, 20, v3
	v_and_b32_e32 v3, 0xff00000, v3
	s_mov_b32 s16, 0x7f00000
	v_mov_b32_e32 v6, 0x7e
	v_cmp_ne_u32_e32 vcc, s16, v3
	v_cndmask_b32_e32 v3, v6, v5, vcc
; %bb.1003:
	s_andn2_saveexec_b64 s[14:15], s[14:15]
; %bb.1004:
	s_mov_b32 s16, 0x46800000
	v_add_f32_e64 v3, |v0|, s16
; %bb.1005:
	s_or_b64 exec, exec, s[14:15]
                                        ; implicit-def: $vgpr5
.LBB231_1006:
	s_andn2_saveexec_b64 s[12:13], s[12:13]
; %bb.1007:
	s_mov_b32 s14, 0x7f800000
	v_mov_b32_e32 v3, 0x7e
	v_mov_b32_e32 v6, 0x7f
	v_cmp_lt_u32_e32 vcc, s14, v5
	v_cndmask_b32_e32 v3, v3, v6, vcc
; %bb.1008:
	s_or_b64 exec, exec, s[12:13]
	v_lshrrev_b32_e32 v0, 24, v0
	s_movk_i32 s12, 0x80
	v_and_or_b32 v0, v0, s12, v3
	global_store_byte v[1:2], v0, off
.LBB231_1009:
	s_mov_b64 s[12:13], 0
.LBB231_1010:
	s_andn2_b64 vcc, exec, s[12:13]
	s_cbranch_vccnz .LBB231_1020
; %bb.1011:
	v_cvt_f32_i32_sdwa v0, sext(v4) dst_sel:DWORD dst_unused:UNUSED_PAD src0_sel:WORD_0
	s_mov_b32 s12, 0x47800000
                                        ; implicit-def: $vgpr3
	v_and_b32_e32 v5, 0x7fffffff, v0
	v_cmp_gt_u32_e32 vcc, s12, v5
	s_and_saveexec_b64 s[12:13], vcc
	s_xor_b64 s[12:13], exec, s[12:13]
	s_cbranch_execz .LBB231_1017
; %bb.1012:
	s_mov_b32 s14, 0x387fffff
	v_cmp_lt_u32_e32 vcc, s14, v5
                                        ; implicit-def: $vgpr3
	s_and_saveexec_b64 s[14:15], vcc
	s_xor_b64 s[14:15], exec, s[14:15]
; %bb.1013:
	v_bfe_u32 v3, v0, 21, 1
	s_mov_b32 s16, 0x80fffff
	v_add3_u32 v3, v0, v3, s16
	v_lshrrev_b32_e32 v3, 21, v3
; %bb.1014:
	s_andn2_saveexec_b64 s[14:15], s[14:15]
; %bb.1015:
	s_mov_b32 s16, 0x43000000
	v_add_f32_e64 v3, |v0|, s16
; %bb.1016:
	s_or_b64 exec, exec, s[14:15]
                                        ; implicit-def: $vgpr5
.LBB231_1017:
	s_andn2_saveexec_b64 s[12:13], s[12:13]
; %bb.1018:
	s_mov_b32 s14, 0x7f800000
	v_mov_b32_e32 v3, 0x7c
	v_mov_b32_e32 v6, 0x7f
	v_cmp_lt_u32_e32 vcc, s14, v5
	v_cndmask_b32_e32 v3, v3, v6, vcc
; %bb.1019:
	s_or_b64 exec, exec, s[12:13]
	v_lshrrev_b32_e32 v0, 24, v0
	s_movk_i32 s12, 0x80
	v_and_or_b32 v0, v0, s12, v3
	global_store_byte v[1:2], v0, off
.LBB231_1020:
	s_mov_b64 s[12:13], 0
.LBB231_1021:
	s_andn2_b64 vcc, exec, s[12:13]
	s_mov_b64 s[14:15], 0
	s_cbranch_vccnz .LBB231_1029
; %bb.1022:
	s_cmp_gt_i32 s19, 14
	s_mov_b64 s[12:13], -1
	s_cbranch_scc0 .LBB231_1026
; %bb.1023:
	s_cmp_eq_u32 s19, 15
	s_mov_b64 s[0:1], -1
	s_cbranch_scc0 .LBB231_1025
; %bb.1024:
	v_cvt_f32_i32_sdwa v0, sext(v4) dst_sel:DWORD dst_unused:UNUSED_PAD src0_sel:WORD_0
	s_movk_i32 s0, 0x7fff
	v_bfe_u32 v3, v0, 16, 1
	v_add3_u32 v0, v0, v3, s0
	global_store_short_d16_hi v[1:2], v0, off
	s_mov_b64 s[0:1], 0
.LBB231_1025:
	s_mov_b64 s[12:13], 0
.LBB231_1026:
	s_and_b64 vcc, exec, s[12:13]
	s_cbranch_vccz .LBB231_1029
; %bb.1027:
	s_cmp_lg_u32 s19, 11
	s_cselect_b64 s[12:13], -1, 0
	s_andn2_b64 s[0:1], s[0:1], exec
	s_and_b64 s[12:13], s[12:13], exec
	s_mov_b64 s[14:15], -1
	s_or_b64 s[0:1], s[0:1], s[12:13]
	s_branch .LBB231_1029
.LBB231_1028:
	s_mov_b64 s[14:15], 0
.LBB231_1029:
	s_and_b64 s[12:13], s[10:11], exec
	s_andn2_b64 s[10:11], s[56:57], exec
	s_and_b64 s[0:1], s[0:1], exec
	s_and_b64 s[14:15], s[14:15], exec
	s_or_b64 s[56:57], s[10:11], s[0:1]
	s_or_b64 exec, exec, s[8:9]
	s_and_saveexec_b64 s[0:1], s[56:57]
	s_cbranch_execz .LBB231_958
.LBB231_1030:
	s_or_b64 s[2:3], s[2:3], exec
	s_andn2_b64 s[14:15], s[14:15], exec
	s_trap 2
	s_or_b64 exec, exec, s[0:1]
	s_and_saveexec_b64 s[0:1], s[14:15]
	s_xor_b64 s[0:1], exec, s[0:1]
	s_cbranch_execnz .LBB231_959
.LBB231_1031:
	s_or_b64 exec, exec, s[0:1]
	s_and_saveexec_b64 s[0:1], s[12:13]
	s_xor_b64 s[0:1], exec, s[0:1]
	s_cbranch_execz .LBB231_1069
.LBB231_1032:
	s_sext_i32_i16 s10, s18
	s_cmp_lt_i32 s10, 5
	s_mov_b64 s[8:9], -1
	s_cbranch_scc1 .LBB231_1053
; %bb.1033:
	s_cmp_lt_i32 s10, 8
	s_cbranch_scc1 .LBB231_1043
; %bb.1034:
	s_cmp_lt_i32 s10, 9
	s_cbranch_scc1 .LBB231_1040
; %bb.1035:
	s_cmp_gt_i32 s10, 9
	s_cbranch_scc0 .LBB231_1037
; %bb.1036:
	s_waitcnt vmcnt(0)
	v_bfe_i32 v0, v4, 0, 16
	v_cvt_f64_i32_e32 v[5:6], v0
	v_mov_b32_e32 v7, 0
	v_mov_b32_e32 v8, v7
	s_mov_b64 s[8:9], 0
	global_store_dwordx4 v[1:2], v[5:8], off
.LBB231_1037:
	s_andn2_b64 vcc, exec, s[8:9]
	s_cbranch_vccnz .LBB231_1039
; %bb.1038:
	s_waitcnt vmcnt(0)
	v_cvt_f32_i32_sdwa v5, sext(v4) dst_sel:DWORD dst_unused:UNUSED_PAD src0_sel:WORD_0
	v_mov_b32_e32 v6, 0
	global_store_dwordx2 v[1:2], v[5:6], off
.LBB231_1039:
	s_mov_b64 s[8:9], 0
.LBB231_1040:
	s_andn2_b64 vcc, exec, s[8:9]
	s_cbranch_vccnz .LBB231_1042
; %bb.1041:
	s_waitcnt vmcnt(0)
	v_cvt_f16_i16_e32 v0, v4
	global_store_dword v[1:2], v0, off
.LBB231_1042:
	s_mov_b64 s[8:9], 0
.LBB231_1043:
	s_andn2_b64 vcc, exec, s[8:9]
	s_cbranch_vccnz .LBB231_1052
; %bb.1044:
	s_sext_i32_i16 s10, s18
	s_cmp_lt_i32 s10, 6
	s_mov_b64 s[8:9], -1
	s_cbranch_scc1 .LBB231_1050
; %bb.1045:
	s_cmp_gt_i32 s10, 6
	s_cbranch_scc0 .LBB231_1047
; %bb.1046:
	s_waitcnt vmcnt(0)
	v_bfe_i32 v0, v4, 0, 16
	v_cvt_f64_i32_e32 v[5:6], v0
	s_mov_b64 s[8:9], 0
	global_store_dwordx2 v[1:2], v[5:6], off
.LBB231_1047:
	s_andn2_b64 vcc, exec, s[8:9]
	s_cbranch_vccnz .LBB231_1049
; %bb.1048:
	s_waitcnt vmcnt(0)
	v_cvt_f32_i32_sdwa v0, sext(v4) dst_sel:DWORD dst_unused:UNUSED_PAD src0_sel:WORD_0
	global_store_dword v[1:2], v0, off
.LBB231_1049:
	s_mov_b64 s[8:9], 0
.LBB231_1050:
	s_andn2_b64 vcc, exec, s[8:9]
	s_cbranch_vccnz .LBB231_1052
; %bb.1051:
	s_waitcnt vmcnt(0)
	v_cvt_f16_i16_e32 v0, v4
	global_store_short v[1:2], v0, off
.LBB231_1052:
	s_mov_b64 s[8:9], 0
.LBB231_1053:
	s_andn2_b64 vcc, exec, s[8:9]
	s_cbranch_vccnz .LBB231_1069
; %bb.1054:
	s_sext_i32_i16 s10, s18
	s_cmp_lt_i32 s10, 2
	s_mov_b64 s[8:9], -1
	s_cbranch_scc1 .LBB231_1064
; %bb.1055:
	s_cmp_lt_i32 s10, 3
	s_cbranch_scc1 .LBB231_1061
; %bb.1056:
	s_cmp_gt_i32 s10, 3
	s_cbranch_scc0 .LBB231_1058
; %bb.1057:
	s_waitcnt vmcnt(0)
	v_bfe_i32 v5, v4, 0, 16
	v_ashrrev_i32_e32 v6, 31, v5
	s_mov_b64 s[8:9], 0
	global_store_dwordx2 v[1:2], v[5:6], off
.LBB231_1058:
	s_andn2_b64 vcc, exec, s[8:9]
	s_cbranch_vccnz .LBB231_1060
; %bb.1059:
	s_waitcnt vmcnt(0)
	v_bfe_i32 v0, v4, 0, 16
	global_store_dword v[1:2], v0, off
.LBB231_1060:
	s_mov_b64 s[8:9], 0
.LBB231_1061:
	s_andn2_b64 vcc, exec, s[8:9]
	s_cbranch_vccnz .LBB231_1063
; %bb.1062:
	s_waitcnt vmcnt(0)
	global_store_short v[1:2], v4, off
.LBB231_1063:
	s_mov_b64 s[8:9], 0
.LBB231_1064:
	s_andn2_b64 vcc, exec, s[8:9]
	s_cbranch_vccnz .LBB231_1069
; %bb.1065:
	s_sext_i32_i16 s8, s18
	s_cmp_gt_i32 s8, 0
	s_mov_b64 s[8:9], -1
	s_cbranch_scc0 .LBB231_1067
; %bb.1066:
	s_mov_b64 s[8:9], 0
	s_waitcnt vmcnt(0)
	global_store_byte v[1:2], v4, off
.LBB231_1067:
	s_andn2_b64 vcc, exec, s[8:9]
	s_cbranch_vccnz .LBB231_1069
; %bb.1068:
	s_waitcnt vmcnt(0)
	global_store_byte v[1:2], v4, off
.LBB231_1069:
	s_or_b64 exec, exec, s[0:1]
	s_and_b64 s[28:29], s[2:3], exec
                                        ; implicit-def: $vgpr15
                                        ; implicit-def: $vgpr8
.LBB231_1070:
	s_or_saveexec_b64 s[30:31], s[46:47]
	s_mov_b64 s[0:1], 0
                                        ; implicit-def: $vgpr0_vgpr1
                                        ; implicit-def: $sgpr16
                                        ; implicit-def: $vgpr2
	s_xor_b64 exec, exec, s[30:31]
	s_cbranch_execz .LBB231_2057
; %bb.1071:
	v_cndmask_b32_e64 v0, 0, 1, s[44:45]
	v_cmp_ne_u32_e64 s[0:1], 1, v0
	s_andn2_b64 vcc, exec, s[44:45]
	s_cbranch_vccnz .LBB231_1077
; %bb.1072:
	s_cmp_lg_u32 s33, 0
	s_mov_b32 s36, 0
	s_cbranch_scc0 .LBB231_1078
; %bb.1073:
	s_min_u32 s37, s74, 15
	s_add_i32 s37, s37, 1
	s_cmp_eq_u32 s74, 2
	s_cbranch_scc1 .LBB231_1079
; %bb.1074:
	s_and_b32 s36, s37, 28
	s_add_u32 s2, s34, 0xc4
	s_addc_u32 s3, s35, 0
	v_mov_b32_e32 v13, 0
	s_mov_b32 s38, 0
	s_mov_b64 s[6:7], s[34:35]
	v_mov_b32_e32 v6, 0
	v_mov_b32_e32 v0, v8
.LBB231_1075:                           ; =>This Inner Loop Header: Depth=1
	s_load_dwordx8 s[16:23], s[6:7], 0x4
	s_load_dwordx4 s[24:27], s[6:7], 0x24
	s_load_dwordx8 s[8:15], s[2:3], 0x0
	s_add_u32 s6, s6, 48
	s_addc_u32 s7, s7, 0
	s_waitcnt lgkmcnt(0)
	v_mul_hi_u32 v1, s17, v0
	s_add_i32 s38, s38, 4
	s_add_u32 s2, s2, 32
	s_addc_u32 s3, s3, 0
	v_add_u32_e32 v1, v0, v1
	v_lshrrev_b32_e32 v1, s18, v1
	v_mul_lo_u32 v2, v1, s16
	s_waitcnt vmcnt(0)
	v_mul_hi_u32 v3, s20, v1
	s_cmp_lg_u32 s36, s38
	v_sub_u32_e32 v0, v0, v2
	v_add_u32_e32 v2, v1, v3
	v_mul_lo_u32 v3, v0, s8
	v_mul_lo_u32 v4, v0, s9
	v_lshrrev_b32_e32 v0, s21, v2
	v_mul_lo_u32 v2, v0, s19
	v_mul_hi_u32 v5, s23, v0
	v_sub_u32_e32 v1, v1, v2
	v_add_u32_e32 v2, v0, v5
	v_lshrrev_b32_e32 v2, s24, v2
	v_mul_hi_u32 v7, s26, v2
	v_mul_lo_u32 v9, v2, s22
	v_mul_lo_u32 v5, v1, s10
	;; [unrolled: 1-line block ×3, first 2 shown]
	v_sub_u32_e32 v9, v0, v9
	v_add_u32_e32 v0, v2, v7
	v_lshrrev_b32_e32 v0, s27, v0
	v_mul_lo_u32 v7, v0, s25
	v_mul_lo_u32 v10, v9, s12
	;; [unrolled: 1-line block ×3, first 2 shown]
	v_add3_u32 v3, v3, v6, v5
	v_sub_u32_e32 v2, v2, v7
	v_mul_lo_u32 v7, v2, s14
	v_mul_lo_u32 v2, v2, s15
	v_add3_u32 v1, v4, v13, v1
	v_add3_u32 v6, v10, v3, v7
	;; [unrolled: 1-line block ×3, first 2 shown]
	s_cbranch_scc1 .LBB231_1075
; %bb.1076:
	s_and_b32 s8, s37, 3
	s_cmp_eq_u32 s8, 0
	s_cbranch_scc0 .LBB231_1080
	s_branch .LBB231_1082
.LBB231_1077:
                                        ; implicit-def: $vgpr6
                                        ; implicit-def: $vgpr13
	s_branch .LBB231_1083
.LBB231_1078:
	v_mov_b32_e32 v6, 0
	v_mov_b32_e32 v13, 0
	s_branch .LBB231_1082
.LBB231_1079:
	v_mov_b32_e32 v6, 0
	v_mov_b32_e32 v13, 0
	;; [unrolled: 1-line block ×3, first 2 shown]
	s_and_b32 s8, s37, 3
	s_cmp_eq_u32 s8, 0
	s_cbranch_scc1 .LBB231_1082
.LBB231_1080:
	s_lshl_b32 s2, s36, 3
	s_add_u32 s2, s34, s2
	s_addc_u32 s3, s35, 0
	s_add_u32 s2, s2, 0xc4
	s_addc_u32 s3, s3, 0
	s_mul_i32 s6, s36, 12
	s_add_u32 s6, s34, s6
	s_addc_u32 s7, s35, 0
.LBB231_1081:                           ; =>This Inner Loop Header: Depth=1
	s_load_dwordx2 s[10:11], s[6:7], 0x4
	s_load_dword s9, s[6:7], 0xc
	s_load_dwordx2 s[12:13], s[2:3], 0x0
	s_add_u32 s6, s6, 12
	s_addc_u32 s7, s7, 0
	s_waitcnt lgkmcnt(0)
	v_mul_hi_u32 v1, s11, v0
	s_add_u32 s2, s2, 8
	s_addc_u32 s3, s3, 0
	s_add_i32 s8, s8, -1
	v_add_u32_e32 v1, v0, v1
	v_lshrrev_b32_e32 v1, s9, v1
	v_mul_lo_u32 v2, v1, s10
	s_cmp_lg_u32 s8, 0
	v_sub_u32_e32 v0, v0, v2
	v_mad_u64_u32 v[6:7], s[10:11], v0, s12, v[6:7]
	v_mad_u64_u32 v[13:14], s[10:11], v0, s13, v[13:14]
	v_mov_b32_e32 v0, v1
	s_cbranch_scc1 .LBB231_1081
.LBB231_1082:
	s_cbranch_execnz .LBB231_1085
.LBB231_1083:
	s_load_dwordx4 s[8:11], s[34:35], 0x4
	s_load_dwordx2 s[2:3], s[34:35], 0xc4
	s_cmp_lt_u32 s33, 2
	s_waitcnt lgkmcnt(0)
	v_mul_hi_u32 v0, s9, v8
	v_add_u32_e32 v0, v8, v0
	v_lshrrev_b32_e32 v0, s10, v0
	v_mul_lo_u32 v1, v0, s8
	v_sub_u32_e32 v1, v8, v1
	v_mul_lo_u32 v6, v1, s2
	v_mul_lo_u32 v13, v1, s3
	s_cbranch_scc1 .LBB231_1085
; %bb.1084:
	s_load_dwordx4 s[8:11], s[34:35], 0x10
	s_load_dwordx2 s[2:3], s[34:35], 0xcc
	s_waitcnt lgkmcnt(0)
	v_mul_hi_u32 v1, s9, v0
	v_add_u32_e32 v1, v0, v1
	v_lshrrev_b32_e32 v1, s10, v1
	v_mul_lo_u32 v1, v1, s8
	v_sub_u32_e32 v0, v0, v1
	v_mad_u64_u32 v[6:7], s[6:7], v0, s2, v[6:7]
	v_mad_u64_u32 v[13:14], s[2:3], v0, s3, v[13:14]
.LBB231_1085:
	s_and_b64 vcc, exec, s[0:1]
	v_add_u32_e32 v0, 0x80, v8
	s_cbranch_vccnz .LBB231_1091
; %bb.1086:
	s_cmp_lg_u32 s33, 0
	s_mov_b32 s36, 0
	s_cbranch_scc0 .LBB231_1092
; %bb.1087:
	s_min_u32 s37, s74, 15
	s_add_i32 s37, s37, 1
	s_cmp_eq_u32 s74, 2
	s_cbranch_scc1 .LBB231_1093
; %bb.1088:
	s_and_b32 s36, s37, 28
	s_add_u32 s2, s34, 0xc4
	s_addc_u32 s3, s35, 0
	v_mov_b32_e32 v11, 0
	s_mov_b32 s38, 0
	s_mov_b64 s[6:7], s[34:35]
	s_waitcnt vmcnt(0)
	v_mov_b32_e32 v4, 0
	v_mov_b32_e32 v1, v0
.LBB231_1089:                           ; =>This Inner Loop Header: Depth=1
	s_load_dwordx8 s[16:23], s[6:7], 0x4
	s_load_dwordx4 s[24:27], s[6:7], 0x24
	s_load_dwordx8 s[8:15], s[2:3], 0x0
	s_add_u32 s6, s6, 48
	s_addc_u32 s7, s7, 0
	s_waitcnt lgkmcnt(0)
	v_mul_hi_u32 v2, s17, v1
	s_add_i32 s38, s38, 4
	s_add_u32 s2, s2, 32
	s_addc_u32 s3, s3, 0
	v_add_u32_e32 v2, v1, v2
	v_lshrrev_b32_e32 v2, s18, v2
	v_mul_lo_u32 v3, v2, s16
	v_mul_hi_u32 v5, s20, v2
	s_cmp_lg_u32 s36, s38
	v_sub_u32_e32 v1, v1, v3
	v_add_u32_e32 v3, v2, v5
	v_mul_lo_u32 v5, v1, s8
	v_mul_lo_u32 v7, v1, s9
	v_lshrrev_b32_e32 v1, s21, v3
	v_mul_lo_u32 v3, v1, s19
	v_mul_hi_u32 v9, s23, v1
	v_sub_u32_e32 v2, v2, v3
	v_add_u32_e32 v3, v1, v9
	v_lshrrev_b32_e32 v3, s24, v3
	v_mul_hi_u32 v10, s26, v3
	v_mul_lo_u32 v12, v3, s22
	v_mul_lo_u32 v9, v2, s10
	;; [unrolled: 1-line block ×3, first 2 shown]
	v_sub_u32_e32 v12, v1, v12
	v_add_u32_e32 v1, v3, v10
	v_lshrrev_b32_e32 v1, s27, v1
	v_mul_lo_u32 v10, v1, s25
	v_mul_lo_u32 v14, v12, s12
	;; [unrolled: 1-line block ×3, first 2 shown]
	v_add3_u32 v4, v5, v4, v9
	v_sub_u32_e32 v3, v3, v10
	v_mul_lo_u32 v10, v3, s14
	v_mul_lo_u32 v3, v3, s15
	v_add3_u32 v2, v7, v11, v2
	v_add3_u32 v4, v14, v4, v10
	;; [unrolled: 1-line block ×3, first 2 shown]
	s_cbranch_scc1 .LBB231_1089
; %bb.1090:
	s_and_b32 s8, s37, 3
	s_cmp_eq_u32 s8, 0
	s_cbranch_scc0 .LBB231_1094
	s_branch .LBB231_1096
.LBB231_1091:
                                        ; implicit-def: $vgpr4
                                        ; implicit-def: $vgpr11
	s_branch .LBB231_1097
.LBB231_1092:
	s_waitcnt vmcnt(0)
	v_mov_b32_e32 v4, 0
	v_mov_b32_e32 v11, 0
	s_branch .LBB231_1096
.LBB231_1093:
	s_waitcnt vmcnt(0)
	v_mov_b32_e32 v4, 0
	v_mov_b32_e32 v11, 0
	;; [unrolled: 1-line block ×3, first 2 shown]
	s_and_b32 s8, s37, 3
	s_cmp_eq_u32 s8, 0
	s_cbranch_scc1 .LBB231_1096
.LBB231_1094:
	s_lshl_b32 s2, s36, 3
	s_add_u32 s2, s34, s2
	s_addc_u32 s3, s35, 0
	s_add_u32 s2, s2, 0xc4
	s_addc_u32 s3, s3, 0
	s_mul_i32 s6, s36, 12
	s_add_u32 s6, s34, s6
	s_addc_u32 s7, s35, 0
.LBB231_1095:                           ; =>This Inner Loop Header: Depth=1
	s_load_dwordx2 s[10:11], s[6:7], 0x4
	s_load_dword s9, s[6:7], 0xc
	s_load_dwordx2 s[12:13], s[2:3], 0x0
	s_add_u32 s6, s6, 12
	s_addc_u32 s7, s7, 0
	s_waitcnt lgkmcnt(0)
	v_mul_hi_u32 v2, s11, v1
	s_add_u32 s2, s2, 8
	s_addc_u32 s3, s3, 0
	s_add_i32 s8, s8, -1
	v_add_u32_e32 v2, v1, v2
	v_lshrrev_b32_e32 v2, s9, v2
	v_mul_lo_u32 v3, v2, s10
	s_cmp_lg_u32 s8, 0
	v_sub_u32_e32 v1, v1, v3
	v_mad_u64_u32 v[4:5], s[10:11], v1, s12, v[4:5]
	v_mad_u64_u32 v[11:12], s[10:11], v1, s13, v[11:12]
	v_mov_b32_e32 v1, v2
	s_cbranch_scc1 .LBB231_1095
.LBB231_1096:
	s_cbranch_execnz .LBB231_1099
.LBB231_1097:
	s_load_dwordx4 s[8:11], s[34:35], 0x4
	s_load_dwordx2 s[2:3], s[34:35], 0xc4
	s_cmp_lt_u32 s33, 2
	s_waitcnt lgkmcnt(0)
	v_mul_hi_u32 v1, s9, v0
	v_add_u32_e32 v1, v0, v1
	v_lshrrev_b32_e32 v1, s10, v1
	v_mul_lo_u32 v2, v1, s8
	v_sub_u32_e32 v0, v0, v2
	s_waitcnt vmcnt(0)
	v_mul_lo_u32 v4, v0, s2
	v_mul_lo_u32 v11, v0, s3
	s_cbranch_scc1 .LBB231_1099
; %bb.1098:
	s_load_dwordx4 s[8:11], s[34:35], 0x10
	s_load_dwordx2 s[2:3], s[34:35], 0xcc
	s_waitcnt lgkmcnt(0)
	v_mul_hi_u32 v0, s9, v1
	v_add_u32_e32 v0, v1, v0
	v_lshrrev_b32_e32 v0, s10, v0
	v_mul_lo_u32 v0, v0, s8
	v_sub_u32_e32 v0, v1, v0
	v_mad_u64_u32 v[4:5], s[6:7], v0, s2, v[4:5]
	v_mad_u64_u32 v[11:12], s[2:3], v0, s3, v[11:12]
.LBB231_1099:
	s_and_b64 vcc, exec, s[0:1]
	v_add_u32_e32 v0, 0x100, v8
	s_cbranch_vccnz .LBB231_1105
; %bb.1100:
	s_cmp_lg_u32 s33, 0
	s_mov_b32 s36, 0
	s_cbranch_scc0 .LBB231_1106
; %bb.1101:
	s_min_u32 s37, s74, 15
	s_add_i32 s37, s37, 1
	s_cmp_eq_u32 s74, 2
	s_cbranch_scc1 .LBB231_1107
; %bb.1102:
	s_and_b32 s36, s37, 28
	s_add_u32 s2, s34, 0xc4
	s_addc_u32 s3, s35, 0
	v_mov_b32_e32 v9, 0
	s_mov_b32 s38, 0
	s_mov_b64 s[6:7], s[34:35]
	v_mov_b32_e32 v2, 0
	v_mov_b32_e32 v1, v0
.LBB231_1103:                           ; =>This Inner Loop Header: Depth=1
	s_load_dwordx8 s[16:23], s[6:7], 0x4
	s_load_dwordx4 s[24:27], s[6:7], 0x24
	s_load_dwordx8 s[8:15], s[2:3], 0x0
	s_add_u32 s6, s6, 48
	s_addc_u32 s7, s7, 0
	s_waitcnt vmcnt(0) lgkmcnt(0)
	v_mul_hi_u32 v3, s17, v1
	s_add_i32 s38, s38, 4
	s_add_u32 s2, s2, 32
	s_addc_u32 s3, s3, 0
	v_add_u32_e32 v3, v1, v3
	v_lshrrev_b32_e32 v3, s18, v3
	v_mul_lo_u32 v5, v3, s16
	v_mul_hi_u32 v7, s20, v3
	s_cmp_lg_u32 s36, s38
	v_sub_u32_e32 v1, v1, v5
	v_add_u32_e32 v5, v3, v7
	v_mul_lo_u32 v7, v1, s8
	v_mul_lo_u32 v8, v1, s9
	v_lshrrev_b32_e32 v1, s21, v5
	v_mul_lo_u32 v5, v1, s19
	v_mul_hi_u32 v10, s23, v1
	v_sub_u32_e32 v3, v3, v5
	v_add_u32_e32 v5, v1, v10
	v_lshrrev_b32_e32 v5, s24, v5
	v_mul_hi_u32 v12, s26, v5
	v_mul_lo_u32 v14, v5, s22
	v_mul_lo_u32 v10, v3, s10
	;; [unrolled: 1-line block ×3, first 2 shown]
	v_sub_u32_e32 v14, v1, v14
	v_add_u32_e32 v1, v5, v12
	v_lshrrev_b32_e32 v1, s27, v1
	v_mul_lo_u32 v12, v1, s25
	v_mul_lo_u32 v16, v14, s12
	;; [unrolled: 1-line block ×3, first 2 shown]
	v_add3_u32 v2, v7, v2, v10
	v_sub_u32_e32 v5, v5, v12
	v_mul_lo_u32 v12, v5, s14
	v_mul_lo_u32 v5, v5, s15
	v_add3_u32 v3, v8, v9, v3
	v_add3_u32 v2, v16, v2, v12
	;; [unrolled: 1-line block ×3, first 2 shown]
	s_cbranch_scc1 .LBB231_1103
; %bb.1104:
	s_and_b32 s8, s37, 3
	s_cmp_eq_u32 s8, 0
	s_cbranch_scc0 .LBB231_1108
	s_branch .LBB231_1110
.LBB231_1105:
                                        ; implicit-def: $vgpr2
                                        ; implicit-def: $vgpr9
	s_branch .LBB231_1111
.LBB231_1106:
	v_mov_b32_e32 v2, 0
	v_mov_b32_e32 v9, 0
	s_branch .LBB231_1110
.LBB231_1107:
	v_mov_b32_e32 v2, 0
	v_mov_b32_e32 v9, 0
	;; [unrolled: 1-line block ×3, first 2 shown]
	s_and_b32 s8, s37, 3
	s_cmp_eq_u32 s8, 0
	s_cbranch_scc1 .LBB231_1110
.LBB231_1108:
	s_lshl_b32 s2, s36, 3
	s_add_u32 s2, s34, s2
	s_addc_u32 s3, s35, 0
	s_add_u32 s2, s2, 0xc4
	s_addc_u32 s3, s3, 0
	s_mul_i32 s6, s36, 12
	s_add_u32 s6, s34, s6
	s_addc_u32 s7, s35, 0
.LBB231_1109:                           ; =>This Inner Loop Header: Depth=1
	s_load_dwordx2 s[10:11], s[6:7], 0x4
	s_load_dword s9, s[6:7], 0xc
	s_load_dwordx2 s[12:13], s[2:3], 0x0
	s_add_u32 s6, s6, 12
	s_addc_u32 s7, s7, 0
	s_waitcnt vmcnt(0) lgkmcnt(0)
	v_mul_hi_u32 v3, s11, v1
	s_add_u32 s2, s2, 8
	s_addc_u32 s3, s3, 0
	s_add_i32 s8, s8, -1
	v_add_u32_e32 v3, v1, v3
	v_lshrrev_b32_e32 v5, s9, v3
	v_mul_lo_u32 v3, v5, s10
	s_cmp_lg_u32 s8, 0
	v_sub_u32_e32 v1, v1, v3
	v_mad_u64_u32 v[2:3], s[10:11], v1, s12, v[2:3]
	v_mad_u64_u32 v[9:10], s[10:11], v1, s13, v[9:10]
	v_mov_b32_e32 v1, v5
	s_cbranch_scc1 .LBB231_1109
.LBB231_1110:
	s_cbranch_execnz .LBB231_1113
.LBB231_1111:
	s_load_dwordx4 s[8:11], s[34:35], 0x4
	s_load_dwordx2 s[2:3], s[34:35], 0xc4
	s_cmp_lt_u32 s33, 2
	s_waitcnt lgkmcnt(0)
	v_mul_hi_u32 v1, s9, v0
	v_add_u32_e32 v1, v0, v1
	v_lshrrev_b32_e32 v1, s10, v1
	v_mul_lo_u32 v2, v1, s8
	v_sub_u32_e32 v0, v0, v2
	v_mul_lo_u32 v2, v0, s2
	v_mul_lo_u32 v9, v0, s3
	s_cbranch_scc1 .LBB231_1113
; %bb.1112:
	s_load_dwordx4 s[8:11], s[34:35], 0x10
	s_load_dwordx2 s[2:3], s[34:35], 0xcc
	s_waitcnt lgkmcnt(0)
	v_mul_hi_u32 v0, s9, v1
	v_add_u32_e32 v0, v1, v0
	v_lshrrev_b32_e32 v0, s10, v0
	v_mul_lo_u32 v0, v0, s8
	v_sub_u32_e32 v0, v1, v0
	s_waitcnt vmcnt(0)
	v_mad_u64_u32 v[2:3], s[6:7], v0, s2, v[2:3]
	v_mad_u64_u32 v[9:10], s[2:3], v0, s3, v[9:10]
.LBB231_1113:
	s_and_b64 vcc, exec, s[0:1]
	s_cbranch_vccnz .LBB231_1119
; %bb.1114:
	s_cmp_lg_u32 s33, 0
	s_mov_b32 s26, 0
	s_cbranch_scc0 .LBB231_1120
; %bb.1115:
	s_min_u32 s27, s74, 15
	s_add_i32 s27, s27, 1
	s_cmp_eq_u32 s74, 2
	s_cbranch_scc1 .LBB231_1121
; %bb.1116:
	s_and_b32 s26, s27, 28
	s_add_u32 s6, s34, 0xc4
	s_addc_u32 s7, s35, 0
	v_mov_b32_e32 v7, 0
	s_mov_b32 s36, 0
	s_mov_b64 s[24:25], s[34:35]
	v_mov_b32_e32 v0, 0
	v_mov_b32_e32 v1, v15
.LBB231_1117:                           ; =>This Inner Loop Header: Depth=1
	s_load_dwordx8 s[16:23], s[24:25], 0x4
	s_load_dwordx4 s[0:3], s[24:25], 0x24
	s_load_dwordx8 s[8:15], s[6:7], 0x0
	s_add_u32 s24, s24, 48
	s_addc_u32 s25, s25, 0
	s_waitcnt vmcnt(0) lgkmcnt(0)
	v_mul_hi_u32 v3, s17, v1
	s_add_i32 s36, s36, 4
	s_add_u32 s6, s6, 32
	s_addc_u32 s7, s7, 0
	v_add_u32_e32 v3, v1, v3
	v_lshrrev_b32_e32 v3, s18, v3
	v_mul_lo_u32 v5, v3, s16
	v_mul_hi_u32 v8, s20, v3
	s_cmp_lg_u32 s26, s36
	v_sub_u32_e32 v1, v1, v5
	v_add_u32_e32 v5, v3, v8
	v_mul_lo_u32 v8, v1, s8
	v_mul_lo_u32 v10, v1, s9
	v_lshrrev_b32_e32 v1, s21, v5
	v_mul_lo_u32 v5, v1, s19
	v_mul_hi_u32 v12, s23, v1
	v_sub_u32_e32 v3, v3, v5
	v_add_u32_e32 v5, v1, v12
	v_lshrrev_b32_e32 v5, s0, v5
	v_mul_hi_u32 v14, s2, v5
	v_mul_lo_u32 v16, v5, s22
	v_mul_lo_u32 v12, v3, s10
	;; [unrolled: 1-line block ×3, first 2 shown]
	v_sub_u32_e32 v16, v1, v16
	v_add_u32_e32 v1, v5, v14
	v_lshrrev_b32_e32 v1, s3, v1
	v_mul_lo_u32 v14, v1, s1
	v_mul_lo_u32 v17, v16, s12
	;; [unrolled: 1-line block ×3, first 2 shown]
	v_add3_u32 v0, v8, v0, v12
	v_sub_u32_e32 v5, v5, v14
	v_mul_lo_u32 v14, v5, s14
	v_mul_lo_u32 v5, v5, s15
	v_add3_u32 v3, v10, v7, v3
	v_add3_u32 v0, v17, v0, v14
	;; [unrolled: 1-line block ×3, first 2 shown]
	s_cbranch_scc1 .LBB231_1117
; %bb.1118:
	s_and_b32 s6, s27, 3
	s_cmp_eq_u32 s6, 0
	s_cbranch_scc0 .LBB231_1122
	s_branch .LBB231_1124
.LBB231_1119:
                                        ; implicit-def: $vgpr0
                                        ; implicit-def: $vgpr7
	s_branch .LBB231_1125
.LBB231_1120:
	v_mov_b32_e32 v0, 0
	v_mov_b32_e32 v7, 0
	s_branch .LBB231_1124
.LBB231_1121:
	v_mov_b32_e32 v0, 0
	v_mov_b32_e32 v7, 0
	;; [unrolled: 1-line block ×3, first 2 shown]
	s_and_b32 s6, s27, 3
	s_cmp_eq_u32 s6, 0
	s_cbranch_scc1 .LBB231_1124
.LBB231_1122:
	s_lshl_b32 s0, s26, 3
	s_add_u32 s0, s34, s0
	s_addc_u32 s1, s35, 0
	s_add_u32 s0, s0, 0xc4
	s_addc_u32 s1, s1, 0
	s_mul_i32 s2, s26, 12
	s_add_u32 s2, s34, s2
	s_addc_u32 s3, s35, 0
.LBB231_1123:                           ; =>This Inner Loop Header: Depth=1
	s_load_dwordx2 s[8:9], s[2:3], 0x4
	s_load_dword s7, s[2:3], 0xc
	s_load_dwordx2 s[10:11], s[0:1], 0x0
	s_add_u32 s2, s2, 12
	s_addc_u32 s3, s3, 0
	s_waitcnt vmcnt(0) lgkmcnt(0)
	v_mul_hi_u32 v3, s9, v1
	s_add_u32 s0, s0, 8
	s_addc_u32 s1, s1, 0
	s_add_i32 s6, s6, -1
	v_add_u32_e32 v3, v1, v3
	v_lshrrev_b32_e32 v3, s7, v3
	v_mul_lo_u32 v5, v3, s8
	s_cmp_lg_u32 s6, 0
	v_sub_u32_e32 v5, v1, v5
	v_mad_u64_u32 v[0:1], s[8:9], v5, s10, v[0:1]
	v_mad_u64_u32 v[7:8], s[8:9], v5, s11, v[7:8]
	v_mov_b32_e32 v1, v3
	s_cbranch_scc1 .LBB231_1123
.LBB231_1124:
	s_cbranch_execnz .LBB231_1127
.LBB231_1125:
	s_load_dwordx4 s[0:3], s[34:35], 0x4
	s_load_dwordx2 s[6:7], s[34:35], 0xc4
	s_cmp_lt_u32 s33, 2
	s_waitcnt lgkmcnt(0)
	v_mul_hi_u32 v0, s1, v15
	v_add_u32_e32 v0, v15, v0
	v_lshrrev_b32_e32 v1, s2, v0
	v_mul_lo_u32 v0, v1, s0
	s_waitcnt vmcnt(0)
	v_sub_u32_e32 v3, v15, v0
	v_mul_lo_u32 v0, v3, s6
	v_mul_lo_u32 v7, v3, s7
	s_cbranch_scc1 .LBB231_1127
; %bb.1126:
	s_load_dwordx4 s[0:3], s[34:35], 0x10
	s_load_dwordx2 s[6:7], s[34:35], 0xcc
	s_waitcnt lgkmcnt(0)
	v_mul_hi_u32 v3, s1, v1
	v_add_u32_e32 v3, v1, v3
	v_lshrrev_b32_e32 v3, s2, v3
	v_mul_lo_u32 v3, v3, s0
	v_sub_u32_e32 v3, v1, v3
	v_mad_u64_u32 v[0:1], s[0:1], v3, s6, v[0:1]
	v_mad_u64_u32 v[7:8], s[0:1], v3, s7, v[7:8]
.LBB231_1127:
	s_load_dwordx4 s[8:11], s[34:35], 0x148
	s_load_dword s14, s[4:5], 0x164
	s_waitcnt lgkmcnt(0)
	v_mov_b32_e32 v1, s11
	s_bfe_u32 s15, s14, 0x80008
	v_add_co_u32_e32 v15, vcc, s10, v13
	s_cmp_lt_i32 s15, 11
	v_addc_co_u32_e32 v16, vcc, 0, v1, vcc
	s_cbranch_scc1 .LBB231_1134
; %bb.1128:
	s_and_b32 s16, 0xffff, s15
	s_cmp_gt_i32 s16, 25
	s_mov_b64 s[2:3], 0
	s_cbranch_scc0 .LBB231_1136
; %bb.1129:
	s_cmp_gt_i32 s16, 28
	s_cbranch_scc0 .LBB231_1137
; %bb.1130:
	s_cmp_gt_i32 s16, 43
	;; [unrolled: 3-line block ×3, first 2 shown]
	s_cbranch_scc0 .LBB231_1139
; %bb.1132:
	s_cmp_eq_u32 s16, 46
	s_mov_b64 s[12:13], 0
	s_cbranch_scc0 .LBB231_1142
; %bb.1133:
	global_load_dword v1, v[15:16], off
	s_mov_b64 s[0:1], 0
	s_mov_b64 s[6:7], -1
	s_waitcnt vmcnt(0)
	v_lshlrev_b32_e32 v1, 16, v1
	v_cvt_i32_f32_e32 v13, v1
	s_branch .LBB231_1143
.LBB231_1134:
	s_mov_b64 s[6:7], 0
                                        ; implicit-def: $vgpr13
	s_mov_b64 s[12:13], s[28:29]
	s_cbranch_execnz .LBB231_1201
.LBB231_1135:
	s_andn2_b64 vcc, exec, s[6:7]
	s_cbranch_vccz .LBB231_1246
	s_branch .LBB231_2055
.LBB231_1136:
	s_mov_b64 s[6:7], 0
	s_mov_b64 s[0:1], 0
                                        ; implicit-def: $vgpr13
	s_cbranch_execnz .LBB231_1168
	s_branch .LBB231_1197
.LBB231_1137:
	s_mov_b64 s[6:7], 0
	s_mov_b64 s[0:1], 0
                                        ; implicit-def: $vgpr13
	s_cbranch_execz .LBB231_1167
	s_branch .LBB231_1152
.LBB231_1138:
	s_mov_b64 s[6:7], 0
	s_mov_b64 s[0:1], 0
                                        ; implicit-def: $vgpr13
	s_cbranch_execnz .LBB231_1148
	s_branch .LBB231_1151
.LBB231_1139:
	s_mov_b64 s[12:13], -1
	s_mov_b64 s[6:7], 0
	s_mov_b64 s[0:1], 0
                                        ; implicit-def: $vgpr13
	s_branch .LBB231_1143
.LBB231_1140:
	s_andn2_saveexec_b64 s[14:15], s[14:15]
	s_cbranch_execz .LBB231_983
.LBB231_1141:
	s_mov_b32 s16, 0x46000000
	v_add_f32_e64 v3, |v0|, s16
	v_and_b32_e32 v3, 0xff, v3
	v_cmp_ne_u32_e32 vcc, 0, v3
	s_andn2_b64 s[12:13], s[12:13], exec
	s_and_b64 s[16:17], vcc, exec
	s_or_b64 s[12:13], s[12:13], s[16:17]
	s_or_b64 exec, exec, s[14:15]
	v_mov_b32_e32 v5, 0
	s_and_saveexec_b64 s[14:15], s[12:13]
	s_cbranch_execnz .LBB231_984
	s_branch .LBB231_985
.LBB231_1142:
	s_mov_b64 s[0:1], -1
                                        ; implicit-def: $vgpr13
	s_mov_b64 s[6:7], 0
.LBB231_1143:
	s_and_b64 vcc, exec, s[12:13]
	s_cbranch_vccz .LBB231_1146
; %bb.1144:
	s_cmp_eq_u32 s16, 44
	s_cbranch_scc0 .LBB231_1147
; %bb.1145:
	global_load_ubyte v1, v[15:16], off
	s_mov_b64 s[0:1], 0
	s_mov_b64 s[6:7], -1
	s_waitcnt vmcnt(0)
	v_lshlrev_b32_e32 v3, 23, v1
	v_cvt_i32_f32_e32 v3, v3
	v_cmp_ne_u32_e32 vcc, 0, v1
	v_cndmask_b32_e32 v13, 0, v3, vcc
.LBB231_1146:
	s_branch .LBB231_1151
.LBB231_1147:
	s_mov_b64 s[0:1], -1
                                        ; implicit-def: $vgpr13
	s_branch .LBB231_1151
.LBB231_1148:
	s_cmp_eq_u32 s16, 29
	s_cbranch_scc0 .LBB231_1150
; %bb.1149:
	global_load_dwordx2 v[13:14], v[15:16], off
	s_mov_b64 s[0:1], 0
	s_mov_b64 s[6:7], -1
	s_branch .LBB231_1151
.LBB231_1150:
	s_mov_b64 s[0:1], -1
                                        ; implicit-def: $vgpr13
.LBB231_1151:
	s_branch .LBB231_1167
.LBB231_1152:
	s_cmp_lt_i32 s16, 27
	s_cbranch_scc1 .LBB231_1155
; %bb.1153:
	s_cmp_gt_i32 s16, 27
	s_cbranch_scc0 .LBB231_1156
; %bb.1154:
	global_load_dword v13, v[15:16], off
	s_mov_b64 s[6:7], 0
	s_branch .LBB231_1157
.LBB231_1155:
	s_mov_b64 s[6:7], -1
                                        ; implicit-def: $vgpr13
	s_branch .LBB231_1160
.LBB231_1156:
	s_mov_b64 s[6:7], -1
                                        ; implicit-def: $vgpr13
.LBB231_1157:
	s_andn2_b64 vcc, exec, s[6:7]
	s_cbranch_vccnz .LBB231_1159
; %bb.1158:
	global_load_ushort v13, v[15:16], off
.LBB231_1159:
	s_mov_b64 s[6:7], 0
.LBB231_1160:
	s_andn2_b64 vcc, exec, s[6:7]
	s_cbranch_vccnz .LBB231_1166
; %bb.1161:
	global_load_ubyte v1, v[15:16], off
	s_movk_i32 s6, 0x7f
	s_mov_b64 s[12:13], 0
	s_waitcnt vmcnt(0)
	v_cmp_lt_i16_e32 vcc, s6, v1
	s_and_saveexec_b64 s[6:7], vcc
	s_xor_b64 s[6:7], exec, s[6:7]
	s_cbranch_execz .LBB231_1177
; %bb.1162:
	s_movk_i32 s12, 0x80
	v_cmp_ne_u16_e32 vcc, s12, v1
	s_and_b64 s[12:13], vcc, exec
	s_andn2_saveexec_b64 s[6:7], s[6:7]
	s_cbranch_execnz .LBB231_1178
.LBB231_1163:
	s_or_b64 exec, exec, s[6:7]
	v_mov_b32_e32 v13, 0
	s_and_saveexec_b64 s[6:7], s[12:13]
	s_cbranch_execz .LBB231_1165
.LBB231_1164:
	v_lshlrev_b32_e32 v3, 24, v1
	v_and_b32_e32 v1, 0xffff, v1
	v_and_b32_e32 v5, 7, v1
	v_ffbh_u32_e32 v10, v5
	v_min_u32_e32 v10, 32, v10
	v_subrev_u32_e32 v12, 28, v10
	v_bfe_u32 v8, v1, 3, 4
	v_lshlrev_b32_e32 v1, v12, v1
	v_sub_u32_e32 v10, 29, v10
	v_and_b32_e32 v1, 7, v1
	v_cmp_eq_u32_e32 vcc, 0, v8
	v_cndmask_b32_e32 v8, v8, v10, vcc
	v_cndmask_b32_e32 v1, v5, v1, vcc
	v_mov_b32_e32 v5, 0x3b800000
	v_lshlrev_b32_e32 v1, 20, v1
	v_and_b32_e32 v3, 0x80000000, v3
	v_lshl_add_u32 v5, v8, 23, v5
	v_or3_b32 v1, v3, v5, v1
	v_cvt_i32_f32_e32 v13, v1
.LBB231_1165:
	s_or_b64 exec, exec, s[6:7]
.LBB231_1166:
	s_mov_b64 s[6:7], -1
.LBB231_1167:
	s_branch .LBB231_1197
.LBB231_1168:
	s_cmp_gt_i32 s16, 22
	s_cbranch_scc0 .LBB231_1176
; %bb.1169:
	s_cmp_lt_i32 s16, 24
	s_cbranch_scc1 .LBB231_1179
; %bb.1170:
	s_cmp_gt_i32 s16, 24
	s_cbranch_scc0 .LBB231_1180
; %bb.1171:
	global_load_ubyte v1, v[15:16], off
	s_movk_i32 s2, 0x7f
	s_mov_b64 s[6:7], 0
	s_waitcnt vmcnt(0)
	v_cmp_lt_i16_e32 vcc, s2, v1
	s_and_saveexec_b64 s[2:3], vcc
	s_xor_b64 s[2:3], exec, s[2:3]
	s_cbranch_execz .LBB231_1191
; %bb.1172:
	s_movk_i32 s6, 0x80
	v_cmp_ne_u16_e32 vcc, s6, v1
	s_and_b64 s[6:7], vcc, exec
	s_andn2_saveexec_b64 s[2:3], s[2:3]
	s_cbranch_execnz .LBB231_1192
.LBB231_1173:
	s_or_b64 exec, exec, s[2:3]
	v_mov_b32_e32 v13, 0
	s_and_saveexec_b64 s[2:3], s[6:7]
	s_cbranch_execz .LBB231_1175
.LBB231_1174:
	v_lshlrev_b32_e32 v3, 24, v1
	v_and_b32_e32 v1, 0xffff, v1
	v_and_b32_e32 v5, 3, v1
	v_ffbh_u32_e32 v10, v5
	v_min_u32_e32 v10, 32, v10
	v_subrev_u32_e32 v12, 29, v10
	v_bfe_u32 v8, v1, 2, 5
	v_lshlrev_b32_e32 v1, v12, v1
	v_sub_u32_e32 v10, 30, v10
	v_and_b32_e32 v1, 3, v1
	v_cmp_eq_u32_e32 vcc, 0, v8
	v_cndmask_b32_e32 v8, v8, v10, vcc
	v_cndmask_b32_e32 v1, v5, v1, vcc
	v_mov_b32_e32 v5, 0x37800000
	v_lshlrev_b32_e32 v1, 21, v1
	v_and_b32_e32 v3, 0x80000000, v3
	v_lshl_add_u32 v5, v8, 23, v5
	v_or3_b32 v1, v3, v5, v1
	v_cvt_i32_f32_e32 v13, v1
.LBB231_1175:
	s_or_b64 exec, exec, s[2:3]
	s_mov_b64 s[2:3], 0
	s_branch .LBB231_1181
.LBB231_1176:
                                        ; implicit-def: $vgpr13
	s_mov_b64 s[2:3], 0
	s_branch .LBB231_1187
.LBB231_1177:
	s_andn2_saveexec_b64 s[6:7], s[6:7]
	s_cbranch_execz .LBB231_1163
.LBB231_1178:
	v_cmp_ne_u16_e32 vcc, 0, v1
	s_andn2_b64 s[12:13], s[12:13], exec
	s_and_b64 s[18:19], vcc, exec
	s_or_b64 s[12:13], s[12:13], s[18:19]
	s_or_b64 exec, exec, s[6:7]
	v_mov_b32_e32 v13, 0
	s_and_saveexec_b64 s[6:7], s[12:13]
	s_cbranch_execnz .LBB231_1164
	s_branch .LBB231_1165
.LBB231_1179:
	s_mov_b64 s[2:3], -1
                                        ; implicit-def: $vgpr13
	s_branch .LBB231_1184
.LBB231_1180:
	s_mov_b64 s[2:3], -1
                                        ; implicit-def: $vgpr13
.LBB231_1181:
	s_and_b64 vcc, exec, s[2:3]
	s_cbranch_vccz .LBB231_1183
; %bb.1182:
	global_load_ubyte v1, v[15:16], off
	s_mov_b32 s2, 0x7f800000
	s_waitcnt vmcnt(0)
	v_lshlrev_b32_e32 v1, 24, v1
	v_and_b32_e32 v3, 0x7f000000, v1
	v_ffbh_u32_e32 v5, v3
	v_min_u32_e32 v5, 32, v5
	v_sub_u32_e64 v5, v5, 4 clamp
	v_lshlrev_b32_e32 v10, v5, v3
	v_lshlrev_b32_e32 v5, 23, v5
	v_lshrrev_b32_e32 v10, 4, v10
	v_add_u32_e32 v8, 0x1000000, v3
	v_sub_u32_e32 v5, v10, v5
	v_ashrrev_i32_e32 v8, 8, v8
	v_add_u32_e32 v5, 0x3c000000, v5
	v_and_or_b32 v5, v8, s2, v5
	v_cmp_ne_u32_e32 vcc, 0, v3
	v_cndmask_b32_e32 v3, 0, v5, vcc
	s_brev_b32 s2, 1
	v_and_or_b32 v1, v1, s2, v3
	v_cvt_i32_f32_e32 v13, v1
.LBB231_1183:
	s_mov_b64 s[2:3], 0
.LBB231_1184:
	s_andn2_b64 vcc, exec, s[2:3]
	s_cbranch_vccnz .LBB231_1186
; %bb.1185:
	global_load_ubyte v1, v[15:16], off
	s_movk_i32 s2, 0x7f00
	s_brev_b32 s3, 16
	s_waitcnt vmcnt(0)
	v_lshlrev_b16_e32 v3, 8, v1
	v_lshlrev_b32_e32 v1, 25, v1
	v_lshrrev_b32_e32 v5, 4, v1
	v_and_or_b32 v8, v3, s2, 0.5
	v_or_b32_e32 v5, 0x70000000, v5
	v_add_f32_e32 v8, -0.5, v8
	v_mul_f32_e32 v5, 0x7800000, v5
	v_cmp_gt_u32_e32 vcc, s3, v1
	v_bfe_i32 v3, v3, 0, 16
	v_cndmask_b32_e32 v1, v5, v8, vcc
	s_brev_b32 s2, 1
	v_and_or_b32 v1, v3, s2, v1
	v_cvt_i32_f32_e32 v13, v1
.LBB231_1186:
	s_mov_b64 s[6:7], -1
	s_mov_b64 s[2:3], 0
	s_cbranch_execnz .LBB231_1197
.LBB231_1187:
	s_cmp_gt_i32 s16, 14
	s_cbranch_scc0 .LBB231_1190
; %bb.1188:
	s_cmp_eq_u32 s16, 15
	s_cbranch_scc0 .LBB231_1193
; %bb.1189:
	global_load_ushort v1, v[15:16], off
	s_mov_b64 s[0:1], 0
	s_mov_b64 s[6:7], -1
	s_waitcnt vmcnt(0)
	v_lshlrev_b32_e32 v1, 16, v1
	v_cvt_i32_f32_e32 v13, v1
	s_branch .LBB231_1194
.LBB231_1190:
	s_mov_b64 s[12:13], -1
                                        ; implicit-def: $vgpr13
	s_branch .LBB231_1195
.LBB231_1191:
	s_andn2_saveexec_b64 s[2:3], s[2:3]
	s_cbranch_execz .LBB231_1173
.LBB231_1192:
	v_cmp_ne_u16_e32 vcc, 0, v1
	s_andn2_b64 s[6:7], s[6:7], exec
	s_and_b64 s[12:13], vcc, exec
	s_or_b64 s[6:7], s[6:7], s[12:13]
	s_or_b64 exec, exec, s[2:3]
	v_mov_b32_e32 v13, 0
	s_and_saveexec_b64 s[2:3], s[6:7]
	s_cbranch_execnz .LBB231_1174
	s_branch .LBB231_1175
.LBB231_1193:
	s_mov_b64 s[0:1], -1
                                        ; implicit-def: $vgpr13
.LBB231_1194:
	s_mov_b64 s[12:13], 0
.LBB231_1195:
	s_and_b64 vcc, exec, s[12:13]
	s_cbranch_vccz .LBB231_1197
; %bb.1196:
	s_cmp_lg_u32 s16, 11
	s_mov_b64 s[2:3], -1
	s_cselect_b64 s[0:1], -1, 0
.LBB231_1197:
	s_and_b64 vcc, exec, s[0:1]
	s_mov_b64 s[12:13], s[28:29]
	s_cbranch_vccnz .LBB231_1258
; %bb.1198:
	s_andn2_b64 vcc, exec, s[2:3]
	s_cbranch_vccnz .LBB231_1200
.LBB231_1199:
	global_load_ubyte v1, v[15:16], off
	s_mov_b64 s[6:7], -1
	s_waitcnt vmcnt(0)
	v_cmp_ne_u16_e32 vcc, 0, v1
	v_cndmask_b32_e64 v13, 0, 1, vcc
.LBB231_1200:
	s_branch .LBB231_1135
.LBB231_1201:
	s_and_b32 s2, 0xffff, s15
	s_cmp_lt_i32 s2, 5
	s_cbranch_scc1 .LBB231_1206
; %bb.1202:
	s_cmp_lt_i32 s2, 8
	s_cbranch_scc1 .LBB231_1207
; %bb.1203:
	;; [unrolled: 3-line block ×3, first 2 shown]
	s_cmp_gt_i32 s2, 9
	s_cbranch_scc0 .LBB231_1209
; %bb.1205:
	global_load_dwordx2 v[12:13], v[15:16], off
	s_mov_b64 s[0:1], 0
	s_waitcnt vmcnt(0)
	v_cvt_i32_f64_e32 v13, v[12:13]
	s_branch .LBB231_1210
.LBB231_1206:
                                        ; implicit-def: $vgpr13
	s_branch .LBB231_1227
.LBB231_1207:
                                        ; implicit-def: $vgpr13
	s_branch .LBB231_1216
.LBB231_1208:
	s_mov_b64 s[0:1], -1
                                        ; implicit-def: $vgpr13
	s_branch .LBB231_1213
.LBB231_1209:
	s_mov_b64 s[0:1], -1
                                        ; implicit-def: $vgpr13
.LBB231_1210:
	s_andn2_b64 vcc, exec, s[0:1]
	s_cbranch_vccnz .LBB231_1212
; %bb.1211:
	global_load_dword v1, v[15:16], off
	s_waitcnt vmcnt(0)
	v_cvt_i32_f32_e32 v13, v1
.LBB231_1212:
	s_mov_b64 s[0:1], 0
.LBB231_1213:
	s_andn2_b64 vcc, exec, s[0:1]
	s_cbranch_vccnz .LBB231_1215
; %bb.1214:
	global_load_dword v1, v[15:16], off
	s_waitcnt vmcnt(0)
	v_cvt_i16_f16_e32 v13, v1
.LBB231_1215:
	s_cbranch_execnz .LBB231_1226
.LBB231_1216:
	s_cmp_lt_i32 s2, 6
	s_cbranch_scc1 .LBB231_1219
; %bb.1217:
	s_cmp_gt_i32 s2, 6
	s_cbranch_scc0 .LBB231_1220
; %bb.1218:
	global_load_dwordx2 v[12:13], v[15:16], off
	s_mov_b64 s[0:1], 0
	s_waitcnt vmcnt(0)
	v_cvt_i32_f64_e32 v13, v[12:13]
	s_branch .LBB231_1221
.LBB231_1219:
	s_mov_b64 s[0:1], -1
                                        ; implicit-def: $vgpr13
	s_branch .LBB231_1224
.LBB231_1220:
	s_mov_b64 s[0:1], -1
                                        ; implicit-def: $vgpr13
.LBB231_1221:
	s_andn2_b64 vcc, exec, s[0:1]
	s_cbranch_vccnz .LBB231_1223
; %bb.1222:
	global_load_dword v1, v[15:16], off
	s_waitcnt vmcnt(0)
	v_cvt_i32_f32_e32 v13, v1
.LBB231_1223:
	s_mov_b64 s[0:1], 0
.LBB231_1224:
	s_andn2_b64 vcc, exec, s[0:1]
	s_cbranch_vccnz .LBB231_1226
; %bb.1225:
	global_load_ushort v1, v[15:16], off
	s_waitcnt vmcnt(0)
	v_cvt_i16_f16_e32 v13, v1
.LBB231_1226:
	s_cbranch_execnz .LBB231_1245
.LBB231_1227:
	s_cmp_lt_i32 s2, 2
	s_cbranch_scc1 .LBB231_1231
; %bb.1228:
	s_cmp_lt_i32 s2, 3
	s_cbranch_scc1 .LBB231_1232
; %bb.1229:
	s_cmp_gt_i32 s2, 3
	s_cbranch_scc0 .LBB231_1233
; %bb.1230:
	global_load_dwordx2 v[13:14], v[15:16], off
	s_mov_b64 s[0:1], 0
	s_branch .LBB231_1234
.LBB231_1231:
                                        ; implicit-def: $vgpr13
	s_branch .LBB231_1240
.LBB231_1232:
	s_mov_b64 s[0:1], -1
                                        ; implicit-def: $vgpr13
	s_branch .LBB231_1237
.LBB231_1233:
	s_mov_b64 s[0:1], -1
                                        ; implicit-def: $vgpr13
.LBB231_1234:
	s_andn2_b64 vcc, exec, s[0:1]
	s_cbranch_vccnz .LBB231_1236
; %bb.1235:
	global_load_dword v13, v[15:16], off
.LBB231_1236:
	s_mov_b64 s[0:1], 0
.LBB231_1237:
	s_andn2_b64 vcc, exec, s[0:1]
	s_cbranch_vccnz .LBB231_1239
; %bb.1238:
	global_load_ushort v13, v[15:16], off
.LBB231_1239:
	s_cbranch_execnz .LBB231_1245
.LBB231_1240:
	s_cmp_gt_i32 s2, 0
	s_cbranch_scc0 .LBB231_1242
; %bb.1241:
	global_load_sbyte v13, v[15:16], off
	s_mov_b64 s[0:1], 0
	s_branch .LBB231_1243
.LBB231_1242:
	s_mov_b64 s[0:1], -1
                                        ; implicit-def: $vgpr13
.LBB231_1243:
	s_andn2_b64 vcc, exec, s[0:1]
	s_cbranch_vccnz .LBB231_1245
; %bb.1244:
	global_load_ubyte v13, v[15:16], off
.LBB231_1245:
.LBB231_1246:
	s_lshr_b32 s0, s14, 8
	v_mov_b32_e32 v1, s11
	s_and_b32 s16, s0, 0xff
	s_waitcnt vmcnt(0)
	v_add_co_u32_e32 v14, vcc, s10, v11
	s_cmp_lt_i32 s16, 11
	v_addc_co_u32_e32 v15, vcc, 0, v1, vcc
	s_cbranch_scc1 .LBB231_1253
; %bb.1247:
	s_and_b32 s17, 0xffff, s16
	s_cmp_gt_i32 s17, 25
	s_mov_b64 s[2:3], 0
	s_cbranch_scc0 .LBB231_1255
; %bb.1248:
	s_cmp_gt_i32 s17, 28
	s_cbranch_scc0 .LBB231_1256
; %bb.1249:
	s_cmp_gt_i32 s17, 43
	;; [unrolled: 3-line block ×3, first 2 shown]
	s_cbranch_scc0 .LBB231_1259
; %bb.1251:
	s_cmp_eq_u32 s17, 46
	s_mov_b64 s[14:15], 0
	s_cbranch_scc0 .LBB231_1262
; %bb.1252:
	global_load_dword v1, v[14:15], off
	s_mov_b64 s[0:1], 0
	s_mov_b64 s[6:7], -1
	s_waitcnt vmcnt(0)
	v_lshlrev_b32_e32 v1, 16, v1
	v_cvt_i32_f32_e32 v11, v1
	s_branch .LBB231_1263
.LBB231_1253:
	s_mov_b64 s[6:7], 0
                                        ; implicit-def: $vgpr11
	s_cbranch_execnz .LBB231_1324
.LBB231_1254:
	s_andn2_b64 vcc, exec, s[6:7]
	s_cbranch_vccnz .LBB231_2055
	s_branch .LBB231_1371
.LBB231_1255:
	s_mov_b64 s[6:7], 0
	s_mov_b64 s[0:1], 0
                                        ; implicit-def: $vgpr11
	s_cbranch_execnz .LBB231_1290
	s_branch .LBB231_1320
.LBB231_1256:
	s_mov_b64 s[14:15], -1
	s_mov_b64 s[6:7], 0
	s_mov_b64 s[0:1], 0
                                        ; implicit-def: $vgpr11
	s_branch .LBB231_1273
.LBB231_1257:
	s_mov_b64 s[14:15], -1
	s_mov_b64 s[6:7], 0
	s_mov_b64 s[0:1], 0
                                        ; implicit-def: $vgpr11
	s_branch .LBB231_1268
.LBB231_1258:
	s_or_b64 s[12:13], s[28:29], exec
	s_trap 2
	s_cbranch_execz .LBB231_1199
	s_branch .LBB231_1200
.LBB231_1259:
	s_mov_b64 s[14:15], -1
	s_mov_b64 s[6:7], 0
	s_mov_b64 s[0:1], 0
                                        ; implicit-def: $vgpr11
	s_branch .LBB231_1263
.LBB231_1260:
	s_andn2_saveexec_b64 s[16:17], s[16:17]
	s_cbranch_execz .LBB231_995
.LBB231_1261:
	s_mov_b32 s20, 0x42800000
	v_add_f32_e64 v3, |v0|, s20
	v_and_b32_e32 v3, 0xff, v3
	v_cmp_ne_u32_e32 vcc, 0, v3
	s_andn2_b64 s[14:15], s[14:15], exec
	s_and_b64 s[20:21], vcc, exec
	s_or_b64 s[14:15], s[14:15], s[20:21]
	s_or_b64 exec, exec, s[16:17]
	v_mov_b32_e32 v5, 0
	s_and_saveexec_b64 s[16:17], s[14:15]
	s_cbranch_execnz .LBB231_996
	s_branch .LBB231_997
.LBB231_1262:
	s_mov_b64 s[0:1], -1
                                        ; implicit-def: $vgpr11
	s_mov_b64 s[6:7], 0
.LBB231_1263:
	s_and_b64 vcc, exec, s[14:15]
	s_cbranch_vccz .LBB231_1267
; %bb.1264:
	s_cmp_eq_u32 s17, 44
	s_cbranch_scc0 .LBB231_1266
; %bb.1265:
	global_load_ubyte v1, v[14:15], off
	s_mov_b64 s[0:1], 0
	s_mov_b64 s[6:7], -1
	s_waitcnt vmcnt(0)
	v_lshlrev_b32_e32 v3, 23, v1
	v_cvt_i32_f32_e32 v3, v3
	v_cmp_ne_u32_e32 vcc, 0, v1
	v_cndmask_b32_e32 v11, 0, v3, vcc
	s_branch .LBB231_1267
.LBB231_1266:
	s_mov_b64 s[0:1], -1
                                        ; implicit-def: $vgpr11
.LBB231_1267:
	s_mov_b64 s[14:15], 0
.LBB231_1268:
	s_and_b64 vcc, exec, s[14:15]
	s_cbranch_vccz .LBB231_1272
; %bb.1269:
	s_cmp_eq_u32 s17, 29
	s_cbranch_scc0 .LBB231_1271
; %bb.1270:
	global_load_dwordx2 v[11:12], v[14:15], off
	s_mov_b64 s[0:1], 0
	s_mov_b64 s[6:7], -1
	s_branch .LBB231_1272
.LBB231_1271:
	s_mov_b64 s[0:1], -1
                                        ; implicit-def: $vgpr11
.LBB231_1272:
	s_mov_b64 s[14:15], 0
.LBB231_1273:
	s_and_b64 vcc, exec, s[14:15]
	s_cbranch_vccz .LBB231_1289
; %bb.1274:
	s_cmp_lt_i32 s17, 27
	s_cbranch_scc1 .LBB231_1277
; %bb.1275:
	s_cmp_gt_i32 s17, 27
	s_cbranch_scc0 .LBB231_1278
; %bb.1276:
	global_load_dword v11, v[14:15], off
	s_mov_b64 s[6:7], 0
	s_branch .LBB231_1279
.LBB231_1277:
	s_mov_b64 s[6:7], -1
                                        ; implicit-def: $vgpr11
	s_branch .LBB231_1282
.LBB231_1278:
	s_mov_b64 s[6:7], -1
                                        ; implicit-def: $vgpr11
.LBB231_1279:
	s_andn2_b64 vcc, exec, s[6:7]
	s_cbranch_vccnz .LBB231_1281
; %bb.1280:
	global_load_ushort v11, v[14:15], off
.LBB231_1281:
	s_mov_b64 s[6:7], 0
.LBB231_1282:
	s_andn2_b64 vcc, exec, s[6:7]
	s_cbranch_vccnz .LBB231_1288
; %bb.1283:
	global_load_ubyte v1, v[14:15], off
	s_movk_i32 s6, 0x7f
	s_mov_b64 s[14:15], 0
	s_waitcnt vmcnt(0)
	v_cmp_lt_i16_e32 vcc, s6, v1
	s_and_saveexec_b64 s[6:7], vcc
	s_xor_b64 s[6:7], exec, s[6:7]
	s_cbranch_execz .LBB231_1299
; %bb.1284:
	s_movk_i32 s14, 0x80
	v_cmp_ne_u16_e32 vcc, s14, v1
	s_and_b64 s[14:15], vcc, exec
	s_andn2_saveexec_b64 s[6:7], s[6:7]
	s_cbranch_execnz .LBB231_1300
.LBB231_1285:
	s_or_b64 exec, exec, s[6:7]
	v_mov_b32_e32 v11, 0
	s_and_saveexec_b64 s[6:7], s[14:15]
	s_cbranch_execz .LBB231_1287
.LBB231_1286:
	v_lshlrev_b32_e32 v3, 24, v1
	v_and_b32_e32 v1, 0xffff, v1
	v_and_b32_e32 v5, 7, v1
	v_ffbh_u32_e32 v10, v5
	v_min_u32_e32 v10, 32, v10
	v_subrev_u32_e32 v11, 28, v10
	v_bfe_u32 v8, v1, 3, 4
	v_lshlrev_b32_e32 v1, v11, v1
	v_sub_u32_e32 v10, 29, v10
	v_and_b32_e32 v1, 7, v1
	v_cmp_eq_u32_e32 vcc, 0, v8
	v_cndmask_b32_e32 v8, v8, v10, vcc
	v_cndmask_b32_e32 v1, v5, v1, vcc
	v_mov_b32_e32 v5, 0x3b800000
	v_lshlrev_b32_e32 v1, 20, v1
	v_and_b32_e32 v3, 0x80000000, v3
	v_lshl_add_u32 v5, v8, 23, v5
	v_or3_b32 v1, v3, v5, v1
	v_cvt_i32_f32_e32 v11, v1
.LBB231_1287:
	s_or_b64 exec, exec, s[6:7]
.LBB231_1288:
	s_mov_b64 s[6:7], -1
.LBB231_1289:
	s_branch .LBB231_1320
.LBB231_1290:
	s_cmp_gt_i32 s17, 22
	s_cbranch_scc0 .LBB231_1298
; %bb.1291:
	s_cmp_lt_i32 s17, 24
	s_cbranch_scc1 .LBB231_1301
; %bb.1292:
	s_cmp_gt_i32 s17, 24
	s_cbranch_scc0 .LBB231_1302
; %bb.1293:
	global_load_ubyte v1, v[14:15], off
	s_movk_i32 s2, 0x7f
	s_mov_b64 s[6:7], 0
	s_waitcnt vmcnt(0)
	v_cmp_lt_i16_e32 vcc, s2, v1
	s_and_saveexec_b64 s[2:3], vcc
	s_xor_b64 s[2:3], exec, s[2:3]
	s_cbranch_execz .LBB231_1314
; %bb.1294:
	s_movk_i32 s6, 0x80
	v_cmp_ne_u16_e32 vcc, s6, v1
	s_and_b64 s[6:7], vcc, exec
	s_andn2_saveexec_b64 s[2:3], s[2:3]
	s_cbranch_execnz .LBB231_1315
.LBB231_1295:
	s_or_b64 exec, exec, s[2:3]
	v_mov_b32_e32 v11, 0
	s_and_saveexec_b64 s[2:3], s[6:7]
	s_cbranch_execz .LBB231_1297
.LBB231_1296:
	v_lshlrev_b32_e32 v3, 24, v1
	v_and_b32_e32 v1, 0xffff, v1
	v_and_b32_e32 v5, 3, v1
	v_ffbh_u32_e32 v10, v5
	v_min_u32_e32 v10, 32, v10
	v_subrev_u32_e32 v11, 29, v10
	v_bfe_u32 v8, v1, 2, 5
	v_lshlrev_b32_e32 v1, v11, v1
	v_sub_u32_e32 v10, 30, v10
	v_and_b32_e32 v1, 3, v1
	v_cmp_eq_u32_e32 vcc, 0, v8
	v_cndmask_b32_e32 v8, v8, v10, vcc
	v_cndmask_b32_e32 v1, v5, v1, vcc
	v_mov_b32_e32 v5, 0x37800000
	v_lshlrev_b32_e32 v1, 21, v1
	v_and_b32_e32 v3, 0x80000000, v3
	v_lshl_add_u32 v5, v8, 23, v5
	v_or3_b32 v1, v3, v5, v1
	v_cvt_i32_f32_e32 v11, v1
.LBB231_1297:
	s_or_b64 exec, exec, s[2:3]
	s_mov_b64 s[2:3], 0
	s_branch .LBB231_1303
.LBB231_1298:
	s_mov_b64 s[2:3], -1
                                        ; implicit-def: $vgpr11
	s_branch .LBB231_1309
.LBB231_1299:
	s_andn2_saveexec_b64 s[6:7], s[6:7]
	s_cbranch_execz .LBB231_1285
.LBB231_1300:
	v_cmp_ne_u16_e32 vcc, 0, v1
	s_andn2_b64 s[14:15], s[14:15], exec
	s_and_b64 s[18:19], vcc, exec
	s_or_b64 s[14:15], s[14:15], s[18:19]
	s_or_b64 exec, exec, s[6:7]
	v_mov_b32_e32 v11, 0
	s_and_saveexec_b64 s[6:7], s[14:15]
	s_cbranch_execnz .LBB231_1286
	s_branch .LBB231_1287
.LBB231_1301:
	s_mov_b64 s[2:3], -1
                                        ; implicit-def: $vgpr11
	s_branch .LBB231_1306
.LBB231_1302:
	s_mov_b64 s[2:3], -1
                                        ; implicit-def: $vgpr11
.LBB231_1303:
	s_and_b64 vcc, exec, s[2:3]
	s_cbranch_vccz .LBB231_1305
; %bb.1304:
	global_load_ubyte v1, v[14:15], off
	s_mov_b32 s2, 0x7f800000
	s_waitcnt vmcnt(0)
	v_lshlrev_b32_e32 v1, 24, v1
	v_and_b32_e32 v3, 0x7f000000, v1
	v_ffbh_u32_e32 v5, v3
	v_min_u32_e32 v5, 32, v5
	v_sub_u32_e64 v5, v5, 4 clamp
	v_lshlrev_b32_e32 v10, v5, v3
	v_lshlrev_b32_e32 v5, 23, v5
	v_lshrrev_b32_e32 v10, 4, v10
	v_add_u32_e32 v8, 0x1000000, v3
	v_sub_u32_e32 v5, v10, v5
	v_ashrrev_i32_e32 v8, 8, v8
	v_add_u32_e32 v5, 0x3c000000, v5
	v_and_or_b32 v5, v8, s2, v5
	v_cmp_ne_u32_e32 vcc, 0, v3
	v_cndmask_b32_e32 v3, 0, v5, vcc
	s_brev_b32 s2, 1
	v_and_or_b32 v1, v1, s2, v3
	v_cvt_i32_f32_e32 v11, v1
.LBB231_1305:
	s_mov_b64 s[2:3], 0
.LBB231_1306:
	s_andn2_b64 vcc, exec, s[2:3]
	s_cbranch_vccnz .LBB231_1308
; %bb.1307:
	global_load_ubyte v1, v[14:15], off
	s_movk_i32 s2, 0x7f00
	s_brev_b32 s3, 16
	s_waitcnt vmcnt(0)
	v_lshlrev_b16_e32 v3, 8, v1
	v_lshlrev_b32_e32 v1, 25, v1
	v_lshrrev_b32_e32 v5, 4, v1
	v_and_or_b32 v8, v3, s2, 0.5
	v_or_b32_e32 v5, 0x70000000, v5
	v_add_f32_e32 v8, -0.5, v8
	v_mul_f32_e32 v5, 0x7800000, v5
	v_cmp_gt_u32_e32 vcc, s3, v1
	v_bfe_i32 v3, v3, 0, 16
	v_cndmask_b32_e32 v1, v5, v8, vcc
	s_brev_b32 s2, 1
	v_and_or_b32 v1, v3, s2, v1
	v_cvt_i32_f32_e32 v11, v1
.LBB231_1308:
	s_mov_b64 s[2:3], 0
	s_mov_b64 s[6:7], -1
.LBB231_1309:
	s_andn2_b64 vcc, exec, s[2:3]
	s_mov_b64 s[2:3], 0
	s_cbranch_vccnz .LBB231_1320
; %bb.1310:
	s_cmp_gt_i32 s17, 14
	s_cbranch_scc0 .LBB231_1313
; %bb.1311:
	s_cmp_eq_u32 s17, 15
	s_cbranch_scc0 .LBB231_1316
; %bb.1312:
	global_load_ushort v1, v[14:15], off
	s_mov_b64 s[0:1], 0
	s_mov_b64 s[6:7], -1
	s_waitcnt vmcnt(0)
	v_lshlrev_b32_e32 v1, 16, v1
	v_cvt_i32_f32_e32 v11, v1
	s_branch .LBB231_1317
.LBB231_1313:
	s_mov_b64 s[14:15], -1
                                        ; implicit-def: $vgpr11
	s_branch .LBB231_1318
.LBB231_1314:
	s_andn2_saveexec_b64 s[2:3], s[2:3]
	s_cbranch_execz .LBB231_1295
.LBB231_1315:
	v_cmp_ne_u16_e32 vcc, 0, v1
	s_andn2_b64 s[6:7], s[6:7], exec
	s_and_b64 s[14:15], vcc, exec
	s_or_b64 s[6:7], s[6:7], s[14:15]
	s_or_b64 exec, exec, s[2:3]
	v_mov_b32_e32 v11, 0
	s_and_saveexec_b64 s[2:3], s[6:7]
	s_cbranch_execnz .LBB231_1296
	s_branch .LBB231_1297
.LBB231_1316:
	s_mov_b64 s[0:1], -1
                                        ; implicit-def: $vgpr11
.LBB231_1317:
	s_mov_b64 s[14:15], 0
.LBB231_1318:
	s_and_b64 vcc, exec, s[14:15]
	s_cbranch_vccz .LBB231_1320
; %bb.1319:
	s_cmp_lg_u32 s17, 11
	s_mov_b64 s[2:3], -1
	s_cselect_b64 s[0:1], -1, 0
.LBB231_1320:
	s_and_b64 vcc, exec, s[0:1]
	s_cbranch_vccnz .LBB231_1383
; %bb.1321:
	s_andn2_b64 vcc, exec, s[2:3]
	s_cbranch_vccnz .LBB231_1323
.LBB231_1322:
	global_load_ubyte v1, v[14:15], off
	s_mov_b64 s[6:7], -1
	s_waitcnt vmcnt(0)
	v_cmp_ne_u16_e32 vcc, 0, v1
	v_cndmask_b32_e64 v11, 0, 1, vcc
.LBB231_1323:
	s_branch .LBB231_1254
.LBB231_1324:
	s_and_b32 s2, 0xffff, s16
	s_cmp_lt_i32 s2, 5
	s_cbranch_scc1 .LBB231_1329
; %bb.1325:
	s_cmp_lt_i32 s2, 8
	s_cbranch_scc1 .LBB231_1330
; %bb.1326:
	;; [unrolled: 3-line block ×3, first 2 shown]
	s_cmp_gt_i32 s2, 9
	s_cbranch_scc0 .LBB231_1332
; %bb.1328:
	global_load_dwordx2 v[10:11], v[14:15], off
	s_mov_b64 s[0:1], 0
	s_waitcnt vmcnt(0)
	v_cvt_i32_f64_e32 v11, v[10:11]
	s_branch .LBB231_1333
.LBB231_1329:
                                        ; implicit-def: $vgpr11
	s_branch .LBB231_1351
.LBB231_1330:
	s_mov_b64 s[0:1], -1
                                        ; implicit-def: $vgpr11
	s_branch .LBB231_1339
.LBB231_1331:
	s_mov_b64 s[0:1], -1
                                        ; implicit-def: $vgpr11
	s_branch .LBB231_1336
.LBB231_1332:
	s_mov_b64 s[0:1], -1
                                        ; implicit-def: $vgpr11
.LBB231_1333:
	s_andn2_b64 vcc, exec, s[0:1]
	s_cbranch_vccnz .LBB231_1335
; %bb.1334:
	global_load_dword v1, v[14:15], off
	s_waitcnt vmcnt(0)
	v_cvt_i32_f32_e32 v11, v1
.LBB231_1335:
	s_mov_b64 s[0:1], 0
.LBB231_1336:
	s_andn2_b64 vcc, exec, s[0:1]
	s_cbranch_vccnz .LBB231_1338
; %bb.1337:
	global_load_dword v1, v[14:15], off
	s_waitcnt vmcnt(0)
	v_cvt_i16_f16_e32 v11, v1
.LBB231_1338:
	s_mov_b64 s[0:1], 0
.LBB231_1339:
	s_andn2_b64 vcc, exec, s[0:1]
	s_cbranch_vccnz .LBB231_1350
; %bb.1340:
	s_cmp_lt_i32 s2, 6
	s_cbranch_scc1 .LBB231_1343
; %bb.1341:
	s_cmp_gt_i32 s2, 6
	s_cbranch_scc0 .LBB231_1344
; %bb.1342:
	global_load_dwordx2 v[10:11], v[14:15], off
	s_mov_b64 s[0:1], 0
	s_waitcnt vmcnt(0)
	v_cvt_i32_f64_e32 v11, v[10:11]
	s_branch .LBB231_1345
.LBB231_1343:
	s_mov_b64 s[0:1], -1
                                        ; implicit-def: $vgpr11
	s_branch .LBB231_1348
.LBB231_1344:
	s_mov_b64 s[0:1], -1
                                        ; implicit-def: $vgpr11
.LBB231_1345:
	s_andn2_b64 vcc, exec, s[0:1]
	s_cbranch_vccnz .LBB231_1347
; %bb.1346:
	global_load_dword v1, v[14:15], off
	s_waitcnt vmcnt(0)
	v_cvt_i32_f32_e32 v11, v1
.LBB231_1347:
	s_mov_b64 s[0:1], 0
.LBB231_1348:
	s_andn2_b64 vcc, exec, s[0:1]
	s_cbranch_vccnz .LBB231_1350
; %bb.1349:
	global_load_ushort v1, v[14:15], off
	s_waitcnt vmcnt(0)
	v_cvt_i16_f16_e32 v11, v1
.LBB231_1350:
	s_cbranch_execnz .LBB231_1370
.LBB231_1351:
	s_cmp_lt_i32 s2, 2
	s_cbranch_scc1 .LBB231_1355
; %bb.1352:
	s_cmp_lt_i32 s2, 3
	s_cbranch_scc1 .LBB231_1356
; %bb.1353:
	s_cmp_gt_i32 s2, 3
	s_cbranch_scc0 .LBB231_1357
; %bb.1354:
	global_load_dwordx2 v[11:12], v[14:15], off
	s_mov_b64 s[0:1], 0
	s_branch .LBB231_1358
.LBB231_1355:
	s_mov_b64 s[0:1], -1
                                        ; implicit-def: $vgpr11
	s_branch .LBB231_1364
.LBB231_1356:
	s_mov_b64 s[0:1], -1
                                        ; implicit-def: $vgpr11
	s_branch .LBB231_1361
.LBB231_1357:
	s_mov_b64 s[0:1], -1
                                        ; implicit-def: $vgpr11
.LBB231_1358:
	s_andn2_b64 vcc, exec, s[0:1]
	s_cbranch_vccnz .LBB231_1360
; %bb.1359:
	global_load_dword v11, v[14:15], off
.LBB231_1360:
	s_mov_b64 s[0:1], 0
.LBB231_1361:
	s_andn2_b64 vcc, exec, s[0:1]
	s_cbranch_vccnz .LBB231_1363
; %bb.1362:
	global_load_ushort v11, v[14:15], off
.LBB231_1363:
	s_mov_b64 s[0:1], 0
.LBB231_1364:
	s_andn2_b64 vcc, exec, s[0:1]
	s_cbranch_vccnz .LBB231_1370
; %bb.1365:
	s_cmp_gt_i32 s2, 0
	s_cbranch_scc0 .LBB231_1367
; %bb.1366:
	global_load_sbyte v11, v[14:15], off
	s_mov_b64 s[0:1], 0
	s_branch .LBB231_1368
.LBB231_1367:
	s_mov_b64 s[0:1], -1
                                        ; implicit-def: $vgpr11
.LBB231_1368:
	s_andn2_b64 vcc, exec, s[0:1]
	s_cbranch_vccnz .LBB231_1370
; %bb.1369:
	global_load_ubyte v11, v[14:15], off
.LBB231_1370:
.LBB231_1371:
	v_mov_b32_e32 v1, s11
	v_add_co_u32_e32 v14, vcc, s10, v9
	s_cmp_lt_i32 s16, 11
	v_addc_co_u32_e32 v15, vcc, 0, v1, vcc
	s_cbranch_scc1 .LBB231_1378
; %bb.1372:
	s_and_b32 s17, 0xffff, s16
	s_cmp_gt_i32 s17, 25
	s_mov_b64 s[2:3], 0
	s_cbranch_scc0 .LBB231_1380
; %bb.1373:
	s_cmp_gt_i32 s17, 28
	s_cbranch_scc0 .LBB231_1381
; %bb.1374:
	s_cmp_gt_i32 s17, 43
	;; [unrolled: 3-line block ×3, first 2 shown]
	s_cbranch_scc0 .LBB231_1384
; %bb.1376:
	s_cmp_eq_u32 s17, 46
	s_mov_b64 s[14:15], 0
	s_cbranch_scc0 .LBB231_1385
; %bb.1377:
	global_load_dword v1, v[14:15], off
	s_mov_b64 s[0:1], 0
	s_mov_b64 s[6:7], -1
	s_waitcnt vmcnt(0)
	v_lshlrev_b32_e32 v1, 16, v1
	v_cvt_i32_f32_e32 v9, v1
	s_branch .LBB231_1386
.LBB231_1378:
	s_mov_b64 s[6:7], 0
                                        ; implicit-def: $vgpr9
	s_cbranch_execnz .LBB231_1448
.LBB231_1379:
	s_andn2_b64 vcc, exec, s[6:7]
	s_cbranch_vccnz .LBB231_2055
	s_branch .LBB231_1496
.LBB231_1380:
	s_mov_b64 s[14:15], -1
	s_mov_b64 s[6:7], 0
	s_mov_b64 s[0:1], 0
                                        ; implicit-def: $vgpr9
	s_branch .LBB231_1413
.LBB231_1381:
	s_mov_b64 s[14:15], -1
	s_mov_b64 s[6:7], 0
	s_mov_b64 s[0:1], 0
                                        ; implicit-def: $vgpr9
	s_branch .LBB231_1396
.LBB231_1382:
	s_mov_b64 s[14:15], -1
	s_mov_b64 s[6:7], 0
	s_mov_b64 s[0:1], 0
                                        ; implicit-def: $vgpr9
	s_branch .LBB231_1391
.LBB231_1383:
	s_trap 2
	s_or_b64 s[12:13], s[12:13], exec
	s_cbranch_execz .LBB231_1322
	s_branch .LBB231_1323
.LBB231_1384:
	s_mov_b64 s[14:15], -1
	s_mov_b64 s[6:7], 0
	s_mov_b64 s[0:1], 0
                                        ; implicit-def: $vgpr9
	s_branch .LBB231_1386
.LBB231_1385:
	s_mov_b64 s[0:1], -1
                                        ; implicit-def: $vgpr9
	s_mov_b64 s[6:7], 0
.LBB231_1386:
	s_and_b64 vcc, exec, s[14:15]
	s_cbranch_vccz .LBB231_1390
; %bb.1387:
	s_cmp_eq_u32 s17, 44
	s_cbranch_scc0 .LBB231_1389
; %bb.1388:
	global_load_ubyte v1, v[14:15], off
	s_mov_b64 s[0:1], 0
	s_mov_b64 s[6:7], -1
	s_waitcnt vmcnt(0)
	v_lshlrev_b32_e32 v3, 23, v1
	v_cvt_i32_f32_e32 v3, v3
	v_cmp_ne_u32_e32 vcc, 0, v1
	v_cndmask_b32_e32 v9, 0, v3, vcc
	s_branch .LBB231_1390
.LBB231_1389:
	s_mov_b64 s[0:1], -1
                                        ; implicit-def: $vgpr9
.LBB231_1390:
	s_mov_b64 s[14:15], 0
.LBB231_1391:
	s_and_b64 vcc, exec, s[14:15]
	s_cbranch_vccz .LBB231_1395
; %bb.1392:
	s_cmp_eq_u32 s17, 29
	s_cbranch_scc0 .LBB231_1394
; %bb.1393:
	global_load_dwordx2 v[9:10], v[14:15], off
	s_mov_b64 s[0:1], 0
	s_mov_b64 s[6:7], -1
	s_branch .LBB231_1395
.LBB231_1394:
	s_mov_b64 s[0:1], -1
                                        ; implicit-def: $vgpr9
.LBB231_1395:
	s_mov_b64 s[14:15], 0
.LBB231_1396:
	s_and_b64 vcc, exec, s[14:15]
	s_cbranch_vccz .LBB231_1412
; %bb.1397:
	s_cmp_lt_i32 s17, 27
	s_cbranch_scc1 .LBB231_1400
; %bb.1398:
	s_cmp_gt_i32 s17, 27
	s_cbranch_scc0 .LBB231_1401
; %bb.1399:
	global_load_dword v9, v[14:15], off
	s_mov_b64 s[6:7], 0
	s_branch .LBB231_1402
.LBB231_1400:
	s_mov_b64 s[6:7], -1
                                        ; implicit-def: $vgpr9
	s_branch .LBB231_1405
.LBB231_1401:
	s_mov_b64 s[6:7], -1
                                        ; implicit-def: $vgpr9
.LBB231_1402:
	s_andn2_b64 vcc, exec, s[6:7]
	s_cbranch_vccnz .LBB231_1404
; %bb.1403:
	global_load_ushort v9, v[14:15], off
.LBB231_1404:
	s_mov_b64 s[6:7], 0
.LBB231_1405:
	s_andn2_b64 vcc, exec, s[6:7]
	s_cbranch_vccnz .LBB231_1411
; %bb.1406:
	global_load_ubyte v1, v[14:15], off
	s_movk_i32 s6, 0x7f
	s_mov_b64 s[14:15], 0
	s_waitcnt vmcnt(0)
	v_cmp_lt_i16_e32 vcc, s6, v1
	s_and_saveexec_b64 s[6:7], vcc
	s_xor_b64 s[6:7], exec, s[6:7]
	s_cbranch_execz .LBB231_1423
; %bb.1407:
	s_movk_i32 s14, 0x80
	v_cmp_ne_u16_e32 vcc, s14, v1
	s_and_b64 s[14:15], vcc, exec
	s_andn2_saveexec_b64 s[6:7], s[6:7]
	s_cbranch_execnz .LBB231_1424
.LBB231_1408:
	s_or_b64 exec, exec, s[6:7]
	v_mov_b32_e32 v9, 0
	s_and_saveexec_b64 s[6:7], s[14:15]
	s_cbranch_execz .LBB231_1410
.LBB231_1409:
	v_lshlrev_b32_e32 v3, 24, v1
	v_and_b32_e32 v1, 0xffff, v1
	v_and_b32_e32 v5, 7, v1
	v_ffbh_u32_e32 v9, v5
	v_min_u32_e32 v9, 32, v9
	v_subrev_u32_e32 v10, 28, v9
	v_bfe_u32 v8, v1, 3, 4
	v_lshlrev_b32_e32 v1, v10, v1
	v_sub_u32_e32 v9, 29, v9
	v_and_b32_e32 v1, 7, v1
	v_cmp_eq_u32_e32 vcc, 0, v8
	v_cndmask_b32_e32 v8, v8, v9, vcc
	v_cndmask_b32_e32 v1, v5, v1, vcc
	v_mov_b32_e32 v5, 0x3b800000
	v_lshlrev_b32_e32 v1, 20, v1
	v_and_b32_e32 v3, 0x80000000, v3
	v_lshl_add_u32 v5, v8, 23, v5
	v_or3_b32 v1, v3, v5, v1
	v_cvt_i32_f32_e32 v9, v1
.LBB231_1410:
	s_or_b64 exec, exec, s[6:7]
.LBB231_1411:
	s_mov_b64 s[6:7], -1
.LBB231_1412:
	s_mov_b64 s[14:15], 0
.LBB231_1413:
	s_and_b64 vcc, exec, s[14:15]
	s_cbranch_vccz .LBB231_1444
; %bb.1414:
	s_cmp_gt_i32 s17, 22
	s_cbranch_scc0 .LBB231_1422
; %bb.1415:
	s_cmp_lt_i32 s17, 24
	s_cbranch_scc1 .LBB231_1425
; %bb.1416:
	s_cmp_gt_i32 s17, 24
	s_cbranch_scc0 .LBB231_1426
; %bb.1417:
	global_load_ubyte v1, v[14:15], off
	s_movk_i32 s2, 0x7f
	s_mov_b64 s[6:7], 0
	s_waitcnt vmcnt(0)
	v_cmp_lt_i16_e32 vcc, s2, v1
	s_and_saveexec_b64 s[2:3], vcc
	s_xor_b64 s[2:3], exec, s[2:3]
	s_cbranch_execz .LBB231_1438
; %bb.1418:
	s_movk_i32 s6, 0x80
	v_cmp_ne_u16_e32 vcc, s6, v1
	s_and_b64 s[6:7], vcc, exec
	s_andn2_saveexec_b64 s[2:3], s[2:3]
	s_cbranch_execnz .LBB231_1439
.LBB231_1419:
	s_or_b64 exec, exec, s[2:3]
	v_mov_b32_e32 v9, 0
	s_and_saveexec_b64 s[2:3], s[6:7]
	s_cbranch_execz .LBB231_1421
.LBB231_1420:
	v_lshlrev_b32_e32 v3, 24, v1
	v_and_b32_e32 v1, 0xffff, v1
	v_and_b32_e32 v5, 3, v1
	v_ffbh_u32_e32 v9, v5
	v_min_u32_e32 v9, 32, v9
	v_subrev_u32_e32 v10, 29, v9
	v_bfe_u32 v8, v1, 2, 5
	v_lshlrev_b32_e32 v1, v10, v1
	v_sub_u32_e32 v9, 30, v9
	v_and_b32_e32 v1, 3, v1
	v_cmp_eq_u32_e32 vcc, 0, v8
	v_cndmask_b32_e32 v8, v8, v9, vcc
	v_cndmask_b32_e32 v1, v5, v1, vcc
	v_mov_b32_e32 v5, 0x37800000
	v_lshlrev_b32_e32 v1, 21, v1
	v_and_b32_e32 v3, 0x80000000, v3
	v_lshl_add_u32 v5, v8, 23, v5
	v_or3_b32 v1, v3, v5, v1
	v_cvt_i32_f32_e32 v9, v1
.LBB231_1421:
	s_or_b64 exec, exec, s[2:3]
	s_mov_b64 s[2:3], 0
	s_branch .LBB231_1427
.LBB231_1422:
	s_mov_b64 s[2:3], -1
                                        ; implicit-def: $vgpr9
	s_branch .LBB231_1433
.LBB231_1423:
	s_andn2_saveexec_b64 s[6:7], s[6:7]
	s_cbranch_execz .LBB231_1408
.LBB231_1424:
	v_cmp_ne_u16_e32 vcc, 0, v1
	s_andn2_b64 s[14:15], s[14:15], exec
	s_and_b64 s[18:19], vcc, exec
	s_or_b64 s[14:15], s[14:15], s[18:19]
	s_or_b64 exec, exec, s[6:7]
	v_mov_b32_e32 v9, 0
	s_and_saveexec_b64 s[6:7], s[14:15]
	s_cbranch_execnz .LBB231_1409
	s_branch .LBB231_1410
.LBB231_1425:
	s_mov_b64 s[2:3], -1
                                        ; implicit-def: $vgpr9
	s_branch .LBB231_1430
.LBB231_1426:
	s_mov_b64 s[2:3], -1
                                        ; implicit-def: $vgpr9
.LBB231_1427:
	s_and_b64 vcc, exec, s[2:3]
	s_cbranch_vccz .LBB231_1429
; %bb.1428:
	global_load_ubyte v1, v[14:15], off
	s_mov_b32 s2, 0x7f800000
	s_waitcnt vmcnt(0)
	v_lshlrev_b32_e32 v1, 24, v1
	v_and_b32_e32 v3, 0x7f000000, v1
	v_ffbh_u32_e32 v5, v3
	v_min_u32_e32 v5, 32, v5
	v_sub_u32_e64 v5, v5, 4 clamp
	v_lshlrev_b32_e32 v9, v5, v3
	v_lshlrev_b32_e32 v5, 23, v5
	v_lshrrev_b32_e32 v9, 4, v9
	v_add_u32_e32 v8, 0x1000000, v3
	v_sub_u32_e32 v5, v9, v5
	v_ashrrev_i32_e32 v8, 8, v8
	v_add_u32_e32 v5, 0x3c000000, v5
	v_and_or_b32 v5, v8, s2, v5
	v_cmp_ne_u32_e32 vcc, 0, v3
	v_cndmask_b32_e32 v3, 0, v5, vcc
	s_brev_b32 s2, 1
	v_and_or_b32 v1, v1, s2, v3
	v_cvt_i32_f32_e32 v9, v1
.LBB231_1429:
	s_mov_b64 s[2:3], 0
.LBB231_1430:
	s_andn2_b64 vcc, exec, s[2:3]
	s_cbranch_vccnz .LBB231_1432
; %bb.1431:
	global_load_ubyte v1, v[14:15], off
	s_movk_i32 s2, 0x7f00
	s_brev_b32 s3, 16
	s_waitcnt vmcnt(0)
	v_lshlrev_b16_e32 v3, 8, v1
	v_lshlrev_b32_e32 v1, 25, v1
	v_lshrrev_b32_e32 v5, 4, v1
	v_and_or_b32 v8, v3, s2, 0.5
	v_or_b32_e32 v5, 0x70000000, v5
	v_add_f32_e32 v8, -0.5, v8
	v_mul_f32_e32 v5, 0x7800000, v5
	v_cmp_gt_u32_e32 vcc, s3, v1
	v_bfe_i32 v3, v3, 0, 16
	v_cndmask_b32_e32 v1, v5, v8, vcc
	s_brev_b32 s2, 1
	v_and_or_b32 v1, v3, s2, v1
	v_cvt_i32_f32_e32 v9, v1
.LBB231_1432:
	s_mov_b64 s[2:3], 0
	s_mov_b64 s[6:7], -1
.LBB231_1433:
	s_andn2_b64 vcc, exec, s[2:3]
	s_mov_b64 s[2:3], 0
	s_cbranch_vccnz .LBB231_1444
; %bb.1434:
	s_cmp_gt_i32 s17, 14
	s_cbranch_scc0 .LBB231_1437
; %bb.1435:
	s_cmp_eq_u32 s17, 15
	s_cbranch_scc0 .LBB231_1440
; %bb.1436:
	global_load_ushort v1, v[14:15], off
	s_mov_b64 s[0:1], 0
	s_mov_b64 s[6:7], -1
	s_waitcnt vmcnt(0)
	v_lshlrev_b32_e32 v1, 16, v1
	v_cvt_i32_f32_e32 v9, v1
	s_branch .LBB231_1441
.LBB231_1437:
	s_mov_b64 s[14:15], -1
                                        ; implicit-def: $vgpr9
	s_branch .LBB231_1442
.LBB231_1438:
	s_andn2_saveexec_b64 s[2:3], s[2:3]
	s_cbranch_execz .LBB231_1419
.LBB231_1439:
	v_cmp_ne_u16_e32 vcc, 0, v1
	s_andn2_b64 s[6:7], s[6:7], exec
	s_and_b64 s[14:15], vcc, exec
	s_or_b64 s[6:7], s[6:7], s[14:15]
	s_or_b64 exec, exec, s[2:3]
	v_mov_b32_e32 v9, 0
	s_and_saveexec_b64 s[2:3], s[6:7]
	s_cbranch_execnz .LBB231_1420
	s_branch .LBB231_1421
.LBB231_1440:
	s_mov_b64 s[0:1], -1
                                        ; implicit-def: $vgpr9
.LBB231_1441:
	s_mov_b64 s[14:15], 0
.LBB231_1442:
	s_and_b64 vcc, exec, s[14:15]
	s_cbranch_vccz .LBB231_1444
; %bb.1443:
	s_cmp_lg_u32 s17, 11
	s_mov_b64 s[2:3], -1
	s_cselect_b64 s[0:1], -1, 0
.LBB231_1444:
	s_and_b64 vcc, exec, s[0:1]
	s_cbranch_vccnz .LBB231_1507
; %bb.1445:
	s_andn2_b64 vcc, exec, s[2:3]
	s_cbranch_vccnz .LBB231_1447
.LBB231_1446:
	global_load_ubyte v1, v[14:15], off
	s_mov_b64 s[6:7], -1
	s_waitcnt vmcnt(0)
	v_cmp_ne_u16_e32 vcc, 0, v1
	v_cndmask_b32_e64 v9, 0, 1, vcc
.LBB231_1447:
	s_branch .LBB231_1379
.LBB231_1448:
	s_and_b32 s2, 0xffff, s16
	s_cmp_lt_i32 s2, 5
	s_cbranch_scc1 .LBB231_1453
; %bb.1449:
	s_cmp_lt_i32 s2, 8
	s_cbranch_scc1 .LBB231_1454
; %bb.1450:
	s_cmp_lt_i32 s2, 9
	s_cbranch_scc1 .LBB231_1455
; %bb.1451:
	s_cmp_gt_i32 s2, 9
	s_cbranch_scc0 .LBB231_1456
; %bb.1452:
	global_load_dwordx2 v[8:9], v[14:15], off
	s_mov_b64 s[0:1], 0
	s_waitcnt vmcnt(0)
	v_cvt_i32_f64_e32 v9, v[8:9]
	s_branch .LBB231_1457
.LBB231_1453:
	s_mov_b64 s[0:1], -1
                                        ; implicit-def: $vgpr9
	s_branch .LBB231_1475
.LBB231_1454:
	s_mov_b64 s[0:1], -1
                                        ; implicit-def: $vgpr9
	s_branch .LBB231_1463
.LBB231_1455:
	s_mov_b64 s[0:1], -1
                                        ; implicit-def: $vgpr9
	s_branch .LBB231_1460
.LBB231_1456:
	s_mov_b64 s[0:1], -1
                                        ; implicit-def: $vgpr9
.LBB231_1457:
	s_andn2_b64 vcc, exec, s[0:1]
	s_cbranch_vccnz .LBB231_1459
; %bb.1458:
	global_load_dword v1, v[14:15], off
	s_waitcnt vmcnt(0)
	v_cvt_i32_f32_e32 v9, v1
.LBB231_1459:
	s_mov_b64 s[0:1], 0
.LBB231_1460:
	s_andn2_b64 vcc, exec, s[0:1]
	s_cbranch_vccnz .LBB231_1462
; %bb.1461:
	global_load_dword v1, v[14:15], off
	s_waitcnt vmcnt(0)
	v_cvt_i16_f16_e32 v9, v1
.LBB231_1462:
	s_mov_b64 s[0:1], 0
.LBB231_1463:
	s_andn2_b64 vcc, exec, s[0:1]
	s_cbranch_vccnz .LBB231_1474
; %bb.1464:
	s_cmp_lt_i32 s2, 6
	s_cbranch_scc1 .LBB231_1467
; %bb.1465:
	s_cmp_gt_i32 s2, 6
	s_cbranch_scc0 .LBB231_1468
; %bb.1466:
	global_load_dwordx2 v[8:9], v[14:15], off
	s_mov_b64 s[0:1], 0
	s_waitcnt vmcnt(0)
	v_cvt_i32_f64_e32 v9, v[8:9]
	s_branch .LBB231_1469
.LBB231_1467:
	s_mov_b64 s[0:1], -1
                                        ; implicit-def: $vgpr9
	s_branch .LBB231_1472
.LBB231_1468:
	s_mov_b64 s[0:1], -1
                                        ; implicit-def: $vgpr9
.LBB231_1469:
	s_andn2_b64 vcc, exec, s[0:1]
	s_cbranch_vccnz .LBB231_1471
; %bb.1470:
	global_load_dword v1, v[14:15], off
	s_waitcnt vmcnt(0)
	v_cvt_i32_f32_e32 v9, v1
.LBB231_1471:
	s_mov_b64 s[0:1], 0
.LBB231_1472:
	s_andn2_b64 vcc, exec, s[0:1]
	s_cbranch_vccnz .LBB231_1474
; %bb.1473:
	global_load_ushort v1, v[14:15], off
	s_waitcnt vmcnt(0)
	v_cvt_i16_f16_e32 v9, v1
.LBB231_1474:
	s_mov_b64 s[0:1], 0
.LBB231_1475:
	s_andn2_b64 vcc, exec, s[0:1]
	s_cbranch_vccnz .LBB231_1495
; %bb.1476:
	s_cmp_lt_i32 s2, 2
	s_cbranch_scc1 .LBB231_1480
; %bb.1477:
	s_cmp_lt_i32 s2, 3
	s_cbranch_scc1 .LBB231_1481
; %bb.1478:
	s_cmp_gt_i32 s2, 3
	s_cbranch_scc0 .LBB231_1482
; %bb.1479:
	global_load_dwordx2 v[9:10], v[14:15], off
	s_mov_b64 s[0:1], 0
	s_branch .LBB231_1483
.LBB231_1480:
	s_mov_b64 s[0:1], -1
                                        ; implicit-def: $vgpr9
	s_branch .LBB231_1489
.LBB231_1481:
	s_mov_b64 s[0:1], -1
                                        ; implicit-def: $vgpr9
	s_branch .LBB231_1486
.LBB231_1482:
	s_mov_b64 s[0:1], -1
                                        ; implicit-def: $vgpr9
.LBB231_1483:
	s_andn2_b64 vcc, exec, s[0:1]
	s_cbranch_vccnz .LBB231_1485
; %bb.1484:
	global_load_dword v9, v[14:15], off
.LBB231_1485:
	s_mov_b64 s[0:1], 0
.LBB231_1486:
	s_andn2_b64 vcc, exec, s[0:1]
	s_cbranch_vccnz .LBB231_1488
; %bb.1487:
	global_load_ushort v9, v[14:15], off
.LBB231_1488:
	s_mov_b64 s[0:1], 0
.LBB231_1489:
	s_andn2_b64 vcc, exec, s[0:1]
	s_cbranch_vccnz .LBB231_1495
; %bb.1490:
	s_cmp_gt_i32 s2, 0
	s_cbranch_scc0 .LBB231_1492
; %bb.1491:
	global_load_sbyte v9, v[14:15], off
	s_mov_b64 s[0:1], 0
	s_branch .LBB231_1493
.LBB231_1492:
	s_mov_b64 s[0:1], -1
                                        ; implicit-def: $vgpr9
.LBB231_1493:
	s_andn2_b64 vcc, exec, s[0:1]
	s_cbranch_vccnz .LBB231_1495
; %bb.1494:
	global_load_ubyte v9, v[14:15], off
.LBB231_1495:
.LBB231_1496:
	v_mov_b32_e32 v1, s11
	v_add_co_u32_e32 v14, vcc, s10, v7
	s_cmp_lt_i32 s16, 11
	v_addc_co_u32_e32 v15, vcc, 0, v1, vcc
	s_cbranch_scc1 .LBB231_1503
; %bb.1497:
	s_and_b32 s14, 0xffff, s16
	s_cmp_gt_i32 s14, 25
	s_mov_b64 s[2:3], 0
	s_cbranch_scc0 .LBB231_1504
; %bb.1498:
	s_cmp_gt_i32 s14, 28
	s_cbranch_scc0 .LBB231_1505
; %bb.1499:
	s_cmp_gt_i32 s14, 43
	;; [unrolled: 3-line block ×3, first 2 shown]
	s_cbranch_scc0 .LBB231_1508
; %bb.1501:
	s_cmp_eq_u32 s14, 46
	s_mov_b64 s[10:11], 0
	s_cbranch_scc0 .LBB231_1509
; %bb.1502:
	global_load_dword v1, v[14:15], off
	s_mov_b64 s[0:1], 0
	s_mov_b64 s[6:7], -1
	s_waitcnt vmcnt(0)
	v_lshlrev_b32_e32 v1, 16, v1
	v_cvt_i32_f32_e32 v7, v1
	s_branch .LBB231_1510
.LBB231_1503:
	s_mov_b64 s[0:1], -1
	s_mov_b64 s[6:7], 0
                                        ; implicit-def: $vgpr7
	s_branch .LBB231_1572
.LBB231_1504:
	s_mov_b64 s[10:11], -1
	s_mov_b64 s[6:7], 0
	s_mov_b64 s[0:1], 0
                                        ; implicit-def: $vgpr7
	s_branch .LBB231_1537
.LBB231_1505:
	s_mov_b64 s[10:11], -1
	s_mov_b64 s[6:7], 0
	s_mov_b64 s[0:1], 0
                                        ; implicit-def: $vgpr7
	s_branch .LBB231_1520
.LBB231_1506:
	s_mov_b64 s[10:11], -1
	s_mov_b64 s[6:7], 0
	s_mov_b64 s[0:1], 0
                                        ; implicit-def: $vgpr7
	s_branch .LBB231_1515
.LBB231_1507:
	s_trap 2
	s_or_b64 s[12:13], s[12:13], exec
	s_cbranch_execz .LBB231_1446
	s_branch .LBB231_1447
.LBB231_1508:
	s_mov_b64 s[10:11], -1
	s_mov_b64 s[6:7], 0
	s_mov_b64 s[0:1], 0
                                        ; implicit-def: $vgpr7
	s_branch .LBB231_1510
.LBB231_1509:
	s_mov_b64 s[0:1], -1
                                        ; implicit-def: $vgpr7
	s_mov_b64 s[6:7], 0
.LBB231_1510:
	s_and_b64 vcc, exec, s[10:11]
	s_cbranch_vccz .LBB231_1514
; %bb.1511:
	s_cmp_eq_u32 s14, 44
	s_cbranch_scc0 .LBB231_1513
; %bb.1512:
	global_load_ubyte v1, v[14:15], off
	s_mov_b64 s[0:1], 0
	s_mov_b64 s[6:7], -1
	s_waitcnt vmcnt(0)
	v_lshlrev_b32_e32 v3, 23, v1
	v_cvt_i32_f32_e32 v3, v3
	v_cmp_ne_u32_e32 vcc, 0, v1
	v_cndmask_b32_e32 v7, 0, v3, vcc
	s_branch .LBB231_1514
.LBB231_1513:
	s_mov_b64 s[0:1], -1
                                        ; implicit-def: $vgpr7
.LBB231_1514:
	s_mov_b64 s[10:11], 0
.LBB231_1515:
	s_and_b64 vcc, exec, s[10:11]
	s_cbranch_vccz .LBB231_1519
; %bb.1516:
	s_cmp_eq_u32 s14, 29
	s_cbranch_scc0 .LBB231_1518
; %bb.1517:
	global_load_dwordx2 v[7:8], v[14:15], off
	s_mov_b64 s[0:1], 0
	s_mov_b64 s[6:7], -1
	s_branch .LBB231_1519
.LBB231_1518:
	s_mov_b64 s[0:1], -1
                                        ; implicit-def: $vgpr7
.LBB231_1519:
	s_mov_b64 s[10:11], 0
.LBB231_1520:
	s_and_b64 vcc, exec, s[10:11]
	s_cbranch_vccz .LBB231_1536
; %bb.1521:
	s_cmp_lt_i32 s14, 27
	s_cbranch_scc1 .LBB231_1524
; %bb.1522:
	s_cmp_gt_i32 s14, 27
	s_cbranch_scc0 .LBB231_1525
; %bb.1523:
	global_load_dword v7, v[14:15], off
	s_mov_b64 s[6:7], 0
	s_branch .LBB231_1526
.LBB231_1524:
	s_mov_b64 s[6:7], -1
                                        ; implicit-def: $vgpr7
	s_branch .LBB231_1529
.LBB231_1525:
	s_mov_b64 s[6:7], -1
                                        ; implicit-def: $vgpr7
.LBB231_1526:
	s_andn2_b64 vcc, exec, s[6:7]
	s_cbranch_vccnz .LBB231_1528
; %bb.1527:
	global_load_ushort v7, v[14:15], off
.LBB231_1528:
	s_mov_b64 s[6:7], 0
.LBB231_1529:
	s_andn2_b64 vcc, exec, s[6:7]
	s_cbranch_vccnz .LBB231_1535
; %bb.1530:
	global_load_ubyte v1, v[14:15], off
	s_movk_i32 s6, 0x7f
	s_mov_b64 s[10:11], 0
	s_waitcnt vmcnt(0)
	v_cmp_lt_i16_e32 vcc, s6, v1
	s_and_saveexec_b64 s[6:7], vcc
	s_xor_b64 s[6:7], exec, s[6:7]
	s_cbranch_execz .LBB231_1547
; %bb.1531:
	s_movk_i32 s10, 0x80
	v_cmp_ne_u16_e32 vcc, s10, v1
	s_and_b64 s[10:11], vcc, exec
	s_andn2_saveexec_b64 s[6:7], s[6:7]
	s_cbranch_execnz .LBB231_1548
.LBB231_1532:
	s_or_b64 exec, exec, s[6:7]
	v_mov_b32_e32 v7, 0
	s_and_saveexec_b64 s[6:7], s[10:11]
	s_cbranch_execz .LBB231_1534
.LBB231_1533:
	v_lshlrev_b32_e32 v3, 24, v1
	v_and_b32_e32 v1, 0xffff, v1
	v_and_b32_e32 v5, 7, v1
	v_ffbh_u32_e32 v8, v5
	v_min_u32_e32 v8, 32, v8
	v_subrev_u32_e32 v10, 28, v8
	v_bfe_u32 v7, v1, 3, 4
	v_lshlrev_b32_e32 v1, v10, v1
	v_sub_u32_e32 v8, 29, v8
	v_and_b32_e32 v1, 7, v1
	v_cmp_eq_u32_e32 vcc, 0, v7
	v_cndmask_b32_e32 v7, v7, v8, vcc
	v_cndmask_b32_e32 v1, v5, v1, vcc
	v_mov_b32_e32 v5, 0x3b800000
	v_lshlrev_b32_e32 v1, 20, v1
	v_and_b32_e32 v3, 0x80000000, v3
	v_lshl_add_u32 v5, v7, 23, v5
	v_or3_b32 v1, v3, v5, v1
	v_cvt_i32_f32_e32 v7, v1
.LBB231_1534:
	s_or_b64 exec, exec, s[6:7]
.LBB231_1535:
	s_mov_b64 s[6:7], -1
.LBB231_1536:
	s_mov_b64 s[10:11], 0
.LBB231_1537:
	s_and_b64 vcc, exec, s[10:11]
	s_cbranch_vccz .LBB231_1568
; %bb.1538:
	s_cmp_gt_i32 s14, 22
	s_cbranch_scc0 .LBB231_1546
; %bb.1539:
	s_cmp_lt_i32 s14, 24
	s_cbranch_scc1 .LBB231_1549
; %bb.1540:
	s_cmp_gt_i32 s14, 24
	s_cbranch_scc0 .LBB231_1550
; %bb.1541:
	global_load_ubyte v1, v[14:15], off
	s_movk_i32 s2, 0x7f
	s_mov_b64 s[6:7], 0
	s_waitcnt vmcnt(0)
	v_cmp_lt_i16_e32 vcc, s2, v1
	s_and_saveexec_b64 s[2:3], vcc
	s_xor_b64 s[2:3], exec, s[2:3]
	s_cbranch_execz .LBB231_1562
; %bb.1542:
	s_movk_i32 s6, 0x80
	v_cmp_ne_u16_e32 vcc, s6, v1
	s_and_b64 s[6:7], vcc, exec
	s_andn2_saveexec_b64 s[2:3], s[2:3]
	s_cbranch_execnz .LBB231_1563
.LBB231_1543:
	s_or_b64 exec, exec, s[2:3]
	v_mov_b32_e32 v7, 0
	s_and_saveexec_b64 s[2:3], s[6:7]
	s_cbranch_execz .LBB231_1545
.LBB231_1544:
	v_lshlrev_b32_e32 v3, 24, v1
	v_and_b32_e32 v1, 0xffff, v1
	v_and_b32_e32 v5, 3, v1
	v_ffbh_u32_e32 v8, v5
	v_min_u32_e32 v8, 32, v8
	v_subrev_u32_e32 v10, 29, v8
	v_bfe_u32 v7, v1, 2, 5
	v_lshlrev_b32_e32 v1, v10, v1
	v_sub_u32_e32 v8, 30, v8
	v_and_b32_e32 v1, 3, v1
	v_cmp_eq_u32_e32 vcc, 0, v7
	v_cndmask_b32_e32 v7, v7, v8, vcc
	v_cndmask_b32_e32 v1, v5, v1, vcc
	v_mov_b32_e32 v5, 0x37800000
	v_lshlrev_b32_e32 v1, 21, v1
	v_and_b32_e32 v3, 0x80000000, v3
	v_lshl_add_u32 v5, v7, 23, v5
	v_or3_b32 v1, v3, v5, v1
	v_cvt_i32_f32_e32 v7, v1
.LBB231_1545:
	s_or_b64 exec, exec, s[2:3]
	s_mov_b64 s[2:3], 0
	s_branch .LBB231_1551
.LBB231_1546:
	s_mov_b64 s[2:3], -1
                                        ; implicit-def: $vgpr7
	s_branch .LBB231_1557
.LBB231_1547:
	s_andn2_saveexec_b64 s[6:7], s[6:7]
	s_cbranch_execz .LBB231_1532
.LBB231_1548:
	v_cmp_ne_u16_e32 vcc, 0, v1
	s_andn2_b64 s[10:11], s[10:11], exec
	s_and_b64 s[18:19], vcc, exec
	s_or_b64 s[10:11], s[10:11], s[18:19]
	s_or_b64 exec, exec, s[6:7]
	v_mov_b32_e32 v7, 0
	s_and_saveexec_b64 s[6:7], s[10:11]
	s_cbranch_execnz .LBB231_1533
	s_branch .LBB231_1534
.LBB231_1549:
	s_mov_b64 s[2:3], -1
                                        ; implicit-def: $vgpr7
	s_branch .LBB231_1554
.LBB231_1550:
	s_mov_b64 s[2:3], -1
                                        ; implicit-def: $vgpr7
.LBB231_1551:
	s_and_b64 vcc, exec, s[2:3]
	s_cbranch_vccz .LBB231_1553
; %bb.1552:
	global_load_ubyte v1, v[14:15], off
	s_mov_b32 s2, 0x7f800000
	s_waitcnt vmcnt(0)
	v_lshlrev_b32_e32 v1, 24, v1
	v_and_b32_e32 v3, 0x7f000000, v1
	v_ffbh_u32_e32 v5, v3
	v_min_u32_e32 v5, 32, v5
	v_sub_u32_e64 v5, v5, 4 clamp
	v_lshlrev_b32_e32 v8, v5, v3
	v_lshlrev_b32_e32 v5, 23, v5
	v_lshrrev_b32_e32 v8, 4, v8
	v_add_u32_e32 v7, 0x1000000, v3
	v_sub_u32_e32 v5, v8, v5
	v_ashrrev_i32_e32 v7, 8, v7
	v_add_u32_e32 v5, 0x3c000000, v5
	v_and_or_b32 v5, v7, s2, v5
	v_cmp_ne_u32_e32 vcc, 0, v3
	v_cndmask_b32_e32 v3, 0, v5, vcc
	s_brev_b32 s2, 1
	v_and_or_b32 v1, v1, s2, v3
	v_cvt_i32_f32_e32 v7, v1
.LBB231_1553:
	s_mov_b64 s[2:3], 0
.LBB231_1554:
	s_andn2_b64 vcc, exec, s[2:3]
	s_cbranch_vccnz .LBB231_1556
; %bb.1555:
	global_load_ubyte v1, v[14:15], off
	s_movk_i32 s2, 0x7f00
	s_brev_b32 s3, 16
	s_waitcnt vmcnt(0)
	v_lshlrev_b16_e32 v3, 8, v1
	v_lshlrev_b32_e32 v1, 25, v1
	v_lshrrev_b32_e32 v5, 4, v1
	v_and_or_b32 v7, v3, s2, 0.5
	v_or_b32_e32 v5, 0x70000000, v5
	v_add_f32_e32 v7, -0.5, v7
	v_mul_f32_e32 v5, 0x7800000, v5
	v_cmp_gt_u32_e32 vcc, s3, v1
	v_bfe_i32 v3, v3, 0, 16
	v_cndmask_b32_e32 v1, v5, v7, vcc
	s_brev_b32 s2, 1
	v_and_or_b32 v1, v3, s2, v1
	v_cvt_i32_f32_e32 v7, v1
.LBB231_1556:
	s_mov_b64 s[2:3], 0
	s_mov_b64 s[6:7], -1
.LBB231_1557:
	s_andn2_b64 vcc, exec, s[2:3]
	s_mov_b64 s[2:3], 0
	s_cbranch_vccnz .LBB231_1568
; %bb.1558:
	s_cmp_gt_i32 s14, 14
	s_cbranch_scc0 .LBB231_1561
; %bb.1559:
	s_cmp_eq_u32 s14, 15
	s_cbranch_scc0 .LBB231_1564
; %bb.1560:
	global_load_ushort v1, v[14:15], off
	s_mov_b64 s[0:1], 0
	s_mov_b64 s[6:7], -1
	s_waitcnt vmcnt(0)
	v_lshlrev_b32_e32 v1, 16, v1
	v_cvt_i32_f32_e32 v7, v1
	s_branch .LBB231_1565
.LBB231_1561:
	s_mov_b64 s[10:11], -1
                                        ; implicit-def: $vgpr7
	s_branch .LBB231_1566
.LBB231_1562:
	s_andn2_saveexec_b64 s[2:3], s[2:3]
	s_cbranch_execz .LBB231_1543
.LBB231_1563:
	v_cmp_ne_u16_e32 vcc, 0, v1
	s_andn2_b64 s[6:7], s[6:7], exec
	s_and_b64 s[10:11], vcc, exec
	s_or_b64 s[6:7], s[6:7], s[10:11]
	s_or_b64 exec, exec, s[2:3]
	v_mov_b32_e32 v7, 0
	s_and_saveexec_b64 s[2:3], s[6:7]
	s_cbranch_execnz .LBB231_1544
	s_branch .LBB231_1545
.LBB231_1564:
	s_mov_b64 s[0:1], -1
                                        ; implicit-def: $vgpr7
.LBB231_1565:
	s_mov_b64 s[10:11], 0
.LBB231_1566:
	s_and_b64 vcc, exec, s[10:11]
	s_cbranch_vccz .LBB231_1568
; %bb.1567:
	s_cmp_lg_u32 s14, 11
	s_mov_b64 s[2:3], -1
	s_cselect_b64 s[0:1], -1, 0
.LBB231_1568:
	s_and_b64 vcc, exec, s[0:1]
	s_cbranch_vccnz .LBB231_2101
; %bb.1569:
	s_andn2_b64 vcc, exec, s[2:3]
	s_cbranch_vccnz .LBB231_1571
.LBB231_1570:
	global_load_ubyte v1, v[14:15], off
	s_mov_b64 s[6:7], -1
	s_waitcnt vmcnt(0)
	v_cmp_ne_u16_e32 vcc, 0, v1
	v_cndmask_b32_e64 v7, 0, 1, vcc
.LBB231_1571:
	s_mov_b64 s[0:1], 0
.LBB231_1572:
	s_and_b64 vcc, exec, s[0:1]
	s_cbranch_vccz .LBB231_1621
; %bb.1573:
	s_and_b32 s2, 0xffff, s16
	s_cmp_lt_i32 s2, 5
	s_cbranch_scc1 .LBB231_1578
; %bb.1574:
	s_cmp_lt_i32 s2, 8
	s_cbranch_scc1 .LBB231_1579
; %bb.1575:
	s_cmp_lt_i32 s2, 9
	s_cbranch_scc1 .LBB231_1580
; %bb.1576:
	s_cmp_gt_i32 s2, 9
	s_cbranch_scc0 .LBB231_1581
; %bb.1577:
	global_load_dwordx2 v[7:8], v[14:15], off
	s_mov_b64 s[0:1], 0
	s_waitcnt vmcnt(0)
	v_cvt_i32_f64_e32 v7, v[7:8]
	s_branch .LBB231_1582
.LBB231_1578:
	s_mov_b64 s[0:1], -1
                                        ; implicit-def: $vgpr7
	s_branch .LBB231_1600
.LBB231_1579:
	s_mov_b64 s[0:1], -1
                                        ; implicit-def: $vgpr7
	s_branch .LBB231_1588
.LBB231_1580:
	s_mov_b64 s[0:1], -1
                                        ; implicit-def: $vgpr7
	s_branch .LBB231_1585
.LBB231_1581:
	s_mov_b64 s[0:1], -1
                                        ; implicit-def: $vgpr7
.LBB231_1582:
	s_andn2_b64 vcc, exec, s[0:1]
	s_cbranch_vccnz .LBB231_1584
; %bb.1583:
	global_load_dword v1, v[14:15], off
	s_waitcnt vmcnt(0)
	v_cvt_i32_f32_e32 v7, v1
.LBB231_1584:
	s_mov_b64 s[0:1], 0
.LBB231_1585:
	s_andn2_b64 vcc, exec, s[0:1]
	s_cbranch_vccnz .LBB231_1587
; %bb.1586:
	global_load_dword v1, v[14:15], off
	s_waitcnt vmcnt(0)
	v_cvt_i16_f16_e32 v7, v1
.LBB231_1587:
	s_mov_b64 s[0:1], 0
.LBB231_1588:
	s_andn2_b64 vcc, exec, s[0:1]
	s_cbranch_vccnz .LBB231_1599
; %bb.1589:
	s_cmp_lt_i32 s2, 6
	s_cbranch_scc1 .LBB231_1592
; %bb.1590:
	s_cmp_gt_i32 s2, 6
	s_cbranch_scc0 .LBB231_1593
; %bb.1591:
	global_load_dwordx2 v[7:8], v[14:15], off
	s_mov_b64 s[0:1], 0
	s_waitcnt vmcnt(0)
	v_cvt_i32_f64_e32 v7, v[7:8]
	s_branch .LBB231_1594
.LBB231_1592:
	s_mov_b64 s[0:1], -1
                                        ; implicit-def: $vgpr7
	s_branch .LBB231_1597
.LBB231_1593:
	s_mov_b64 s[0:1], -1
                                        ; implicit-def: $vgpr7
.LBB231_1594:
	s_andn2_b64 vcc, exec, s[0:1]
	s_cbranch_vccnz .LBB231_1596
; %bb.1595:
	global_load_dword v1, v[14:15], off
	s_waitcnt vmcnt(0)
	v_cvt_i32_f32_e32 v7, v1
.LBB231_1596:
	s_mov_b64 s[0:1], 0
.LBB231_1597:
	s_andn2_b64 vcc, exec, s[0:1]
	s_cbranch_vccnz .LBB231_1599
; %bb.1598:
	global_load_ushort v1, v[14:15], off
	s_waitcnt vmcnt(0)
	v_cvt_i16_f16_e32 v7, v1
.LBB231_1599:
	s_mov_b64 s[0:1], 0
.LBB231_1600:
	s_andn2_b64 vcc, exec, s[0:1]
	s_cbranch_vccnz .LBB231_1620
; %bb.1601:
	s_cmp_lt_i32 s2, 2
	s_cbranch_scc1 .LBB231_1605
; %bb.1602:
	s_cmp_lt_i32 s2, 3
	s_cbranch_scc1 .LBB231_1606
; %bb.1603:
	s_cmp_gt_i32 s2, 3
	s_cbranch_scc0 .LBB231_1607
; %bb.1604:
	global_load_dwordx2 v[7:8], v[14:15], off
	s_mov_b64 s[0:1], 0
	s_branch .LBB231_1608
.LBB231_1605:
	s_mov_b64 s[0:1], -1
                                        ; implicit-def: $vgpr7
	s_branch .LBB231_1614
.LBB231_1606:
	s_mov_b64 s[0:1], -1
                                        ; implicit-def: $vgpr7
	s_branch .LBB231_1611
.LBB231_1607:
	s_mov_b64 s[0:1], -1
                                        ; implicit-def: $vgpr7
.LBB231_1608:
	s_andn2_b64 vcc, exec, s[0:1]
	s_cbranch_vccnz .LBB231_1610
; %bb.1609:
	global_load_dword v7, v[14:15], off
.LBB231_1610:
	s_mov_b64 s[0:1], 0
.LBB231_1611:
	s_andn2_b64 vcc, exec, s[0:1]
	s_cbranch_vccnz .LBB231_1613
; %bb.1612:
	global_load_ushort v7, v[14:15], off
.LBB231_1613:
	s_mov_b64 s[0:1], 0
.LBB231_1614:
	s_andn2_b64 vcc, exec, s[0:1]
	s_cbranch_vccnz .LBB231_1620
; %bb.1615:
	s_cmp_gt_i32 s2, 0
	s_cbranch_scc0 .LBB231_1617
; %bb.1616:
	global_load_sbyte v7, v[14:15], off
	s_mov_b64 s[0:1], 0
	s_branch .LBB231_1618
.LBB231_1617:
	s_mov_b64 s[0:1], -1
                                        ; implicit-def: $vgpr7
.LBB231_1618:
	s_andn2_b64 vcc, exec, s[0:1]
	s_cbranch_vccnz .LBB231_1620
; %bb.1619:
	global_load_ubyte v7, v[14:15], off
.LBB231_1620:
	s_mov_b64 s[6:7], -1
.LBB231_1621:
	s_andn2_b64 vcc, exec, s[6:7]
	s_cbranch_vccnz .LBB231_2055
; %bb.1622:
	s_load_dword s0, s[4:5], 0x160
	s_load_dword s2, s[34:35], 0x15c
	v_ashrrev_i16_e32 v1, 15, v13
	v_add_co_u32_e32 v5, vcc, s8, v6
	s_waitcnt lgkmcnt(0)
	s_lshr_b32 s0, s0, 16
	s_and_b32 s17, 0xffff, s0
	s_cmp_gt_u32 s17, 14
	v_ashrrev_i32_sdwa v3, s17, sext(v13) dst_sel:DWORD dst_unused:UNUSED_PAD src0_sel:DWORD src1_sel:WORD_0
	s_cselect_b64 s[0:1], -1, 0
	s_and_b32 s16, s2, 0xff
	v_cndmask_b32_e64 v1, v3, v1, s[0:1]
	v_mov_b32_e32 v3, s9
	s_cmp_lt_i32 s16, 11
	v_addc_co_u32_e32 v6, vcc, 0, v3, vcc
	s_cbranch_scc1 .LBB231_1700
; %bb.1623:
	s_and_b32 s18, 0xffff, s16
	s_mov_b64 s[10:11], -1
	s_mov_b64 s[4:5], 0
	s_cmp_gt_i32 s18, 25
	s_mov_b64 s[6:7], 0
	s_mov_b64 s[2:3], 0
	s_cbranch_scc0 .LBB231_1656
; %bb.1624:
	s_cmp_gt_i32 s18, 28
	s_cbranch_scc0 .LBB231_1639
; %bb.1625:
	s_cmp_gt_i32 s18, 43
	;; [unrolled: 3-line block ×3, first 2 shown]
	s_cbranch_scc0 .LBB231_1629
; %bb.1627:
	s_mov_b64 s[2:3], -1
	s_mov_b64 s[10:11], 0
	s_cmp_eq_u32 s18, 46
	s_cbranch_scc0 .LBB231_1629
; %bb.1628:
	v_cvt_f32_i32_sdwa v3, sext(v1) dst_sel:DWORD dst_unused:UNUSED_PAD src0_sel:WORD_0
	s_movk_i32 s6, 0x7fff
	s_mov_b64 s[2:3], 0
	s_waitcnt vmcnt(0)
	v_bfe_u32 v8, v3, 16, 1
	v_add3_u32 v3, v3, v8, s6
	v_lshrrev_b32_e32 v3, 16, v3
	global_store_dword v[5:6], v3, off
	s_mov_b64 s[6:7], -1
.LBB231_1629:
	s_and_b64 vcc, exec, s[10:11]
	s_cbranch_vccz .LBB231_1634
; %bb.1630:
	s_cmp_eq_u32 s18, 44
	s_mov_b64 s[2:3], -1
	s_cbranch_scc0 .LBB231_1634
; %bb.1631:
	v_cvt_f32_i32_sdwa v3, sext(v1) dst_sel:DWORD dst_unused:UNUSED_PAD src0_sel:WORD_0
	s_movk_i32 s2, 0xff
	s_waitcnt vmcnt(0)
	v_mov_b32_e32 v10, 0xff
	v_bfe_u32 v8, v3, 23, 8
	v_cmp_ne_u32_e32 vcc, s2, v8
	s_and_saveexec_b64 s[6:7], vcc
; %bb.1632:
	s_mov_b32 s2, 0x3fffff
	v_lshrrev_b32_e32 v10, 23, v3
	v_and_b32_e32 v12, 0x400000, v3
	v_and_or_b32 v3, v3, s2, v8
	v_cmp_ne_u32_e32 vcc, 0, v12
	v_cmp_ne_u32_e64 s[2:3], 0, v3
	s_and_b64 s[2:3], vcc, s[2:3]
	v_cndmask_b32_e64 v3, 0, 1, s[2:3]
	v_add_u32_e32 v10, v10, v3
; %bb.1633:
	s_or_b64 exec, exec, s[6:7]
	s_mov_b64 s[2:3], 0
	s_mov_b64 s[6:7], -1
	global_store_byte v[5:6], v10, off
.LBB231_1634:
	s_mov_b64 s[10:11], 0
.LBB231_1635:
	s_and_b64 vcc, exec, s[10:11]
	s_cbranch_vccz .LBB231_1638
; %bb.1636:
	s_cmp_eq_u32 s18, 29
	s_mov_b64 s[2:3], -1
	s_cbranch_scc0 .LBB231_1638
; %bb.1637:
	s_waitcnt vmcnt(0)
	v_bfe_i32 v12, v1, 0, 16
	v_ashrrev_i32_e32 v13, 31, v12
	global_store_dwordx2 v[5:6], v[12:13], off
	s_mov_b64 s[2:3], 0
	s_mov_b64 s[6:7], -1
.LBB231_1638:
	s_mov_b64 s[10:11], 0
.LBB231_1639:
	s_and_b64 vcc, exec, s[10:11]
	s_cbranch_vccz .LBB231_1655
; %bb.1640:
	s_cmp_lt_i32 s18, 27
	s_mov_b64 s[6:7], -1
	s_cbranch_scc1 .LBB231_1646
; %bb.1641:
	s_cmp_gt_i32 s18, 27
	s_cbranch_scc0 .LBB231_1643
; %bb.1642:
	v_bfe_i32 v3, v1, 0, 16
	s_mov_b64 s[6:7], 0
	global_store_dword v[5:6], v3, off
.LBB231_1643:
	s_andn2_b64 vcc, exec, s[6:7]
	s_cbranch_vccnz .LBB231_1645
; %bb.1644:
	global_store_short v[5:6], v1, off
.LBB231_1645:
	s_mov_b64 s[6:7], 0
.LBB231_1646:
	s_andn2_b64 vcc, exec, s[6:7]
	s_cbranch_vccnz .LBB231_1654
; %bb.1647:
	v_cvt_f32_i32_sdwa v3, sext(v1) dst_sel:DWORD dst_unused:UNUSED_PAD src0_sel:WORD_0
	s_mov_b32 s6, 0x43800000
	s_waitcnt vmcnt(0)
	v_mov_b32_e32 v10, 0x80
	v_and_b32_e32 v8, 0x7fffffff, v3
	v_cmp_gt_u32_e32 vcc, s6, v8
	s_and_saveexec_b64 s[6:7], vcc
	s_cbranch_execz .LBB231_1653
; %bb.1648:
	s_mov_b32 s10, 0x3bffffff
	v_cmp_lt_u32_e32 vcc, s10, v8
	s_mov_b64 s[10:11], 0
                                        ; implicit-def: $vgpr8
	s_and_saveexec_b64 s[14:15], vcc
	s_xor_b64 s[14:15], exec, s[14:15]
	s_cbranch_execz .LBB231_2102
; %bb.1649:
	v_bfe_u32 v8, v3, 20, 1
	s_mov_b32 s19, 0x487ffff
	v_add3_u32 v8, v3, v8, s19
	s_mov_b64 s[10:11], exec
	v_lshrrev_b32_e32 v8, 20, v8
	s_andn2_saveexec_b64 s[14:15], s[14:15]
	s_cbranch_execnz .LBB231_2103
.LBB231_1650:
	s_or_b64 exec, exec, s[14:15]
	v_mov_b32_e32 v10, 0
	s_and_saveexec_b64 s[14:15], s[10:11]
.LBB231_1651:
	v_lshrrev_b32_e32 v3, 24, v3
	s_movk_i32 s10, 0x80
	v_and_or_b32 v10, v3, s10, v8
.LBB231_1652:
	s_or_b64 exec, exec, s[14:15]
.LBB231_1653:
	s_or_b64 exec, exec, s[6:7]
	global_store_byte v[5:6], v10, off
.LBB231_1654:
	s_mov_b64 s[6:7], -1
.LBB231_1655:
	s_mov_b64 s[10:11], 0
.LBB231_1656:
	s_and_b64 vcc, exec, s[10:11]
	s_cbranch_vccz .LBB231_1696
; %bb.1657:
	s_cmp_gt_i32 s18, 22
	s_mov_b64 s[4:5], -1
	s_cbranch_scc0 .LBB231_1689
; %bb.1658:
	s_cmp_lt_i32 s18, 24
	s_cbranch_scc1 .LBB231_1678
; %bb.1659:
	s_cmp_gt_i32 s18, 24
	s_cbranch_scc0 .LBB231_1667
; %bb.1660:
	v_cvt_f32_i32_sdwa v3, sext(v1) dst_sel:DWORD dst_unused:UNUSED_PAD src0_sel:WORD_0
	s_mov_b32 s4, 0x47800000
	s_waitcnt vmcnt(0)
	v_mov_b32_e32 v10, 0x80
	v_and_b32_e32 v8, 0x7fffffff, v3
	v_cmp_gt_u32_e32 vcc, s4, v8
	s_and_saveexec_b64 s[4:5], vcc
	s_cbranch_execz .LBB231_1666
; %bb.1661:
	s_mov_b32 s6, 0x37ffffff
	v_cmp_lt_u32_e32 vcc, s6, v8
	s_mov_b64 s[6:7], 0
                                        ; implicit-def: $vgpr8
	s_and_saveexec_b64 s[10:11], vcc
	s_xor_b64 s[10:11], exec, s[10:11]
	s_cbranch_execz .LBB231_2105
; %bb.1662:
	v_bfe_u32 v8, v3, 21, 1
	s_mov_b32 s14, 0x88fffff
	v_add3_u32 v8, v3, v8, s14
	s_mov_b64 s[6:7], exec
	v_lshrrev_b32_e32 v8, 21, v8
	s_andn2_saveexec_b64 s[10:11], s[10:11]
	s_cbranch_execnz .LBB231_2106
.LBB231_1663:
	s_or_b64 exec, exec, s[10:11]
	v_mov_b32_e32 v10, 0
	s_and_saveexec_b64 s[10:11], s[6:7]
.LBB231_1664:
	v_lshrrev_b32_e32 v3, 24, v3
	s_movk_i32 s6, 0x80
	v_and_or_b32 v10, v3, s6, v8
.LBB231_1665:
	s_or_b64 exec, exec, s[10:11]
.LBB231_1666:
	s_or_b64 exec, exec, s[4:5]
	s_mov_b64 s[4:5], 0
	global_store_byte v[5:6], v10, off
.LBB231_1667:
	s_and_b64 vcc, exec, s[4:5]
	s_cbranch_vccz .LBB231_1677
; %bb.1668:
	v_cvt_f32_i32_sdwa v3, sext(v1) dst_sel:DWORD dst_unused:UNUSED_PAD src0_sel:WORD_0
	s_mov_b32 s4, 0x43f00000
                                        ; implicit-def: $vgpr8
	s_waitcnt vmcnt(0)
	v_and_b32_e32 v10, 0x7fffffff, v3
	v_cmp_gt_u32_e32 vcc, s4, v10
	s_and_saveexec_b64 s[4:5], vcc
	s_xor_b64 s[4:5], exec, s[4:5]
	s_cbranch_execz .LBB231_1674
; %bb.1669:
	s_mov_b32 s6, 0x3c7fffff
	v_cmp_lt_u32_e32 vcc, s6, v10
                                        ; implicit-def: $vgpr8
	s_and_saveexec_b64 s[6:7], vcc
	s_xor_b64 s[6:7], exec, s[6:7]
; %bb.1670:
	v_bfe_u32 v8, v3, 20, 1
	s_mov_b32 s10, 0x407ffff
	v_add3_u32 v8, v3, v8, s10
	v_lshrrev_b32_e32 v10, 20, v8
	v_and_b32_e32 v8, 0xff00000, v8
	s_mov_b32 s10, 0x7f00000
	v_mov_b32_e32 v12, 0x7e
	v_cmp_ne_u32_e32 vcc, s10, v8
	v_cndmask_b32_e32 v8, v12, v10, vcc
; %bb.1671:
	s_andn2_saveexec_b64 s[6:7], s[6:7]
; %bb.1672:
	s_mov_b32 s10, 0x46800000
	v_add_f32_e64 v8, |v3|, s10
; %bb.1673:
	s_or_b64 exec, exec, s[6:7]
                                        ; implicit-def: $vgpr10
.LBB231_1674:
	s_andn2_saveexec_b64 s[4:5], s[4:5]
; %bb.1675:
	s_mov_b32 s6, 0x7f800000
	v_mov_b32_e32 v8, 0x7e
	v_mov_b32_e32 v12, 0x7f
	v_cmp_lt_u32_e32 vcc, s6, v10
	v_cndmask_b32_e32 v8, v8, v12, vcc
; %bb.1676:
	s_or_b64 exec, exec, s[4:5]
	v_lshrrev_b32_e32 v3, 24, v3
	s_movk_i32 s4, 0x80
	v_and_or_b32 v3, v3, s4, v8
	global_store_byte v[5:6], v3, off
.LBB231_1677:
	s_mov_b64 s[4:5], 0
.LBB231_1678:
	s_andn2_b64 vcc, exec, s[4:5]
	s_cbranch_vccnz .LBB231_1688
; %bb.1679:
	v_cvt_f32_i32_sdwa v3, sext(v1) dst_sel:DWORD dst_unused:UNUSED_PAD src0_sel:WORD_0
	s_mov_b32 s4, 0x47800000
                                        ; implicit-def: $vgpr8
	s_waitcnt vmcnt(0)
	v_and_b32_e32 v10, 0x7fffffff, v3
	v_cmp_gt_u32_e32 vcc, s4, v10
	s_and_saveexec_b64 s[4:5], vcc
	s_xor_b64 s[4:5], exec, s[4:5]
	s_cbranch_execz .LBB231_1685
; %bb.1680:
	s_mov_b32 s6, 0x387fffff
	v_cmp_lt_u32_e32 vcc, s6, v10
                                        ; implicit-def: $vgpr8
	s_and_saveexec_b64 s[6:7], vcc
	s_xor_b64 s[6:7], exec, s[6:7]
; %bb.1681:
	v_bfe_u32 v8, v3, 21, 1
	s_mov_b32 s10, 0x80fffff
	v_add3_u32 v8, v3, v8, s10
	v_lshrrev_b32_e32 v8, 21, v8
; %bb.1682:
	s_andn2_saveexec_b64 s[6:7], s[6:7]
; %bb.1683:
	s_mov_b32 s10, 0x43000000
	v_add_f32_e64 v8, |v3|, s10
; %bb.1684:
	s_or_b64 exec, exec, s[6:7]
                                        ; implicit-def: $vgpr10
.LBB231_1685:
	s_andn2_saveexec_b64 s[4:5], s[4:5]
; %bb.1686:
	s_mov_b32 s6, 0x7f800000
	v_mov_b32_e32 v8, 0x7c
	v_mov_b32_e32 v12, 0x7f
	v_cmp_lt_u32_e32 vcc, s6, v10
	v_cndmask_b32_e32 v8, v8, v12, vcc
; %bb.1687:
	s_or_b64 exec, exec, s[4:5]
	v_lshrrev_b32_e32 v3, 24, v3
	s_movk_i32 s4, 0x80
	v_and_or_b32 v3, v3, s4, v8
	global_store_byte v[5:6], v3, off
.LBB231_1688:
	s_mov_b64 s[4:5], 0
	s_mov_b64 s[6:7], -1
.LBB231_1689:
	s_andn2_b64 vcc, exec, s[4:5]
	s_mov_b64 s[4:5], 0
	s_cbranch_vccnz .LBB231_1696
; %bb.1690:
	s_cmp_gt_i32 s18, 14
	s_mov_b64 s[10:11], -1
	s_cbranch_scc0 .LBB231_1694
; %bb.1691:
	s_cmp_eq_u32 s18, 15
	s_mov_b64 s[2:3], -1
	s_cbranch_scc0 .LBB231_1693
; %bb.1692:
	v_cvt_f32_i32_sdwa v3, sext(v1) dst_sel:DWORD dst_unused:UNUSED_PAD src0_sel:WORD_0
	s_movk_i32 s4, 0x7fff
	s_mov_b64 s[2:3], 0
	s_mov_b64 s[6:7], -1
	s_waitcnt vmcnt(0)
	v_bfe_u32 v8, v3, 16, 1
	v_add3_u32 v3, v3, v8, s4
	global_store_short_d16_hi v[5:6], v3, off
.LBB231_1693:
	s_mov_b64 s[10:11], 0
.LBB231_1694:
	s_mov_b64 s[4:5], 0
	s_and_b64 vcc, exec, s[10:11]
	s_cbranch_vccz .LBB231_1696
; %bb.1695:
	s_cmp_lg_u32 s18, 11
	s_mov_b64 s[4:5], -1
	s_cselect_b64 s[2:3], -1, 0
.LBB231_1696:
	s_and_b64 vcc, exec, s[2:3]
	s_cbranch_vccnz .LBB231_2104
; %bb.1697:
	s_andn2_b64 vcc, exec, s[4:5]
	s_cbranch_vccnz .LBB231_1699
.LBB231_1698:
	v_cmp_ne_u16_e32 vcc, 0, v1
	v_cndmask_b32_e64 v3, 0, 1, vcc
	s_mov_b64 s[6:7], -1
	global_store_byte v[5:6], v3, off
.LBB231_1699:
	s_mov_b64 s[2:3], 0
	s_branch .LBB231_1701
.LBB231_1700:
	s_mov_b64 s[2:3], -1
	s_mov_b64 s[6:7], 0
.LBB231_1701:
	s_and_b64 vcc, exec, s[2:3]
	s_cbranch_vccz .LBB231_1740
; %bb.1702:
	s_and_b32 s4, 0xffff, s16
	s_cmp_lt_i32 s4, 5
	s_mov_b64 s[2:3], -1
	s_cbranch_scc1 .LBB231_1723
; %bb.1703:
	s_cmp_lt_i32 s4, 8
	s_cbranch_scc1 .LBB231_1713
; %bb.1704:
	s_cmp_lt_i32 s4, 9
	s_cbranch_scc1 .LBB231_1710
; %bb.1705:
	s_cmp_gt_i32 s4, 9
	s_cbranch_scc0 .LBB231_1707
; %bb.1706:
	v_bfe_i32 v3, v1, 0, 16
	s_waitcnt vmcnt(0)
	v_cvt_f64_i32_e32 v[12:13], v3
	v_mov_b32_e32 v14, 0
	v_mov_b32_e32 v15, v14
	s_mov_b64 s[2:3], 0
	global_store_dwordx4 v[5:6], v[12:15], off
.LBB231_1707:
	s_andn2_b64 vcc, exec, s[2:3]
	s_cbranch_vccnz .LBB231_1709
; %bb.1708:
	s_waitcnt vmcnt(0)
	v_cvt_f32_i32_sdwa v12, sext(v1) dst_sel:DWORD dst_unused:UNUSED_PAD src0_sel:WORD_0
	v_mov_b32_e32 v13, 0
	global_store_dwordx2 v[5:6], v[12:13], off
.LBB231_1709:
	s_mov_b64 s[2:3], 0
.LBB231_1710:
	s_andn2_b64 vcc, exec, s[2:3]
	s_cbranch_vccnz .LBB231_1712
; %bb.1711:
	v_cvt_f16_i16_e32 v3, v1
	global_store_dword v[5:6], v3, off
.LBB231_1712:
	s_mov_b64 s[2:3], 0
.LBB231_1713:
	s_andn2_b64 vcc, exec, s[2:3]
	s_cbranch_vccnz .LBB231_1722
; %bb.1714:
	s_cmp_lt_i32 s4, 6
	s_mov_b64 s[2:3], -1
	s_cbranch_scc1 .LBB231_1720
; %bb.1715:
	s_cmp_gt_i32 s4, 6
	s_cbranch_scc0 .LBB231_1717
; %bb.1716:
	v_bfe_i32 v3, v1, 0, 16
	s_waitcnt vmcnt(0)
	v_cvt_f64_i32_e32 v[12:13], v3
	s_mov_b64 s[2:3], 0
	global_store_dwordx2 v[5:6], v[12:13], off
.LBB231_1717:
	s_andn2_b64 vcc, exec, s[2:3]
	s_cbranch_vccnz .LBB231_1719
; %bb.1718:
	v_cvt_f32_i32_sdwa v3, sext(v1) dst_sel:DWORD dst_unused:UNUSED_PAD src0_sel:WORD_0
	global_store_dword v[5:6], v3, off
.LBB231_1719:
	s_mov_b64 s[2:3], 0
.LBB231_1720:
	s_andn2_b64 vcc, exec, s[2:3]
	s_cbranch_vccnz .LBB231_1722
; %bb.1721:
	v_cvt_f16_i16_e32 v3, v1
	global_store_short v[5:6], v3, off
.LBB231_1722:
	s_mov_b64 s[2:3], 0
.LBB231_1723:
	s_andn2_b64 vcc, exec, s[2:3]
	s_cbranch_vccnz .LBB231_1739
; %bb.1724:
	s_cmp_lt_i32 s4, 2
	s_mov_b64 s[2:3], -1
	s_cbranch_scc1 .LBB231_1734
; %bb.1725:
	s_cmp_lt_i32 s4, 3
	s_cbranch_scc1 .LBB231_1731
; %bb.1726:
	s_cmp_gt_i32 s4, 3
	s_waitcnt vmcnt(0)
	v_bfe_i32 v12, v1, 0, 16
	s_cbranch_scc0 .LBB231_1728
; %bb.1727:
	v_ashrrev_i32_e32 v13, 31, v12
	global_store_dwordx2 v[5:6], v[12:13], off
	s_mov_b64 s[2:3], 0
.LBB231_1728:
	s_andn2_b64 vcc, exec, s[2:3]
	s_cbranch_vccnz .LBB231_1730
; %bb.1729:
	global_store_dword v[5:6], v12, off
.LBB231_1730:
	s_mov_b64 s[2:3], 0
.LBB231_1731:
	s_andn2_b64 vcc, exec, s[2:3]
	s_cbranch_vccnz .LBB231_1733
; %bb.1732:
	global_store_short v[5:6], v1, off
.LBB231_1733:
	s_mov_b64 s[2:3], 0
.LBB231_1734:
	s_andn2_b64 vcc, exec, s[2:3]
	s_cbranch_vccnz .LBB231_1739
; %bb.1735:
	s_cmp_gt_i32 s4, 0
	s_mov_b64 s[2:3], -1
	s_cbranch_scc0 .LBB231_1737
; %bb.1736:
	global_store_byte v[5:6], v1, off
	s_mov_b64 s[2:3], 0
.LBB231_1737:
	s_andn2_b64 vcc, exec, s[2:3]
	s_cbranch_vccnz .LBB231_1739
; %bb.1738:
	global_store_byte v[5:6], v1, off
.LBB231_1739:
	s_mov_b64 s[6:7], -1
.LBB231_1740:
	s_andn2_b64 vcc, exec, s[6:7]
	s_cbranch_vccnz .LBB231_2055
; %bb.1741:
	s_waitcnt vmcnt(0)
	v_ashrrev_i16_e32 v1, 15, v11
	v_ashrrev_i32_sdwa v3, s17, sext(v11) dst_sel:DWORD dst_unused:UNUSED_PAD src0_sel:DWORD src1_sel:WORD_0
	v_cndmask_b32_e64 v1, v3, v1, s[0:1]
	v_mov_b32_e32 v5, s9
	s_and_b32 s18, 0xffff, s16
	v_add_co_u32_e32 v3, vcc, s8, v4
	s_cmp_lt_i32 s18, 11
	v_addc_co_u32_e32 v4, vcc, 0, v5, vcc
	s_cbranch_scc1 .LBB231_1819
; %bb.1742:
	s_mov_b64 s[10:11], -1
	s_mov_b64 s[4:5], 0
	s_cmp_gt_i32 s18, 25
	s_mov_b64 s[6:7], 0
	s_mov_b64 s[2:3], 0
	s_cbranch_scc0 .LBB231_1775
; %bb.1743:
	s_cmp_gt_i32 s18, 28
	s_cbranch_scc0 .LBB231_1758
; %bb.1744:
	s_cmp_gt_i32 s18, 43
	;; [unrolled: 3-line block ×3, first 2 shown]
	s_cbranch_scc0 .LBB231_1748
; %bb.1746:
	s_mov_b64 s[2:3], -1
	s_mov_b64 s[10:11], 0
	s_cmp_eq_u32 s18, 46
	s_cbranch_scc0 .LBB231_1748
; %bb.1747:
	v_cvt_f32_i32_sdwa v5, sext(v1) dst_sel:DWORD dst_unused:UNUSED_PAD src0_sel:WORD_0
	s_movk_i32 s6, 0x7fff
	s_mov_b64 s[2:3], 0
	v_bfe_u32 v6, v5, 16, 1
	v_add3_u32 v5, v5, v6, s6
	v_lshrrev_b32_e32 v5, 16, v5
	global_store_dword v[3:4], v5, off
	s_mov_b64 s[6:7], -1
.LBB231_1748:
	s_and_b64 vcc, exec, s[10:11]
	s_cbranch_vccz .LBB231_1753
; %bb.1749:
	s_cmp_eq_u32 s18, 44
	s_mov_b64 s[2:3], -1
	s_cbranch_scc0 .LBB231_1753
; %bb.1750:
	v_cvt_f32_i32_sdwa v5, sext(v1) dst_sel:DWORD dst_unused:UNUSED_PAD src0_sel:WORD_0
	s_movk_i32 s2, 0xff
	v_mov_b32_e32 v8, 0xff
	v_bfe_u32 v6, v5, 23, 8
	v_cmp_ne_u32_e32 vcc, s2, v6
	s_and_saveexec_b64 s[6:7], vcc
; %bb.1751:
	s_mov_b32 s2, 0x3fffff
	v_lshrrev_b32_e32 v8, 23, v5
	v_and_b32_e32 v10, 0x400000, v5
	v_and_or_b32 v5, v5, s2, v6
	v_cmp_ne_u32_e32 vcc, 0, v10
	v_cmp_ne_u32_e64 s[2:3], 0, v5
	s_and_b64 s[2:3], vcc, s[2:3]
	v_cndmask_b32_e64 v5, 0, 1, s[2:3]
	v_add_u32_e32 v8, v8, v5
; %bb.1752:
	s_or_b64 exec, exec, s[6:7]
	s_mov_b64 s[2:3], 0
	s_mov_b64 s[6:7], -1
	global_store_byte v[3:4], v8, off
.LBB231_1753:
	s_mov_b64 s[10:11], 0
.LBB231_1754:
	s_and_b64 vcc, exec, s[10:11]
	s_cbranch_vccz .LBB231_1757
; %bb.1755:
	s_cmp_eq_u32 s18, 29
	s_mov_b64 s[2:3], -1
	s_cbranch_scc0 .LBB231_1757
; %bb.1756:
	v_bfe_i32 v5, v1, 0, 16
	v_ashrrev_i32_e32 v6, 31, v5
	global_store_dwordx2 v[3:4], v[5:6], off
	s_mov_b64 s[2:3], 0
	s_mov_b64 s[6:7], -1
.LBB231_1757:
	s_mov_b64 s[10:11], 0
.LBB231_1758:
	s_and_b64 vcc, exec, s[10:11]
	s_cbranch_vccz .LBB231_1774
; %bb.1759:
	s_cmp_lt_i32 s18, 27
	s_mov_b64 s[6:7], -1
	s_cbranch_scc1 .LBB231_1765
; %bb.1760:
	s_cmp_gt_i32 s18, 27
	s_cbranch_scc0 .LBB231_1762
; %bb.1761:
	v_bfe_i32 v5, v1, 0, 16
	s_mov_b64 s[6:7], 0
	global_store_dword v[3:4], v5, off
.LBB231_1762:
	s_andn2_b64 vcc, exec, s[6:7]
	s_cbranch_vccnz .LBB231_1764
; %bb.1763:
	global_store_short v[3:4], v1, off
.LBB231_1764:
	s_mov_b64 s[6:7], 0
.LBB231_1765:
	s_andn2_b64 vcc, exec, s[6:7]
	s_cbranch_vccnz .LBB231_1773
; %bb.1766:
	v_cvt_f32_i32_sdwa v5, sext(v1) dst_sel:DWORD dst_unused:UNUSED_PAD src0_sel:WORD_0
	s_mov_b32 s6, 0x43800000
	v_mov_b32_e32 v8, 0x80
	v_and_b32_e32 v6, 0x7fffffff, v5
	v_cmp_gt_u32_e32 vcc, s6, v6
	s_and_saveexec_b64 s[6:7], vcc
	s_cbranch_execz .LBB231_1772
; %bb.1767:
	s_mov_b32 s10, 0x3bffffff
	v_cmp_lt_u32_e32 vcc, s10, v6
	s_mov_b64 s[10:11], 0
                                        ; implicit-def: $vgpr6
	s_and_saveexec_b64 s[14:15], vcc
	s_xor_b64 s[14:15], exec, s[14:15]
	s_cbranch_execz .LBB231_2107
; %bb.1768:
	v_bfe_u32 v6, v5, 20, 1
	s_mov_b32 s19, 0x487ffff
	v_add3_u32 v6, v5, v6, s19
	s_mov_b64 s[10:11], exec
	v_lshrrev_b32_e32 v6, 20, v6
	s_andn2_saveexec_b64 s[14:15], s[14:15]
	s_cbranch_execnz .LBB231_2108
.LBB231_1769:
	s_or_b64 exec, exec, s[14:15]
	v_mov_b32_e32 v8, 0
	s_and_saveexec_b64 s[14:15], s[10:11]
.LBB231_1770:
	v_lshrrev_b32_e32 v5, 24, v5
	s_movk_i32 s10, 0x80
	v_and_or_b32 v8, v5, s10, v6
.LBB231_1771:
	s_or_b64 exec, exec, s[14:15]
.LBB231_1772:
	s_or_b64 exec, exec, s[6:7]
	global_store_byte v[3:4], v8, off
.LBB231_1773:
	s_mov_b64 s[6:7], -1
.LBB231_1774:
	s_mov_b64 s[10:11], 0
.LBB231_1775:
	s_and_b64 vcc, exec, s[10:11]
	s_cbranch_vccz .LBB231_1815
; %bb.1776:
	s_cmp_gt_i32 s18, 22
	s_mov_b64 s[4:5], -1
	s_cbranch_scc0 .LBB231_1808
; %bb.1777:
	s_cmp_lt_i32 s18, 24
	s_cbranch_scc1 .LBB231_1797
; %bb.1778:
	s_cmp_gt_i32 s18, 24
	s_cbranch_scc0 .LBB231_1786
; %bb.1779:
	v_cvt_f32_i32_sdwa v5, sext(v1) dst_sel:DWORD dst_unused:UNUSED_PAD src0_sel:WORD_0
	s_mov_b32 s4, 0x47800000
	v_mov_b32_e32 v8, 0x80
	v_and_b32_e32 v6, 0x7fffffff, v5
	v_cmp_gt_u32_e32 vcc, s4, v6
	s_and_saveexec_b64 s[4:5], vcc
	s_cbranch_execz .LBB231_1785
; %bb.1780:
	s_mov_b32 s6, 0x37ffffff
	v_cmp_lt_u32_e32 vcc, s6, v6
	s_mov_b64 s[6:7], 0
                                        ; implicit-def: $vgpr6
	s_and_saveexec_b64 s[10:11], vcc
	s_xor_b64 s[10:11], exec, s[10:11]
	s_cbranch_execz .LBB231_2110
; %bb.1781:
	v_bfe_u32 v6, v5, 21, 1
	s_mov_b32 s14, 0x88fffff
	v_add3_u32 v6, v5, v6, s14
	s_mov_b64 s[6:7], exec
	v_lshrrev_b32_e32 v6, 21, v6
	s_andn2_saveexec_b64 s[10:11], s[10:11]
	s_cbranch_execnz .LBB231_2111
.LBB231_1782:
	s_or_b64 exec, exec, s[10:11]
	v_mov_b32_e32 v8, 0
	s_and_saveexec_b64 s[10:11], s[6:7]
.LBB231_1783:
	v_lshrrev_b32_e32 v5, 24, v5
	s_movk_i32 s6, 0x80
	v_and_or_b32 v8, v5, s6, v6
.LBB231_1784:
	s_or_b64 exec, exec, s[10:11]
.LBB231_1785:
	s_or_b64 exec, exec, s[4:5]
	s_mov_b64 s[4:5], 0
	global_store_byte v[3:4], v8, off
.LBB231_1786:
	s_and_b64 vcc, exec, s[4:5]
	s_cbranch_vccz .LBB231_1796
; %bb.1787:
	v_cvt_f32_i32_sdwa v5, sext(v1) dst_sel:DWORD dst_unused:UNUSED_PAD src0_sel:WORD_0
	s_mov_b32 s4, 0x43f00000
                                        ; implicit-def: $vgpr6
	v_and_b32_e32 v8, 0x7fffffff, v5
	v_cmp_gt_u32_e32 vcc, s4, v8
	s_and_saveexec_b64 s[4:5], vcc
	s_xor_b64 s[4:5], exec, s[4:5]
	s_cbranch_execz .LBB231_1793
; %bb.1788:
	s_mov_b32 s6, 0x3c7fffff
	v_cmp_lt_u32_e32 vcc, s6, v8
                                        ; implicit-def: $vgpr6
	s_and_saveexec_b64 s[6:7], vcc
	s_xor_b64 s[6:7], exec, s[6:7]
; %bb.1789:
	v_bfe_u32 v6, v5, 20, 1
	s_mov_b32 s10, 0x407ffff
	v_add3_u32 v6, v5, v6, s10
	v_lshrrev_b32_e32 v8, 20, v6
	v_and_b32_e32 v6, 0xff00000, v6
	s_mov_b32 s10, 0x7f00000
	v_mov_b32_e32 v10, 0x7e
	v_cmp_ne_u32_e32 vcc, s10, v6
	v_cndmask_b32_e32 v6, v10, v8, vcc
; %bb.1790:
	s_andn2_saveexec_b64 s[6:7], s[6:7]
; %bb.1791:
	s_mov_b32 s10, 0x46800000
	v_add_f32_e64 v6, |v5|, s10
; %bb.1792:
	s_or_b64 exec, exec, s[6:7]
                                        ; implicit-def: $vgpr8
.LBB231_1793:
	s_andn2_saveexec_b64 s[4:5], s[4:5]
; %bb.1794:
	s_mov_b32 s6, 0x7f800000
	v_mov_b32_e32 v6, 0x7e
	v_mov_b32_e32 v10, 0x7f
	v_cmp_lt_u32_e32 vcc, s6, v8
	v_cndmask_b32_e32 v6, v6, v10, vcc
; %bb.1795:
	s_or_b64 exec, exec, s[4:5]
	v_lshrrev_b32_e32 v5, 24, v5
	s_movk_i32 s4, 0x80
	v_and_or_b32 v5, v5, s4, v6
	global_store_byte v[3:4], v5, off
.LBB231_1796:
	s_mov_b64 s[4:5], 0
.LBB231_1797:
	s_andn2_b64 vcc, exec, s[4:5]
	s_cbranch_vccnz .LBB231_1807
; %bb.1798:
	v_cvt_f32_i32_sdwa v5, sext(v1) dst_sel:DWORD dst_unused:UNUSED_PAD src0_sel:WORD_0
	s_mov_b32 s4, 0x47800000
                                        ; implicit-def: $vgpr6
	v_and_b32_e32 v8, 0x7fffffff, v5
	v_cmp_gt_u32_e32 vcc, s4, v8
	s_and_saveexec_b64 s[4:5], vcc
	s_xor_b64 s[4:5], exec, s[4:5]
	s_cbranch_execz .LBB231_1804
; %bb.1799:
	s_mov_b32 s6, 0x387fffff
	v_cmp_lt_u32_e32 vcc, s6, v8
                                        ; implicit-def: $vgpr6
	s_and_saveexec_b64 s[6:7], vcc
	s_xor_b64 s[6:7], exec, s[6:7]
; %bb.1800:
	v_bfe_u32 v6, v5, 21, 1
	s_mov_b32 s10, 0x80fffff
	v_add3_u32 v6, v5, v6, s10
	v_lshrrev_b32_e32 v6, 21, v6
; %bb.1801:
	s_andn2_saveexec_b64 s[6:7], s[6:7]
; %bb.1802:
	s_mov_b32 s10, 0x43000000
	v_add_f32_e64 v6, |v5|, s10
; %bb.1803:
	s_or_b64 exec, exec, s[6:7]
                                        ; implicit-def: $vgpr8
.LBB231_1804:
	s_andn2_saveexec_b64 s[4:5], s[4:5]
; %bb.1805:
	s_mov_b32 s6, 0x7f800000
	v_mov_b32_e32 v6, 0x7c
	v_mov_b32_e32 v10, 0x7f
	v_cmp_lt_u32_e32 vcc, s6, v8
	v_cndmask_b32_e32 v6, v6, v10, vcc
; %bb.1806:
	s_or_b64 exec, exec, s[4:5]
	v_lshrrev_b32_e32 v5, 24, v5
	s_movk_i32 s4, 0x80
	v_and_or_b32 v5, v5, s4, v6
	global_store_byte v[3:4], v5, off
.LBB231_1807:
	s_mov_b64 s[4:5], 0
	s_mov_b64 s[6:7], -1
.LBB231_1808:
	s_andn2_b64 vcc, exec, s[4:5]
	s_mov_b64 s[4:5], 0
	s_cbranch_vccnz .LBB231_1815
; %bb.1809:
	s_cmp_gt_i32 s18, 14
	s_mov_b64 s[10:11], -1
	s_cbranch_scc0 .LBB231_1813
; %bb.1810:
	s_cmp_eq_u32 s18, 15
	s_mov_b64 s[2:3], -1
	s_cbranch_scc0 .LBB231_1812
; %bb.1811:
	v_cvt_f32_i32_sdwa v5, sext(v1) dst_sel:DWORD dst_unused:UNUSED_PAD src0_sel:WORD_0
	s_movk_i32 s4, 0x7fff
	s_mov_b64 s[2:3], 0
	s_mov_b64 s[6:7], -1
	v_bfe_u32 v6, v5, 16, 1
	v_add3_u32 v5, v5, v6, s4
	global_store_short_d16_hi v[3:4], v5, off
.LBB231_1812:
	s_mov_b64 s[10:11], 0
.LBB231_1813:
	s_mov_b64 s[4:5], 0
	s_and_b64 vcc, exec, s[10:11]
	s_cbranch_vccz .LBB231_1815
; %bb.1814:
	s_cmp_lg_u32 s18, 11
	s_mov_b64 s[4:5], -1
	s_cselect_b64 s[2:3], -1, 0
.LBB231_1815:
	s_and_b64 vcc, exec, s[2:3]
	s_cbranch_vccnz .LBB231_2109
; %bb.1816:
	s_andn2_b64 vcc, exec, s[4:5]
	s_cbranch_vccnz .LBB231_1818
.LBB231_1817:
	v_cmp_ne_u16_e32 vcc, 0, v1
	v_cndmask_b32_e64 v5, 0, 1, vcc
	s_mov_b64 s[6:7], -1
	global_store_byte v[3:4], v5, off
.LBB231_1818:
	s_mov_b64 s[2:3], 0
	s_branch .LBB231_1820
.LBB231_1819:
	s_mov_b64 s[2:3], -1
	s_mov_b64 s[6:7], 0
.LBB231_1820:
	s_and_b64 vcc, exec, s[2:3]
	s_cbranch_vccz .LBB231_1859
; %bb.1821:
	s_cmp_lt_i32 s18, 5
	s_mov_b64 s[2:3], -1
	s_cbranch_scc1 .LBB231_1842
; %bb.1822:
	s_cmp_lt_i32 s18, 8
	s_cbranch_scc1 .LBB231_1832
; %bb.1823:
	s_cmp_lt_i32 s18, 9
	s_cbranch_scc1 .LBB231_1829
; %bb.1824:
	s_cmp_gt_i32 s18, 9
	s_cbranch_scc0 .LBB231_1826
; %bb.1825:
	v_bfe_i32 v5, v1, 0, 16
	v_cvt_f64_i32_e32 v[10:11], v5
	v_mov_b32_e32 v12, 0
	v_mov_b32_e32 v13, v12
	s_mov_b64 s[2:3], 0
	global_store_dwordx4 v[3:4], v[10:13], off
.LBB231_1826:
	s_andn2_b64 vcc, exec, s[2:3]
	s_cbranch_vccnz .LBB231_1828
; %bb.1827:
	v_cvt_f32_i32_sdwa v5, sext(v1) dst_sel:DWORD dst_unused:UNUSED_PAD src0_sel:WORD_0
	v_mov_b32_e32 v6, 0
	global_store_dwordx2 v[3:4], v[5:6], off
.LBB231_1828:
	s_mov_b64 s[2:3], 0
.LBB231_1829:
	s_andn2_b64 vcc, exec, s[2:3]
	s_cbranch_vccnz .LBB231_1831
; %bb.1830:
	v_cvt_f16_i16_e32 v5, v1
	global_store_dword v[3:4], v5, off
.LBB231_1831:
	s_mov_b64 s[2:3], 0
.LBB231_1832:
	s_andn2_b64 vcc, exec, s[2:3]
	s_cbranch_vccnz .LBB231_1841
; %bb.1833:
	s_cmp_lt_i32 s18, 6
	s_mov_b64 s[2:3], -1
	s_cbranch_scc1 .LBB231_1839
; %bb.1834:
	s_cmp_gt_i32 s18, 6
	s_cbranch_scc0 .LBB231_1836
; %bb.1835:
	v_bfe_i32 v5, v1, 0, 16
	v_cvt_f64_i32_e32 v[5:6], v5
	s_mov_b64 s[2:3], 0
	global_store_dwordx2 v[3:4], v[5:6], off
.LBB231_1836:
	s_andn2_b64 vcc, exec, s[2:3]
	s_cbranch_vccnz .LBB231_1838
; %bb.1837:
	v_cvt_f32_i32_sdwa v5, sext(v1) dst_sel:DWORD dst_unused:UNUSED_PAD src0_sel:WORD_0
	global_store_dword v[3:4], v5, off
.LBB231_1838:
	s_mov_b64 s[2:3], 0
.LBB231_1839:
	s_andn2_b64 vcc, exec, s[2:3]
	s_cbranch_vccnz .LBB231_1841
; %bb.1840:
	v_cvt_f16_i16_e32 v5, v1
	global_store_short v[3:4], v5, off
.LBB231_1841:
	s_mov_b64 s[2:3], 0
.LBB231_1842:
	s_andn2_b64 vcc, exec, s[2:3]
	s_cbranch_vccnz .LBB231_1858
; %bb.1843:
	s_cmp_lt_i32 s18, 2
	s_mov_b64 s[2:3], -1
	s_cbranch_scc1 .LBB231_1853
; %bb.1844:
	s_cmp_lt_i32 s18, 3
	s_cbranch_scc1 .LBB231_1850
; %bb.1845:
	s_cmp_gt_i32 s18, 3
	s_cbranch_scc0 .LBB231_1847
; %bb.1846:
	v_bfe_i32 v5, v1, 0, 16
	v_ashrrev_i32_e32 v6, 31, v5
	global_store_dwordx2 v[3:4], v[5:6], off
	s_mov_b64 s[2:3], 0
.LBB231_1847:
	s_andn2_b64 vcc, exec, s[2:3]
	s_cbranch_vccnz .LBB231_1849
; %bb.1848:
	v_bfe_i32 v5, v1, 0, 16
	global_store_dword v[3:4], v5, off
.LBB231_1849:
	s_mov_b64 s[2:3], 0
.LBB231_1850:
	s_andn2_b64 vcc, exec, s[2:3]
	s_cbranch_vccnz .LBB231_1852
; %bb.1851:
	global_store_short v[3:4], v1, off
.LBB231_1852:
	s_mov_b64 s[2:3], 0
.LBB231_1853:
	s_andn2_b64 vcc, exec, s[2:3]
	s_cbranch_vccnz .LBB231_1858
; %bb.1854:
	s_cmp_gt_i32 s18, 0
	s_mov_b64 s[2:3], -1
	s_cbranch_scc0 .LBB231_1856
; %bb.1855:
	global_store_byte v[3:4], v1, off
	s_mov_b64 s[2:3], 0
.LBB231_1856:
	s_andn2_b64 vcc, exec, s[2:3]
	s_cbranch_vccnz .LBB231_1858
; %bb.1857:
	global_store_byte v[3:4], v1, off
.LBB231_1858:
	s_mov_b64 s[6:7], -1
.LBB231_1859:
	s_andn2_b64 vcc, exec, s[6:7]
	s_cbranch_vccnz .LBB231_2055
; %bb.1860:
	v_ashrrev_i16_e32 v1, 15, v9
	v_ashrrev_i32_sdwa v3, s17, sext(v9) dst_sel:DWORD dst_unused:UNUSED_PAD src0_sel:DWORD src1_sel:WORD_0
	v_cndmask_b32_e64 v5, v3, v1, s[0:1]
	v_mov_b32_e32 v3, s9
	v_add_co_u32_e32 v1, vcc, s8, v2
	s_cmp_lt_i32 s18, 11
	v_addc_co_u32_e32 v2, vcc, 0, v3, vcc
	s_cbranch_scc1 .LBB231_1938
; %bb.1861:
	s_mov_b64 s[10:11], -1
	s_mov_b64 s[4:5], 0
	s_cmp_gt_i32 s18, 25
	s_mov_b64 s[6:7], 0
	s_mov_b64 s[2:3], 0
	s_cbranch_scc0 .LBB231_1894
; %bb.1862:
	s_cmp_gt_i32 s18, 28
	s_cbranch_scc0 .LBB231_1877
; %bb.1863:
	s_cmp_gt_i32 s18, 43
	;; [unrolled: 3-line block ×3, first 2 shown]
	s_cbranch_scc0 .LBB231_1867
; %bb.1865:
	s_mov_b64 s[2:3], -1
	s_mov_b64 s[10:11], 0
	s_cmp_eq_u32 s18, 46
	s_cbranch_scc0 .LBB231_1867
; %bb.1866:
	v_cvt_f32_i32_sdwa v3, sext(v5) dst_sel:DWORD dst_unused:UNUSED_PAD src0_sel:WORD_0
	s_movk_i32 s6, 0x7fff
	s_mov_b64 s[2:3], 0
	v_bfe_u32 v4, v3, 16, 1
	v_add3_u32 v3, v3, v4, s6
	v_lshrrev_b32_e32 v3, 16, v3
	global_store_dword v[1:2], v3, off
	s_mov_b64 s[6:7], -1
.LBB231_1867:
	s_and_b64 vcc, exec, s[10:11]
	s_cbranch_vccz .LBB231_1872
; %bb.1868:
	s_cmp_eq_u32 s18, 44
	s_mov_b64 s[2:3], -1
	s_cbranch_scc0 .LBB231_1872
; %bb.1869:
	v_cvt_f32_i32_sdwa v3, sext(v5) dst_sel:DWORD dst_unused:UNUSED_PAD src0_sel:WORD_0
	s_movk_i32 s2, 0xff
	v_mov_b32_e32 v6, 0xff
	v_bfe_u32 v4, v3, 23, 8
	v_cmp_ne_u32_e32 vcc, s2, v4
	s_and_saveexec_b64 s[6:7], vcc
; %bb.1870:
	s_mov_b32 s2, 0x3fffff
	v_lshrrev_b32_e32 v6, 23, v3
	v_and_b32_e32 v8, 0x400000, v3
	v_and_or_b32 v3, v3, s2, v4
	v_cmp_ne_u32_e32 vcc, 0, v8
	v_cmp_ne_u32_e64 s[2:3], 0, v3
	s_and_b64 s[2:3], vcc, s[2:3]
	v_cndmask_b32_e64 v3, 0, 1, s[2:3]
	v_add_u32_e32 v6, v6, v3
; %bb.1871:
	s_or_b64 exec, exec, s[6:7]
	s_mov_b64 s[2:3], 0
	s_mov_b64 s[6:7], -1
	global_store_byte v[1:2], v6, off
.LBB231_1872:
	s_mov_b64 s[10:11], 0
.LBB231_1873:
	s_and_b64 vcc, exec, s[10:11]
	s_cbranch_vccz .LBB231_1876
; %bb.1874:
	s_cmp_eq_u32 s18, 29
	s_mov_b64 s[2:3], -1
	s_cbranch_scc0 .LBB231_1876
; %bb.1875:
	v_bfe_i32 v3, v5, 0, 16
	v_ashrrev_i32_e32 v4, 31, v3
	global_store_dwordx2 v[1:2], v[3:4], off
	s_mov_b64 s[2:3], 0
	s_mov_b64 s[6:7], -1
.LBB231_1876:
	s_mov_b64 s[10:11], 0
.LBB231_1877:
	s_and_b64 vcc, exec, s[10:11]
	s_cbranch_vccz .LBB231_1893
; %bb.1878:
	s_cmp_lt_i32 s18, 27
	s_mov_b64 s[6:7], -1
	s_cbranch_scc1 .LBB231_1884
; %bb.1879:
	s_cmp_gt_i32 s18, 27
	s_cbranch_scc0 .LBB231_1881
; %bb.1880:
	v_bfe_i32 v3, v5, 0, 16
	s_mov_b64 s[6:7], 0
	global_store_dword v[1:2], v3, off
.LBB231_1881:
	s_andn2_b64 vcc, exec, s[6:7]
	s_cbranch_vccnz .LBB231_1883
; %bb.1882:
	global_store_short v[1:2], v5, off
.LBB231_1883:
	s_mov_b64 s[6:7], 0
.LBB231_1884:
	s_andn2_b64 vcc, exec, s[6:7]
	s_cbranch_vccnz .LBB231_1892
; %bb.1885:
	v_cvt_f32_i32_sdwa v3, sext(v5) dst_sel:DWORD dst_unused:UNUSED_PAD src0_sel:WORD_0
	s_mov_b32 s6, 0x43800000
	v_mov_b32_e32 v6, 0x80
	v_and_b32_e32 v4, 0x7fffffff, v3
	v_cmp_gt_u32_e32 vcc, s6, v4
	s_and_saveexec_b64 s[6:7], vcc
	s_cbranch_execz .LBB231_1891
; %bb.1886:
	s_mov_b32 s10, 0x3bffffff
	v_cmp_lt_u32_e32 vcc, s10, v4
	s_mov_b64 s[10:11], 0
                                        ; implicit-def: $vgpr4
	s_and_saveexec_b64 s[14:15], vcc
	s_xor_b64 s[14:15], exec, s[14:15]
	s_cbranch_execz .LBB231_2112
; %bb.1887:
	v_bfe_u32 v4, v3, 20, 1
	s_mov_b32 s19, 0x487ffff
	v_add3_u32 v4, v3, v4, s19
	s_mov_b64 s[10:11], exec
	v_lshrrev_b32_e32 v4, 20, v4
	s_andn2_saveexec_b64 s[14:15], s[14:15]
	s_cbranch_execnz .LBB231_2113
.LBB231_1888:
	s_or_b64 exec, exec, s[14:15]
	v_mov_b32_e32 v6, 0
	s_and_saveexec_b64 s[14:15], s[10:11]
.LBB231_1889:
	v_lshrrev_b32_e32 v3, 24, v3
	s_movk_i32 s10, 0x80
	v_and_or_b32 v6, v3, s10, v4
.LBB231_1890:
	s_or_b64 exec, exec, s[14:15]
.LBB231_1891:
	s_or_b64 exec, exec, s[6:7]
	global_store_byte v[1:2], v6, off
.LBB231_1892:
	s_mov_b64 s[6:7], -1
.LBB231_1893:
	s_mov_b64 s[10:11], 0
.LBB231_1894:
	s_and_b64 vcc, exec, s[10:11]
	s_cbranch_vccz .LBB231_1934
; %bb.1895:
	s_cmp_gt_i32 s18, 22
	s_mov_b64 s[4:5], -1
	s_cbranch_scc0 .LBB231_1927
; %bb.1896:
	s_cmp_lt_i32 s18, 24
	s_cbranch_scc1 .LBB231_1916
; %bb.1897:
	s_cmp_gt_i32 s18, 24
	s_cbranch_scc0 .LBB231_1905
; %bb.1898:
	v_cvt_f32_i32_sdwa v3, sext(v5) dst_sel:DWORD dst_unused:UNUSED_PAD src0_sel:WORD_0
	s_mov_b32 s4, 0x47800000
	v_mov_b32_e32 v6, 0x80
	v_and_b32_e32 v4, 0x7fffffff, v3
	v_cmp_gt_u32_e32 vcc, s4, v4
	s_and_saveexec_b64 s[4:5], vcc
	s_cbranch_execz .LBB231_1904
; %bb.1899:
	s_mov_b32 s6, 0x37ffffff
	v_cmp_lt_u32_e32 vcc, s6, v4
	s_mov_b64 s[6:7], 0
                                        ; implicit-def: $vgpr4
	s_and_saveexec_b64 s[10:11], vcc
	s_xor_b64 s[10:11], exec, s[10:11]
	s_cbranch_execz .LBB231_2115
; %bb.1900:
	v_bfe_u32 v4, v3, 21, 1
	s_mov_b32 s14, 0x88fffff
	v_add3_u32 v4, v3, v4, s14
	s_mov_b64 s[6:7], exec
	v_lshrrev_b32_e32 v4, 21, v4
	s_andn2_saveexec_b64 s[10:11], s[10:11]
	s_cbranch_execnz .LBB231_2116
.LBB231_1901:
	s_or_b64 exec, exec, s[10:11]
	v_mov_b32_e32 v6, 0
	s_and_saveexec_b64 s[10:11], s[6:7]
.LBB231_1902:
	v_lshrrev_b32_e32 v3, 24, v3
	s_movk_i32 s6, 0x80
	v_and_or_b32 v6, v3, s6, v4
.LBB231_1903:
	s_or_b64 exec, exec, s[10:11]
.LBB231_1904:
	s_or_b64 exec, exec, s[4:5]
	s_mov_b64 s[4:5], 0
	global_store_byte v[1:2], v6, off
.LBB231_1905:
	s_and_b64 vcc, exec, s[4:5]
	s_cbranch_vccz .LBB231_1915
; %bb.1906:
	v_cvt_f32_i32_sdwa v3, sext(v5) dst_sel:DWORD dst_unused:UNUSED_PAD src0_sel:WORD_0
	s_mov_b32 s4, 0x43f00000
                                        ; implicit-def: $vgpr4
	v_and_b32_e32 v6, 0x7fffffff, v3
	v_cmp_gt_u32_e32 vcc, s4, v6
	s_and_saveexec_b64 s[4:5], vcc
	s_xor_b64 s[4:5], exec, s[4:5]
	s_cbranch_execz .LBB231_1912
; %bb.1907:
	s_mov_b32 s6, 0x3c7fffff
	v_cmp_lt_u32_e32 vcc, s6, v6
                                        ; implicit-def: $vgpr4
	s_and_saveexec_b64 s[6:7], vcc
	s_xor_b64 s[6:7], exec, s[6:7]
; %bb.1908:
	v_bfe_u32 v4, v3, 20, 1
	s_mov_b32 s10, 0x407ffff
	v_add3_u32 v4, v3, v4, s10
	v_lshrrev_b32_e32 v6, 20, v4
	v_and_b32_e32 v4, 0xff00000, v4
	s_mov_b32 s10, 0x7f00000
	v_mov_b32_e32 v8, 0x7e
	v_cmp_ne_u32_e32 vcc, s10, v4
	v_cndmask_b32_e32 v4, v8, v6, vcc
; %bb.1909:
	s_andn2_saveexec_b64 s[6:7], s[6:7]
; %bb.1910:
	s_mov_b32 s10, 0x46800000
	v_add_f32_e64 v4, |v3|, s10
; %bb.1911:
	s_or_b64 exec, exec, s[6:7]
                                        ; implicit-def: $vgpr6
.LBB231_1912:
	s_andn2_saveexec_b64 s[4:5], s[4:5]
; %bb.1913:
	s_mov_b32 s6, 0x7f800000
	v_mov_b32_e32 v4, 0x7e
	v_mov_b32_e32 v8, 0x7f
	v_cmp_lt_u32_e32 vcc, s6, v6
	v_cndmask_b32_e32 v4, v4, v8, vcc
; %bb.1914:
	s_or_b64 exec, exec, s[4:5]
	v_lshrrev_b32_e32 v3, 24, v3
	s_movk_i32 s4, 0x80
	v_and_or_b32 v3, v3, s4, v4
	global_store_byte v[1:2], v3, off
.LBB231_1915:
	s_mov_b64 s[4:5], 0
.LBB231_1916:
	s_andn2_b64 vcc, exec, s[4:5]
	s_cbranch_vccnz .LBB231_1926
; %bb.1917:
	v_cvt_f32_i32_sdwa v3, sext(v5) dst_sel:DWORD dst_unused:UNUSED_PAD src0_sel:WORD_0
	s_mov_b32 s4, 0x47800000
                                        ; implicit-def: $vgpr4
	v_and_b32_e32 v6, 0x7fffffff, v3
	v_cmp_gt_u32_e32 vcc, s4, v6
	s_and_saveexec_b64 s[4:5], vcc
	s_xor_b64 s[4:5], exec, s[4:5]
	s_cbranch_execz .LBB231_1923
; %bb.1918:
	s_mov_b32 s6, 0x387fffff
	v_cmp_lt_u32_e32 vcc, s6, v6
                                        ; implicit-def: $vgpr4
	s_and_saveexec_b64 s[6:7], vcc
	s_xor_b64 s[6:7], exec, s[6:7]
; %bb.1919:
	v_bfe_u32 v4, v3, 21, 1
	s_mov_b32 s10, 0x80fffff
	v_add3_u32 v4, v3, v4, s10
	v_lshrrev_b32_e32 v4, 21, v4
; %bb.1920:
	s_andn2_saveexec_b64 s[6:7], s[6:7]
; %bb.1921:
	s_mov_b32 s10, 0x43000000
	v_add_f32_e64 v4, |v3|, s10
; %bb.1922:
	s_or_b64 exec, exec, s[6:7]
                                        ; implicit-def: $vgpr6
.LBB231_1923:
	s_andn2_saveexec_b64 s[4:5], s[4:5]
; %bb.1924:
	s_mov_b32 s6, 0x7f800000
	v_mov_b32_e32 v4, 0x7c
	v_mov_b32_e32 v8, 0x7f
	v_cmp_lt_u32_e32 vcc, s6, v6
	v_cndmask_b32_e32 v4, v4, v8, vcc
; %bb.1925:
	s_or_b64 exec, exec, s[4:5]
	v_lshrrev_b32_e32 v3, 24, v3
	s_movk_i32 s4, 0x80
	v_and_or_b32 v3, v3, s4, v4
	global_store_byte v[1:2], v3, off
.LBB231_1926:
	s_mov_b64 s[4:5], 0
	s_mov_b64 s[6:7], -1
.LBB231_1927:
	s_andn2_b64 vcc, exec, s[4:5]
	s_mov_b64 s[4:5], 0
	s_cbranch_vccnz .LBB231_1934
; %bb.1928:
	s_cmp_gt_i32 s18, 14
	s_mov_b64 s[10:11], -1
	s_cbranch_scc0 .LBB231_1932
; %bb.1929:
	s_cmp_eq_u32 s18, 15
	s_mov_b64 s[2:3], -1
	s_cbranch_scc0 .LBB231_1931
; %bb.1930:
	v_cvt_f32_i32_sdwa v3, sext(v5) dst_sel:DWORD dst_unused:UNUSED_PAD src0_sel:WORD_0
	s_movk_i32 s4, 0x7fff
	s_mov_b64 s[2:3], 0
	s_mov_b64 s[6:7], -1
	v_bfe_u32 v4, v3, 16, 1
	v_add3_u32 v3, v3, v4, s4
	global_store_short_d16_hi v[1:2], v3, off
.LBB231_1931:
	s_mov_b64 s[10:11], 0
.LBB231_1932:
	s_mov_b64 s[4:5], 0
	s_and_b64 vcc, exec, s[10:11]
	s_cbranch_vccz .LBB231_1934
; %bb.1933:
	s_cmp_lg_u32 s18, 11
	s_mov_b64 s[4:5], -1
	s_cselect_b64 s[2:3], -1, 0
.LBB231_1934:
	s_and_b64 vcc, exec, s[2:3]
	s_cbranch_vccnz .LBB231_2114
; %bb.1935:
	s_andn2_b64 vcc, exec, s[4:5]
	s_cbranch_vccnz .LBB231_1937
.LBB231_1936:
	v_cmp_ne_u16_e32 vcc, 0, v5
	v_cndmask_b32_e64 v3, 0, 1, vcc
	s_mov_b64 s[6:7], -1
	global_store_byte v[1:2], v3, off
.LBB231_1937:
	s_mov_b64 s[2:3], 0
	s_branch .LBB231_1939
.LBB231_1938:
	s_mov_b64 s[2:3], -1
	s_mov_b64 s[6:7], 0
.LBB231_1939:
	s_and_b64 vcc, exec, s[2:3]
	s_cbranch_vccz .LBB231_1978
; %bb.1940:
	s_cmp_lt_i32 s18, 5
	s_mov_b64 s[2:3], -1
	s_cbranch_scc1 .LBB231_1961
; %bb.1941:
	s_cmp_lt_i32 s18, 8
	s_cbranch_scc1 .LBB231_1951
; %bb.1942:
	s_cmp_lt_i32 s18, 9
	s_cbranch_scc1 .LBB231_1948
; %bb.1943:
	s_cmp_gt_i32 s18, 9
	s_cbranch_scc0 .LBB231_1945
; %bb.1944:
	v_bfe_i32 v3, v5, 0, 16
	v_cvt_f64_i32_e32 v[8:9], v3
	v_mov_b32_e32 v10, 0
	v_mov_b32_e32 v11, v10
	s_mov_b64 s[2:3], 0
	global_store_dwordx4 v[1:2], v[8:11], off
.LBB231_1945:
	s_andn2_b64 vcc, exec, s[2:3]
	s_cbranch_vccnz .LBB231_1947
; %bb.1946:
	v_cvt_f32_i32_sdwa v3, sext(v5) dst_sel:DWORD dst_unused:UNUSED_PAD src0_sel:WORD_0
	v_mov_b32_e32 v4, 0
	global_store_dwordx2 v[1:2], v[3:4], off
.LBB231_1947:
	s_mov_b64 s[2:3], 0
.LBB231_1948:
	s_andn2_b64 vcc, exec, s[2:3]
	s_cbranch_vccnz .LBB231_1950
; %bb.1949:
	v_cvt_f16_i16_e32 v3, v5
	global_store_dword v[1:2], v3, off
.LBB231_1950:
	s_mov_b64 s[2:3], 0
.LBB231_1951:
	s_andn2_b64 vcc, exec, s[2:3]
	s_cbranch_vccnz .LBB231_1960
; %bb.1952:
	s_cmp_lt_i32 s18, 6
	s_mov_b64 s[2:3], -1
	s_cbranch_scc1 .LBB231_1958
; %bb.1953:
	s_cmp_gt_i32 s18, 6
	s_cbranch_scc0 .LBB231_1955
; %bb.1954:
	v_bfe_i32 v3, v5, 0, 16
	v_cvt_f64_i32_e32 v[3:4], v3
	s_mov_b64 s[2:3], 0
	global_store_dwordx2 v[1:2], v[3:4], off
.LBB231_1955:
	s_andn2_b64 vcc, exec, s[2:3]
	s_cbranch_vccnz .LBB231_1957
; %bb.1956:
	v_cvt_f32_i32_sdwa v3, sext(v5) dst_sel:DWORD dst_unused:UNUSED_PAD src0_sel:WORD_0
	global_store_dword v[1:2], v3, off
.LBB231_1957:
	s_mov_b64 s[2:3], 0
.LBB231_1958:
	s_andn2_b64 vcc, exec, s[2:3]
	s_cbranch_vccnz .LBB231_1960
; %bb.1959:
	v_cvt_f16_i16_e32 v3, v5
	global_store_short v[1:2], v3, off
.LBB231_1960:
	s_mov_b64 s[2:3], 0
.LBB231_1961:
	s_andn2_b64 vcc, exec, s[2:3]
	s_cbranch_vccnz .LBB231_1977
; %bb.1962:
	s_cmp_lt_i32 s18, 2
	s_mov_b64 s[2:3], -1
	s_cbranch_scc1 .LBB231_1972
; %bb.1963:
	s_cmp_lt_i32 s18, 3
	s_cbranch_scc1 .LBB231_1969
; %bb.1964:
	s_cmp_gt_i32 s18, 3
	v_bfe_i32 v3, v5, 0, 16
	s_cbranch_scc0 .LBB231_1966
; %bb.1965:
	v_ashrrev_i32_e32 v4, 31, v3
	global_store_dwordx2 v[1:2], v[3:4], off
	s_mov_b64 s[2:3], 0
.LBB231_1966:
	s_andn2_b64 vcc, exec, s[2:3]
	s_cbranch_vccnz .LBB231_1968
; %bb.1967:
	global_store_dword v[1:2], v3, off
.LBB231_1968:
	s_mov_b64 s[2:3], 0
.LBB231_1969:
	s_andn2_b64 vcc, exec, s[2:3]
	s_cbranch_vccnz .LBB231_1971
; %bb.1970:
	global_store_short v[1:2], v5, off
.LBB231_1971:
	s_mov_b64 s[2:3], 0
.LBB231_1972:
	s_andn2_b64 vcc, exec, s[2:3]
	s_cbranch_vccnz .LBB231_1977
; %bb.1973:
	s_cmp_gt_i32 s18, 0
	s_mov_b64 s[2:3], -1
	s_cbranch_scc0 .LBB231_1975
; %bb.1974:
	global_store_byte v[1:2], v5, off
	s_mov_b64 s[2:3], 0
.LBB231_1975:
	s_andn2_b64 vcc, exec, s[2:3]
	s_cbranch_vccnz .LBB231_1977
; %bb.1976:
	global_store_byte v[1:2], v5, off
.LBB231_1977:
	s_mov_b64 s[6:7], -1
.LBB231_1978:
	s_andn2_b64 vcc, exec, s[6:7]
	s_cbranch_vccnz .LBB231_2055
; %bb.1979:
	v_ashrrev_i16_e32 v1, 15, v7
	v_ashrrev_i32_sdwa v2, s17, sext(v7) dst_sel:DWORD dst_unused:UNUSED_PAD src0_sel:DWORD src1_sel:WORD_0
	v_cndmask_b32_e64 v2, v2, v1, s[0:1]
	v_mov_b32_e32 v1, s9
	v_add_co_u32_e32 v0, vcc, s8, v0
	s_cmp_lt_i32 s18, 11
	v_addc_co_u32_e32 v1, vcc, 0, v1, vcc
	s_cbranch_scc1 .LBB231_2100
; %bb.1980:
	s_mov_b64 s[4:5], -1
	s_mov_b64 s[2:3], 0
	s_cmp_gt_i32 s18, 25
	s_mov_b64 s[0:1], 0
	s_cbranch_scc0 .LBB231_2013
; %bb.1981:
	s_cmp_gt_i32 s18, 28
	s_cbranch_scc0 .LBB231_1997
; %bb.1982:
	s_cmp_gt_i32 s18, 43
	;; [unrolled: 3-line block ×3, first 2 shown]
	s_cbranch_scc0 .LBB231_1987
; %bb.1984:
	s_cmp_eq_u32 s18, 46
	s_mov_b64 s[0:1], -1
	s_cbranch_scc0 .LBB231_1986
; %bb.1985:
	v_cvt_f32_i32_sdwa v3, sext(v2) dst_sel:DWORD dst_unused:UNUSED_PAD src0_sel:WORD_0
	s_movk_i32 s0, 0x7fff
	v_bfe_u32 v4, v3, 16, 1
	v_add3_u32 v3, v3, v4, s0
	v_lshrrev_b32_e32 v3, 16, v3
	global_store_dword v[0:1], v3, off
	s_mov_b64 s[0:1], 0
.LBB231_1986:
	s_mov_b64 s[4:5], 0
.LBB231_1987:
	s_and_b64 vcc, exec, s[4:5]
	s_cbranch_vccz .LBB231_1992
; %bb.1988:
	s_cmp_eq_u32 s18, 44
	s_mov_b64 s[0:1], -1
	s_cbranch_scc0 .LBB231_1992
; %bb.1989:
	v_cvt_f32_i32_sdwa v3, sext(v2) dst_sel:DWORD dst_unused:UNUSED_PAD src0_sel:WORD_0
	s_movk_i32 s0, 0xff
	v_mov_b32_e32 v5, 0xff
	v_bfe_u32 v4, v3, 23, 8
	v_cmp_ne_u32_e32 vcc, s0, v4
	s_and_saveexec_b64 s[4:5], vcc
; %bb.1990:
	s_mov_b32 s0, 0x3fffff
	v_lshrrev_b32_e32 v5, 23, v3
	v_and_b32_e32 v6, 0x400000, v3
	v_and_or_b32 v3, v3, s0, v4
	v_cmp_ne_u32_e32 vcc, 0, v6
	v_cmp_ne_u32_e64 s[0:1], 0, v3
	s_and_b64 s[0:1], vcc, s[0:1]
	v_cndmask_b32_e64 v3, 0, 1, s[0:1]
	v_add_u32_e32 v5, v5, v3
; %bb.1991:
	s_or_b64 exec, exec, s[4:5]
	s_mov_b64 s[0:1], 0
	global_store_byte v[0:1], v5, off
.LBB231_1992:
	s_mov_b64 s[4:5], 0
.LBB231_1993:
	s_and_b64 vcc, exec, s[4:5]
	s_cbranch_vccz .LBB231_1996
; %bb.1994:
	s_cmp_eq_u32 s18, 29
	s_mov_b64 s[0:1], -1
	s_cbranch_scc0 .LBB231_1996
; %bb.1995:
	v_bfe_i32 v3, v2, 0, 16
	v_ashrrev_i32_e32 v4, 31, v3
	global_store_dwordx2 v[0:1], v[3:4], off
	s_mov_b64 s[0:1], 0
.LBB231_1996:
	s_mov_b64 s[4:5], 0
.LBB231_1997:
	s_and_b64 vcc, exec, s[4:5]
	s_cbranch_vccz .LBB231_2012
; %bb.1998:
	s_cmp_lt_i32 s18, 27
	s_mov_b64 s[4:5], -1
	s_cbranch_scc1 .LBB231_2004
; %bb.1999:
	s_cmp_gt_i32 s18, 27
	s_cbranch_scc0 .LBB231_2001
; %bb.2000:
	v_bfe_i32 v3, v2, 0, 16
	global_store_dword v[0:1], v3, off
	s_mov_b64 s[4:5], 0
.LBB231_2001:
	s_andn2_b64 vcc, exec, s[4:5]
	s_cbranch_vccnz .LBB231_2003
; %bb.2002:
	global_store_short v[0:1], v2, off
.LBB231_2003:
	s_mov_b64 s[4:5], 0
.LBB231_2004:
	s_andn2_b64 vcc, exec, s[4:5]
	s_cbranch_vccnz .LBB231_2012
; %bb.2005:
	v_cvt_f32_i32_sdwa v3, sext(v2) dst_sel:DWORD dst_unused:UNUSED_PAD src0_sel:WORD_0
	s_mov_b32 s4, 0x43800000
	v_mov_b32_e32 v5, 0x80
	v_and_b32_e32 v4, 0x7fffffff, v3
	v_cmp_gt_u32_e32 vcc, s4, v4
	s_and_saveexec_b64 s[4:5], vcc
	s_cbranch_execz .LBB231_2011
; %bb.2006:
	s_mov_b32 s6, 0x3bffffff
	v_cmp_lt_u32_e32 vcc, s6, v4
	s_mov_b64 s[6:7], 0
                                        ; implicit-def: $vgpr4
	s_and_saveexec_b64 s[8:9], vcc
	s_xor_b64 s[8:9], exec, s[8:9]
	s_cbranch_execz .LBB231_2117
; %bb.2007:
	v_bfe_u32 v4, v3, 20, 1
	s_mov_b32 s10, 0x487ffff
	v_add3_u32 v4, v3, v4, s10
	s_mov_b64 s[6:7], exec
	v_lshrrev_b32_e32 v4, 20, v4
	s_andn2_saveexec_b64 s[8:9], s[8:9]
	s_cbranch_execnz .LBB231_2118
.LBB231_2008:
	s_or_b64 exec, exec, s[8:9]
	v_mov_b32_e32 v5, 0
	s_and_saveexec_b64 s[8:9], s[6:7]
.LBB231_2009:
	v_lshrrev_b32_e32 v3, 24, v3
	s_movk_i32 s6, 0x80
	v_and_or_b32 v5, v3, s6, v4
.LBB231_2010:
	s_or_b64 exec, exec, s[8:9]
.LBB231_2011:
	s_or_b64 exec, exec, s[4:5]
	global_store_byte v[0:1], v5, off
.LBB231_2012:
	s_mov_b64 s[4:5], 0
.LBB231_2013:
	s_and_b64 vcc, exec, s[4:5]
	s_cbranch_vccz .LBB231_2053
; %bb.2014:
	s_cmp_gt_i32 s18, 22
	s_mov_b64 s[2:3], -1
	s_cbranch_scc0 .LBB231_2046
; %bb.2015:
	s_cmp_lt_i32 s18, 24
	s_cbranch_scc1 .LBB231_2035
; %bb.2016:
	s_cmp_gt_i32 s18, 24
	s_cbranch_scc0 .LBB231_2024
; %bb.2017:
	v_cvt_f32_i32_sdwa v3, sext(v2) dst_sel:DWORD dst_unused:UNUSED_PAD src0_sel:WORD_0
	s_mov_b32 s2, 0x47800000
	v_mov_b32_e32 v5, 0x80
	v_and_b32_e32 v4, 0x7fffffff, v3
	v_cmp_gt_u32_e32 vcc, s2, v4
	s_and_saveexec_b64 s[2:3], vcc
	s_cbranch_execz .LBB231_2023
; %bb.2018:
	s_mov_b32 s4, 0x37ffffff
	v_cmp_lt_u32_e32 vcc, s4, v4
	s_mov_b64 s[4:5], 0
                                        ; implicit-def: $vgpr4
	s_and_saveexec_b64 s[6:7], vcc
	s_xor_b64 s[6:7], exec, s[6:7]
	s_cbranch_execz .LBB231_2120
; %bb.2019:
	v_bfe_u32 v4, v3, 21, 1
	s_mov_b32 s8, 0x88fffff
	v_add3_u32 v4, v3, v4, s8
	s_mov_b64 s[4:5], exec
	v_lshrrev_b32_e32 v4, 21, v4
	s_andn2_saveexec_b64 s[6:7], s[6:7]
	s_cbranch_execnz .LBB231_2121
.LBB231_2020:
	s_or_b64 exec, exec, s[6:7]
	v_mov_b32_e32 v5, 0
	s_and_saveexec_b64 s[6:7], s[4:5]
.LBB231_2021:
	v_lshrrev_b32_e32 v3, 24, v3
	s_movk_i32 s4, 0x80
	v_and_or_b32 v5, v3, s4, v4
.LBB231_2022:
	s_or_b64 exec, exec, s[6:7]
.LBB231_2023:
	s_or_b64 exec, exec, s[2:3]
	s_mov_b64 s[2:3], 0
	global_store_byte v[0:1], v5, off
.LBB231_2024:
	s_and_b64 vcc, exec, s[2:3]
	s_cbranch_vccz .LBB231_2034
; %bb.2025:
	v_cvt_f32_i32_sdwa v3, sext(v2) dst_sel:DWORD dst_unused:UNUSED_PAD src0_sel:WORD_0
	s_mov_b32 s2, 0x43f00000
                                        ; implicit-def: $vgpr4
	v_and_b32_e32 v5, 0x7fffffff, v3
	v_cmp_gt_u32_e32 vcc, s2, v5
	s_and_saveexec_b64 s[2:3], vcc
	s_xor_b64 s[2:3], exec, s[2:3]
	s_cbranch_execz .LBB231_2031
; %bb.2026:
	s_mov_b32 s4, 0x3c7fffff
	v_cmp_lt_u32_e32 vcc, s4, v5
                                        ; implicit-def: $vgpr4
	s_and_saveexec_b64 s[4:5], vcc
	s_xor_b64 s[4:5], exec, s[4:5]
; %bb.2027:
	v_bfe_u32 v4, v3, 20, 1
	s_mov_b32 s6, 0x407ffff
	v_add3_u32 v4, v3, v4, s6
	v_lshrrev_b32_e32 v5, 20, v4
	v_and_b32_e32 v4, 0xff00000, v4
	s_mov_b32 s6, 0x7f00000
	v_mov_b32_e32 v6, 0x7e
	v_cmp_ne_u32_e32 vcc, s6, v4
	v_cndmask_b32_e32 v4, v6, v5, vcc
; %bb.2028:
	s_andn2_saveexec_b64 s[4:5], s[4:5]
; %bb.2029:
	s_mov_b32 s6, 0x46800000
	v_add_f32_e64 v4, |v3|, s6
; %bb.2030:
	s_or_b64 exec, exec, s[4:5]
                                        ; implicit-def: $vgpr5
.LBB231_2031:
	s_andn2_saveexec_b64 s[2:3], s[2:3]
; %bb.2032:
	s_mov_b32 s4, 0x7f800000
	v_mov_b32_e32 v4, 0x7e
	v_mov_b32_e32 v6, 0x7f
	v_cmp_lt_u32_e32 vcc, s4, v5
	v_cndmask_b32_e32 v4, v4, v6, vcc
; %bb.2033:
	s_or_b64 exec, exec, s[2:3]
	v_lshrrev_b32_e32 v3, 24, v3
	s_movk_i32 s2, 0x80
	v_and_or_b32 v3, v3, s2, v4
	global_store_byte v[0:1], v3, off
.LBB231_2034:
	s_mov_b64 s[2:3], 0
.LBB231_2035:
	s_andn2_b64 vcc, exec, s[2:3]
	s_cbranch_vccnz .LBB231_2045
; %bb.2036:
	v_cvt_f32_i32_sdwa v3, sext(v2) dst_sel:DWORD dst_unused:UNUSED_PAD src0_sel:WORD_0
	s_mov_b32 s2, 0x47800000
                                        ; implicit-def: $vgpr4
	v_and_b32_e32 v5, 0x7fffffff, v3
	v_cmp_gt_u32_e32 vcc, s2, v5
	s_and_saveexec_b64 s[2:3], vcc
	s_xor_b64 s[2:3], exec, s[2:3]
	s_cbranch_execz .LBB231_2042
; %bb.2037:
	s_mov_b32 s4, 0x387fffff
	v_cmp_lt_u32_e32 vcc, s4, v5
                                        ; implicit-def: $vgpr4
	s_and_saveexec_b64 s[4:5], vcc
	s_xor_b64 s[4:5], exec, s[4:5]
; %bb.2038:
	v_bfe_u32 v4, v3, 21, 1
	s_mov_b32 s6, 0x80fffff
	v_add3_u32 v4, v3, v4, s6
	v_lshrrev_b32_e32 v4, 21, v4
; %bb.2039:
	s_andn2_saveexec_b64 s[4:5], s[4:5]
; %bb.2040:
	s_mov_b32 s6, 0x43000000
	v_add_f32_e64 v4, |v3|, s6
; %bb.2041:
	s_or_b64 exec, exec, s[4:5]
                                        ; implicit-def: $vgpr5
.LBB231_2042:
	s_andn2_saveexec_b64 s[2:3], s[2:3]
; %bb.2043:
	s_mov_b32 s4, 0x7f800000
	v_mov_b32_e32 v4, 0x7c
	v_mov_b32_e32 v6, 0x7f
	v_cmp_lt_u32_e32 vcc, s4, v5
	v_cndmask_b32_e32 v4, v4, v6, vcc
; %bb.2044:
	s_or_b64 exec, exec, s[2:3]
	v_lshrrev_b32_e32 v3, 24, v3
	s_movk_i32 s2, 0x80
	v_and_or_b32 v3, v3, s2, v4
	global_store_byte v[0:1], v3, off
.LBB231_2045:
	s_mov_b64 s[2:3], 0
.LBB231_2046:
	s_andn2_b64 vcc, exec, s[2:3]
	s_mov_b64 s[2:3], 0
	s_cbranch_vccnz .LBB231_2053
; %bb.2047:
	s_cmp_gt_i32 s18, 14
	s_mov_b64 s[4:5], -1
	s_cbranch_scc0 .LBB231_2051
; %bb.2048:
	s_cmp_eq_u32 s18, 15
	s_mov_b64 s[0:1], -1
	s_cbranch_scc0 .LBB231_2050
; %bb.2049:
	v_cvt_f32_i32_sdwa v3, sext(v2) dst_sel:DWORD dst_unused:UNUSED_PAD src0_sel:WORD_0
	s_movk_i32 s0, 0x7fff
	v_bfe_u32 v4, v3, 16, 1
	v_add3_u32 v3, v3, v4, s0
	global_store_short_d16_hi v[0:1], v3, off
	s_mov_b64 s[0:1], 0
.LBB231_2050:
	s_mov_b64 s[4:5], 0
.LBB231_2051:
	s_and_b64 vcc, exec, s[4:5]
	s_cbranch_vccz .LBB231_2053
; %bb.2052:
	s_cmp_lg_u32 s18, 11
	s_mov_b64 s[2:3], -1
	s_cselect_b64 s[0:1], -1, 0
.LBB231_2053:
	s_and_b64 vcc, exec, s[0:1]
	s_cbranch_vccnz .LBB231_2119
.LBB231_2054:
	s_mov_b64 s[0:1], 0
	s_branch .LBB231_2056
.LBB231_2055:
	s_mov_b64 s[0:1], 0
	s_mov_b64 s[2:3], 0
                                        ; implicit-def: $vgpr0_vgpr1
                                        ; implicit-def: $sgpr16
                                        ; implicit-def: $vgpr2
.LBB231_2056:
	s_and_b64 s[6:7], s[2:3], exec
	s_andn2_b64 s[2:3], s[28:29], exec
	s_and_b64 s[4:5], s[12:13], exec
	s_and_b64 s[0:1], s[0:1], exec
	s_or_b64 s[28:29], s[2:3], s[4:5]
.LBB231_2057:
	s_or_b64 exec, exec, s[30:31]
	s_and_saveexec_b64 s[2:3], s[28:29]
	s_cbranch_execz .LBB231_2060
; %bb.2058:
	; divergent unreachable
	s_or_b64 exec, exec, s[2:3]
	s_and_saveexec_b64 s[2:3], s[6:7]
	s_xor_b64 s[2:3], exec, s[2:3]
	s_cbranch_execnz .LBB231_2061
.LBB231_2059:
	s_or_b64 exec, exec, s[2:3]
	s_and_saveexec_b64 s[2:3], s[0:1]
	s_cbranch_execnz .LBB231_2062
	s_branch .LBB231_2099
.LBB231_2060:
	s_or_b64 exec, exec, s[2:3]
	s_and_saveexec_b64 s[2:3], s[6:7]
	s_xor_b64 s[2:3], exec, s[2:3]
	s_cbranch_execz .LBB231_2059
.LBB231_2061:
	v_cmp_ne_u16_e32 vcc, 0, v2
	s_waitcnt vmcnt(0)
	v_cndmask_b32_e64 v3, 0, 1, vcc
	global_store_byte v[0:1], v3, off
	s_or_b64 exec, exec, s[2:3]
	s_and_saveexec_b64 s[2:3], s[0:1]
	s_cbranch_execz .LBB231_2099
.LBB231_2062:
	s_sext_i32_i16 s2, s16
	s_cmp_lt_i32 s2, 5
	s_mov_b64 s[0:1], -1
	s_cbranch_scc1 .LBB231_2083
; %bb.2063:
	s_cmp_lt_i32 s2, 8
	s_cbranch_scc1 .LBB231_2073
; %bb.2064:
	s_cmp_lt_i32 s2, 9
	s_cbranch_scc1 .LBB231_2070
; %bb.2065:
	s_cmp_gt_i32 s2, 9
	s_cbranch_scc0 .LBB231_2067
; %bb.2066:
	s_waitcnt vmcnt(0)
	v_bfe_i32 v3, v2, 0, 16
	v_cvt_f64_i32_e32 v[3:4], v3
	v_mov_b32_e32 v5, 0
	v_mov_b32_e32 v6, v5
	s_mov_b64 s[0:1], 0
	global_store_dwordx4 v[0:1], v[3:6], off
.LBB231_2067:
	s_andn2_b64 vcc, exec, s[0:1]
	s_cbranch_vccnz .LBB231_2069
; %bb.2068:
	s_waitcnt vmcnt(0)
	v_cvt_f32_i32_sdwa v3, sext(v2) dst_sel:DWORD dst_unused:UNUSED_PAD src0_sel:WORD_0
	v_mov_b32_e32 v4, 0
	global_store_dwordx2 v[0:1], v[3:4], off
.LBB231_2069:
	s_mov_b64 s[0:1], 0
.LBB231_2070:
	s_andn2_b64 vcc, exec, s[0:1]
	s_cbranch_vccnz .LBB231_2072
; %bb.2071:
	s_waitcnt vmcnt(0)
	v_cvt_f16_i16_e32 v3, v2
	global_store_dword v[0:1], v3, off
.LBB231_2072:
	s_mov_b64 s[0:1], 0
.LBB231_2073:
	s_andn2_b64 vcc, exec, s[0:1]
	s_cbranch_vccnz .LBB231_2082
; %bb.2074:
	s_sext_i32_i16 s2, s16
	s_cmp_lt_i32 s2, 6
	s_mov_b64 s[0:1], -1
	s_cbranch_scc1 .LBB231_2080
; %bb.2075:
	s_cmp_gt_i32 s2, 6
	s_cbranch_scc0 .LBB231_2077
; %bb.2076:
	s_waitcnt vmcnt(0)
	v_bfe_i32 v3, v2, 0, 16
	v_cvt_f64_i32_e32 v[3:4], v3
	s_mov_b64 s[0:1], 0
	global_store_dwordx2 v[0:1], v[3:4], off
.LBB231_2077:
	s_andn2_b64 vcc, exec, s[0:1]
	s_cbranch_vccnz .LBB231_2079
; %bb.2078:
	s_waitcnt vmcnt(0)
	v_cvt_f32_i32_sdwa v3, sext(v2) dst_sel:DWORD dst_unused:UNUSED_PAD src0_sel:WORD_0
	global_store_dword v[0:1], v3, off
.LBB231_2079:
	s_mov_b64 s[0:1], 0
.LBB231_2080:
	s_andn2_b64 vcc, exec, s[0:1]
	s_cbranch_vccnz .LBB231_2082
; %bb.2081:
	s_waitcnt vmcnt(0)
	v_cvt_f16_i16_e32 v3, v2
	global_store_short v[0:1], v3, off
.LBB231_2082:
	s_mov_b64 s[0:1], 0
.LBB231_2083:
	s_andn2_b64 vcc, exec, s[0:1]
	s_cbranch_vccnz .LBB231_2099
; %bb.2084:
	s_sext_i32_i16 s2, s16
	s_cmp_lt_i32 s2, 2
	s_mov_b64 s[0:1], -1
	s_cbranch_scc1 .LBB231_2094
; %bb.2085:
	s_cmp_lt_i32 s2, 3
	s_cbranch_scc1 .LBB231_2091
; %bb.2086:
	s_cmp_gt_i32 s2, 3
	s_cbranch_scc0 .LBB231_2088
; %bb.2087:
	s_waitcnt vmcnt(0)
	v_bfe_i32 v3, v2, 0, 16
	v_ashrrev_i32_e32 v4, 31, v3
	global_store_dwordx2 v[0:1], v[3:4], off
	s_mov_b64 s[0:1], 0
.LBB231_2088:
	s_andn2_b64 vcc, exec, s[0:1]
	s_cbranch_vccnz .LBB231_2090
; %bb.2089:
	s_waitcnt vmcnt(0)
	v_bfe_i32 v3, v2, 0, 16
	global_store_dword v[0:1], v3, off
.LBB231_2090:
	s_mov_b64 s[0:1], 0
.LBB231_2091:
	s_andn2_b64 vcc, exec, s[0:1]
	s_cbranch_vccnz .LBB231_2093
; %bb.2092:
	global_store_short v[0:1], v2, off
.LBB231_2093:
	s_mov_b64 s[0:1], 0
.LBB231_2094:
	s_andn2_b64 vcc, exec, s[0:1]
	s_cbranch_vccnz .LBB231_2099
; %bb.2095:
	s_sext_i32_i16 s0, s16
	s_cmp_gt_i32 s0, 0
	s_mov_b64 s[0:1], -1
	s_cbranch_scc0 .LBB231_2097
; %bb.2096:
	global_store_byte v[0:1], v2, off
	s_mov_b64 s[0:1], 0
.LBB231_2097:
	s_andn2_b64 vcc, exec, s[0:1]
	s_cbranch_vccnz .LBB231_2099
; %bb.2098:
	global_store_byte v[0:1], v2, off
	s_endpgm
.LBB231_2099:
	s_endpgm
.LBB231_2100:
	s_mov_b64 s[2:3], 0
	s_mov_b64 s[0:1], -1
	s_branch .LBB231_2056
.LBB231_2101:
	s_trap 2
	s_or_b64 s[12:13], s[12:13], exec
	s_cbranch_execz .LBB231_1570
	s_branch .LBB231_1571
.LBB231_2102:
	s_andn2_saveexec_b64 s[14:15], s[14:15]
	s_cbranch_execz .LBB231_1650
.LBB231_2103:
	s_mov_b32 s19, 0x46000000
	v_add_f32_e64 v8, |v3|, s19
	v_and_b32_e32 v8, 0xff, v8
	v_cmp_ne_u32_e32 vcc, 0, v8
	s_andn2_b64 s[10:11], s[10:11], exec
	s_and_b64 s[20:21], vcc, exec
	s_or_b64 s[10:11], s[10:11], s[20:21]
	s_or_b64 exec, exec, s[14:15]
	v_mov_b32_e32 v10, 0
	s_and_saveexec_b64 s[14:15], s[10:11]
	s_cbranch_execnz .LBB231_1651
	s_branch .LBB231_1652
.LBB231_2104:
	s_trap 2
	s_or_b64 s[12:13], s[12:13], exec
	s_cbranch_execz .LBB231_1698
	s_branch .LBB231_1699
.LBB231_2105:
	s_andn2_saveexec_b64 s[10:11], s[10:11]
	s_cbranch_execz .LBB231_1663
.LBB231_2106:
	s_mov_b32 s14, 0x42800000
	v_add_f32_e64 v8, |v3|, s14
	v_and_b32_e32 v8, 0xff, v8
	v_cmp_ne_u32_e32 vcc, 0, v8
	s_andn2_b64 s[6:7], s[6:7], exec
	s_and_b64 s[14:15], vcc, exec
	s_or_b64 s[6:7], s[6:7], s[14:15]
	s_or_b64 exec, exec, s[10:11]
	v_mov_b32_e32 v10, 0
	s_and_saveexec_b64 s[10:11], s[6:7]
	s_cbranch_execnz .LBB231_1664
	s_branch .LBB231_1665
.LBB231_2107:
	s_andn2_saveexec_b64 s[14:15], s[14:15]
	s_cbranch_execz .LBB231_1769
.LBB231_2108:
	s_mov_b32 s19, 0x46000000
	v_add_f32_e64 v6, |v5|, s19
	v_and_b32_e32 v6, 0xff, v6
	v_cmp_ne_u32_e32 vcc, 0, v6
	s_andn2_b64 s[10:11], s[10:11], exec
	s_and_b64 s[20:21], vcc, exec
	s_or_b64 s[10:11], s[10:11], s[20:21]
	s_or_b64 exec, exec, s[14:15]
	v_mov_b32_e32 v8, 0
	s_and_saveexec_b64 s[14:15], s[10:11]
	s_cbranch_execnz .LBB231_1770
	s_branch .LBB231_1771
.LBB231_2109:
	s_trap 2
	s_or_b64 s[12:13], s[12:13], exec
	s_cbranch_execz .LBB231_1817
	s_branch .LBB231_1818
.LBB231_2110:
	s_andn2_saveexec_b64 s[10:11], s[10:11]
	s_cbranch_execz .LBB231_1782
.LBB231_2111:
	s_mov_b32 s14, 0x42800000
	v_add_f32_e64 v6, |v5|, s14
	v_and_b32_e32 v6, 0xff, v6
	v_cmp_ne_u32_e32 vcc, 0, v6
	s_andn2_b64 s[6:7], s[6:7], exec
	s_and_b64 s[14:15], vcc, exec
	s_or_b64 s[6:7], s[6:7], s[14:15]
	s_or_b64 exec, exec, s[10:11]
	v_mov_b32_e32 v8, 0
	s_and_saveexec_b64 s[10:11], s[6:7]
	s_cbranch_execnz .LBB231_1783
	s_branch .LBB231_1784
.LBB231_2112:
	s_andn2_saveexec_b64 s[14:15], s[14:15]
	s_cbranch_execz .LBB231_1888
.LBB231_2113:
	s_mov_b32 s19, 0x46000000
	v_add_f32_e64 v4, |v3|, s19
	v_and_b32_e32 v4, 0xff, v4
	v_cmp_ne_u32_e32 vcc, 0, v4
	s_andn2_b64 s[10:11], s[10:11], exec
	s_and_b64 s[20:21], vcc, exec
	s_or_b64 s[10:11], s[10:11], s[20:21]
	s_or_b64 exec, exec, s[14:15]
	v_mov_b32_e32 v6, 0
	s_and_saveexec_b64 s[14:15], s[10:11]
	s_cbranch_execnz .LBB231_1889
	s_branch .LBB231_1890
.LBB231_2114:
	s_trap 2
	s_or_b64 s[12:13], s[12:13], exec
	s_cbranch_execz .LBB231_1936
	s_branch .LBB231_1937
.LBB231_2115:
	s_andn2_saveexec_b64 s[10:11], s[10:11]
	s_cbranch_execz .LBB231_1901
.LBB231_2116:
	s_mov_b32 s14, 0x42800000
	v_add_f32_e64 v4, |v3|, s14
	v_and_b32_e32 v4, 0xff, v4
	v_cmp_ne_u32_e32 vcc, 0, v4
	s_andn2_b64 s[6:7], s[6:7], exec
	s_and_b64 s[14:15], vcc, exec
	s_or_b64 s[6:7], s[6:7], s[14:15]
	s_or_b64 exec, exec, s[10:11]
	v_mov_b32_e32 v6, 0
	s_and_saveexec_b64 s[10:11], s[6:7]
	s_cbranch_execnz .LBB231_1902
	s_branch .LBB231_1903
.LBB231_2117:
	s_andn2_saveexec_b64 s[8:9], s[8:9]
	s_cbranch_execz .LBB231_2008
.LBB231_2118:
	s_mov_b32 s10, 0x46000000
	v_add_f32_e64 v4, |v3|, s10
	v_and_b32_e32 v4, 0xff, v4
	v_cmp_ne_u32_e32 vcc, 0, v4
	s_andn2_b64 s[6:7], s[6:7], exec
	s_and_b64 s[10:11], vcc, exec
	s_or_b64 s[6:7], s[6:7], s[10:11]
	s_or_b64 exec, exec, s[8:9]
	v_mov_b32_e32 v5, 0
	s_and_saveexec_b64 s[8:9], s[6:7]
	s_cbranch_execnz .LBB231_2009
	s_branch .LBB231_2010
.LBB231_2119:
	s_mov_b64 s[2:3], 0
	s_or_b64 s[12:13], s[12:13], exec
	s_trap 2
	s_branch .LBB231_2054
.LBB231_2120:
	s_andn2_saveexec_b64 s[6:7], s[6:7]
	s_cbranch_execz .LBB231_2020
.LBB231_2121:
	s_mov_b32 s8, 0x42800000
	v_add_f32_e64 v4, |v3|, s8
	v_and_b32_e32 v4, 0xff, v4
	v_cmp_ne_u32_e32 vcc, 0, v4
	s_andn2_b64 s[4:5], s[4:5], exec
	s_and_b64 s[8:9], vcc, exec
	s_or_b64 s[4:5], s[4:5], s[8:9]
	s_or_b64 exec, exec, s[6:7]
	v_mov_b32_e32 v5, 0
	s_and_saveexec_b64 s[6:7], s[4:5]
	s_cbranch_execnz .LBB231_2021
	s_branch .LBB231_2022
	.section	.rodata,"a",@progbits
	.p2align	6, 0x0
	.amdhsa_kernel _ZN2at6native32elementwise_kernel_manual_unrollILi128ELi4EZNS0_15gpu_kernel_implINS0_13BUnaryFunctorIsssZZZNS0_18rshift_kernel_cudaERNS_18TensorIteratorBaseEENKUlvE_clEvENKUlvE3_clEvEUlssE_EEEEvS5_RKT_EUlibE0_EEviT1_
		.amdhsa_group_segment_fixed_size 0
		.amdhsa_private_segment_fixed_size 0
		.amdhsa_kernarg_size 360
		.amdhsa_user_sgpr_count 6
		.amdhsa_user_sgpr_private_segment_buffer 1
		.amdhsa_user_sgpr_dispatch_ptr 0
		.amdhsa_user_sgpr_queue_ptr 0
		.amdhsa_user_sgpr_kernarg_segment_ptr 1
		.amdhsa_user_sgpr_dispatch_id 0
		.amdhsa_user_sgpr_flat_scratch_init 0
		.amdhsa_user_sgpr_private_segment_size 0
		.amdhsa_uses_dynamic_stack 0
		.amdhsa_system_sgpr_private_segment_wavefront_offset 0
		.amdhsa_system_sgpr_workgroup_id_x 1
		.amdhsa_system_sgpr_workgroup_id_y 0
		.amdhsa_system_sgpr_workgroup_id_z 0
		.amdhsa_system_sgpr_workgroup_info 0
		.amdhsa_system_vgpr_workitem_id 0
		.amdhsa_next_free_vgpr 18
		.amdhsa_next_free_sgpr 81
		.amdhsa_reserve_vcc 1
		.amdhsa_reserve_flat_scratch 0
		.amdhsa_float_round_mode_32 0
		.amdhsa_float_round_mode_16_64 0
		.amdhsa_float_denorm_mode_32 3
		.amdhsa_float_denorm_mode_16_64 3
		.amdhsa_dx10_clamp 1
		.amdhsa_ieee_mode 1
		.amdhsa_fp16_overflow 0
		.amdhsa_exception_fp_ieee_invalid_op 0
		.amdhsa_exception_fp_denorm_src 0
		.amdhsa_exception_fp_ieee_div_zero 0
		.amdhsa_exception_fp_ieee_overflow 0
		.amdhsa_exception_fp_ieee_underflow 0
		.amdhsa_exception_fp_ieee_inexact 0
		.amdhsa_exception_int_div_zero 0
	.end_amdhsa_kernel
	.section	.text._ZN2at6native32elementwise_kernel_manual_unrollILi128ELi4EZNS0_15gpu_kernel_implINS0_13BUnaryFunctorIsssZZZNS0_18rshift_kernel_cudaERNS_18TensorIteratorBaseEENKUlvE_clEvENKUlvE3_clEvEUlssE_EEEEvS5_RKT_EUlibE0_EEviT1_,"axG",@progbits,_ZN2at6native32elementwise_kernel_manual_unrollILi128ELi4EZNS0_15gpu_kernel_implINS0_13BUnaryFunctorIsssZZZNS0_18rshift_kernel_cudaERNS_18TensorIteratorBaseEENKUlvE_clEvENKUlvE3_clEvEUlssE_EEEEvS5_RKT_EUlibE0_EEviT1_,comdat
.Lfunc_end231:
	.size	_ZN2at6native32elementwise_kernel_manual_unrollILi128ELi4EZNS0_15gpu_kernel_implINS0_13BUnaryFunctorIsssZZZNS0_18rshift_kernel_cudaERNS_18TensorIteratorBaseEENKUlvE_clEvENKUlvE3_clEvEUlssE_EEEEvS5_RKT_EUlibE0_EEviT1_, .Lfunc_end231-_ZN2at6native32elementwise_kernel_manual_unrollILi128ELi4EZNS0_15gpu_kernel_implINS0_13BUnaryFunctorIsssZZZNS0_18rshift_kernel_cudaERNS_18TensorIteratorBaseEENKUlvE_clEvENKUlvE3_clEvEUlssE_EEEEvS5_RKT_EUlibE0_EEviT1_
                                        ; -- End function
	.set _ZN2at6native32elementwise_kernel_manual_unrollILi128ELi4EZNS0_15gpu_kernel_implINS0_13BUnaryFunctorIsssZZZNS0_18rshift_kernel_cudaERNS_18TensorIteratorBaseEENKUlvE_clEvENKUlvE3_clEvEUlssE_EEEEvS5_RKT_EUlibE0_EEviT1_.num_vgpr, 18
	.set _ZN2at6native32elementwise_kernel_manual_unrollILi128ELi4EZNS0_15gpu_kernel_implINS0_13BUnaryFunctorIsssZZZNS0_18rshift_kernel_cudaERNS_18TensorIteratorBaseEENKUlvE_clEvENKUlvE3_clEvEUlssE_EEEEvS5_RKT_EUlibE0_EEviT1_.num_agpr, 0
	.set _ZN2at6native32elementwise_kernel_manual_unrollILi128ELi4EZNS0_15gpu_kernel_implINS0_13BUnaryFunctorIsssZZZNS0_18rshift_kernel_cudaERNS_18TensorIteratorBaseEENKUlvE_clEvENKUlvE3_clEvEUlssE_EEEEvS5_RKT_EUlibE0_EEviT1_.numbered_sgpr, 81
	.set _ZN2at6native32elementwise_kernel_manual_unrollILi128ELi4EZNS0_15gpu_kernel_implINS0_13BUnaryFunctorIsssZZZNS0_18rshift_kernel_cudaERNS_18TensorIteratorBaseEENKUlvE_clEvENKUlvE3_clEvEUlssE_EEEEvS5_RKT_EUlibE0_EEviT1_.num_named_barrier, 0
	.set _ZN2at6native32elementwise_kernel_manual_unrollILi128ELi4EZNS0_15gpu_kernel_implINS0_13BUnaryFunctorIsssZZZNS0_18rshift_kernel_cudaERNS_18TensorIteratorBaseEENKUlvE_clEvENKUlvE3_clEvEUlssE_EEEEvS5_RKT_EUlibE0_EEviT1_.private_seg_size, 0
	.set _ZN2at6native32elementwise_kernel_manual_unrollILi128ELi4EZNS0_15gpu_kernel_implINS0_13BUnaryFunctorIsssZZZNS0_18rshift_kernel_cudaERNS_18TensorIteratorBaseEENKUlvE_clEvENKUlvE3_clEvEUlssE_EEEEvS5_RKT_EUlibE0_EEviT1_.uses_vcc, 1
	.set _ZN2at6native32elementwise_kernel_manual_unrollILi128ELi4EZNS0_15gpu_kernel_implINS0_13BUnaryFunctorIsssZZZNS0_18rshift_kernel_cudaERNS_18TensorIteratorBaseEENKUlvE_clEvENKUlvE3_clEvEUlssE_EEEEvS5_RKT_EUlibE0_EEviT1_.uses_flat_scratch, 0
	.set _ZN2at6native32elementwise_kernel_manual_unrollILi128ELi4EZNS0_15gpu_kernel_implINS0_13BUnaryFunctorIsssZZZNS0_18rshift_kernel_cudaERNS_18TensorIteratorBaseEENKUlvE_clEvENKUlvE3_clEvEUlssE_EEEEvS5_RKT_EUlibE0_EEviT1_.has_dyn_sized_stack, 0
	.set _ZN2at6native32elementwise_kernel_manual_unrollILi128ELi4EZNS0_15gpu_kernel_implINS0_13BUnaryFunctorIsssZZZNS0_18rshift_kernel_cudaERNS_18TensorIteratorBaseEENKUlvE_clEvENKUlvE3_clEvEUlssE_EEEEvS5_RKT_EUlibE0_EEviT1_.has_recursion, 0
	.set _ZN2at6native32elementwise_kernel_manual_unrollILi128ELi4EZNS0_15gpu_kernel_implINS0_13BUnaryFunctorIsssZZZNS0_18rshift_kernel_cudaERNS_18TensorIteratorBaseEENKUlvE_clEvENKUlvE3_clEvEUlssE_EEEEvS5_RKT_EUlibE0_EEviT1_.has_indirect_call, 0
	.section	.AMDGPU.csdata,"",@progbits
; Kernel info:
; codeLenInByte = 35316
; TotalNumSgprs: 85
; NumVgprs: 18
; ScratchSize: 0
; MemoryBound: 1
; FloatMode: 240
; IeeeMode: 1
; LDSByteSize: 0 bytes/workgroup (compile time only)
; SGPRBlocks: 10
; VGPRBlocks: 4
; NumSGPRsForWavesPerEU: 85
; NumVGPRsForWavesPerEU: 18
; Occupancy: 9
; WaveLimiterHint : 1
; COMPUTE_PGM_RSRC2:SCRATCH_EN: 0
; COMPUTE_PGM_RSRC2:USER_SGPR: 6
; COMPUTE_PGM_RSRC2:TRAP_HANDLER: 0
; COMPUTE_PGM_RSRC2:TGID_X_EN: 1
; COMPUTE_PGM_RSRC2:TGID_Y_EN: 0
; COMPUTE_PGM_RSRC2:TGID_Z_EN: 0
; COMPUTE_PGM_RSRC2:TIDIG_COMP_CNT: 0
	.section	.text._ZN2at6native29vectorized_elementwise_kernelILi16ENS0_13BinaryFunctorIsssZZZNS0_18rshift_kernel_cudaERNS_18TensorIteratorBaseEENKUlvE_clEvENKUlvE3_clEvEUlssE_EESt5arrayIPcLm3EEEEviT0_T1_,"axG",@progbits,_ZN2at6native29vectorized_elementwise_kernelILi16ENS0_13BinaryFunctorIsssZZZNS0_18rshift_kernel_cudaERNS_18TensorIteratorBaseEENKUlvE_clEvENKUlvE3_clEvEUlssE_EESt5arrayIPcLm3EEEEviT0_T1_,comdat
	.globl	_ZN2at6native29vectorized_elementwise_kernelILi16ENS0_13BinaryFunctorIsssZZZNS0_18rshift_kernel_cudaERNS_18TensorIteratorBaseEENKUlvE_clEvENKUlvE3_clEvEUlssE_EESt5arrayIPcLm3EEEEviT0_T1_ ; -- Begin function _ZN2at6native29vectorized_elementwise_kernelILi16ENS0_13BinaryFunctorIsssZZZNS0_18rshift_kernel_cudaERNS_18TensorIteratorBaseEENKUlvE_clEvENKUlvE3_clEvEUlssE_EESt5arrayIPcLm3EEEEviT0_T1_
	.p2align	8
	.type	_ZN2at6native29vectorized_elementwise_kernelILi16ENS0_13BinaryFunctorIsssZZZNS0_18rshift_kernel_cudaERNS_18TensorIteratorBaseEENKUlvE_clEvENKUlvE3_clEvEUlssE_EESt5arrayIPcLm3EEEEviT0_T1_,@function
_ZN2at6native29vectorized_elementwise_kernelILi16ENS0_13BinaryFunctorIsssZZZNS0_18rshift_kernel_cudaERNS_18TensorIteratorBaseEENKUlvE_clEvENKUlvE3_clEvEUlssE_EESt5arrayIPcLm3EEEEviT0_T1_: ; @_ZN2at6native29vectorized_elementwise_kernelILi16ENS0_13BinaryFunctorIsssZZZNS0_18rshift_kernel_cudaERNS_18TensorIteratorBaseEENKUlvE_clEvENKUlvE3_clEvEUlssE_EESt5arrayIPcLm3EEEEviT0_T1_
; %bb.0:
	s_load_dword s0, s[4:5], 0x0
	s_load_dwordx4 s[8:11], s[4:5], 0x8
	s_load_dwordx2 s[12:13], s[4:5], 0x18
	s_lshl_b32 s2, s6, 11
	s_waitcnt lgkmcnt(0)
	s_sub_i32 s6, s0, s2
	s_cmpk_gt_i32 s6, 0x7ff
	s_mov_b64 s[0:1], -1
	s_cbranch_scc0 .LBB232_2
; %bb.1:
	s_ashr_i32 s3, s2, 31
	s_lshl_b64 s[0:1], s[2:3], 1
	s_add_u32 s4, s10, s0
	s_addc_u32 s5, s11, s1
	v_lshlrev_b32_e32 v9, 4, v0
	global_load_dwordx4 v[1:4], v9, s[4:5]
	s_add_u32 s4, s12, s0
	s_addc_u32 s5, s13, s1
	global_load_dwordx4 v[5:8], v9, s[4:5]
	s_add_u32 s4, s8, s0
	v_mov_b32_e32 v18, 14
	s_addc_u32 s5, s9, s1
	s_mov_b32 s3, 0x5040100
	s_waitcnt vmcnt(1)
	v_pk_ashrrev_i16 v10, 15, v1 op_sel_hi:[0,1]
	v_pk_ashrrev_i16 v11, 15, v2 op_sel_hi:[0,1]
	v_lshrrev_b32_e32 v19, 16, v10
	s_waitcnt vmcnt(0)
	v_ashrrev_i32_sdwa v14, v5, sext(v1) dst_sel:DWORD dst_unused:UNUSED_PAD src0_sel:DWORD src1_sel:WORD_0
	v_ashrrev_i32_sdwa v15, v6, sext(v2) dst_sel:DWORD dst_unused:UNUSED_PAD src0_sel:DWORD src1_sel:WORD_0
	v_cmp_lt_u16_e32 vcc, 14, v5
	v_cmp_lt_u16_e64 s[0:1], 14, v6
	v_ashrrev_i32_sdwa v2, v6, sext(v2) dst_sel:DWORD dst_unused:UNUSED_PAD src0_sel:WORD_1 src1_sel:WORD_1
	v_cndmask_b32_e32 v10, v14, v10, vcc
	v_lshrrev_b32_e32 v14, 16, v11
	v_cndmask_b32_e64 v11, v15, v11, s[0:1]
	v_cmp_gt_u16_sdwa s[0:1], v6, v18 src0_sel:WORD_1 src1_sel:DWORD
	v_pk_ashrrev_i16 v12, 15, v3 op_sel_hi:[0,1]
	v_ashrrev_i32_sdwa v16, v7, sext(v3) dst_sel:DWORD dst_unused:UNUSED_PAD src0_sel:DWORD src1_sel:WORD_0
	v_cndmask_b32_e64 v2, v2, v14, s[0:1]
	v_cmp_lt_u16_e64 s[0:1], 14, v7
	v_ashrrev_i32_sdwa v1, v5, sext(v1) dst_sel:DWORD dst_unused:UNUSED_PAD src0_sel:WORD_1 src1_sel:WORD_1
	v_ashrrev_i32_sdwa v3, v7, sext(v3) dst_sel:DWORD dst_unused:UNUSED_PAD src0_sel:WORD_1 src1_sel:WORD_1
	v_cmp_gt_u16_sdwa vcc, v5, v18 src0_sel:WORD_1 src1_sel:DWORD
	v_lshrrev_b32_e32 v5, 16, v12
	v_cndmask_b32_e64 v6, v16, v12, s[0:1]
	v_cmp_gt_u16_sdwa s[0:1], v7, v18 src0_sel:WORD_1 src1_sel:DWORD
	v_pk_ashrrev_i16 v13, 15, v4 op_sel_hi:[0,1]
	v_ashrrev_i32_sdwa v17, v8, sext(v4) dst_sel:DWORD dst_unused:UNUSED_PAD src0_sel:DWORD src1_sel:WORD_0
	v_ashrrev_i32_sdwa v4, v8, sext(v4) dst_sel:DWORD dst_unused:UNUSED_PAD src0_sel:WORD_1 src1_sel:WORD_1
	v_cndmask_b32_e32 v1, v1, v19, vcc
	v_cmp_gt_u16_sdwa vcc, v8, v18 src0_sel:WORD_1 src1_sel:DWORD
	v_cndmask_b32_e64 v3, v3, v5, s[0:1]
	v_cmp_lt_u16_e64 s[0:1], 14, v8
	v_cndmask_b32_e64 v5, v17, v13, s[0:1]
	v_cndmask_b32_sdwa v4, v4, v13, vcc dst_sel:DWORD dst_unused:UNUSED_PAD src0_sel:DWORD src1_sel:WORD_1
	v_perm_b32 v3, v3, v6, s3
	v_perm_b32 v2, v2, v11, s3
	;; [unrolled: 1-line block ×4, first 2 shown]
	global_store_dwordx4 v9, v[1:4], s[4:5]
	s_mov_b64 s[0:1], 0
.LBB232_2:
	s_andn2_b64 vcc, exec, s[0:1]
	s_cbranch_vccnz .LBB232_28
; %bb.3:
	v_cmp_gt_i32_e32 vcc, s6, v0
	v_mov_b32_e32 v3, 0
	v_or_b32_e32 v1, s2, v0
	v_mov_b32_e32 v2, 0
	v_mov_b32_e32 v4, 0
	;; [unrolled: 1-line block ×3, first 2 shown]
	s_and_saveexec_b64 s[4:5], vcc
	s_cbranch_execz .LBB232_5
; %bb.4:
	v_mov_b32_e32 v2, 0
	v_lshlrev_b64 v[4:5], 1, v[1:2]
	v_mov_b32_e32 v2, s13
	v_add_co_u32_e64 v6, s[0:1], s12, v4
	v_addc_co_u32_e64 v7, s[0:1], v2, v5, s[0:1]
	v_mov_b32_e32 v2, s11
	v_add_co_u32_e64 v8, s[0:1], s10, v4
	v_addc_co_u32_e64 v9, s[0:1], v2, v5, s[0:1]
	global_load_ushort v2, v[8:9], off
	global_load_ushort v4, v[6:7], off
	v_or_b32_e32 v6, 0x100, v0
.LBB232_5:
	s_or_b64 exec, exec, s[4:5]
	v_cmp_gt_i32_e64 s[0:1], s6, v6
	v_mov_b32_e32 v5, 0
	s_and_saveexec_b64 s[4:5], s[0:1]
	s_cbranch_execz .LBB232_7
; %bb.6:
	v_add_u32_e32 v7, s2, v6
	v_mov_b32_e32 v8, 0
	v_lshlrev_b64 v[7:8], 1, v[7:8]
	v_mov_b32_e32 v3, s13
	v_add_co_u32_e64 v9, s[0:1], s12, v7
	v_addc_co_u32_e64 v10, s[0:1], v3, v8, s[0:1]
	v_mov_b32_e32 v3, s11
	v_add_co_u32_e64 v7, s[0:1], s10, v7
	v_addc_co_u32_e64 v8, s[0:1], v3, v8, s[0:1]
	global_load_ushort v3, v[7:8], off
	global_load_ushort v5, v[9:10], off
	v_add_u32_e32 v6, 0x100, v6
.LBB232_7:
	s_or_b64 exec, exec, s[4:5]
	v_cmp_gt_i32_e64 s[0:1], s6, v6
	v_mov_b32_e32 v7, 0
	v_mov_b32_e32 v8, 0
	v_mov_b32_e32 v9, 0
	s_and_saveexec_b64 s[4:5], s[0:1]
	s_cbranch_execz .LBB232_9
; %bb.8:
	v_add_u32_e32 v8, s2, v6
	v_mov_b32_e32 v9, 0
	v_lshlrev_b64 v[8:9], 1, v[8:9]
	v_mov_b32_e32 v11, s13
	v_add_co_u32_e64 v10, s[0:1], s12, v8
	v_addc_co_u32_e64 v11, s[0:1], v11, v9, s[0:1]
	v_mov_b32_e32 v13, s11
	v_add_co_u32_e64 v12, s[0:1], s10, v8
	v_addc_co_u32_e64 v13, s[0:1], v13, v9, s[0:1]
	global_load_ushort v8, v[12:13], off
	global_load_ushort v9, v[10:11], off
	v_add_u32_e32 v6, 0x100, v6
.LBB232_9:
	s_or_b64 exec, exec, s[4:5]
	v_cmp_gt_i32_e64 s[0:1], s6, v6
	v_mov_b32_e32 v10, 0
	s_and_saveexec_b64 s[4:5], s[0:1]
	s_cbranch_execz .LBB232_11
; %bb.10:
	v_add_u32_e32 v10, s2, v6
	v_mov_b32_e32 v11, 0
	v_lshlrev_b64 v[10:11], 1, v[10:11]
	v_mov_b32_e32 v7, s13
	v_add_co_u32_e64 v12, s[0:1], s12, v10
	v_addc_co_u32_e64 v13, s[0:1], v7, v11, s[0:1]
	v_mov_b32_e32 v7, s11
	v_add_co_u32_e64 v14, s[0:1], s10, v10
	v_addc_co_u32_e64 v15, s[0:1], v7, v11, s[0:1]
	global_load_ushort v7, v[14:15], off
	global_load_ushort v10, v[12:13], off
	v_add_u32_e32 v6, 0x100, v6
.LBB232_11:
	s_or_b64 exec, exec, s[4:5]
	v_cmp_gt_i32_e64 s[0:1], s6, v6
	v_mov_b32_e32 v11, 0
	v_mov_b32_e32 v12, 0
	v_mov_b32_e32 v13, 0
	s_and_saveexec_b64 s[4:5], s[0:1]
	s_cbranch_execz .LBB232_13
; %bb.12:
	v_add_u32_e32 v12, s2, v6
	v_mov_b32_e32 v13, 0
	v_lshlrev_b64 v[12:13], 1, v[12:13]
	v_mov_b32_e32 v15, s13
	v_add_co_u32_e64 v14, s[0:1], s12, v12
	v_addc_co_u32_e64 v15, s[0:1], v15, v13, s[0:1]
	v_mov_b32_e32 v17, s11
	v_add_co_u32_e64 v16, s[0:1], s10, v12
	v_addc_co_u32_e64 v17, s[0:1], v17, v13, s[0:1]
	global_load_ushort v12, v[16:17], off
	global_load_ushort v13, v[14:15], off
	v_add_u32_e32 v6, 0x100, v6
.LBB232_13:
	;; [unrolled: 40-line block ×3, first 2 shown]
	s_or_b64 exec, exec, s[4:5]
	v_cmp_gt_i32_e64 s[0:1], s6, v6
	v_mov_b32_e32 v19, 0
	s_and_saveexec_b64 s[4:5], s[0:1]
	s_cbranch_execz .LBB232_19
; %bb.18:
	v_add_u32_e32 v18, s2, v6
	v_mov_b32_e32 v19, 0
	v_lshlrev_b64 v[18:19], 1, v[18:19]
	v_mov_b32_e32 v6, s13
	v_add_co_u32_e64 v20, s[0:1], s12, v18
	v_addc_co_u32_e64 v21, s[0:1], v6, v19, s[0:1]
	v_mov_b32_e32 v6, s11
	v_add_co_u32_e64 v22, s[0:1], s10, v18
	v_addc_co_u32_e64 v23, s[0:1], v6, v19, s[0:1]
	global_load_ushort v15, v[22:23], off
	global_load_ushort v19, v[20:21], off
.LBB232_19:
	s_or_b64 exec, exec, s[4:5]
	s_waitcnt vmcnt(1)
	v_ashrrev_i16_e32 v6, 15, v2
	s_waitcnt vmcnt(0)
	v_ashrrev_i32_sdwa v2, v4, sext(v2) dst_sel:DWORD dst_unused:UNUSED_PAD src0_sel:WORD_0 src1_sel:WORD_0
	v_cmp_lt_u16_e64 s[0:1], 14, v4
	v_cndmask_b32_e64 v2, v2, v6, s[0:1]
	v_and_b32_e32 v2, 0xffff, v2
	v_ashrrev_i16_e32 v4, 15, v3
	v_ashrrev_i32_sdwa v3, v5, sext(v3) dst_sel:DWORD dst_unused:UNUSED_PAD src0_sel:WORD_0 src1_sel:WORD_0
	v_cmp_lt_u16_e64 s[0:1], 14, v5
	v_cndmask_b32_e32 v2, 0, v2, vcc
	v_or_b32_e32 v18, 0x100, v0
	v_cndmask_b32_e64 v3, v3, v4, s[0:1]
	s_mov_b32 s3, 0x5040100
	v_perm_b32 v3, v3, v2, s3
	v_cmp_gt_i32_e64 s[0:1], s6, v18
	v_cndmask_b32_e64 v6, v2, v3, s[0:1]
	v_ashrrev_i16_e32 v3, 15, v8
	v_ashrrev_i32_sdwa v4, v9, sext(v8) dst_sel:DWORD dst_unused:UNUSED_PAD src0_sel:WORD_0 src1_sel:WORD_0
	v_cmp_lt_u16_e64 s[0:1], 14, v9
	v_or_b32_e32 v2, 0x200, v0
	v_cndmask_b32_e64 v3, v4, v3, s[0:1]
	v_and_b32_e32 v3, 0xffff, v3
	v_cmp_gt_i32_e64 s[0:1], s6, v2
	v_cndmask_b32_e64 v2, 0, v3, s[0:1]
	v_ashrrev_i16_e32 v4, 15, v7
	v_ashrrev_i32_sdwa v5, v10, sext(v7) dst_sel:DWORD dst_unused:UNUSED_PAD src0_sel:WORD_0 src1_sel:WORD_0
	v_cmp_lt_u16_e64 s[0:1], 14, v10
	v_or_b32_e32 v3, 0x300, v0
	v_cndmask_b32_e64 v4, v5, v4, s[0:1]
	v_perm_b32 v4, v4, v2, s3
	v_cmp_gt_i32_e64 s[0:1], s6, v3
	v_cndmask_b32_e64 v5, v2, v4, s[0:1]
	v_ashrrev_i16_e32 v3, 15, v12
	v_ashrrev_i32_sdwa v4, v13, sext(v12) dst_sel:DWORD dst_unused:UNUSED_PAD src0_sel:WORD_0 src1_sel:WORD_0
	v_cmp_lt_u16_e64 s[0:1], 14, v13
	v_or_b32_e32 v2, 0x400, v0
	v_cndmask_b32_e64 v3, v4, v3, s[0:1]
	v_and_b32_e32 v3, 0xffff, v3
	v_cmp_gt_i32_e64 s[0:1], s6, v2
	v_cndmask_b32_e64 v2, 0, v3, s[0:1]
	v_ashrrev_i16_e32 v4, 15, v11
	v_ashrrev_i32_sdwa v7, v14, sext(v11) dst_sel:DWORD dst_unused:UNUSED_PAD src0_sel:WORD_0 src1_sel:WORD_0
	v_cmp_lt_u16_e64 s[0:1], 14, v14
	v_or_b32_e32 v3, 0x500, v0
	v_cndmask_b32_e64 v4, v7, v4, s[0:1]
	;; [unrolled: 16-line block ×3, first 2 shown]
	v_perm_b32 v7, v7, v2, s3
	v_cmp_gt_i32_e64 s[0:1], s6, v3
	v_cndmask_b32_e64 v3, v2, v7, s[0:1]
	s_and_saveexec_b64 s[0:1], vcc
	s_cbranch_execnz .LBB232_29
; %bb.20:
	s_or_b64 exec, exec, s[0:1]
	v_cmp_gt_i32_e32 vcc, s6, v0
	s_and_saveexec_b64 s[0:1], vcc
	s_cbranch_execnz .LBB232_30
.LBB232_21:
	s_or_b64 exec, exec, s[0:1]
	v_cmp_gt_i32_e32 vcc, s6, v0
	s_and_saveexec_b64 s[0:1], vcc
	s_cbranch_execnz .LBB232_31
.LBB232_22:
	s_or_b64 exec, exec, s[0:1]
	v_cmp_gt_i32_e32 vcc, s6, v0
	s_and_saveexec_b64 s[0:1], vcc
	s_cbranch_execnz .LBB232_32
.LBB232_23:
	s_or_b64 exec, exec, s[0:1]
	v_cmp_gt_i32_e32 vcc, s6, v0
	s_and_saveexec_b64 s[0:1], vcc
	s_cbranch_execnz .LBB232_33
.LBB232_24:
	s_or_b64 exec, exec, s[0:1]
	v_cmp_gt_i32_e32 vcc, s6, v0
	s_and_saveexec_b64 s[0:1], vcc
	s_cbranch_execnz .LBB232_34
.LBB232_25:
	s_or_b64 exec, exec, s[0:1]
	v_cmp_gt_i32_e32 vcc, s6, v0
	s_and_saveexec_b64 s[0:1], vcc
	s_cbranch_execnz .LBB232_35
.LBB232_26:
	s_or_b64 exec, exec, s[0:1]
	v_cmp_gt_i32_e32 vcc, s6, v0
	s_and_saveexec_b64 s[0:1], vcc
	s_cbranch_execz .LBB232_28
.LBB232_27:
	v_add_u32_e32 v0, s2, v0
	v_mov_b32_e32 v1, 0
	v_lshlrev_b64 v[0:1], 1, v[0:1]
	v_mov_b32_e32 v2, s9
	v_add_co_u32_e32 v0, vcc, s8, v0
	v_addc_co_u32_e32 v1, vcc, v2, v1, vcc
	global_store_short_d16_hi v[0:1], v3, off
.LBB232_28:
	s_endpgm
.LBB232_29:
	v_mov_b32_e32 v2, 0
	v_lshlrev_b64 v[0:1], 1, v[1:2]
	v_mov_b32_e32 v2, s9
	v_add_co_u32_e32 v0, vcc, s8, v0
	v_addc_co_u32_e32 v1, vcc, v2, v1, vcc
	global_store_short v[0:1], v6, off
	v_mov_b32_e32 v0, v18
	s_or_b64 exec, exec, s[0:1]
	v_cmp_gt_i32_e32 vcc, s6, v0
	s_and_saveexec_b64 s[0:1], vcc
	s_cbranch_execz .LBB232_21
.LBB232_30:
	v_add_u32_e32 v1, s2, v0
	v_mov_b32_e32 v2, 0
	v_lshlrev_b64 v[1:2], 1, v[1:2]
	v_mov_b32_e32 v7, s9
	v_add_co_u32_e32 v1, vcc, s8, v1
	v_addc_co_u32_e32 v2, vcc, v7, v2, vcc
	v_add_u32_e32 v0, 0x100, v0
	global_store_short_d16_hi v[1:2], v6, off
	s_or_b64 exec, exec, s[0:1]
	v_cmp_gt_i32_e32 vcc, s6, v0
	s_and_saveexec_b64 s[0:1], vcc
	s_cbranch_execz .LBB232_22
.LBB232_31:
	v_add_u32_e32 v1, s2, v0
	v_mov_b32_e32 v2, 0
	v_lshlrev_b64 v[1:2], 1, v[1:2]
	v_mov_b32_e32 v6, s9
	v_add_co_u32_e32 v1, vcc, s8, v1
	v_addc_co_u32_e32 v2, vcc, v6, v2, vcc
	v_add_u32_e32 v0, 0x100, v0
	global_store_short v[1:2], v5, off
	s_or_b64 exec, exec, s[0:1]
	v_cmp_gt_i32_e32 vcc, s6, v0
	s_and_saveexec_b64 s[0:1], vcc
	s_cbranch_execz .LBB232_23
.LBB232_32:
	v_add_u32_e32 v1, s2, v0
	v_mov_b32_e32 v2, 0
	v_lshlrev_b64 v[1:2], 1, v[1:2]
	v_mov_b32_e32 v6, s9
	v_add_co_u32_e32 v1, vcc, s8, v1
	v_addc_co_u32_e32 v2, vcc, v6, v2, vcc
	v_add_u32_e32 v0, 0x100, v0
	global_store_short_d16_hi v[1:2], v5, off
	s_or_b64 exec, exec, s[0:1]
	v_cmp_gt_i32_e32 vcc, s6, v0
	s_and_saveexec_b64 s[0:1], vcc
	s_cbranch_execz .LBB232_24
.LBB232_33:
	v_add_u32_e32 v1, s2, v0
	v_mov_b32_e32 v2, 0
	v_lshlrev_b64 v[1:2], 1, v[1:2]
	v_mov_b32_e32 v5, s9
	v_add_co_u32_e32 v1, vcc, s8, v1
	v_addc_co_u32_e32 v2, vcc, v5, v2, vcc
	v_add_u32_e32 v0, 0x100, v0
	global_store_short v[1:2], v4, off
	s_or_b64 exec, exec, s[0:1]
	v_cmp_gt_i32_e32 vcc, s6, v0
	s_and_saveexec_b64 s[0:1], vcc
	s_cbranch_execz .LBB232_25
.LBB232_34:
	v_add_u32_e32 v1, s2, v0
	v_mov_b32_e32 v2, 0
	v_lshlrev_b64 v[1:2], 1, v[1:2]
	v_mov_b32_e32 v5, s9
	v_add_co_u32_e32 v1, vcc, s8, v1
	v_addc_co_u32_e32 v2, vcc, v5, v2, vcc
	v_add_u32_e32 v0, 0x100, v0
	global_store_short_d16_hi v[1:2], v4, off
	s_or_b64 exec, exec, s[0:1]
	v_cmp_gt_i32_e32 vcc, s6, v0
	s_and_saveexec_b64 s[0:1], vcc
	s_cbranch_execz .LBB232_26
.LBB232_35:
	v_add_u32_e32 v1, s2, v0
	v_mov_b32_e32 v2, 0
	v_lshlrev_b64 v[1:2], 1, v[1:2]
	v_mov_b32_e32 v4, s9
	v_add_co_u32_e32 v1, vcc, s8, v1
	v_addc_co_u32_e32 v2, vcc, v4, v2, vcc
	v_add_u32_e32 v0, 0x100, v0
	global_store_short v[1:2], v3, off
	s_or_b64 exec, exec, s[0:1]
	v_cmp_gt_i32_e32 vcc, s6, v0
	s_and_saveexec_b64 s[0:1], vcc
	s_cbranch_execnz .LBB232_27
	s_branch .LBB232_28
	.section	.rodata,"a",@progbits
	.p2align	6, 0x0
	.amdhsa_kernel _ZN2at6native29vectorized_elementwise_kernelILi16ENS0_13BinaryFunctorIsssZZZNS0_18rshift_kernel_cudaERNS_18TensorIteratorBaseEENKUlvE_clEvENKUlvE3_clEvEUlssE_EESt5arrayIPcLm3EEEEviT0_T1_
		.amdhsa_group_segment_fixed_size 0
		.amdhsa_private_segment_fixed_size 0
		.amdhsa_kernarg_size 32
		.amdhsa_user_sgpr_count 6
		.amdhsa_user_sgpr_private_segment_buffer 1
		.amdhsa_user_sgpr_dispatch_ptr 0
		.amdhsa_user_sgpr_queue_ptr 0
		.amdhsa_user_sgpr_kernarg_segment_ptr 1
		.amdhsa_user_sgpr_dispatch_id 0
		.amdhsa_user_sgpr_flat_scratch_init 0
		.amdhsa_user_sgpr_private_segment_size 0
		.amdhsa_uses_dynamic_stack 0
		.amdhsa_system_sgpr_private_segment_wavefront_offset 0
		.amdhsa_system_sgpr_workgroup_id_x 1
		.amdhsa_system_sgpr_workgroup_id_y 0
		.amdhsa_system_sgpr_workgroup_id_z 0
		.amdhsa_system_sgpr_workgroup_info 0
		.amdhsa_system_vgpr_workitem_id 0
		.amdhsa_next_free_vgpr 24
		.amdhsa_next_free_sgpr 14
		.amdhsa_reserve_vcc 1
		.amdhsa_reserve_flat_scratch 0
		.amdhsa_float_round_mode_32 0
		.amdhsa_float_round_mode_16_64 0
		.amdhsa_float_denorm_mode_32 3
		.amdhsa_float_denorm_mode_16_64 3
		.amdhsa_dx10_clamp 1
		.amdhsa_ieee_mode 1
		.amdhsa_fp16_overflow 0
		.amdhsa_exception_fp_ieee_invalid_op 0
		.amdhsa_exception_fp_denorm_src 0
		.amdhsa_exception_fp_ieee_div_zero 0
		.amdhsa_exception_fp_ieee_overflow 0
		.amdhsa_exception_fp_ieee_underflow 0
		.amdhsa_exception_fp_ieee_inexact 0
		.amdhsa_exception_int_div_zero 0
	.end_amdhsa_kernel
	.section	.text._ZN2at6native29vectorized_elementwise_kernelILi16ENS0_13BinaryFunctorIsssZZZNS0_18rshift_kernel_cudaERNS_18TensorIteratorBaseEENKUlvE_clEvENKUlvE3_clEvEUlssE_EESt5arrayIPcLm3EEEEviT0_T1_,"axG",@progbits,_ZN2at6native29vectorized_elementwise_kernelILi16ENS0_13BinaryFunctorIsssZZZNS0_18rshift_kernel_cudaERNS_18TensorIteratorBaseEENKUlvE_clEvENKUlvE3_clEvEUlssE_EESt5arrayIPcLm3EEEEviT0_T1_,comdat
.Lfunc_end232:
	.size	_ZN2at6native29vectorized_elementwise_kernelILi16ENS0_13BinaryFunctorIsssZZZNS0_18rshift_kernel_cudaERNS_18TensorIteratorBaseEENKUlvE_clEvENKUlvE3_clEvEUlssE_EESt5arrayIPcLm3EEEEviT0_T1_, .Lfunc_end232-_ZN2at6native29vectorized_elementwise_kernelILi16ENS0_13BinaryFunctorIsssZZZNS0_18rshift_kernel_cudaERNS_18TensorIteratorBaseEENKUlvE_clEvENKUlvE3_clEvEUlssE_EESt5arrayIPcLm3EEEEviT0_T1_
                                        ; -- End function
	.set _ZN2at6native29vectorized_elementwise_kernelILi16ENS0_13BinaryFunctorIsssZZZNS0_18rshift_kernel_cudaERNS_18TensorIteratorBaseEENKUlvE_clEvENKUlvE3_clEvEUlssE_EESt5arrayIPcLm3EEEEviT0_T1_.num_vgpr, 24
	.set _ZN2at6native29vectorized_elementwise_kernelILi16ENS0_13BinaryFunctorIsssZZZNS0_18rshift_kernel_cudaERNS_18TensorIteratorBaseEENKUlvE_clEvENKUlvE3_clEvEUlssE_EESt5arrayIPcLm3EEEEviT0_T1_.num_agpr, 0
	.set _ZN2at6native29vectorized_elementwise_kernelILi16ENS0_13BinaryFunctorIsssZZZNS0_18rshift_kernel_cudaERNS_18TensorIteratorBaseEENKUlvE_clEvENKUlvE3_clEvEUlssE_EESt5arrayIPcLm3EEEEviT0_T1_.numbered_sgpr, 14
	.set _ZN2at6native29vectorized_elementwise_kernelILi16ENS0_13BinaryFunctorIsssZZZNS0_18rshift_kernel_cudaERNS_18TensorIteratorBaseEENKUlvE_clEvENKUlvE3_clEvEUlssE_EESt5arrayIPcLm3EEEEviT0_T1_.num_named_barrier, 0
	.set _ZN2at6native29vectorized_elementwise_kernelILi16ENS0_13BinaryFunctorIsssZZZNS0_18rshift_kernel_cudaERNS_18TensorIteratorBaseEENKUlvE_clEvENKUlvE3_clEvEUlssE_EESt5arrayIPcLm3EEEEviT0_T1_.private_seg_size, 0
	.set _ZN2at6native29vectorized_elementwise_kernelILi16ENS0_13BinaryFunctorIsssZZZNS0_18rshift_kernel_cudaERNS_18TensorIteratorBaseEENKUlvE_clEvENKUlvE3_clEvEUlssE_EESt5arrayIPcLm3EEEEviT0_T1_.uses_vcc, 1
	.set _ZN2at6native29vectorized_elementwise_kernelILi16ENS0_13BinaryFunctorIsssZZZNS0_18rshift_kernel_cudaERNS_18TensorIteratorBaseEENKUlvE_clEvENKUlvE3_clEvEUlssE_EESt5arrayIPcLm3EEEEviT0_T1_.uses_flat_scratch, 0
	.set _ZN2at6native29vectorized_elementwise_kernelILi16ENS0_13BinaryFunctorIsssZZZNS0_18rshift_kernel_cudaERNS_18TensorIteratorBaseEENKUlvE_clEvENKUlvE3_clEvEUlssE_EESt5arrayIPcLm3EEEEviT0_T1_.has_dyn_sized_stack, 0
	.set _ZN2at6native29vectorized_elementwise_kernelILi16ENS0_13BinaryFunctorIsssZZZNS0_18rshift_kernel_cudaERNS_18TensorIteratorBaseEENKUlvE_clEvENKUlvE3_clEvEUlssE_EESt5arrayIPcLm3EEEEviT0_T1_.has_recursion, 0
	.set _ZN2at6native29vectorized_elementwise_kernelILi16ENS0_13BinaryFunctorIsssZZZNS0_18rshift_kernel_cudaERNS_18TensorIteratorBaseEENKUlvE_clEvENKUlvE3_clEvEUlssE_EESt5arrayIPcLm3EEEEviT0_T1_.has_indirect_call, 0
	.section	.AMDGPU.csdata,"",@progbits
; Kernel info:
; codeLenInByte = 2304
; TotalNumSgprs: 18
; NumVgprs: 24
; ScratchSize: 0
; MemoryBound: 0
; FloatMode: 240
; IeeeMode: 1
; LDSByteSize: 0 bytes/workgroup (compile time only)
; SGPRBlocks: 2
; VGPRBlocks: 5
; NumSGPRsForWavesPerEU: 18
; NumVGPRsForWavesPerEU: 24
; Occupancy: 10
; WaveLimiterHint : 0
; COMPUTE_PGM_RSRC2:SCRATCH_EN: 0
; COMPUTE_PGM_RSRC2:USER_SGPR: 6
; COMPUTE_PGM_RSRC2:TRAP_HANDLER: 0
; COMPUTE_PGM_RSRC2:TGID_X_EN: 1
; COMPUTE_PGM_RSRC2:TGID_Y_EN: 0
; COMPUTE_PGM_RSRC2:TGID_Z_EN: 0
; COMPUTE_PGM_RSRC2:TIDIG_COMP_CNT: 0
	.section	.text._ZN2at6native29vectorized_elementwise_kernelILi8ENS0_13BinaryFunctorIsssZZZNS0_18rshift_kernel_cudaERNS_18TensorIteratorBaseEENKUlvE_clEvENKUlvE3_clEvEUlssE_EESt5arrayIPcLm3EEEEviT0_T1_,"axG",@progbits,_ZN2at6native29vectorized_elementwise_kernelILi8ENS0_13BinaryFunctorIsssZZZNS0_18rshift_kernel_cudaERNS_18TensorIteratorBaseEENKUlvE_clEvENKUlvE3_clEvEUlssE_EESt5arrayIPcLm3EEEEviT0_T1_,comdat
	.globl	_ZN2at6native29vectorized_elementwise_kernelILi8ENS0_13BinaryFunctorIsssZZZNS0_18rshift_kernel_cudaERNS_18TensorIteratorBaseEENKUlvE_clEvENKUlvE3_clEvEUlssE_EESt5arrayIPcLm3EEEEviT0_T1_ ; -- Begin function _ZN2at6native29vectorized_elementwise_kernelILi8ENS0_13BinaryFunctorIsssZZZNS0_18rshift_kernel_cudaERNS_18TensorIteratorBaseEENKUlvE_clEvENKUlvE3_clEvEUlssE_EESt5arrayIPcLm3EEEEviT0_T1_
	.p2align	8
	.type	_ZN2at6native29vectorized_elementwise_kernelILi8ENS0_13BinaryFunctorIsssZZZNS0_18rshift_kernel_cudaERNS_18TensorIteratorBaseEENKUlvE_clEvENKUlvE3_clEvEUlssE_EESt5arrayIPcLm3EEEEviT0_T1_,@function
_ZN2at6native29vectorized_elementwise_kernelILi8ENS0_13BinaryFunctorIsssZZZNS0_18rshift_kernel_cudaERNS_18TensorIteratorBaseEENKUlvE_clEvENKUlvE3_clEvEUlssE_EESt5arrayIPcLm3EEEEviT0_T1_: ; @_ZN2at6native29vectorized_elementwise_kernelILi8ENS0_13BinaryFunctorIsssZZZNS0_18rshift_kernel_cudaERNS_18TensorIteratorBaseEENKUlvE_clEvENKUlvE3_clEvEUlssE_EESt5arrayIPcLm3EEEEviT0_T1_
; %bb.0:
	s_load_dword s0, s[4:5], 0x0
	s_load_dwordx4 s[8:11], s[4:5], 0x8
	s_load_dwordx2 s[12:13], s[4:5], 0x18
	s_lshl_b32 s2, s6, 11
	s_waitcnt lgkmcnt(0)
	s_sub_i32 s6, s0, s2
	s_cmpk_gt_i32 s6, 0x7ff
	s_mov_b64 s[0:1], -1
	s_cbranch_scc0 .LBB233_2
; %bb.1:
	s_ashr_i32 s3, s2, 31
	s_lshl_b64 s[0:1], s[2:3], 1
	s_add_u32 s4, s10, s0
	s_addc_u32 s5, s11, s1
	v_lshlrev_b32_e32 v9, 4, v0
	global_load_dwordx4 v[1:4], v9, s[4:5]
	s_add_u32 s4, s12, s0
	s_addc_u32 s5, s13, s1
	global_load_dwordx4 v[5:8], v9, s[4:5]
	s_add_u32 s4, s8, s0
	v_mov_b32_e32 v18, 14
	s_addc_u32 s5, s9, s1
	s_mov_b32 s3, 0x5040100
	s_waitcnt vmcnt(1)
	v_pk_ashrrev_i16 v10, 15, v1 op_sel_hi:[0,1]
	v_pk_ashrrev_i16 v11, 15, v2 op_sel_hi:[0,1]
	v_lshrrev_b32_e32 v19, 16, v10
	s_waitcnt vmcnt(0)
	v_ashrrev_i32_sdwa v14, v5, sext(v1) dst_sel:DWORD dst_unused:UNUSED_PAD src0_sel:DWORD src1_sel:WORD_0
	v_ashrrev_i32_sdwa v15, v6, sext(v2) dst_sel:DWORD dst_unused:UNUSED_PAD src0_sel:DWORD src1_sel:WORD_0
	v_cmp_lt_u16_e32 vcc, 14, v5
	v_cmp_lt_u16_e64 s[0:1], 14, v6
	v_ashrrev_i32_sdwa v2, v6, sext(v2) dst_sel:DWORD dst_unused:UNUSED_PAD src0_sel:WORD_1 src1_sel:WORD_1
	v_cndmask_b32_e32 v10, v14, v10, vcc
	v_lshrrev_b32_e32 v14, 16, v11
	v_cndmask_b32_e64 v11, v15, v11, s[0:1]
	v_cmp_gt_u16_sdwa s[0:1], v6, v18 src0_sel:WORD_1 src1_sel:DWORD
	v_pk_ashrrev_i16 v12, 15, v3 op_sel_hi:[0,1]
	v_ashrrev_i32_sdwa v16, v7, sext(v3) dst_sel:DWORD dst_unused:UNUSED_PAD src0_sel:DWORD src1_sel:WORD_0
	v_cndmask_b32_e64 v2, v2, v14, s[0:1]
	v_cmp_lt_u16_e64 s[0:1], 14, v7
	v_ashrrev_i32_sdwa v1, v5, sext(v1) dst_sel:DWORD dst_unused:UNUSED_PAD src0_sel:WORD_1 src1_sel:WORD_1
	v_ashrrev_i32_sdwa v3, v7, sext(v3) dst_sel:DWORD dst_unused:UNUSED_PAD src0_sel:WORD_1 src1_sel:WORD_1
	v_cmp_gt_u16_sdwa vcc, v5, v18 src0_sel:WORD_1 src1_sel:DWORD
	v_lshrrev_b32_e32 v5, 16, v12
	v_cndmask_b32_e64 v6, v16, v12, s[0:1]
	v_cmp_gt_u16_sdwa s[0:1], v7, v18 src0_sel:WORD_1 src1_sel:DWORD
	v_pk_ashrrev_i16 v13, 15, v4 op_sel_hi:[0,1]
	v_ashrrev_i32_sdwa v17, v8, sext(v4) dst_sel:DWORD dst_unused:UNUSED_PAD src0_sel:DWORD src1_sel:WORD_0
	v_ashrrev_i32_sdwa v4, v8, sext(v4) dst_sel:DWORD dst_unused:UNUSED_PAD src0_sel:WORD_1 src1_sel:WORD_1
	v_cndmask_b32_e32 v1, v1, v19, vcc
	v_cmp_gt_u16_sdwa vcc, v8, v18 src0_sel:WORD_1 src1_sel:DWORD
	v_cndmask_b32_e64 v3, v3, v5, s[0:1]
	v_cmp_lt_u16_e64 s[0:1], 14, v8
	v_cndmask_b32_e64 v5, v17, v13, s[0:1]
	v_cndmask_b32_sdwa v4, v4, v13, vcc dst_sel:DWORD dst_unused:UNUSED_PAD src0_sel:DWORD src1_sel:WORD_1
	v_perm_b32 v3, v3, v6, s3
	v_perm_b32 v2, v2, v11, s3
	;; [unrolled: 1-line block ×4, first 2 shown]
	global_store_dwordx4 v9, v[1:4], s[4:5]
	s_mov_b64 s[0:1], 0
.LBB233_2:
	s_andn2_b64 vcc, exec, s[0:1]
	s_cbranch_vccnz .LBB233_28
; %bb.3:
	v_cmp_gt_i32_e32 vcc, s6, v0
	v_mov_b32_e32 v3, 0
	v_or_b32_e32 v1, s2, v0
	v_mov_b32_e32 v2, 0
	v_mov_b32_e32 v4, 0
	;; [unrolled: 1-line block ×3, first 2 shown]
	s_and_saveexec_b64 s[4:5], vcc
	s_cbranch_execz .LBB233_5
; %bb.4:
	v_mov_b32_e32 v2, 0
	v_lshlrev_b64 v[4:5], 1, v[1:2]
	v_mov_b32_e32 v2, s13
	v_add_co_u32_e64 v6, s[0:1], s12, v4
	v_addc_co_u32_e64 v7, s[0:1], v2, v5, s[0:1]
	v_mov_b32_e32 v2, s11
	v_add_co_u32_e64 v8, s[0:1], s10, v4
	v_addc_co_u32_e64 v9, s[0:1], v2, v5, s[0:1]
	global_load_ushort v2, v[8:9], off
	global_load_ushort v4, v[6:7], off
	v_or_b32_e32 v6, 0x100, v0
.LBB233_5:
	s_or_b64 exec, exec, s[4:5]
	v_cmp_gt_i32_e64 s[0:1], s6, v6
	v_mov_b32_e32 v5, 0
	s_and_saveexec_b64 s[4:5], s[0:1]
	s_cbranch_execz .LBB233_7
; %bb.6:
	v_add_u32_e32 v7, s2, v6
	v_mov_b32_e32 v8, 0
	v_lshlrev_b64 v[7:8], 1, v[7:8]
	v_mov_b32_e32 v3, s13
	v_add_co_u32_e64 v9, s[0:1], s12, v7
	v_addc_co_u32_e64 v10, s[0:1], v3, v8, s[0:1]
	v_mov_b32_e32 v3, s11
	v_add_co_u32_e64 v7, s[0:1], s10, v7
	v_addc_co_u32_e64 v8, s[0:1], v3, v8, s[0:1]
	global_load_ushort v3, v[7:8], off
	global_load_ushort v5, v[9:10], off
	v_add_u32_e32 v6, 0x100, v6
.LBB233_7:
	s_or_b64 exec, exec, s[4:5]
	v_cmp_gt_i32_e64 s[0:1], s6, v6
	v_mov_b32_e32 v7, 0
	v_mov_b32_e32 v8, 0
	v_mov_b32_e32 v9, 0
	s_and_saveexec_b64 s[4:5], s[0:1]
	s_cbranch_execz .LBB233_9
; %bb.8:
	v_add_u32_e32 v8, s2, v6
	v_mov_b32_e32 v9, 0
	v_lshlrev_b64 v[8:9], 1, v[8:9]
	v_mov_b32_e32 v11, s13
	v_add_co_u32_e64 v10, s[0:1], s12, v8
	v_addc_co_u32_e64 v11, s[0:1], v11, v9, s[0:1]
	v_mov_b32_e32 v13, s11
	v_add_co_u32_e64 v12, s[0:1], s10, v8
	v_addc_co_u32_e64 v13, s[0:1], v13, v9, s[0:1]
	global_load_ushort v8, v[12:13], off
	global_load_ushort v9, v[10:11], off
	v_add_u32_e32 v6, 0x100, v6
.LBB233_9:
	s_or_b64 exec, exec, s[4:5]
	v_cmp_gt_i32_e64 s[0:1], s6, v6
	v_mov_b32_e32 v10, 0
	s_and_saveexec_b64 s[4:5], s[0:1]
	s_cbranch_execz .LBB233_11
; %bb.10:
	v_add_u32_e32 v10, s2, v6
	v_mov_b32_e32 v11, 0
	v_lshlrev_b64 v[10:11], 1, v[10:11]
	v_mov_b32_e32 v7, s13
	v_add_co_u32_e64 v12, s[0:1], s12, v10
	v_addc_co_u32_e64 v13, s[0:1], v7, v11, s[0:1]
	v_mov_b32_e32 v7, s11
	v_add_co_u32_e64 v14, s[0:1], s10, v10
	v_addc_co_u32_e64 v15, s[0:1], v7, v11, s[0:1]
	global_load_ushort v7, v[14:15], off
	global_load_ushort v10, v[12:13], off
	v_add_u32_e32 v6, 0x100, v6
.LBB233_11:
	s_or_b64 exec, exec, s[4:5]
	v_cmp_gt_i32_e64 s[0:1], s6, v6
	v_mov_b32_e32 v11, 0
	v_mov_b32_e32 v12, 0
	v_mov_b32_e32 v13, 0
	s_and_saveexec_b64 s[4:5], s[0:1]
	s_cbranch_execz .LBB233_13
; %bb.12:
	v_add_u32_e32 v12, s2, v6
	v_mov_b32_e32 v13, 0
	v_lshlrev_b64 v[12:13], 1, v[12:13]
	v_mov_b32_e32 v15, s13
	v_add_co_u32_e64 v14, s[0:1], s12, v12
	v_addc_co_u32_e64 v15, s[0:1], v15, v13, s[0:1]
	v_mov_b32_e32 v17, s11
	v_add_co_u32_e64 v16, s[0:1], s10, v12
	v_addc_co_u32_e64 v17, s[0:1], v17, v13, s[0:1]
	global_load_ushort v12, v[16:17], off
	global_load_ushort v13, v[14:15], off
	v_add_u32_e32 v6, 0x100, v6
.LBB233_13:
	;; [unrolled: 40-line block ×3, first 2 shown]
	s_or_b64 exec, exec, s[4:5]
	v_cmp_gt_i32_e64 s[0:1], s6, v6
	v_mov_b32_e32 v19, 0
	s_and_saveexec_b64 s[4:5], s[0:1]
	s_cbranch_execz .LBB233_19
; %bb.18:
	v_add_u32_e32 v18, s2, v6
	v_mov_b32_e32 v19, 0
	v_lshlrev_b64 v[18:19], 1, v[18:19]
	v_mov_b32_e32 v6, s13
	v_add_co_u32_e64 v20, s[0:1], s12, v18
	v_addc_co_u32_e64 v21, s[0:1], v6, v19, s[0:1]
	v_mov_b32_e32 v6, s11
	v_add_co_u32_e64 v22, s[0:1], s10, v18
	v_addc_co_u32_e64 v23, s[0:1], v6, v19, s[0:1]
	global_load_ushort v15, v[22:23], off
	global_load_ushort v19, v[20:21], off
.LBB233_19:
	s_or_b64 exec, exec, s[4:5]
	s_waitcnt vmcnt(1)
	v_ashrrev_i16_e32 v6, 15, v2
	s_waitcnt vmcnt(0)
	v_ashrrev_i32_sdwa v2, v4, sext(v2) dst_sel:DWORD dst_unused:UNUSED_PAD src0_sel:WORD_0 src1_sel:WORD_0
	v_cmp_lt_u16_e64 s[0:1], 14, v4
	v_cndmask_b32_e64 v2, v2, v6, s[0:1]
	v_and_b32_e32 v2, 0xffff, v2
	v_ashrrev_i16_e32 v4, 15, v3
	v_ashrrev_i32_sdwa v3, v5, sext(v3) dst_sel:DWORD dst_unused:UNUSED_PAD src0_sel:WORD_0 src1_sel:WORD_0
	v_cmp_lt_u16_e64 s[0:1], 14, v5
	v_cndmask_b32_e32 v2, 0, v2, vcc
	v_or_b32_e32 v18, 0x100, v0
	v_cndmask_b32_e64 v3, v3, v4, s[0:1]
	s_mov_b32 s3, 0x5040100
	v_perm_b32 v3, v3, v2, s3
	v_cmp_gt_i32_e64 s[0:1], s6, v18
	v_cndmask_b32_e64 v6, v2, v3, s[0:1]
	v_ashrrev_i16_e32 v3, 15, v8
	v_ashrrev_i32_sdwa v4, v9, sext(v8) dst_sel:DWORD dst_unused:UNUSED_PAD src0_sel:WORD_0 src1_sel:WORD_0
	v_cmp_lt_u16_e64 s[0:1], 14, v9
	v_or_b32_e32 v2, 0x200, v0
	v_cndmask_b32_e64 v3, v4, v3, s[0:1]
	v_and_b32_e32 v3, 0xffff, v3
	v_cmp_gt_i32_e64 s[0:1], s6, v2
	v_cndmask_b32_e64 v2, 0, v3, s[0:1]
	v_ashrrev_i16_e32 v4, 15, v7
	v_ashrrev_i32_sdwa v5, v10, sext(v7) dst_sel:DWORD dst_unused:UNUSED_PAD src0_sel:WORD_0 src1_sel:WORD_0
	v_cmp_lt_u16_e64 s[0:1], 14, v10
	v_or_b32_e32 v3, 0x300, v0
	v_cndmask_b32_e64 v4, v5, v4, s[0:1]
	v_perm_b32 v4, v4, v2, s3
	v_cmp_gt_i32_e64 s[0:1], s6, v3
	v_cndmask_b32_e64 v5, v2, v4, s[0:1]
	v_ashrrev_i16_e32 v3, 15, v12
	v_ashrrev_i32_sdwa v4, v13, sext(v12) dst_sel:DWORD dst_unused:UNUSED_PAD src0_sel:WORD_0 src1_sel:WORD_0
	v_cmp_lt_u16_e64 s[0:1], 14, v13
	v_or_b32_e32 v2, 0x400, v0
	v_cndmask_b32_e64 v3, v4, v3, s[0:1]
	v_and_b32_e32 v3, 0xffff, v3
	v_cmp_gt_i32_e64 s[0:1], s6, v2
	v_cndmask_b32_e64 v2, 0, v3, s[0:1]
	v_ashrrev_i16_e32 v4, 15, v11
	v_ashrrev_i32_sdwa v7, v14, sext(v11) dst_sel:DWORD dst_unused:UNUSED_PAD src0_sel:WORD_0 src1_sel:WORD_0
	v_cmp_lt_u16_e64 s[0:1], 14, v14
	v_or_b32_e32 v3, 0x500, v0
	v_cndmask_b32_e64 v4, v7, v4, s[0:1]
	;; [unrolled: 16-line block ×3, first 2 shown]
	v_perm_b32 v7, v7, v2, s3
	v_cmp_gt_i32_e64 s[0:1], s6, v3
	v_cndmask_b32_e64 v3, v2, v7, s[0:1]
	s_and_saveexec_b64 s[0:1], vcc
	s_cbranch_execnz .LBB233_29
; %bb.20:
	s_or_b64 exec, exec, s[0:1]
	v_cmp_gt_i32_e32 vcc, s6, v0
	s_and_saveexec_b64 s[0:1], vcc
	s_cbranch_execnz .LBB233_30
.LBB233_21:
	s_or_b64 exec, exec, s[0:1]
	v_cmp_gt_i32_e32 vcc, s6, v0
	s_and_saveexec_b64 s[0:1], vcc
	s_cbranch_execnz .LBB233_31
.LBB233_22:
	s_or_b64 exec, exec, s[0:1]
	v_cmp_gt_i32_e32 vcc, s6, v0
	s_and_saveexec_b64 s[0:1], vcc
	s_cbranch_execnz .LBB233_32
.LBB233_23:
	s_or_b64 exec, exec, s[0:1]
	v_cmp_gt_i32_e32 vcc, s6, v0
	s_and_saveexec_b64 s[0:1], vcc
	s_cbranch_execnz .LBB233_33
.LBB233_24:
	s_or_b64 exec, exec, s[0:1]
	v_cmp_gt_i32_e32 vcc, s6, v0
	s_and_saveexec_b64 s[0:1], vcc
	s_cbranch_execnz .LBB233_34
.LBB233_25:
	s_or_b64 exec, exec, s[0:1]
	v_cmp_gt_i32_e32 vcc, s6, v0
	s_and_saveexec_b64 s[0:1], vcc
	s_cbranch_execnz .LBB233_35
.LBB233_26:
	s_or_b64 exec, exec, s[0:1]
	v_cmp_gt_i32_e32 vcc, s6, v0
	s_and_saveexec_b64 s[0:1], vcc
	s_cbranch_execz .LBB233_28
.LBB233_27:
	v_add_u32_e32 v0, s2, v0
	v_mov_b32_e32 v1, 0
	v_lshlrev_b64 v[0:1], 1, v[0:1]
	v_mov_b32_e32 v2, s9
	v_add_co_u32_e32 v0, vcc, s8, v0
	v_addc_co_u32_e32 v1, vcc, v2, v1, vcc
	global_store_short_d16_hi v[0:1], v3, off
.LBB233_28:
	s_endpgm
.LBB233_29:
	v_mov_b32_e32 v2, 0
	v_lshlrev_b64 v[0:1], 1, v[1:2]
	v_mov_b32_e32 v2, s9
	v_add_co_u32_e32 v0, vcc, s8, v0
	v_addc_co_u32_e32 v1, vcc, v2, v1, vcc
	global_store_short v[0:1], v6, off
	v_mov_b32_e32 v0, v18
	s_or_b64 exec, exec, s[0:1]
	v_cmp_gt_i32_e32 vcc, s6, v0
	s_and_saveexec_b64 s[0:1], vcc
	s_cbranch_execz .LBB233_21
.LBB233_30:
	v_add_u32_e32 v1, s2, v0
	v_mov_b32_e32 v2, 0
	v_lshlrev_b64 v[1:2], 1, v[1:2]
	v_mov_b32_e32 v7, s9
	v_add_co_u32_e32 v1, vcc, s8, v1
	v_addc_co_u32_e32 v2, vcc, v7, v2, vcc
	v_add_u32_e32 v0, 0x100, v0
	global_store_short_d16_hi v[1:2], v6, off
	s_or_b64 exec, exec, s[0:1]
	v_cmp_gt_i32_e32 vcc, s6, v0
	s_and_saveexec_b64 s[0:1], vcc
	s_cbranch_execz .LBB233_22
.LBB233_31:
	v_add_u32_e32 v1, s2, v0
	v_mov_b32_e32 v2, 0
	v_lshlrev_b64 v[1:2], 1, v[1:2]
	v_mov_b32_e32 v6, s9
	v_add_co_u32_e32 v1, vcc, s8, v1
	v_addc_co_u32_e32 v2, vcc, v6, v2, vcc
	v_add_u32_e32 v0, 0x100, v0
	global_store_short v[1:2], v5, off
	s_or_b64 exec, exec, s[0:1]
	v_cmp_gt_i32_e32 vcc, s6, v0
	s_and_saveexec_b64 s[0:1], vcc
	s_cbranch_execz .LBB233_23
.LBB233_32:
	v_add_u32_e32 v1, s2, v0
	v_mov_b32_e32 v2, 0
	v_lshlrev_b64 v[1:2], 1, v[1:2]
	v_mov_b32_e32 v6, s9
	v_add_co_u32_e32 v1, vcc, s8, v1
	v_addc_co_u32_e32 v2, vcc, v6, v2, vcc
	v_add_u32_e32 v0, 0x100, v0
	global_store_short_d16_hi v[1:2], v5, off
	s_or_b64 exec, exec, s[0:1]
	v_cmp_gt_i32_e32 vcc, s6, v0
	s_and_saveexec_b64 s[0:1], vcc
	s_cbranch_execz .LBB233_24
.LBB233_33:
	v_add_u32_e32 v1, s2, v0
	v_mov_b32_e32 v2, 0
	v_lshlrev_b64 v[1:2], 1, v[1:2]
	v_mov_b32_e32 v5, s9
	v_add_co_u32_e32 v1, vcc, s8, v1
	v_addc_co_u32_e32 v2, vcc, v5, v2, vcc
	v_add_u32_e32 v0, 0x100, v0
	global_store_short v[1:2], v4, off
	s_or_b64 exec, exec, s[0:1]
	v_cmp_gt_i32_e32 vcc, s6, v0
	s_and_saveexec_b64 s[0:1], vcc
	s_cbranch_execz .LBB233_25
.LBB233_34:
	v_add_u32_e32 v1, s2, v0
	v_mov_b32_e32 v2, 0
	v_lshlrev_b64 v[1:2], 1, v[1:2]
	v_mov_b32_e32 v5, s9
	v_add_co_u32_e32 v1, vcc, s8, v1
	v_addc_co_u32_e32 v2, vcc, v5, v2, vcc
	v_add_u32_e32 v0, 0x100, v0
	global_store_short_d16_hi v[1:2], v4, off
	s_or_b64 exec, exec, s[0:1]
	v_cmp_gt_i32_e32 vcc, s6, v0
	s_and_saveexec_b64 s[0:1], vcc
	s_cbranch_execz .LBB233_26
.LBB233_35:
	v_add_u32_e32 v1, s2, v0
	v_mov_b32_e32 v2, 0
	v_lshlrev_b64 v[1:2], 1, v[1:2]
	v_mov_b32_e32 v4, s9
	v_add_co_u32_e32 v1, vcc, s8, v1
	v_addc_co_u32_e32 v2, vcc, v4, v2, vcc
	v_add_u32_e32 v0, 0x100, v0
	global_store_short v[1:2], v3, off
	s_or_b64 exec, exec, s[0:1]
	v_cmp_gt_i32_e32 vcc, s6, v0
	s_and_saveexec_b64 s[0:1], vcc
	s_cbranch_execnz .LBB233_27
	s_branch .LBB233_28
	.section	.rodata,"a",@progbits
	.p2align	6, 0x0
	.amdhsa_kernel _ZN2at6native29vectorized_elementwise_kernelILi8ENS0_13BinaryFunctorIsssZZZNS0_18rshift_kernel_cudaERNS_18TensorIteratorBaseEENKUlvE_clEvENKUlvE3_clEvEUlssE_EESt5arrayIPcLm3EEEEviT0_T1_
		.amdhsa_group_segment_fixed_size 0
		.amdhsa_private_segment_fixed_size 0
		.amdhsa_kernarg_size 32
		.amdhsa_user_sgpr_count 6
		.amdhsa_user_sgpr_private_segment_buffer 1
		.amdhsa_user_sgpr_dispatch_ptr 0
		.amdhsa_user_sgpr_queue_ptr 0
		.amdhsa_user_sgpr_kernarg_segment_ptr 1
		.amdhsa_user_sgpr_dispatch_id 0
		.amdhsa_user_sgpr_flat_scratch_init 0
		.amdhsa_user_sgpr_private_segment_size 0
		.amdhsa_uses_dynamic_stack 0
		.amdhsa_system_sgpr_private_segment_wavefront_offset 0
		.amdhsa_system_sgpr_workgroup_id_x 1
		.amdhsa_system_sgpr_workgroup_id_y 0
		.amdhsa_system_sgpr_workgroup_id_z 0
		.amdhsa_system_sgpr_workgroup_info 0
		.amdhsa_system_vgpr_workitem_id 0
		.amdhsa_next_free_vgpr 24
		.amdhsa_next_free_sgpr 14
		.amdhsa_reserve_vcc 1
		.amdhsa_reserve_flat_scratch 0
		.amdhsa_float_round_mode_32 0
		.amdhsa_float_round_mode_16_64 0
		.amdhsa_float_denorm_mode_32 3
		.amdhsa_float_denorm_mode_16_64 3
		.amdhsa_dx10_clamp 1
		.amdhsa_ieee_mode 1
		.amdhsa_fp16_overflow 0
		.amdhsa_exception_fp_ieee_invalid_op 0
		.amdhsa_exception_fp_denorm_src 0
		.amdhsa_exception_fp_ieee_div_zero 0
		.amdhsa_exception_fp_ieee_overflow 0
		.amdhsa_exception_fp_ieee_underflow 0
		.amdhsa_exception_fp_ieee_inexact 0
		.amdhsa_exception_int_div_zero 0
	.end_amdhsa_kernel
	.section	.text._ZN2at6native29vectorized_elementwise_kernelILi8ENS0_13BinaryFunctorIsssZZZNS0_18rshift_kernel_cudaERNS_18TensorIteratorBaseEENKUlvE_clEvENKUlvE3_clEvEUlssE_EESt5arrayIPcLm3EEEEviT0_T1_,"axG",@progbits,_ZN2at6native29vectorized_elementwise_kernelILi8ENS0_13BinaryFunctorIsssZZZNS0_18rshift_kernel_cudaERNS_18TensorIteratorBaseEENKUlvE_clEvENKUlvE3_clEvEUlssE_EESt5arrayIPcLm3EEEEviT0_T1_,comdat
.Lfunc_end233:
	.size	_ZN2at6native29vectorized_elementwise_kernelILi8ENS0_13BinaryFunctorIsssZZZNS0_18rshift_kernel_cudaERNS_18TensorIteratorBaseEENKUlvE_clEvENKUlvE3_clEvEUlssE_EESt5arrayIPcLm3EEEEviT0_T1_, .Lfunc_end233-_ZN2at6native29vectorized_elementwise_kernelILi8ENS0_13BinaryFunctorIsssZZZNS0_18rshift_kernel_cudaERNS_18TensorIteratorBaseEENKUlvE_clEvENKUlvE3_clEvEUlssE_EESt5arrayIPcLm3EEEEviT0_T1_
                                        ; -- End function
	.set _ZN2at6native29vectorized_elementwise_kernelILi8ENS0_13BinaryFunctorIsssZZZNS0_18rshift_kernel_cudaERNS_18TensorIteratorBaseEENKUlvE_clEvENKUlvE3_clEvEUlssE_EESt5arrayIPcLm3EEEEviT0_T1_.num_vgpr, 24
	.set _ZN2at6native29vectorized_elementwise_kernelILi8ENS0_13BinaryFunctorIsssZZZNS0_18rshift_kernel_cudaERNS_18TensorIteratorBaseEENKUlvE_clEvENKUlvE3_clEvEUlssE_EESt5arrayIPcLm3EEEEviT0_T1_.num_agpr, 0
	.set _ZN2at6native29vectorized_elementwise_kernelILi8ENS0_13BinaryFunctorIsssZZZNS0_18rshift_kernel_cudaERNS_18TensorIteratorBaseEENKUlvE_clEvENKUlvE3_clEvEUlssE_EESt5arrayIPcLm3EEEEviT0_T1_.numbered_sgpr, 14
	.set _ZN2at6native29vectorized_elementwise_kernelILi8ENS0_13BinaryFunctorIsssZZZNS0_18rshift_kernel_cudaERNS_18TensorIteratorBaseEENKUlvE_clEvENKUlvE3_clEvEUlssE_EESt5arrayIPcLm3EEEEviT0_T1_.num_named_barrier, 0
	.set _ZN2at6native29vectorized_elementwise_kernelILi8ENS0_13BinaryFunctorIsssZZZNS0_18rshift_kernel_cudaERNS_18TensorIteratorBaseEENKUlvE_clEvENKUlvE3_clEvEUlssE_EESt5arrayIPcLm3EEEEviT0_T1_.private_seg_size, 0
	.set _ZN2at6native29vectorized_elementwise_kernelILi8ENS0_13BinaryFunctorIsssZZZNS0_18rshift_kernel_cudaERNS_18TensorIteratorBaseEENKUlvE_clEvENKUlvE3_clEvEUlssE_EESt5arrayIPcLm3EEEEviT0_T1_.uses_vcc, 1
	.set _ZN2at6native29vectorized_elementwise_kernelILi8ENS0_13BinaryFunctorIsssZZZNS0_18rshift_kernel_cudaERNS_18TensorIteratorBaseEENKUlvE_clEvENKUlvE3_clEvEUlssE_EESt5arrayIPcLm3EEEEviT0_T1_.uses_flat_scratch, 0
	.set _ZN2at6native29vectorized_elementwise_kernelILi8ENS0_13BinaryFunctorIsssZZZNS0_18rshift_kernel_cudaERNS_18TensorIteratorBaseEENKUlvE_clEvENKUlvE3_clEvEUlssE_EESt5arrayIPcLm3EEEEviT0_T1_.has_dyn_sized_stack, 0
	.set _ZN2at6native29vectorized_elementwise_kernelILi8ENS0_13BinaryFunctorIsssZZZNS0_18rshift_kernel_cudaERNS_18TensorIteratorBaseEENKUlvE_clEvENKUlvE3_clEvEUlssE_EESt5arrayIPcLm3EEEEviT0_T1_.has_recursion, 0
	.set _ZN2at6native29vectorized_elementwise_kernelILi8ENS0_13BinaryFunctorIsssZZZNS0_18rshift_kernel_cudaERNS_18TensorIteratorBaseEENKUlvE_clEvENKUlvE3_clEvEUlssE_EESt5arrayIPcLm3EEEEviT0_T1_.has_indirect_call, 0
	.section	.AMDGPU.csdata,"",@progbits
; Kernel info:
; codeLenInByte = 2304
; TotalNumSgprs: 18
; NumVgprs: 24
; ScratchSize: 0
; MemoryBound: 0
; FloatMode: 240
; IeeeMode: 1
; LDSByteSize: 0 bytes/workgroup (compile time only)
; SGPRBlocks: 2
; VGPRBlocks: 5
; NumSGPRsForWavesPerEU: 18
; NumVGPRsForWavesPerEU: 24
; Occupancy: 10
; WaveLimiterHint : 0
; COMPUTE_PGM_RSRC2:SCRATCH_EN: 0
; COMPUTE_PGM_RSRC2:USER_SGPR: 6
; COMPUTE_PGM_RSRC2:TRAP_HANDLER: 0
; COMPUTE_PGM_RSRC2:TGID_X_EN: 1
; COMPUTE_PGM_RSRC2:TGID_Y_EN: 0
; COMPUTE_PGM_RSRC2:TGID_Z_EN: 0
; COMPUTE_PGM_RSRC2:TIDIG_COMP_CNT: 0
	.section	.text._ZN2at6native29vectorized_elementwise_kernelILi4ENS0_13BinaryFunctorIsssZZZNS0_18rshift_kernel_cudaERNS_18TensorIteratorBaseEENKUlvE_clEvENKUlvE3_clEvEUlssE_EESt5arrayIPcLm3EEEEviT0_T1_,"axG",@progbits,_ZN2at6native29vectorized_elementwise_kernelILi4ENS0_13BinaryFunctorIsssZZZNS0_18rshift_kernel_cudaERNS_18TensorIteratorBaseEENKUlvE_clEvENKUlvE3_clEvEUlssE_EESt5arrayIPcLm3EEEEviT0_T1_,comdat
	.globl	_ZN2at6native29vectorized_elementwise_kernelILi4ENS0_13BinaryFunctorIsssZZZNS0_18rshift_kernel_cudaERNS_18TensorIteratorBaseEENKUlvE_clEvENKUlvE3_clEvEUlssE_EESt5arrayIPcLm3EEEEviT0_T1_ ; -- Begin function _ZN2at6native29vectorized_elementwise_kernelILi4ENS0_13BinaryFunctorIsssZZZNS0_18rshift_kernel_cudaERNS_18TensorIteratorBaseEENKUlvE_clEvENKUlvE3_clEvEUlssE_EESt5arrayIPcLm3EEEEviT0_T1_
	.p2align	8
	.type	_ZN2at6native29vectorized_elementwise_kernelILi4ENS0_13BinaryFunctorIsssZZZNS0_18rshift_kernel_cudaERNS_18TensorIteratorBaseEENKUlvE_clEvENKUlvE3_clEvEUlssE_EESt5arrayIPcLm3EEEEviT0_T1_,@function
_ZN2at6native29vectorized_elementwise_kernelILi4ENS0_13BinaryFunctorIsssZZZNS0_18rshift_kernel_cudaERNS_18TensorIteratorBaseEENKUlvE_clEvENKUlvE3_clEvEUlssE_EESt5arrayIPcLm3EEEEviT0_T1_: ; @_ZN2at6native29vectorized_elementwise_kernelILi4ENS0_13BinaryFunctorIsssZZZNS0_18rshift_kernel_cudaERNS_18TensorIteratorBaseEENKUlvE_clEvENKUlvE3_clEvEUlssE_EESt5arrayIPcLm3EEEEviT0_T1_
; %bb.0:
	s_load_dword s0, s[4:5], 0x0
	s_load_dwordx4 s[8:11], s[4:5], 0x8
	s_load_dwordx2 s[12:13], s[4:5], 0x18
	s_lshl_b32 s2, s6, 11
	s_waitcnt lgkmcnt(0)
	s_sub_i32 s6, s0, s2
	s_cmpk_gt_i32 s6, 0x7ff
	s_mov_b64 s[0:1], -1
	s_cbranch_scc0 .LBB234_2
; %bb.1:
	s_ashr_i32 s3, s2, 31
	s_lshl_b64 s[0:1], s[2:3], 1
	s_add_u32 s4, s10, s0
	s_addc_u32 s5, s11, s1
	v_lshlrev_b32_e32 v9, 3, v0
	global_load_dwordx2 v[1:2], v9, s[4:5]
	global_load_dwordx2 v[3:4], v9, s[4:5] offset:2048
	s_add_u32 s4, s12, s0
	s_addc_u32 s5, s13, s1
	global_load_dwordx2 v[5:6], v9, s[4:5]
	global_load_dwordx2 v[7:8], v9, s[4:5] offset:2048
	v_mov_b32_e32 v10, 15
	s_mov_b32 s3, 0xeffff
	s_mov_b32 s4, 0x5040100
	s_add_u32 s0, s8, s0
	s_addc_u32 s1, s9, s1
	s_waitcnt vmcnt(3)
	v_ashrrev_i16_e32 v11, 15, v1
	v_ashrrev_i16_sdwa v12, v10, v1 dst_sel:DWORD dst_unused:UNUSED_PAD src0_sel:DWORD src1_sel:WORD_1
	v_ashrrev_i16_e32 v13, 15, v2
	s_waitcnt vmcnt(1)
	v_ashrrev_i32_sdwa v17, v5, sext(v1) dst_sel:DWORD dst_unused:UNUSED_PAD src0_sel:DWORD src1_sel:WORD_0
	v_cmp_lt_u16_e32 vcc, 14, v5
	v_ashrrev_i32_sdwa v1, v5, sext(v1) dst_sel:DWORD dst_unused:UNUSED_PAD src0_sel:WORD_1 src1_sel:WORD_1
	v_cndmask_b32_e32 v11, v17, v11, vcc
	v_cmp_lt_u32_e32 vcc, s3, v5
	v_ashrrev_i32_sdwa v18, v6, sext(v2) dst_sel:DWORD dst_unused:UNUSED_PAD src0_sel:DWORD src1_sel:WORD_0
	v_cndmask_b32_e32 v5, v1, v12, vcc
	v_cmp_lt_u16_e32 vcc, 14, v6
	v_ashrrev_i16_sdwa v14, v10, v2 dst_sel:DWORD dst_unused:UNUSED_PAD src0_sel:DWORD src1_sel:WORD_1
	v_ashrrev_i32_sdwa v2, v6, sext(v2) dst_sel:DWORD dst_unused:UNUSED_PAD src0_sel:WORD_1 src1_sel:WORD_1
	v_cndmask_b32_e32 v12, v18, v13, vcc
	v_cmp_lt_u32_e32 vcc, s3, v6
	v_ashrrev_i16_e32 v15, 15, v3
	s_waitcnt vmcnt(0)
	v_ashrrev_i32_sdwa v20, v7, sext(v3) dst_sel:DWORD dst_unused:UNUSED_PAD src0_sel:DWORD src1_sel:WORD_0
	v_cndmask_b32_e32 v6, v2, v14, vcc
	v_cmp_lt_u16_e32 vcc, 14, v7
	v_ashrrev_i16_sdwa v16, v10, v3 dst_sel:DWORD dst_unused:UNUSED_PAD src0_sel:DWORD src1_sel:WORD_1
	v_ashrrev_i32_sdwa v3, v7, sext(v3) dst_sel:DWORD dst_unused:UNUSED_PAD src0_sel:WORD_1 src1_sel:WORD_1
	v_cndmask_b32_e32 v1, v20, v15, vcc
	v_cmp_lt_u32_e32 vcc, s3, v7
	v_ashrrev_i16_e32 v19, 15, v4
	v_ashrrev_i32_sdwa v21, v8, sext(v4) dst_sel:DWORD dst_unused:UNUSED_PAD src0_sel:DWORD src1_sel:WORD_0
	v_cndmask_b32_e32 v3, v3, v16, vcc
	v_cmp_lt_u16_e32 vcc, 14, v8
	v_ashrrev_i16_sdwa v10, v10, v4 dst_sel:DWORD dst_unused:UNUSED_PAD src0_sel:DWORD src1_sel:WORD_1
	v_ashrrev_i32_sdwa v4, v8, sext(v4) dst_sel:DWORD dst_unused:UNUSED_PAD src0_sel:WORD_1 src1_sel:WORD_1
	v_cndmask_b32_e32 v2, v21, v19, vcc
	v_cmp_lt_u32_e32 vcc, s3, v8
	v_cndmask_b32_e32 v4, v4, v10, vcc
	v_perm_b32 v2, v4, v2, s4
	v_perm_b32 v1, v3, v1, s4
	;; [unrolled: 1-line block ×4, first 2 shown]
	global_store_dwordx2 v9, v[3:4], s[0:1]
	global_store_dwordx2 v9, v[1:2], s[0:1] offset:2048
	s_mov_b64 s[0:1], 0
.LBB234_2:
	s_andn2_b64 vcc, exec, s[0:1]
	s_cbranch_vccnz .LBB234_28
; %bb.3:
	v_cmp_gt_i32_e32 vcc, s6, v0
	v_mov_b32_e32 v3, 0
	v_or_b32_e32 v1, s2, v0
	v_mov_b32_e32 v2, 0
	v_mov_b32_e32 v4, 0
	;; [unrolled: 1-line block ×3, first 2 shown]
	s_and_saveexec_b64 s[4:5], vcc
	s_cbranch_execz .LBB234_5
; %bb.4:
	v_mov_b32_e32 v2, 0
	v_lshlrev_b64 v[4:5], 1, v[1:2]
	v_mov_b32_e32 v2, s13
	v_add_co_u32_e64 v6, s[0:1], s12, v4
	v_addc_co_u32_e64 v7, s[0:1], v2, v5, s[0:1]
	v_mov_b32_e32 v2, s11
	v_add_co_u32_e64 v8, s[0:1], s10, v4
	v_addc_co_u32_e64 v9, s[0:1], v2, v5, s[0:1]
	global_load_ushort v2, v[8:9], off
	global_load_ushort v4, v[6:7], off
	v_or_b32_e32 v6, 0x100, v0
.LBB234_5:
	s_or_b64 exec, exec, s[4:5]
	v_cmp_gt_i32_e64 s[0:1], s6, v6
	v_mov_b32_e32 v5, 0
	s_and_saveexec_b64 s[4:5], s[0:1]
	s_cbranch_execz .LBB234_7
; %bb.6:
	v_add_u32_e32 v7, s2, v6
	v_mov_b32_e32 v8, 0
	v_lshlrev_b64 v[7:8], 1, v[7:8]
	v_mov_b32_e32 v3, s13
	v_add_co_u32_e64 v9, s[0:1], s12, v7
	v_addc_co_u32_e64 v10, s[0:1], v3, v8, s[0:1]
	v_mov_b32_e32 v3, s11
	v_add_co_u32_e64 v7, s[0:1], s10, v7
	v_addc_co_u32_e64 v8, s[0:1], v3, v8, s[0:1]
	global_load_ushort v3, v[7:8], off
	global_load_ushort v5, v[9:10], off
	v_add_u32_e32 v6, 0x100, v6
.LBB234_7:
	s_or_b64 exec, exec, s[4:5]
	v_cmp_gt_i32_e64 s[0:1], s6, v6
	v_mov_b32_e32 v7, 0
	v_mov_b32_e32 v8, 0
	v_mov_b32_e32 v9, 0
	s_and_saveexec_b64 s[4:5], s[0:1]
	s_cbranch_execz .LBB234_9
; %bb.8:
	v_add_u32_e32 v8, s2, v6
	v_mov_b32_e32 v9, 0
	v_lshlrev_b64 v[8:9], 1, v[8:9]
	v_mov_b32_e32 v11, s13
	v_add_co_u32_e64 v10, s[0:1], s12, v8
	v_addc_co_u32_e64 v11, s[0:1], v11, v9, s[0:1]
	v_mov_b32_e32 v13, s11
	v_add_co_u32_e64 v12, s[0:1], s10, v8
	v_addc_co_u32_e64 v13, s[0:1], v13, v9, s[0:1]
	global_load_ushort v8, v[12:13], off
	global_load_ushort v9, v[10:11], off
	v_add_u32_e32 v6, 0x100, v6
.LBB234_9:
	s_or_b64 exec, exec, s[4:5]
	v_cmp_gt_i32_e64 s[0:1], s6, v6
	v_mov_b32_e32 v10, 0
	s_and_saveexec_b64 s[4:5], s[0:1]
	s_cbranch_execz .LBB234_11
; %bb.10:
	v_add_u32_e32 v10, s2, v6
	v_mov_b32_e32 v11, 0
	v_lshlrev_b64 v[10:11], 1, v[10:11]
	v_mov_b32_e32 v7, s13
	v_add_co_u32_e64 v12, s[0:1], s12, v10
	v_addc_co_u32_e64 v13, s[0:1], v7, v11, s[0:1]
	v_mov_b32_e32 v7, s11
	v_add_co_u32_e64 v14, s[0:1], s10, v10
	v_addc_co_u32_e64 v15, s[0:1], v7, v11, s[0:1]
	global_load_ushort v7, v[14:15], off
	global_load_ushort v10, v[12:13], off
	v_add_u32_e32 v6, 0x100, v6
.LBB234_11:
	s_or_b64 exec, exec, s[4:5]
	v_cmp_gt_i32_e64 s[0:1], s6, v6
	v_mov_b32_e32 v11, 0
	v_mov_b32_e32 v12, 0
	v_mov_b32_e32 v13, 0
	s_and_saveexec_b64 s[4:5], s[0:1]
	s_cbranch_execz .LBB234_13
; %bb.12:
	v_add_u32_e32 v12, s2, v6
	v_mov_b32_e32 v13, 0
	v_lshlrev_b64 v[12:13], 1, v[12:13]
	v_mov_b32_e32 v15, s13
	v_add_co_u32_e64 v14, s[0:1], s12, v12
	v_addc_co_u32_e64 v15, s[0:1], v15, v13, s[0:1]
	v_mov_b32_e32 v17, s11
	v_add_co_u32_e64 v16, s[0:1], s10, v12
	v_addc_co_u32_e64 v17, s[0:1], v17, v13, s[0:1]
	global_load_ushort v12, v[16:17], off
	global_load_ushort v13, v[14:15], off
	v_add_u32_e32 v6, 0x100, v6
.LBB234_13:
	;; [unrolled: 40-line block ×3, first 2 shown]
	s_or_b64 exec, exec, s[4:5]
	v_cmp_gt_i32_e64 s[0:1], s6, v6
	v_mov_b32_e32 v19, 0
	s_and_saveexec_b64 s[4:5], s[0:1]
	s_cbranch_execz .LBB234_19
; %bb.18:
	v_add_u32_e32 v18, s2, v6
	v_mov_b32_e32 v19, 0
	v_lshlrev_b64 v[18:19], 1, v[18:19]
	v_mov_b32_e32 v6, s13
	v_add_co_u32_e64 v20, s[0:1], s12, v18
	v_addc_co_u32_e64 v21, s[0:1], v6, v19, s[0:1]
	v_mov_b32_e32 v6, s11
	v_add_co_u32_e64 v22, s[0:1], s10, v18
	v_addc_co_u32_e64 v23, s[0:1], v6, v19, s[0:1]
	global_load_ushort v15, v[22:23], off
	global_load_ushort v19, v[20:21], off
.LBB234_19:
	s_or_b64 exec, exec, s[4:5]
	s_waitcnt vmcnt(1)
	v_ashrrev_i16_e32 v6, 15, v2
	s_waitcnt vmcnt(0)
	v_ashrrev_i32_sdwa v2, v4, sext(v2) dst_sel:DWORD dst_unused:UNUSED_PAD src0_sel:WORD_0 src1_sel:WORD_0
	v_cmp_lt_u16_e64 s[0:1], 14, v4
	v_cndmask_b32_e64 v2, v2, v6, s[0:1]
	v_and_b32_e32 v2, 0xffff, v2
	v_ashrrev_i16_e32 v4, 15, v3
	v_ashrrev_i32_sdwa v3, v5, sext(v3) dst_sel:DWORD dst_unused:UNUSED_PAD src0_sel:WORD_0 src1_sel:WORD_0
	v_cmp_lt_u16_e64 s[0:1], 14, v5
	v_cndmask_b32_e32 v2, 0, v2, vcc
	v_or_b32_e32 v18, 0x100, v0
	v_cndmask_b32_e64 v3, v3, v4, s[0:1]
	s_mov_b32 s3, 0x5040100
	v_perm_b32 v3, v3, v2, s3
	v_cmp_gt_i32_e64 s[0:1], s6, v18
	v_cndmask_b32_e64 v6, v2, v3, s[0:1]
	v_ashrrev_i16_e32 v3, 15, v8
	v_ashrrev_i32_sdwa v4, v9, sext(v8) dst_sel:DWORD dst_unused:UNUSED_PAD src0_sel:WORD_0 src1_sel:WORD_0
	v_cmp_lt_u16_e64 s[0:1], 14, v9
	v_or_b32_e32 v2, 0x200, v0
	v_cndmask_b32_e64 v3, v4, v3, s[0:1]
	v_and_b32_e32 v3, 0xffff, v3
	v_cmp_gt_i32_e64 s[0:1], s6, v2
	v_cndmask_b32_e64 v2, 0, v3, s[0:1]
	v_ashrrev_i16_e32 v4, 15, v7
	v_ashrrev_i32_sdwa v5, v10, sext(v7) dst_sel:DWORD dst_unused:UNUSED_PAD src0_sel:WORD_0 src1_sel:WORD_0
	v_cmp_lt_u16_e64 s[0:1], 14, v10
	v_or_b32_e32 v3, 0x300, v0
	v_cndmask_b32_e64 v4, v5, v4, s[0:1]
	v_perm_b32 v4, v4, v2, s3
	v_cmp_gt_i32_e64 s[0:1], s6, v3
	v_cndmask_b32_e64 v5, v2, v4, s[0:1]
	v_ashrrev_i16_e32 v3, 15, v12
	v_ashrrev_i32_sdwa v4, v13, sext(v12) dst_sel:DWORD dst_unused:UNUSED_PAD src0_sel:WORD_0 src1_sel:WORD_0
	v_cmp_lt_u16_e64 s[0:1], 14, v13
	v_or_b32_e32 v2, 0x400, v0
	v_cndmask_b32_e64 v3, v4, v3, s[0:1]
	v_and_b32_e32 v3, 0xffff, v3
	v_cmp_gt_i32_e64 s[0:1], s6, v2
	v_cndmask_b32_e64 v2, 0, v3, s[0:1]
	v_ashrrev_i16_e32 v4, 15, v11
	v_ashrrev_i32_sdwa v7, v14, sext(v11) dst_sel:DWORD dst_unused:UNUSED_PAD src0_sel:WORD_0 src1_sel:WORD_0
	v_cmp_lt_u16_e64 s[0:1], 14, v14
	v_or_b32_e32 v3, 0x500, v0
	v_cndmask_b32_e64 v4, v7, v4, s[0:1]
	;; [unrolled: 16-line block ×3, first 2 shown]
	v_perm_b32 v7, v7, v2, s3
	v_cmp_gt_i32_e64 s[0:1], s6, v3
	v_cndmask_b32_e64 v3, v2, v7, s[0:1]
	s_and_saveexec_b64 s[0:1], vcc
	s_cbranch_execnz .LBB234_29
; %bb.20:
	s_or_b64 exec, exec, s[0:1]
	v_cmp_gt_i32_e32 vcc, s6, v0
	s_and_saveexec_b64 s[0:1], vcc
	s_cbranch_execnz .LBB234_30
.LBB234_21:
	s_or_b64 exec, exec, s[0:1]
	v_cmp_gt_i32_e32 vcc, s6, v0
	s_and_saveexec_b64 s[0:1], vcc
	s_cbranch_execnz .LBB234_31
.LBB234_22:
	s_or_b64 exec, exec, s[0:1]
	v_cmp_gt_i32_e32 vcc, s6, v0
	s_and_saveexec_b64 s[0:1], vcc
	s_cbranch_execnz .LBB234_32
.LBB234_23:
	s_or_b64 exec, exec, s[0:1]
	v_cmp_gt_i32_e32 vcc, s6, v0
	s_and_saveexec_b64 s[0:1], vcc
	s_cbranch_execnz .LBB234_33
.LBB234_24:
	s_or_b64 exec, exec, s[0:1]
	v_cmp_gt_i32_e32 vcc, s6, v0
	s_and_saveexec_b64 s[0:1], vcc
	s_cbranch_execnz .LBB234_34
.LBB234_25:
	s_or_b64 exec, exec, s[0:1]
	v_cmp_gt_i32_e32 vcc, s6, v0
	s_and_saveexec_b64 s[0:1], vcc
	s_cbranch_execnz .LBB234_35
.LBB234_26:
	s_or_b64 exec, exec, s[0:1]
	v_cmp_gt_i32_e32 vcc, s6, v0
	s_and_saveexec_b64 s[0:1], vcc
	s_cbranch_execz .LBB234_28
.LBB234_27:
	v_add_u32_e32 v0, s2, v0
	v_mov_b32_e32 v1, 0
	v_lshlrev_b64 v[0:1], 1, v[0:1]
	v_mov_b32_e32 v2, s9
	v_add_co_u32_e32 v0, vcc, s8, v0
	v_addc_co_u32_e32 v1, vcc, v2, v1, vcc
	global_store_short_d16_hi v[0:1], v3, off
.LBB234_28:
	s_endpgm
.LBB234_29:
	v_mov_b32_e32 v2, 0
	v_lshlrev_b64 v[0:1], 1, v[1:2]
	v_mov_b32_e32 v2, s9
	v_add_co_u32_e32 v0, vcc, s8, v0
	v_addc_co_u32_e32 v1, vcc, v2, v1, vcc
	global_store_short v[0:1], v6, off
	v_mov_b32_e32 v0, v18
	s_or_b64 exec, exec, s[0:1]
	v_cmp_gt_i32_e32 vcc, s6, v0
	s_and_saveexec_b64 s[0:1], vcc
	s_cbranch_execz .LBB234_21
.LBB234_30:
	v_add_u32_e32 v1, s2, v0
	v_mov_b32_e32 v2, 0
	v_lshlrev_b64 v[1:2], 1, v[1:2]
	v_mov_b32_e32 v7, s9
	v_add_co_u32_e32 v1, vcc, s8, v1
	v_addc_co_u32_e32 v2, vcc, v7, v2, vcc
	v_add_u32_e32 v0, 0x100, v0
	global_store_short_d16_hi v[1:2], v6, off
	s_or_b64 exec, exec, s[0:1]
	v_cmp_gt_i32_e32 vcc, s6, v0
	s_and_saveexec_b64 s[0:1], vcc
	s_cbranch_execz .LBB234_22
.LBB234_31:
	v_add_u32_e32 v1, s2, v0
	v_mov_b32_e32 v2, 0
	v_lshlrev_b64 v[1:2], 1, v[1:2]
	v_mov_b32_e32 v6, s9
	v_add_co_u32_e32 v1, vcc, s8, v1
	v_addc_co_u32_e32 v2, vcc, v6, v2, vcc
	v_add_u32_e32 v0, 0x100, v0
	global_store_short v[1:2], v5, off
	s_or_b64 exec, exec, s[0:1]
	v_cmp_gt_i32_e32 vcc, s6, v0
	s_and_saveexec_b64 s[0:1], vcc
	s_cbranch_execz .LBB234_23
.LBB234_32:
	v_add_u32_e32 v1, s2, v0
	v_mov_b32_e32 v2, 0
	v_lshlrev_b64 v[1:2], 1, v[1:2]
	v_mov_b32_e32 v6, s9
	v_add_co_u32_e32 v1, vcc, s8, v1
	v_addc_co_u32_e32 v2, vcc, v6, v2, vcc
	v_add_u32_e32 v0, 0x100, v0
	global_store_short_d16_hi v[1:2], v5, off
	s_or_b64 exec, exec, s[0:1]
	v_cmp_gt_i32_e32 vcc, s6, v0
	s_and_saveexec_b64 s[0:1], vcc
	s_cbranch_execz .LBB234_24
.LBB234_33:
	v_add_u32_e32 v1, s2, v0
	v_mov_b32_e32 v2, 0
	v_lshlrev_b64 v[1:2], 1, v[1:2]
	v_mov_b32_e32 v5, s9
	v_add_co_u32_e32 v1, vcc, s8, v1
	v_addc_co_u32_e32 v2, vcc, v5, v2, vcc
	v_add_u32_e32 v0, 0x100, v0
	global_store_short v[1:2], v4, off
	s_or_b64 exec, exec, s[0:1]
	v_cmp_gt_i32_e32 vcc, s6, v0
	s_and_saveexec_b64 s[0:1], vcc
	s_cbranch_execz .LBB234_25
.LBB234_34:
	v_add_u32_e32 v1, s2, v0
	v_mov_b32_e32 v2, 0
	v_lshlrev_b64 v[1:2], 1, v[1:2]
	v_mov_b32_e32 v5, s9
	v_add_co_u32_e32 v1, vcc, s8, v1
	v_addc_co_u32_e32 v2, vcc, v5, v2, vcc
	v_add_u32_e32 v0, 0x100, v0
	global_store_short_d16_hi v[1:2], v4, off
	s_or_b64 exec, exec, s[0:1]
	v_cmp_gt_i32_e32 vcc, s6, v0
	s_and_saveexec_b64 s[0:1], vcc
	s_cbranch_execz .LBB234_26
.LBB234_35:
	v_add_u32_e32 v1, s2, v0
	v_mov_b32_e32 v2, 0
	v_lshlrev_b64 v[1:2], 1, v[1:2]
	v_mov_b32_e32 v4, s9
	v_add_co_u32_e32 v1, vcc, s8, v1
	v_addc_co_u32_e32 v2, vcc, v4, v2, vcc
	v_add_u32_e32 v0, 0x100, v0
	global_store_short v[1:2], v3, off
	s_or_b64 exec, exec, s[0:1]
	v_cmp_gt_i32_e32 vcc, s6, v0
	s_and_saveexec_b64 s[0:1], vcc
	s_cbranch_execnz .LBB234_27
	s_branch .LBB234_28
	.section	.rodata,"a",@progbits
	.p2align	6, 0x0
	.amdhsa_kernel _ZN2at6native29vectorized_elementwise_kernelILi4ENS0_13BinaryFunctorIsssZZZNS0_18rshift_kernel_cudaERNS_18TensorIteratorBaseEENKUlvE_clEvENKUlvE3_clEvEUlssE_EESt5arrayIPcLm3EEEEviT0_T1_
		.amdhsa_group_segment_fixed_size 0
		.amdhsa_private_segment_fixed_size 0
		.amdhsa_kernarg_size 32
		.amdhsa_user_sgpr_count 6
		.amdhsa_user_sgpr_private_segment_buffer 1
		.amdhsa_user_sgpr_dispatch_ptr 0
		.amdhsa_user_sgpr_queue_ptr 0
		.amdhsa_user_sgpr_kernarg_segment_ptr 1
		.amdhsa_user_sgpr_dispatch_id 0
		.amdhsa_user_sgpr_flat_scratch_init 0
		.amdhsa_user_sgpr_private_segment_size 0
		.amdhsa_uses_dynamic_stack 0
		.amdhsa_system_sgpr_private_segment_wavefront_offset 0
		.amdhsa_system_sgpr_workgroup_id_x 1
		.amdhsa_system_sgpr_workgroup_id_y 0
		.amdhsa_system_sgpr_workgroup_id_z 0
		.amdhsa_system_sgpr_workgroup_info 0
		.amdhsa_system_vgpr_workitem_id 0
		.amdhsa_next_free_vgpr 24
		.amdhsa_next_free_sgpr 14
		.amdhsa_reserve_vcc 1
		.amdhsa_reserve_flat_scratch 0
		.amdhsa_float_round_mode_32 0
		.amdhsa_float_round_mode_16_64 0
		.amdhsa_float_denorm_mode_32 3
		.amdhsa_float_denorm_mode_16_64 3
		.amdhsa_dx10_clamp 1
		.amdhsa_ieee_mode 1
		.amdhsa_fp16_overflow 0
		.amdhsa_exception_fp_ieee_invalid_op 0
		.amdhsa_exception_fp_denorm_src 0
		.amdhsa_exception_fp_ieee_div_zero 0
		.amdhsa_exception_fp_ieee_overflow 0
		.amdhsa_exception_fp_ieee_underflow 0
		.amdhsa_exception_fp_ieee_inexact 0
		.amdhsa_exception_int_div_zero 0
	.end_amdhsa_kernel
	.section	.text._ZN2at6native29vectorized_elementwise_kernelILi4ENS0_13BinaryFunctorIsssZZZNS0_18rshift_kernel_cudaERNS_18TensorIteratorBaseEENKUlvE_clEvENKUlvE3_clEvEUlssE_EESt5arrayIPcLm3EEEEviT0_T1_,"axG",@progbits,_ZN2at6native29vectorized_elementwise_kernelILi4ENS0_13BinaryFunctorIsssZZZNS0_18rshift_kernel_cudaERNS_18TensorIteratorBaseEENKUlvE_clEvENKUlvE3_clEvEUlssE_EESt5arrayIPcLm3EEEEviT0_T1_,comdat
.Lfunc_end234:
	.size	_ZN2at6native29vectorized_elementwise_kernelILi4ENS0_13BinaryFunctorIsssZZZNS0_18rshift_kernel_cudaERNS_18TensorIteratorBaseEENKUlvE_clEvENKUlvE3_clEvEUlssE_EESt5arrayIPcLm3EEEEviT0_T1_, .Lfunc_end234-_ZN2at6native29vectorized_elementwise_kernelILi4ENS0_13BinaryFunctorIsssZZZNS0_18rshift_kernel_cudaERNS_18TensorIteratorBaseEENKUlvE_clEvENKUlvE3_clEvEUlssE_EESt5arrayIPcLm3EEEEviT0_T1_
                                        ; -- End function
	.set _ZN2at6native29vectorized_elementwise_kernelILi4ENS0_13BinaryFunctorIsssZZZNS0_18rshift_kernel_cudaERNS_18TensorIteratorBaseEENKUlvE_clEvENKUlvE3_clEvEUlssE_EESt5arrayIPcLm3EEEEviT0_T1_.num_vgpr, 24
	.set _ZN2at6native29vectorized_elementwise_kernelILi4ENS0_13BinaryFunctorIsssZZZNS0_18rshift_kernel_cudaERNS_18TensorIteratorBaseEENKUlvE_clEvENKUlvE3_clEvEUlssE_EESt5arrayIPcLm3EEEEviT0_T1_.num_agpr, 0
	.set _ZN2at6native29vectorized_elementwise_kernelILi4ENS0_13BinaryFunctorIsssZZZNS0_18rshift_kernel_cudaERNS_18TensorIteratorBaseEENKUlvE_clEvENKUlvE3_clEvEUlssE_EESt5arrayIPcLm3EEEEviT0_T1_.numbered_sgpr, 14
	.set _ZN2at6native29vectorized_elementwise_kernelILi4ENS0_13BinaryFunctorIsssZZZNS0_18rshift_kernel_cudaERNS_18TensorIteratorBaseEENKUlvE_clEvENKUlvE3_clEvEUlssE_EESt5arrayIPcLm3EEEEviT0_T1_.num_named_barrier, 0
	.set _ZN2at6native29vectorized_elementwise_kernelILi4ENS0_13BinaryFunctorIsssZZZNS0_18rshift_kernel_cudaERNS_18TensorIteratorBaseEENKUlvE_clEvENKUlvE3_clEvEUlssE_EESt5arrayIPcLm3EEEEviT0_T1_.private_seg_size, 0
	.set _ZN2at6native29vectorized_elementwise_kernelILi4ENS0_13BinaryFunctorIsssZZZNS0_18rshift_kernel_cudaERNS_18TensorIteratorBaseEENKUlvE_clEvENKUlvE3_clEvEUlssE_EESt5arrayIPcLm3EEEEviT0_T1_.uses_vcc, 1
	.set _ZN2at6native29vectorized_elementwise_kernelILi4ENS0_13BinaryFunctorIsssZZZNS0_18rshift_kernel_cudaERNS_18TensorIteratorBaseEENKUlvE_clEvENKUlvE3_clEvEUlssE_EESt5arrayIPcLm3EEEEviT0_T1_.uses_flat_scratch, 0
	.set _ZN2at6native29vectorized_elementwise_kernelILi4ENS0_13BinaryFunctorIsssZZZNS0_18rshift_kernel_cudaERNS_18TensorIteratorBaseEENKUlvE_clEvENKUlvE3_clEvEUlssE_EESt5arrayIPcLm3EEEEviT0_T1_.has_dyn_sized_stack, 0
	.set _ZN2at6native29vectorized_elementwise_kernelILi4ENS0_13BinaryFunctorIsssZZZNS0_18rshift_kernel_cudaERNS_18TensorIteratorBaseEENKUlvE_clEvENKUlvE3_clEvEUlssE_EESt5arrayIPcLm3EEEEviT0_T1_.has_recursion, 0
	.set _ZN2at6native29vectorized_elementwise_kernelILi4ENS0_13BinaryFunctorIsssZZZNS0_18rshift_kernel_cudaERNS_18TensorIteratorBaseEENKUlvE_clEvENKUlvE3_clEvEUlssE_EESt5arrayIPcLm3EEEEviT0_T1_.has_indirect_call, 0
	.section	.AMDGPU.csdata,"",@progbits
; Kernel info:
; codeLenInByte = 2292
; TotalNumSgprs: 18
; NumVgprs: 24
; ScratchSize: 0
; MemoryBound: 0
; FloatMode: 240
; IeeeMode: 1
; LDSByteSize: 0 bytes/workgroup (compile time only)
; SGPRBlocks: 2
; VGPRBlocks: 5
; NumSGPRsForWavesPerEU: 18
; NumVGPRsForWavesPerEU: 24
; Occupancy: 10
; WaveLimiterHint : 1
; COMPUTE_PGM_RSRC2:SCRATCH_EN: 0
; COMPUTE_PGM_RSRC2:USER_SGPR: 6
; COMPUTE_PGM_RSRC2:TRAP_HANDLER: 0
; COMPUTE_PGM_RSRC2:TGID_X_EN: 1
; COMPUTE_PGM_RSRC2:TGID_Y_EN: 0
; COMPUTE_PGM_RSRC2:TGID_Z_EN: 0
; COMPUTE_PGM_RSRC2:TIDIG_COMP_CNT: 0
	.section	.text._ZN2at6native29vectorized_elementwise_kernelILi2ENS0_13BinaryFunctorIsssZZZNS0_18rshift_kernel_cudaERNS_18TensorIteratorBaseEENKUlvE_clEvENKUlvE3_clEvEUlssE_EESt5arrayIPcLm3EEEEviT0_T1_,"axG",@progbits,_ZN2at6native29vectorized_elementwise_kernelILi2ENS0_13BinaryFunctorIsssZZZNS0_18rshift_kernel_cudaERNS_18TensorIteratorBaseEENKUlvE_clEvENKUlvE3_clEvEUlssE_EESt5arrayIPcLm3EEEEviT0_T1_,comdat
	.globl	_ZN2at6native29vectorized_elementwise_kernelILi2ENS0_13BinaryFunctorIsssZZZNS0_18rshift_kernel_cudaERNS_18TensorIteratorBaseEENKUlvE_clEvENKUlvE3_clEvEUlssE_EESt5arrayIPcLm3EEEEviT0_T1_ ; -- Begin function _ZN2at6native29vectorized_elementwise_kernelILi2ENS0_13BinaryFunctorIsssZZZNS0_18rshift_kernel_cudaERNS_18TensorIteratorBaseEENKUlvE_clEvENKUlvE3_clEvEUlssE_EESt5arrayIPcLm3EEEEviT0_T1_
	.p2align	8
	.type	_ZN2at6native29vectorized_elementwise_kernelILi2ENS0_13BinaryFunctorIsssZZZNS0_18rshift_kernel_cudaERNS_18TensorIteratorBaseEENKUlvE_clEvENKUlvE3_clEvEUlssE_EESt5arrayIPcLm3EEEEviT0_T1_,@function
_ZN2at6native29vectorized_elementwise_kernelILi2ENS0_13BinaryFunctorIsssZZZNS0_18rshift_kernel_cudaERNS_18TensorIteratorBaseEENKUlvE_clEvENKUlvE3_clEvEUlssE_EESt5arrayIPcLm3EEEEviT0_T1_: ; @_ZN2at6native29vectorized_elementwise_kernelILi2ENS0_13BinaryFunctorIsssZZZNS0_18rshift_kernel_cudaERNS_18TensorIteratorBaseEENKUlvE_clEvENKUlvE3_clEvEUlssE_EESt5arrayIPcLm3EEEEviT0_T1_
; %bb.0:
	s_load_dword s0, s[4:5], 0x0
	s_load_dwordx4 s[8:11], s[4:5], 0x8
	s_load_dwordx2 s[12:13], s[4:5], 0x18
	s_lshl_b32 s2, s6, 11
	s_waitcnt lgkmcnt(0)
	s_sub_i32 s6, s0, s2
	s_cmpk_gt_i32 s6, 0x7ff
	s_mov_b64 s[0:1], -1
	s_cbranch_scc0 .LBB235_2
; %bb.1:
	s_ashr_i32 s3, s2, 31
	s_lshl_b64 s[0:1], s[2:3], 1
	s_add_u32 s4, s10, s0
	s_addc_u32 s5, s11, s1
	v_lshlrev_b32_e32 v1, 2, v0
	global_load_dword v2, v1, s[4:5]
	global_load_dword v3, v1, s[4:5] offset:1024
	global_load_dword v4, v1, s[4:5] offset:2048
	;; [unrolled: 1-line block ×3, first 2 shown]
	s_add_u32 s4, s12, s0
	s_addc_u32 s5, s13, s1
	global_load_dword v6, v1, s[4:5]
	global_load_dword v7, v1, s[4:5] offset:1024
	global_load_dword v8, v1, s[4:5] offset:2048
	;; [unrolled: 1-line block ×3, first 2 shown]
	s_mov_b32 s3, 0xeffff
	v_mov_b32_e32 v10, 15
	s_add_u32 s4, s8, s0
	s_addc_u32 s5, s9, s1
	s_mov_b32 s7, 0x5040100
	s_waitcnt vmcnt(7)
	v_ashrrev_i16_e32 v11, 15, v2
	v_ashrrev_i16_sdwa v12, v10, v2 dst_sel:DWORD dst_unused:UNUSED_PAD src0_sel:DWORD src1_sel:WORD_1
	s_waitcnt vmcnt(6)
	v_ashrrev_i16_e32 v13, 15, v3
	s_waitcnt vmcnt(3)
	v_ashrrev_i32_sdwa v18, v6, sext(v2) dst_sel:DWORD dst_unused:UNUSED_PAD src0_sel:DWORD src1_sel:WORD_0
	v_cmp_lt_u16_e32 vcc, 14, v6
	v_ashrrev_i32_sdwa v2, v6, sext(v2) dst_sel:DWORD dst_unused:UNUSED_PAD src0_sel:WORD_1 src1_sel:WORD_1
	v_cmp_lt_u32_e64 s[0:1], s3, v6
	s_waitcnt vmcnt(2)
	v_ashrrev_i32_sdwa v6, v7, sext(v3) dst_sel:DWORD dst_unused:UNUSED_PAD src0_sel:DWORD src1_sel:WORD_0
	v_cndmask_b32_e32 v11, v18, v11, vcc
	v_cmp_lt_u16_e32 vcc, 14, v7
	v_ashrrev_i16_sdwa v14, v10, v3 dst_sel:DWORD dst_unused:UNUSED_PAD src0_sel:DWORD src1_sel:WORD_1
	v_ashrrev_i32_sdwa v3, v7, sext(v3) dst_sel:DWORD dst_unused:UNUSED_PAD src0_sel:WORD_1 src1_sel:WORD_1
	v_cndmask_b32_e32 v6, v6, v13, vcc
	v_cmp_lt_u32_e32 vcc, s3, v7
	v_ashrrev_i16_e32 v15, 15, v4
	s_waitcnt vmcnt(1)
	v_ashrrev_i32_sdwa v19, v8, sext(v4) dst_sel:DWORD dst_unused:UNUSED_PAD src0_sel:DWORD src1_sel:WORD_0
	v_cndmask_b32_e32 v3, v3, v14, vcc
	v_cmp_lt_u16_e32 vcc, 14, v8
	v_ashrrev_i16_sdwa v16, v10, v4 dst_sel:DWORD dst_unused:UNUSED_PAD src0_sel:DWORD src1_sel:WORD_1
	v_ashrrev_i32_sdwa v4, v8, sext(v4) dst_sel:DWORD dst_unused:UNUSED_PAD src0_sel:WORD_1 src1_sel:WORD_1
	v_cndmask_b32_e32 v7, v19, v15, vcc
	v_cmp_lt_u32_e32 vcc, s3, v8
	v_ashrrev_i16_e32 v17, 15, v5
	s_waitcnt vmcnt(0)
	v_ashrrev_i32_sdwa v18, v9, sext(v5) dst_sel:DWORD dst_unused:UNUSED_PAD src0_sel:DWORD src1_sel:WORD_0
	v_cndmask_b32_e32 v4, v4, v16, vcc
	v_cmp_lt_u16_e32 vcc, 14, v9
	v_ashrrev_i16_sdwa v10, v10, v5 dst_sel:DWORD dst_unused:UNUSED_PAD src0_sel:DWORD src1_sel:WORD_1
	v_ashrrev_i32_sdwa v5, v9, sext(v5) dst_sel:DWORD dst_unused:UNUSED_PAD src0_sel:WORD_1 src1_sel:WORD_1
	v_cndmask_b32_e64 v2, v2, v12, s[0:1]
	v_cndmask_b32_e32 v8, v18, v17, vcc
	v_cmp_lt_u32_e32 vcc, s3, v9
	v_cndmask_b32_e32 v5, v5, v10, vcc
	v_perm_b32 v2, v2, v11, s7
	v_perm_b32 v5, v5, v8, s7
	;; [unrolled: 1-line block ×4, first 2 shown]
	global_store_dword v1, v2, s[4:5]
	global_store_dword v1, v3, s[4:5] offset:1024
	global_store_dword v1, v4, s[4:5] offset:2048
	;; [unrolled: 1-line block ×3, first 2 shown]
	s_mov_b64 s[0:1], 0
.LBB235_2:
	s_andn2_b64 vcc, exec, s[0:1]
	s_cbranch_vccnz .LBB235_28
; %bb.3:
	v_cmp_gt_i32_e32 vcc, s6, v0
	v_mov_b32_e32 v3, 0
	v_or_b32_e32 v1, s2, v0
	v_mov_b32_e32 v2, 0
	v_mov_b32_e32 v4, 0
	;; [unrolled: 1-line block ×3, first 2 shown]
	s_and_saveexec_b64 s[4:5], vcc
	s_cbranch_execz .LBB235_5
; %bb.4:
	v_mov_b32_e32 v2, 0
	v_lshlrev_b64 v[4:5], 1, v[1:2]
	v_mov_b32_e32 v2, s13
	v_add_co_u32_e64 v6, s[0:1], s12, v4
	v_addc_co_u32_e64 v7, s[0:1], v2, v5, s[0:1]
	v_mov_b32_e32 v2, s11
	v_add_co_u32_e64 v8, s[0:1], s10, v4
	v_addc_co_u32_e64 v9, s[0:1], v2, v5, s[0:1]
	global_load_ushort v2, v[8:9], off
	global_load_ushort v4, v[6:7], off
	v_or_b32_e32 v6, 0x100, v0
.LBB235_5:
	s_or_b64 exec, exec, s[4:5]
	v_cmp_gt_i32_e64 s[0:1], s6, v6
	v_mov_b32_e32 v5, 0
	s_and_saveexec_b64 s[4:5], s[0:1]
	s_cbranch_execz .LBB235_7
; %bb.6:
	v_add_u32_e32 v7, s2, v6
	v_mov_b32_e32 v8, 0
	v_lshlrev_b64 v[7:8], 1, v[7:8]
	v_mov_b32_e32 v3, s13
	v_add_co_u32_e64 v9, s[0:1], s12, v7
	v_addc_co_u32_e64 v10, s[0:1], v3, v8, s[0:1]
	v_mov_b32_e32 v3, s11
	v_add_co_u32_e64 v7, s[0:1], s10, v7
	v_addc_co_u32_e64 v8, s[0:1], v3, v8, s[0:1]
	global_load_ushort v3, v[7:8], off
	global_load_ushort v5, v[9:10], off
	v_add_u32_e32 v6, 0x100, v6
.LBB235_7:
	s_or_b64 exec, exec, s[4:5]
	v_cmp_gt_i32_e64 s[0:1], s6, v6
	v_mov_b32_e32 v7, 0
	v_mov_b32_e32 v8, 0
	v_mov_b32_e32 v9, 0
	s_and_saveexec_b64 s[4:5], s[0:1]
	s_cbranch_execz .LBB235_9
; %bb.8:
	v_add_u32_e32 v8, s2, v6
	v_mov_b32_e32 v9, 0
	v_lshlrev_b64 v[8:9], 1, v[8:9]
	v_mov_b32_e32 v11, s13
	v_add_co_u32_e64 v10, s[0:1], s12, v8
	v_addc_co_u32_e64 v11, s[0:1], v11, v9, s[0:1]
	v_mov_b32_e32 v13, s11
	v_add_co_u32_e64 v12, s[0:1], s10, v8
	v_addc_co_u32_e64 v13, s[0:1], v13, v9, s[0:1]
	global_load_ushort v8, v[12:13], off
	global_load_ushort v9, v[10:11], off
	v_add_u32_e32 v6, 0x100, v6
.LBB235_9:
	s_or_b64 exec, exec, s[4:5]
	v_cmp_gt_i32_e64 s[0:1], s6, v6
	v_mov_b32_e32 v10, 0
	s_and_saveexec_b64 s[4:5], s[0:1]
	s_cbranch_execz .LBB235_11
; %bb.10:
	v_add_u32_e32 v10, s2, v6
	v_mov_b32_e32 v11, 0
	v_lshlrev_b64 v[10:11], 1, v[10:11]
	v_mov_b32_e32 v7, s13
	v_add_co_u32_e64 v12, s[0:1], s12, v10
	v_addc_co_u32_e64 v13, s[0:1], v7, v11, s[0:1]
	v_mov_b32_e32 v7, s11
	v_add_co_u32_e64 v14, s[0:1], s10, v10
	v_addc_co_u32_e64 v15, s[0:1], v7, v11, s[0:1]
	global_load_ushort v7, v[14:15], off
	global_load_ushort v10, v[12:13], off
	v_add_u32_e32 v6, 0x100, v6
.LBB235_11:
	s_or_b64 exec, exec, s[4:5]
	v_cmp_gt_i32_e64 s[0:1], s6, v6
	v_mov_b32_e32 v11, 0
	v_mov_b32_e32 v12, 0
	v_mov_b32_e32 v13, 0
	s_and_saveexec_b64 s[4:5], s[0:1]
	s_cbranch_execz .LBB235_13
; %bb.12:
	v_add_u32_e32 v12, s2, v6
	v_mov_b32_e32 v13, 0
	v_lshlrev_b64 v[12:13], 1, v[12:13]
	v_mov_b32_e32 v15, s13
	v_add_co_u32_e64 v14, s[0:1], s12, v12
	v_addc_co_u32_e64 v15, s[0:1], v15, v13, s[0:1]
	v_mov_b32_e32 v17, s11
	v_add_co_u32_e64 v16, s[0:1], s10, v12
	v_addc_co_u32_e64 v17, s[0:1], v17, v13, s[0:1]
	global_load_ushort v12, v[16:17], off
	global_load_ushort v13, v[14:15], off
	v_add_u32_e32 v6, 0x100, v6
.LBB235_13:
	;; [unrolled: 40-line block ×3, first 2 shown]
	s_or_b64 exec, exec, s[4:5]
	v_cmp_gt_i32_e64 s[0:1], s6, v6
	v_mov_b32_e32 v19, 0
	s_and_saveexec_b64 s[4:5], s[0:1]
	s_cbranch_execz .LBB235_19
; %bb.18:
	v_add_u32_e32 v18, s2, v6
	v_mov_b32_e32 v19, 0
	v_lshlrev_b64 v[18:19], 1, v[18:19]
	v_mov_b32_e32 v6, s13
	v_add_co_u32_e64 v20, s[0:1], s12, v18
	v_addc_co_u32_e64 v21, s[0:1], v6, v19, s[0:1]
	v_mov_b32_e32 v6, s11
	v_add_co_u32_e64 v22, s[0:1], s10, v18
	v_addc_co_u32_e64 v23, s[0:1], v6, v19, s[0:1]
	global_load_ushort v15, v[22:23], off
	global_load_ushort v19, v[20:21], off
.LBB235_19:
	s_or_b64 exec, exec, s[4:5]
	s_waitcnt vmcnt(1)
	v_ashrrev_i16_e32 v6, 15, v2
	s_waitcnt vmcnt(0)
	v_ashrrev_i32_sdwa v2, v4, sext(v2) dst_sel:DWORD dst_unused:UNUSED_PAD src0_sel:WORD_0 src1_sel:WORD_0
	v_cmp_lt_u16_e64 s[0:1], 14, v4
	v_cndmask_b32_e64 v2, v2, v6, s[0:1]
	v_and_b32_e32 v2, 0xffff, v2
	v_ashrrev_i16_e32 v4, 15, v3
	v_ashrrev_i32_sdwa v3, v5, sext(v3) dst_sel:DWORD dst_unused:UNUSED_PAD src0_sel:WORD_0 src1_sel:WORD_0
	v_cmp_lt_u16_e64 s[0:1], 14, v5
	v_cndmask_b32_e32 v2, 0, v2, vcc
	v_or_b32_e32 v18, 0x100, v0
	v_cndmask_b32_e64 v3, v3, v4, s[0:1]
	s_mov_b32 s3, 0x5040100
	v_perm_b32 v3, v3, v2, s3
	v_cmp_gt_i32_e64 s[0:1], s6, v18
	v_cndmask_b32_e64 v6, v2, v3, s[0:1]
	v_ashrrev_i16_e32 v3, 15, v8
	v_ashrrev_i32_sdwa v4, v9, sext(v8) dst_sel:DWORD dst_unused:UNUSED_PAD src0_sel:WORD_0 src1_sel:WORD_0
	v_cmp_lt_u16_e64 s[0:1], 14, v9
	v_or_b32_e32 v2, 0x200, v0
	v_cndmask_b32_e64 v3, v4, v3, s[0:1]
	v_and_b32_e32 v3, 0xffff, v3
	v_cmp_gt_i32_e64 s[0:1], s6, v2
	v_cndmask_b32_e64 v2, 0, v3, s[0:1]
	v_ashrrev_i16_e32 v4, 15, v7
	v_ashrrev_i32_sdwa v5, v10, sext(v7) dst_sel:DWORD dst_unused:UNUSED_PAD src0_sel:WORD_0 src1_sel:WORD_0
	v_cmp_lt_u16_e64 s[0:1], 14, v10
	v_or_b32_e32 v3, 0x300, v0
	v_cndmask_b32_e64 v4, v5, v4, s[0:1]
	v_perm_b32 v4, v4, v2, s3
	v_cmp_gt_i32_e64 s[0:1], s6, v3
	v_cndmask_b32_e64 v5, v2, v4, s[0:1]
	v_ashrrev_i16_e32 v3, 15, v12
	v_ashrrev_i32_sdwa v4, v13, sext(v12) dst_sel:DWORD dst_unused:UNUSED_PAD src0_sel:WORD_0 src1_sel:WORD_0
	v_cmp_lt_u16_e64 s[0:1], 14, v13
	v_or_b32_e32 v2, 0x400, v0
	v_cndmask_b32_e64 v3, v4, v3, s[0:1]
	v_and_b32_e32 v3, 0xffff, v3
	v_cmp_gt_i32_e64 s[0:1], s6, v2
	v_cndmask_b32_e64 v2, 0, v3, s[0:1]
	v_ashrrev_i16_e32 v4, 15, v11
	v_ashrrev_i32_sdwa v7, v14, sext(v11) dst_sel:DWORD dst_unused:UNUSED_PAD src0_sel:WORD_0 src1_sel:WORD_0
	v_cmp_lt_u16_e64 s[0:1], 14, v14
	v_or_b32_e32 v3, 0x500, v0
	v_cndmask_b32_e64 v4, v7, v4, s[0:1]
	;; [unrolled: 16-line block ×3, first 2 shown]
	v_perm_b32 v7, v7, v2, s3
	v_cmp_gt_i32_e64 s[0:1], s6, v3
	v_cndmask_b32_e64 v3, v2, v7, s[0:1]
	s_and_saveexec_b64 s[0:1], vcc
	s_cbranch_execnz .LBB235_29
; %bb.20:
	s_or_b64 exec, exec, s[0:1]
	v_cmp_gt_i32_e32 vcc, s6, v0
	s_and_saveexec_b64 s[0:1], vcc
	s_cbranch_execnz .LBB235_30
.LBB235_21:
	s_or_b64 exec, exec, s[0:1]
	v_cmp_gt_i32_e32 vcc, s6, v0
	s_and_saveexec_b64 s[0:1], vcc
	s_cbranch_execnz .LBB235_31
.LBB235_22:
	s_or_b64 exec, exec, s[0:1]
	v_cmp_gt_i32_e32 vcc, s6, v0
	s_and_saveexec_b64 s[0:1], vcc
	s_cbranch_execnz .LBB235_32
.LBB235_23:
	s_or_b64 exec, exec, s[0:1]
	v_cmp_gt_i32_e32 vcc, s6, v0
	s_and_saveexec_b64 s[0:1], vcc
	s_cbranch_execnz .LBB235_33
.LBB235_24:
	s_or_b64 exec, exec, s[0:1]
	v_cmp_gt_i32_e32 vcc, s6, v0
	s_and_saveexec_b64 s[0:1], vcc
	s_cbranch_execnz .LBB235_34
.LBB235_25:
	s_or_b64 exec, exec, s[0:1]
	v_cmp_gt_i32_e32 vcc, s6, v0
	s_and_saveexec_b64 s[0:1], vcc
	s_cbranch_execnz .LBB235_35
.LBB235_26:
	s_or_b64 exec, exec, s[0:1]
	v_cmp_gt_i32_e32 vcc, s6, v0
	s_and_saveexec_b64 s[0:1], vcc
	s_cbranch_execz .LBB235_28
.LBB235_27:
	v_add_u32_e32 v0, s2, v0
	v_mov_b32_e32 v1, 0
	v_lshlrev_b64 v[0:1], 1, v[0:1]
	v_mov_b32_e32 v2, s9
	v_add_co_u32_e32 v0, vcc, s8, v0
	v_addc_co_u32_e32 v1, vcc, v2, v1, vcc
	global_store_short_d16_hi v[0:1], v3, off
.LBB235_28:
	s_endpgm
.LBB235_29:
	v_mov_b32_e32 v2, 0
	v_lshlrev_b64 v[0:1], 1, v[1:2]
	v_mov_b32_e32 v2, s9
	v_add_co_u32_e32 v0, vcc, s8, v0
	v_addc_co_u32_e32 v1, vcc, v2, v1, vcc
	global_store_short v[0:1], v6, off
	v_mov_b32_e32 v0, v18
	s_or_b64 exec, exec, s[0:1]
	v_cmp_gt_i32_e32 vcc, s6, v0
	s_and_saveexec_b64 s[0:1], vcc
	s_cbranch_execz .LBB235_21
.LBB235_30:
	v_add_u32_e32 v1, s2, v0
	v_mov_b32_e32 v2, 0
	v_lshlrev_b64 v[1:2], 1, v[1:2]
	v_mov_b32_e32 v7, s9
	v_add_co_u32_e32 v1, vcc, s8, v1
	v_addc_co_u32_e32 v2, vcc, v7, v2, vcc
	v_add_u32_e32 v0, 0x100, v0
	global_store_short_d16_hi v[1:2], v6, off
	s_or_b64 exec, exec, s[0:1]
	v_cmp_gt_i32_e32 vcc, s6, v0
	s_and_saveexec_b64 s[0:1], vcc
	s_cbranch_execz .LBB235_22
.LBB235_31:
	v_add_u32_e32 v1, s2, v0
	v_mov_b32_e32 v2, 0
	v_lshlrev_b64 v[1:2], 1, v[1:2]
	v_mov_b32_e32 v6, s9
	v_add_co_u32_e32 v1, vcc, s8, v1
	v_addc_co_u32_e32 v2, vcc, v6, v2, vcc
	v_add_u32_e32 v0, 0x100, v0
	global_store_short v[1:2], v5, off
	s_or_b64 exec, exec, s[0:1]
	v_cmp_gt_i32_e32 vcc, s6, v0
	s_and_saveexec_b64 s[0:1], vcc
	s_cbranch_execz .LBB235_23
.LBB235_32:
	v_add_u32_e32 v1, s2, v0
	v_mov_b32_e32 v2, 0
	v_lshlrev_b64 v[1:2], 1, v[1:2]
	v_mov_b32_e32 v6, s9
	v_add_co_u32_e32 v1, vcc, s8, v1
	v_addc_co_u32_e32 v2, vcc, v6, v2, vcc
	v_add_u32_e32 v0, 0x100, v0
	global_store_short_d16_hi v[1:2], v5, off
	s_or_b64 exec, exec, s[0:1]
	v_cmp_gt_i32_e32 vcc, s6, v0
	s_and_saveexec_b64 s[0:1], vcc
	s_cbranch_execz .LBB235_24
.LBB235_33:
	v_add_u32_e32 v1, s2, v0
	v_mov_b32_e32 v2, 0
	v_lshlrev_b64 v[1:2], 1, v[1:2]
	v_mov_b32_e32 v5, s9
	v_add_co_u32_e32 v1, vcc, s8, v1
	v_addc_co_u32_e32 v2, vcc, v5, v2, vcc
	v_add_u32_e32 v0, 0x100, v0
	global_store_short v[1:2], v4, off
	s_or_b64 exec, exec, s[0:1]
	v_cmp_gt_i32_e32 vcc, s6, v0
	s_and_saveexec_b64 s[0:1], vcc
	s_cbranch_execz .LBB235_25
.LBB235_34:
	v_add_u32_e32 v1, s2, v0
	v_mov_b32_e32 v2, 0
	v_lshlrev_b64 v[1:2], 1, v[1:2]
	v_mov_b32_e32 v5, s9
	v_add_co_u32_e32 v1, vcc, s8, v1
	v_addc_co_u32_e32 v2, vcc, v5, v2, vcc
	v_add_u32_e32 v0, 0x100, v0
	global_store_short_d16_hi v[1:2], v4, off
	s_or_b64 exec, exec, s[0:1]
	v_cmp_gt_i32_e32 vcc, s6, v0
	s_and_saveexec_b64 s[0:1], vcc
	s_cbranch_execz .LBB235_26
.LBB235_35:
	v_add_u32_e32 v1, s2, v0
	v_mov_b32_e32 v2, 0
	v_lshlrev_b64 v[1:2], 1, v[1:2]
	v_mov_b32_e32 v4, s9
	v_add_co_u32_e32 v1, vcc, s8, v1
	v_addc_co_u32_e32 v2, vcc, v4, v2, vcc
	v_add_u32_e32 v0, 0x100, v0
	global_store_short v[1:2], v3, off
	s_or_b64 exec, exec, s[0:1]
	v_cmp_gt_i32_e32 vcc, s6, v0
	s_and_saveexec_b64 s[0:1], vcc
	s_cbranch_execnz .LBB235_27
	s_branch .LBB235_28
	.section	.rodata,"a",@progbits
	.p2align	6, 0x0
	.amdhsa_kernel _ZN2at6native29vectorized_elementwise_kernelILi2ENS0_13BinaryFunctorIsssZZZNS0_18rshift_kernel_cudaERNS_18TensorIteratorBaseEENKUlvE_clEvENKUlvE3_clEvEUlssE_EESt5arrayIPcLm3EEEEviT0_T1_
		.amdhsa_group_segment_fixed_size 0
		.amdhsa_private_segment_fixed_size 0
		.amdhsa_kernarg_size 32
		.amdhsa_user_sgpr_count 6
		.amdhsa_user_sgpr_private_segment_buffer 1
		.amdhsa_user_sgpr_dispatch_ptr 0
		.amdhsa_user_sgpr_queue_ptr 0
		.amdhsa_user_sgpr_kernarg_segment_ptr 1
		.amdhsa_user_sgpr_dispatch_id 0
		.amdhsa_user_sgpr_flat_scratch_init 0
		.amdhsa_user_sgpr_private_segment_size 0
		.amdhsa_uses_dynamic_stack 0
		.amdhsa_system_sgpr_private_segment_wavefront_offset 0
		.amdhsa_system_sgpr_workgroup_id_x 1
		.amdhsa_system_sgpr_workgroup_id_y 0
		.amdhsa_system_sgpr_workgroup_id_z 0
		.amdhsa_system_sgpr_workgroup_info 0
		.amdhsa_system_vgpr_workitem_id 0
		.amdhsa_next_free_vgpr 24
		.amdhsa_next_free_sgpr 14
		.amdhsa_reserve_vcc 1
		.amdhsa_reserve_flat_scratch 0
		.amdhsa_float_round_mode_32 0
		.amdhsa_float_round_mode_16_64 0
		.amdhsa_float_denorm_mode_32 3
		.amdhsa_float_denorm_mode_16_64 3
		.amdhsa_dx10_clamp 1
		.amdhsa_ieee_mode 1
		.amdhsa_fp16_overflow 0
		.amdhsa_exception_fp_ieee_invalid_op 0
		.amdhsa_exception_fp_denorm_src 0
		.amdhsa_exception_fp_ieee_div_zero 0
		.amdhsa_exception_fp_ieee_overflow 0
		.amdhsa_exception_fp_ieee_underflow 0
		.amdhsa_exception_fp_ieee_inexact 0
		.amdhsa_exception_int_div_zero 0
	.end_amdhsa_kernel
	.section	.text._ZN2at6native29vectorized_elementwise_kernelILi2ENS0_13BinaryFunctorIsssZZZNS0_18rshift_kernel_cudaERNS_18TensorIteratorBaseEENKUlvE_clEvENKUlvE3_clEvEUlssE_EESt5arrayIPcLm3EEEEviT0_T1_,"axG",@progbits,_ZN2at6native29vectorized_elementwise_kernelILi2ENS0_13BinaryFunctorIsssZZZNS0_18rshift_kernel_cudaERNS_18TensorIteratorBaseEENKUlvE_clEvENKUlvE3_clEvEUlssE_EESt5arrayIPcLm3EEEEviT0_T1_,comdat
.Lfunc_end235:
	.size	_ZN2at6native29vectorized_elementwise_kernelILi2ENS0_13BinaryFunctorIsssZZZNS0_18rshift_kernel_cudaERNS_18TensorIteratorBaseEENKUlvE_clEvENKUlvE3_clEvEUlssE_EESt5arrayIPcLm3EEEEviT0_T1_, .Lfunc_end235-_ZN2at6native29vectorized_elementwise_kernelILi2ENS0_13BinaryFunctorIsssZZZNS0_18rshift_kernel_cudaERNS_18TensorIteratorBaseEENKUlvE_clEvENKUlvE3_clEvEUlssE_EESt5arrayIPcLm3EEEEviT0_T1_
                                        ; -- End function
	.set _ZN2at6native29vectorized_elementwise_kernelILi2ENS0_13BinaryFunctorIsssZZZNS0_18rshift_kernel_cudaERNS_18TensorIteratorBaseEENKUlvE_clEvENKUlvE3_clEvEUlssE_EESt5arrayIPcLm3EEEEviT0_T1_.num_vgpr, 24
	.set _ZN2at6native29vectorized_elementwise_kernelILi2ENS0_13BinaryFunctorIsssZZZNS0_18rshift_kernel_cudaERNS_18TensorIteratorBaseEENKUlvE_clEvENKUlvE3_clEvEUlssE_EESt5arrayIPcLm3EEEEviT0_T1_.num_agpr, 0
	.set _ZN2at6native29vectorized_elementwise_kernelILi2ENS0_13BinaryFunctorIsssZZZNS0_18rshift_kernel_cudaERNS_18TensorIteratorBaseEENKUlvE_clEvENKUlvE3_clEvEUlssE_EESt5arrayIPcLm3EEEEviT0_T1_.numbered_sgpr, 14
	.set _ZN2at6native29vectorized_elementwise_kernelILi2ENS0_13BinaryFunctorIsssZZZNS0_18rshift_kernel_cudaERNS_18TensorIteratorBaseEENKUlvE_clEvENKUlvE3_clEvEUlssE_EESt5arrayIPcLm3EEEEviT0_T1_.num_named_barrier, 0
	.set _ZN2at6native29vectorized_elementwise_kernelILi2ENS0_13BinaryFunctorIsssZZZNS0_18rshift_kernel_cudaERNS_18TensorIteratorBaseEENKUlvE_clEvENKUlvE3_clEvEUlssE_EESt5arrayIPcLm3EEEEviT0_T1_.private_seg_size, 0
	.set _ZN2at6native29vectorized_elementwise_kernelILi2ENS0_13BinaryFunctorIsssZZZNS0_18rshift_kernel_cudaERNS_18TensorIteratorBaseEENKUlvE_clEvENKUlvE3_clEvEUlssE_EESt5arrayIPcLm3EEEEviT0_T1_.uses_vcc, 1
	.set _ZN2at6native29vectorized_elementwise_kernelILi2ENS0_13BinaryFunctorIsssZZZNS0_18rshift_kernel_cudaERNS_18TensorIteratorBaseEENKUlvE_clEvENKUlvE3_clEvEUlssE_EESt5arrayIPcLm3EEEEviT0_T1_.uses_flat_scratch, 0
	.set _ZN2at6native29vectorized_elementwise_kernelILi2ENS0_13BinaryFunctorIsssZZZNS0_18rshift_kernel_cudaERNS_18TensorIteratorBaseEENKUlvE_clEvENKUlvE3_clEvEUlssE_EESt5arrayIPcLm3EEEEviT0_T1_.has_dyn_sized_stack, 0
	.set _ZN2at6native29vectorized_elementwise_kernelILi2ENS0_13BinaryFunctorIsssZZZNS0_18rshift_kernel_cudaERNS_18TensorIteratorBaseEENKUlvE_clEvENKUlvE3_clEvEUlssE_EESt5arrayIPcLm3EEEEviT0_T1_.has_recursion, 0
	.set _ZN2at6native29vectorized_elementwise_kernelILi2ENS0_13BinaryFunctorIsssZZZNS0_18rshift_kernel_cudaERNS_18TensorIteratorBaseEENKUlvE_clEvENKUlvE3_clEvEUlssE_EESt5arrayIPcLm3EEEEviT0_T1_.has_indirect_call, 0
	.section	.AMDGPU.csdata,"",@progbits
; Kernel info:
; codeLenInByte = 2360
; TotalNumSgprs: 18
; NumVgprs: 24
; ScratchSize: 0
; MemoryBound: 0
; FloatMode: 240
; IeeeMode: 1
; LDSByteSize: 0 bytes/workgroup (compile time only)
; SGPRBlocks: 2
; VGPRBlocks: 5
; NumSGPRsForWavesPerEU: 18
; NumVGPRsForWavesPerEU: 24
; Occupancy: 10
; WaveLimiterHint : 1
; COMPUTE_PGM_RSRC2:SCRATCH_EN: 0
; COMPUTE_PGM_RSRC2:USER_SGPR: 6
; COMPUTE_PGM_RSRC2:TRAP_HANDLER: 0
; COMPUTE_PGM_RSRC2:TGID_X_EN: 1
; COMPUTE_PGM_RSRC2:TGID_Y_EN: 0
; COMPUTE_PGM_RSRC2:TGID_Z_EN: 0
; COMPUTE_PGM_RSRC2:TIDIG_COMP_CNT: 0
	.section	.text._ZN2at6native27unrolled_elementwise_kernelINS0_13BinaryFunctorIsssZZZNS0_18rshift_kernel_cudaERNS_18TensorIteratorBaseEENKUlvE_clEvENKUlvE3_clEvEUlssE_EESt5arrayIPcLm3EELi4E23TrivialOffsetCalculatorILi2EjESC_ILi1EjENS0_6memory15LoadWithoutCastENSF_16StoreWithoutCastEEEviT_T0_T2_T3_T4_T5_,"axG",@progbits,_ZN2at6native27unrolled_elementwise_kernelINS0_13BinaryFunctorIsssZZZNS0_18rshift_kernel_cudaERNS_18TensorIteratorBaseEENKUlvE_clEvENKUlvE3_clEvEUlssE_EESt5arrayIPcLm3EELi4E23TrivialOffsetCalculatorILi2EjESC_ILi1EjENS0_6memory15LoadWithoutCastENSF_16StoreWithoutCastEEEviT_T0_T2_T3_T4_T5_,comdat
	.globl	_ZN2at6native27unrolled_elementwise_kernelINS0_13BinaryFunctorIsssZZZNS0_18rshift_kernel_cudaERNS_18TensorIteratorBaseEENKUlvE_clEvENKUlvE3_clEvEUlssE_EESt5arrayIPcLm3EELi4E23TrivialOffsetCalculatorILi2EjESC_ILi1EjENS0_6memory15LoadWithoutCastENSF_16StoreWithoutCastEEEviT_T0_T2_T3_T4_T5_ ; -- Begin function _ZN2at6native27unrolled_elementwise_kernelINS0_13BinaryFunctorIsssZZZNS0_18rshift_kernel_cudaERNS_18TensorIteratorBaseEENKUlvE_clEvENKUlvE3_clEvEUlssE_EESt5arrayIPcLm3EELi4E23TrivialOffsetCalculatorILi2EjESC_ILi1EjENS0_6memory15LoadWithoutCastENSF_16StoreWithoutCastEEEviT_T0_T2_T3_T4_T5_
	.p2align	8
	.type	_ZN2at6native27unrolled_elementwise_kernelINS0_13BinaryFunctorIsssZZZNS0_18rshift_kernel_cudaERNS_18TensorIteratorBaseEENKUlvE_clEvENKUlvE3_clEvEUlssE_EESt5arrayIPcLm3EELi4E23TrivialOffsetCalculatorILi2EjESC_ILi1EjENS0_6memory15LoadWithoutCastENSF_16StoreWithoutCastEEEviT_T0_T2_T3_T4_T5_,@function
_ZN2at6native27unrolled_elementwise_kernelINS0_13BinaryFunctorIsssZZZNS0_18rshift_kernel_cudaERNS_18TensorIteratorBaseEENKUlvE_clEvENKUlvE3_clEvEUlssE_EESt5arrayIPcLm3EELi4E23TrivialOffsetCalculatorILi2EjESC_ILi1EjENS0_6memory15LoadWithoutCastENSF_16StoreWithoutCastEEEviT_T0_T2_T3_T4_T5_: ; @_ZN2at6native27unrolled_elementwise_kernelINS0_13BinaryFunctorIsssZZZNS0_18rshift_kernel_cudaERNS_18TensorIteratorBaseEENKUlvE_clEvENKUlvE3_clEvEUlssE_EESt5arrayIPcLm3EELi4E23TrivialOffsetCalculatorILi2EjESC_ILi1EjENS0_6memory15LoadWithoutCastENSF_16StoreWithoutCastEEEviT_T0_T2_T3_T4_T5_
; %bb.0:
	s_load_dword s0, s[4:5], 0x0
	s_load_dwordx4 s[8:11], s[4:5], 0x8
	s_load_dwordx2 s[2:3], s[4:5], 0x18
	s_lshl_b32 s6, s6, 10
	v_mov_b32_e32 v3, 0
	s_waitcnt lgkmcnt(0)
	s_sub_i32 s7, s0, s6
	v_cmp_gt_i32_e32 vcc, s7, v0
	v_or_b32_e32 v1, s6, v0
	v_mov_b32_e32 v2, 0
	v_mov_b32_e32 v4, 0
	v_mov_b32_e32 v6, v0
	s_and_saveexec_b64 s[4:5], vcc
	s_cbranch_execz .LBB236_2
; %bb.1:
	v_mov_b32_e32 v2, 0
	v_lshlrev_b64 v[4:5], 1, v[1:2]
	v_mov_b32_e32 v2, s11
	v_add_co_u32_e64 v6, s[0:1], s10, v4
	v_addc_co_u32_e64 v7, s[0:1], v2, v5, s[0:1]
	v_mov_b32_e32 v2, s3
	v_add_co_u32_e64 v8, s[0:1], s2, v4
	v_addc_co_u32_e64 v9, s[0:1], v2, v5, s[0:1]
	global_load_ushort v2, v[6:7], off
	global_load_ushort v4, v[8:9], off
	v_or_b32_e32 v6, 0x100, v0
.LBB236_2:
	s_or_b64 exec, exec, s[4:5]
	v_cmp_gt_i32_e64 s[0:1], s7, v6
	v_mov_b32_e32 v5, 0
	s_and_saveexec_b64 s[4:5], s[0:1]
	s_cbranch_execz .LBB236_4
; %bb.3:
	v_add_u32_e32 v7, s6, v6
	v_mov_b32_e32 v8, 0
	v_lshlrev_b64 v[7:8], 1, v[7:8]
	v_mov_b32_e32 v3, s11
	v_add_co_u32_e64 v9, s[0:1], s10, v7
	v_addc_co_u32_e64 v10, s[0:1], v3, v8, s[0:1]
	v_mov_b32_e32 v3, s3
	v_add_co_u32_e64 v7, s[0:1], s2, v7
	v_addc_co_u32_e64 v8, s[0:1], v3, v8, s[0:1]
	global_load_ushort v3, v[9:10], off
	global_load_ushort v5, v[7:8], off
	v_add_u32_e32 v6, 0x100, v6
.LBB236_4:
	s_or_b64 exec, exec, s[4:5]
	v_cmp_gt_i32_e64 s[0:1], s7, v6
	v_mov_b32_e32 v7, 0
	v_mov_b32_e32 v8, 0
	;; [unrolled: 1-line block ×3, first 2 shown]
	s_and_saveexec_b64 s[4:5], s[0:1]
	s_cbranch_execz .LBB236_6
; %bb.5:
	v_add_u32_e32 v8, s6, v6
	v_mov_b32_e32 v9, 0
	v_lshlrev_b64 v[8:9], 1, v[8:9]
	v_mov_b32_e32 v11, s11
	v_add_co_u32_e64 v10, s[0:1], s10, v8
	v_addc_co_u32_e64 v11, s[0:1], v11, v9, s[0:1]
	v_mov_b32_e32 v13, s3
	v_add_co_u32_e64 v12, s[0:1], s2, v8
	v_addc_co_u32_e64 v13, s[0:1], v13, v9, s[0:1]
	global_load_ushort v8, v[10:11], off
	global_load_ushort v9, v[12:13], off
	v_add_u32_e32 v6, 0x100, v6
.LBB236_6:
	s_or_b64 exec, exec, s[4:5]
	v_cmp_gt_i32_e64 s[0:1], s7, v6
	v_mov_b32_e32 v10, 0
	s_and_saveexec_b64 s[4:5], s[0:1]
	s_cbranch_execz .LBB236_8
; %bb.7:
	v_add_u32_e32 v6, s6, v6
	v_mov_b32_e32 v7, 0
	v_lshlrev_b64 v[6:7], 1, v[6:7]
	v_mov_b32_e32 v10, s11
	v_add_co_u32_e64 v11, s[0:1], s10, v6
	v_addc_co_u32_e64 v12, s[0:1], v10, v7, s[0:1]
	v_mov_b32_e32 v10, s3
	v_add_co_u32_e64 v13, s[0:1], s2, v6
	v_addc_co_u32_e64 v14, s[0:1], v10, v7, s[0:1]
	global_load_ushort v7, v[11:12], off
	global_load_ushort v10, v[13:14], off
.LBB236_8:
	s_or_b64 exec, exec, s[4:5]
	s_waitcnt vmcnt(1)
	v_ashrrev_i16_e32 v6, 15, v2
	s_waitcnt vmcnt(0)
	v_ashrrev_i32_sdwa v2, v4, sext(v2) dst_sel:DWORD dst_unused:UNUSED_PAD src0_sel:WORD_0 src1_sel:WORD_0
	v_cmp_lt_u16_e64 s[0:1], 14, v4
	v_cndmask_b32_e64 v2, v2, v6, s[0:1]
	v_and_b32_e32 v2, 0xffff, v2
	v_ashrrev_i16_e32 v4, 15, v3
	v_ashrrev_i32_sdwa v3, v5, sext(v3) dst_sel:DWORD dst_unused:UNUSED_PAD src0_sel:WORD_0 src1_sel:WORD_0
	v_cmp_lt_u16_e64 s[0:1], 14, v5
	v_cndmask_b32_e32 v2, 0, v2, vcc
	v_or_b32_e32 v6, 0x100, v0
	v_cndmask_b32_e64 v3, v3, v4, s[0:1]
	s_mov_b32 s2, 0x5040100
	v_perm_b32 v3, v3, v2, s2
	v_cmp_gt_i32_e64 s[0:1], s7, v6
	v_cndmask_b32_e64 v4, v2, v3, s[0:1]
	v_ashrrev_i16_e32 v3, 15, v8
	v_ashrrev_i32_sdwa v5, v9, sext(v8) dst_sel:DWORD dst_unused:UNUSED_PAD src0_sel:WORD_0 src1_sel:WORD_0
	v_cmp_lt_u16_e64 s[0:1], 14, v9
	v_or_b32_e32 v2, 0x200, v0
	v_cndmask_b32_e64 v3, v5, v3, s[0:1]
	v_and_b32_e32 v3, 0xffff, v3
	v_cmp_gt_i32_e64 s[0:1], s7, v2
	v_cndmask_b32_e64 v2, 0, v3, s[0:1]
	v_ashrrev_i16_e32 v5, 15, v7
	v_ashrrev_i32_sdwa v7, v10, sext(v7) dst_sel:DWORD dst_unused:UNUSED_PAD src0_sel:WORD_0 src1_sel:WORD_0
	v_cmp_lt_u16_e64 s[0:1], 14, v10
	v_or_b32_e32 v3, 0x300, v0
	v_cndmask_b32_e64 v5, v7, v5, s[0:1]
	v_perm_b32 v5, v5, v2, s2
	v_cmp_gt_i32_e64 s[0:1], s7, v3
	v_cndmask_b32_e64 v3, v2, v5, s[0:1]
	s_and_saveexec_b64 s[0:1], vcc
	s_cbranch_execnz .LBB236_13
; %bb.9:
	s_or_b64 exec, exec, s[0:1]
	v_cmp_gt_i32_e32 vcc, s7, v0
	s_and_saveexec_b64 s[0:1], vcc
	s_cbranch_execnz .LBB236_14
.LBB236_10:
	s_or_b64 exec, exec, s[0:1]
	v_cmp_gt_i32_e32 vcc, s7, v0
	s_and_saveexec_b64 s[0:1], vcc
	s_cbranch_execnz .LBB236_15
.LBB236_11:
	s_or_b64 exec, exec, s[0:1]
	v_cmp_gt_i32_e32 vcc, s7, v0
	s_and_saveexec_b64 s[0:1], vcc
	s_cbranch_execnz .LBB236_16
.LBB236_12:
	s_endpgm
.LBB236_13:
	v_mov_b32_e32 v2, 0
	v_lshlrev_b64 v[0:1], 1, v[1:2]
	v_mov_b32_e32 v2, s9
	v_add_co_u32_e32 v0, vcc, s8, v0
	v_addc_co_u32_e32 v1, vcc, v2, v1, vcc
	global_store_short v[0:1], v4, off
	v_mov_b32_e32 v0, v6
	s_or_b64 exec, exec, s[0:1]
	v_cmp_gt_i32_e32 vcc, s7, v0
	s_and_saveexec_b64 s[0:1], vcc
	s_cbranch_execz .LBB236_10
.LBB236_14:
	v_add_u32_e32 v2, 0x100, v0
	v_add_u32_e32 v0, s6, v0
	v_mov_b32_e32 v1, 0
	v_lshlrev_b64 v[0:1], 1, v[0:1]
	v_mov_b32_e32 v5, s9
	v_add_co_u32_e32 v0, vcc, s8, v0
	v_addc_co_u32_e32 v1, vcc, v5, v1, vcc
	global_store_short_d16_hi v[0:1], v4, off
	v_mov_b32_e32 v0, v2
	s_or_b64 exec, exec, s[0:1]
	v_cmp_gt_i32_e32 vcc, s7, v0
	s_and_saveexec_b64 s[0:1], vcc
	s_cbranch_execz .LBB236_11
.LBB236_15:
	v_add_u32_e32 v2, 0x100, v0
	v_add_u32_e32 v0, s6, v0
	v_mov_b32_e32 v1, 0
	v_lshlrev_b64 v[0:1], 1, v[0:1]
	v_mov_b32_e32 v4, s9
	v_add_co_u32_e32 v0, vcc, s8, v0
	v_addc_co_u32_e32 v1, vcc, v4, v1, vcc
	global_store_short v[0:1], v3, off
	v_mov_b32_e32 v0, v2
	s_or_b64 exec, exec, s[0:1]
	v_cmp_gt_i32_e32 vcc, s7, v0
	s_and_saveexec_b64 s[0:1], vcc
	s_cbranch_execz .LBB236_12
.LBB236_16:
	v_add_u32_e32 v0, s6, v0
	v_mov_b32_e32 v1, 0
	v_lshlrev_b64 v[0:1], 1, v[0:1]
	v_mov_b32_e32 v2, s9
	v_add_co_u32_e32 v0, vcc, s8, v0
	v_addc_co_u32_e32 v1, vcc, v2, v1, vcc
	global_store_short_d16_hi v[0:1], v3, off
	s_endpgm
	.section	.rodata,"a",@progbits
	.p2align	6, 0x0
	.amdhsa_kernel _ZN2at6native27unrolled_elementwise_kernelINS0_13BinaryFunctorIsssZZZNS0_18rshift_kernel_cudaERNS_18TensorIteratorBaseEENKUlvE_clEvENKUlvE3_clEvEUlssE_EESt5arrayIPcLm3EELi4E23TrivialOffsetCalculatorILi2EjESC_ILi1EjENS0_6memory15LoadWithoutCastENSF_16StoreWithoutCastEEEviT_T0_T2_T3_T4_T5_
		.amdhsa_group_segment_fixed_size 0
		.amdhsa_private_segment_fixed_size 0
		.amdhsa_kernarg_size 36
		.amdhsa_user_sgpr_count 6
		.amdhsa_user_sgpr_private_segment_buffer 1
		.amdhsa_user_sgpr_dispatch_ptr 0
		.amdhsa_user_sgpr_queue_ptr 0
		.amdhsa_user_sgpr_kernarg_segment_ptr 1
		.amdhsa_user_sgpr_dispatch_id 0
		.amdhsa_user_sgpr_flat_scratch_init 0
		.amdhsa_user_sgpr_private_segment_size 0
		.amdhsa_uses_dynamic_stack 0
		.amdhsa_system_sgpr_private_segment_wavefront_offset 0
		.amdhsa_system_sgpr_workgroup_id_x 1
		.amdhsa_system_sgpr_workgroup_id_y 0
		.amdhsa_system_sgpr_workgroup_id_z 0
		.amdhsa_system_sgpr_workgroup_info 0
		.amdhsa_system_vgpr_workitem_id 0
		.amdhsa_next_free_vgpr 15
		.amdhsa_next_free_sgpr 12
		.amdhsa_reserve_vcc 1
		.amdhsa_reserve_flat_scratch 0
		.amdhsa_float_round_mode_32 0
		.amdhsa_float_round_mode_16_64 0
		.amdhsa_float_denorm_mode_32 3
		.amdhsa_float_denorm_mode_16_64 3
		.amdhsa_dx10_clamp 1
		.amdhsa_ieee_mode 1
		.amdhsa_fp16_overflow 0
		.amdhsa_exception_fp_ieee_invalid_op 0
		.amdhsa_exception_fp_denorm_src 0
		.amdhsa_exception_fp_ieee_div_zero 0
		.amdhsa_exception_fp_ieee_overflow 0
		.amdhsa_exception_fp_ieee_underflow 0
		.amdhsa_exception_fp_ieee_inexact 0
		.amdhsa_exception_int_div_zero 0
	.end_amdhsa_kernel
	.section	.text._ZN2at6native27unrolled_elementwise_kernelINS0_13BinaryFunctorIsssZZZNS0_18rshift_kernel_cudaERNS_18TensorIteratorBaseEENKUlvE_clEvENKUlvE3_clEvEUlssE_EESt5arrayIPcLm3EELi4E23TrivialOffsetCalculatorILi2EjESC_ILi1EjENS0_6memory15LoadWithoutCastENSF_16StoreWithoutCastEEEviT_T0_T2_T3_T4_T5_,"axG",@progbits,_ZN2at6native27unrolled_elementwise_kernelINS0_13BinaryFunctorIsssZZZNS0_18rshift_kernel_cudaERNS_18TensorIteratorBaseEENKUlvE_clEvENKUlvE3_clEvEUlssE_EESt5arrayIPcLm3EELi4E23TrivialOffsetCalculatorILi2EjESC_ILi1EjENS0_6memory15LoadWithoutCastENSF_16StoreWithoutCastEEEviT_T0_T2_T3_T4_T5_,comdat
.Lfunc_end236:
	.size	_ZN2at6native27unrolled_elementwise_kernelINS0_13BinaryFunctorIsssZZZNS0_18rshift_kernel_cudaERNS_18TensorIteratorBaseEENKUlvE_clEvENKUlvE3_clEvEUlssE_EESt5arrayIPcLm3EELi4E23TrivialOffsetCalculatorILi2EjESC_ILi1EjENS0_6memory15LoadWithoutCastENSF_16StoreWithoutCastEEEviT_T0_T2_T3_T4_T5_, .Lfunc_end236-_ZN2at6native27unrolled_elementwise_kernelINS0_13BinaryFunctorIsssZZZNS0_18rshift_kernel_cudaERNS_18TensorIteratorBaseEENKUlvE_clEvENKUlvE3_clEvEUlssE_EESt5arrayIPcLm3EELi4E23TrivialOffsetCalculatorILi2EjESC_ILi1EjENS0_6memory15LoadWithoutCastENSF_16StoreWithoutCastEEEviT_T0_T2_T3_T4_T5_
                                        ; -- End function
	.set _ZN2at6native27unrolled_elementwise_kernelINS0_13BinaryFunctorIsssZZZNS0_18rshift_kernel_cudaERNS_18TensorIteratorBaseEENKUlvE_clEvENKUlvE3_clEvEUlssE_EESt5arrayIPcLm3EELi4E23TrivialOffsetCalculatorILi2EjESC_ILi1EjENS0_6memory15LoadWithoutCastENSF_16StoreWithoutCastEEEviT_T0_T2_T3_T4_T5_.num_vgpr, 15
	.set _ZN2at6native27unrolled_elementwise_kernelINS0_13BinaryFunctorIsssZZZNS0_18rshift_kernel_cudaERNS_18TensorIteratorBaseEENKUlvE_clEvENKUlvE3_clEvEUlssE_EESt5arrayIPcLm3EELi4E23TrivialOffsetCalculatorILi2EjESC_ILi1EjENS0_6memory15LoadWithoutCastENSF_16StoreWithoutCastEEEviT_T0_T2_T3_T4_T5_.num_agpr, 0
	.set _ZN2at6native27unrolled_elementwise_kernelINS0_13BinaryFunctorIsssZZZNS0_18rshift_kernel_cudaERNS_18TensorIteratorBaseEENKUlvE_clEvENKUlvE3_clEvEUlssE_EESt5arrayIPcLm3EELi4E23TrivialOffsetCalculatorILi2EjESC_ILi1EjENS0_6memory15LoadWithoutCastENSF_16StoreWithoutCastEEEviT_T0_T2_T3_T4_T5_.numbered_sgpr, 12
	.set _ZN2at6native27unrolled_elementwise_kernelINS0_13BinaryFunctorIsssZZZNS0_18rshift_kernel_cudaERNS_18TensorIteratorBaseEENKUlvE_clEvENKUlvE3_clEvEUlssE_EESt5arrayIPcLm3EELi4E23TrivialOffsetCalculatorILi2EjESC_ILi1EjENS0_6memory15LoadWithoutCastENSF_16StoreWithoutCastEEEviT_T0_T2_T3_T4_T5_.num_named_barrier, 0
	.set _ZN2at6native27unrolled_elementwise_kernelINS0_13BinaryFunctorIsssZZZNS0_18rshift_kernel_cudaERNS_18TensorIteratorBaseEENKUlvE_clEvENKUlvE3_clEvEUlssE_EESt5arrayIPcLm3EELi4E23TrivialOffsetCalculatorILi2EjESC_ILi1EjENS0_6memory15LoadWithoutCastENSF_16StoreWithoutCastEEEviT_T0_T2_T3_T4_T5_.private_seg_size, 0
	.set _ZN2at6native27unrolled_elementwise_kernelINS0_13BinaryFunctorIsssZZZNS0_18rshift_kernel_cudaERNS_18TensorIteratorBaseEENKUlvE_clEvENKUlvE3_clEvEUlssE_EESt5arrayIPcLm3EELi4E23TrivialOffsetCalculatorILi2EjESC_ILi1EjENS0_6memory15LoadWithoutCastENSF_16StoreWithoutCastEEEviT_T0_T2_T3_T4_T5_.uses_vcc, 1
	.set _ZN2at6native27unrolled_elementwise_kernelINS0_13BinaryFunctorIsssZZZNS0_18rshift_kernel_cudaERNS_18TensorIteratorBaseEENKUlvE_clEvENKUlvE3_clEvEUlssE_EESt5arrayIPcLm3EELi4E23TrivialOffsetCalculatorILi2EjESC_ILi1EjENS0_6memory15LoadWithoutCastENSF_16StoreWithoutCastEEEviT_T0_T2_T3_T4_T5_.uses_flat_scratch, 0
	.set _ZN2at6native27unrolled_elementwise_kernelINS0_13BinaryFunctorIsssZZZNS0_18rshift_kernel_cudaERNS_18TensorIteratorBaseEENKUlvE_clEvENKUlvE3_clEvEUlssE_EESt5arrayIPcLm3EELi4E23TrivialOffsetCalculatorILi2EjESC_ILi1EjENS0_6memory15LoadWithoutCastENSF_16StoreWithoutCastEEEviT_T0_T2_T3_T4_T5_.has_dyn_sized_stack, 0
	.set _ZN2at6native27unrolled_elementwise_kernelINS0_13BinaryFunctorIsssZZZNS0_18rshift_kernel_cudaERNS_18TensorIteratorBaseEENKUlvE_clEvENKUlvE3_clEvEUlssE_EESt5arrayIPcLm3EELi4E23TrivialOffsetCalculatorILi2EjESC_ILi1EjENS0_6memory15LoadWithoutCastENSF_16StoreWithoutCastEEEviT_T0_T2_T3_T4_T5_.has_recursion, 0
	.set _ZN2at6native27unrolled_elementwise_kernelINS0_13BinaryFunctorIsssZZZNS0_18rshift_kernel_cudaERNS_18TensorIteratorBaseEENKUlvE_clEvENKUlvE3_clEvEUlssE_EESt5arrayIPcLm3EELi4E23TrivialOffsetCalculatorILi2EjESC_ILi1EjENS0_6memory15LoadWithoutCastENSF_16StoreWithoutCastEEEviT_T0_T2_T3_T4_T5_.has_indirect_call, 0
	.section	.AMDGPU.csdata,"",@progbits
; Kernel info:
; codeLenInByte = 976
; TotalNumSgprs: 16
; NumVgprs: 15
; ScratchSize: 0
; MemoryBound: 0
; FloatMode: 240
; IeeeMode: 1
; LDSByteSize: 0 bytes/workgroup (compile time only)
; SGPRBlocks: 1
; VGPRBlocks: 3
; NumSGPRsForWavesPerEU: 16
; NumVGPRsForWavesPerEU: 15
; Occupancy: 10
; WaveLimiterHint : 0
; COMPUTE_PGM_RSRC2:SCRATCH_EN: 0
; COMPUTE_PGM_RSRC2:USER_SGPR: 6
; COMPUTE_PGM_RSRC2:TRAP_HANDLER: 0
; COMPUTE_PGM_RSRC2:TGID_X_EN: 1
; COMPUTE_PGM_RSRC2:TGID_Y_EN: 0
; COMPUTE_PGM_RSRC2:TGID_Z_EN: 0
; COMPUTE_PGM_RSRC2:TIDIG_COMP_CNT: 0
	.section	.text._ZN2at6native32elementwise_kernel_manual_unrollILi128ELi8EZNS0_22gpu_kernel_impl_nocastINS0_13BinaryFunctorIsssZZZNS0_18rshift_kernel_cudaERNS_18TensorIteratorBaseEENKUlvE_clEvENKUlvE3_clEvEUlssE_EEEEvS5_RKT_EUlibE_EEviT1_,"axG",@progbits,_ZN2at6native32elementwise_kernel_manual_unrollILi128ELi8EZNS0_22gpu_kernel_impl_nocastINS0_13BinaryFunctorIsssZZZNS0_18rshift_kernel_cudaERNS_18TensorIteratorBaseEENKUlvE_clEvENKUlvE3_clEvEUlssE_EEEEvS5_RKT_EUlibE_EEviT1_,comdat
	.globl	_ZN2at6native32elementwise_kernel_manual_unrollILi128ELi8EZNS0_22gpu_kernel_impl_nocastINS0_13BinaryFunctorIsssZZZNS0_18rshift_kernel_cudaERNS_18TensorIteratorBaseEENKUlvE_clEvENKUlvE3_clEvEUlssE_EEEEvS5_RKT_EUlibE_EEviT1_ ; -- Begin function _ZN2at6native32elementwise_kernel_manual_unrollILi128ELi8EZNS0_22gpu_kernel_impl_nocastINS0_13BinaryFunctorIsssZZZNS0_18rshift_kernel_cudaERNS_18TensorIteratorBaseEENKUlvE_clEvENKUlvE3_clEvEUlssE_EEEEvS5_RKT_EUlibE_EEviT1_
	.p2align	8
	.type	_ZN2at6native32elementwise_kernel_manual_unrollILi128ELi8EZNS0_22gpu_kernel_impl_nocastINS0_13BinaryFunctorIsssZZZNS0_18rshift_kernel_cudaERNS_18TensorIteratorBaseEENKUlvE_clEvENKUlvE3_clEvEUlssE_EEEEvS5_RKT_EUlibE_EEviT1_,@function
_ZN2at6native32elementwise_kernel_manual_unrollILi128ELi8EZNS0_22gpu_kernel_impl_nocastINS0_13BinaryFunctorIsssZZZNS0_18rshift_kernel_cudaERNS_18TensorIteratorBaseEENKUlvE_clEvENKUlvE3_clEvEUlssE_EEEEvS5_RKT_EUlibE_EEviT1_: ; @_ZN2at6native32elementwise_kernel_manual_unrollILi128ELi8EZNS0_22gpu_kernel_impl_nocastINS0_13BinaryFunctorIsssZZZNS0_18rshift_kernel_cudaERNS_18TensorIteratorBaseEENKUlvE_clEvENKUlvE3_clEvEUlssE_EEEEvS5_RKT_EUlibE_EEviT1_
; %bb.0:
	s_load_dword s36, s[4:5], 0x0
	s_load_dword s33, s[4:5], 0x8
	s_add_u32 s12, s4, 8
	s_addc_u32 s13, s5, 0
	v_lshl_or_b32 v31, s6, 10, v0
	v_or_b32_e32 v41, 0x380, v31
	s_waitcnt lgkmcnt(0)
	s_add_i32 s34, s33, -1
	s_cmp_gt_u32 s34, 1
	v_cmp_le_i32_e32 vcc, s36, v41
	s_cselect_b64 s[14:15], -1, 0
	s_and_saveexec_b64 s[0:1], vcc
	s_xor_b64 s[16:17], exec, s[0:1]
	s_cbranch_execz .LBB237_106
; %bb.1:
	s_load_dwordx4 s[8:11], s[12:13], 0x4
	s_load_dwordx2 s[22:23], s[12:13], 0x14
	s_load_dwordx4 s[4:7], s[12:13], 0xc4
	s_load_dwordx2 s[20:21], s[12:13], 0xd4
	s_load_dwordx2 s[18:19], s[12:13], 0x198
	s_load_dwordx4 s[0:3], s[12:13], 0x188
	s_cmp_lg_u32 s33, 0
	s_cselect_b64 s[26:27], -1, 0
	s_min_u32 s35, s34, 15
	s_cmp_gt_u32 s33, 1
	s_cselect_b64 s[24:25], -1, 0
	v_cmp_gt_i32_e32 vcc, s36, v31
	s_and_saveexec_b64 s[28:29], vcc
	s_cbranch_execnz .LBB237_9
; %bb.2:
	s_or_b64 exec, exec, s[28:29]
	v_cmp_gt_i32_e32 vcc, s36, v31
	s_and_saveexec_b64 s[28:29], vcc
	s_cbranch_execnz .LBB237_21
.LBB237_3:
	s_or_b64 exec, exec, s[28:29]
	v_cmp_gt_i32_e32 vcc, s36, v31
	s_and_saveexec_b64 s[28:29], vcc
	s_cbranch_execnz .LBB237_33
.LBB237_4:
	s_or_b64 exec, exec, s[28:29]
	v_cmp_gt_i32_e32 vcc, s36, v31
	s_and_saveexec_b64 s[28:29], vcc
	s_cbranch_execnz .LBB237_45
.LBB237_5:
	s_or_b64 exec, exec, s[28:29]
	v_cmp_gt_i32_e32 vcc, s36, v31
	s_and_saveexec_b64 s[28:29], vcc
	s_cbranch_execnz .LBB237_57
.LBB237_6:
	s_or_b64 exec, exec, s[28:29]
	v_cmp_gt_i32_e32 vcc, s36, v31
	s_and_saveexec_b64 s[28:29], vcc
	s_cbranch_execnz .LBB237_69
.LBB237_7:
	s_or_b64 exec, exec, s[28:29]
	v_cmp_gt_i32_e32 vcc, s36, v31
	s_and_saveexec_b64 s[28:29], vcc
	s_cbranch_execnz .LBB237_81
.LBB237_8:
	s_or_b64 exec, exec, s[28:29]
	v_cmp_gt_i32_e32 vcc, s36, v31
	s_and_saveexec_b64 s[28:29], vcc
	s_cbranch_execnz .LBB237_93
	s_branch .LBB237_105
.LBB237_9:
	s_andn2_b64 vcc, exec, s[14:15]
	s_cbranch_vccnz .LBB237_15
; %bb.10:
	s_andn2_b64 vcc, exec, s[26:27]
	s_cbranch_vccnz .LBB237_16
; %bb.11:
	s_add_i32 s30, s35, 1
	s_and_b32 s37, s30, 30
	s_add_u32 s30, s12, 0xffffffe8
	s_addc_u32 s31, s13, -1
	v_mov_b32_e32 v2, 0
	v_mov_b32_e32 v4, 0
	v_mov_b32_e32 v0, 0
	v_mov_b32_e32 v1, v31
.LBB237_12:                             ; =>This Inner Loop Header: Depth=1
	s_load_dwordx4 s[40:43], s[30:31], 0x1c
	s_load_dwordx2 s[38:39], s[30:31], 0x2c
	s_load_dwordx2 s[48:49], s[30:31], 0xec
	s_load_dwordx4 s[44:47], s[30:31], 0xdc
	s_add_u32 s30, s30, 24
	s_waitcnt lgkmcnt(0)
	v_mul_hi_u32 v3, s41, v1
	s_addc_u32 s31, s31, 0
	s_add_i32 s37, s37, -2
	s_cmp_lg_u32 s37, 0
	v_add_u32_e32 v3, v1, v3
	v_lshrrev_b32_e32 v3, s42, v3
	v_mul_lo_u32 v5, v3, s40
	v_mul_hi_u32 v6, s38, v3
	v_sub_u32_e32 v5, v1, v5
	v_add_u32_e32 v1, v3, v6
	v_lshrrev_b32_e32 v1, s39, v1
	v_mul_lo_u32 v8, v1, s43
	v_mul_lo_u32 v6, v5, s44
	;; [unrolled: 1-line block ×4, first 2 shown]
	v_sub_u32_e32 v3, v3, v8
	v_mul_lo_u32 v8, v3, s47
	v_mul_lo_u32 v9, v3, s48
	;; [unrolled: 1-line block ×3, first 2 shown]
	v_add3_u32 v0, v6, v0, v8
	v_add3_u32 v4, v7, v4, v9
	;; [unrolled: 1-line block ×3, first 2 shown]
	s_cbranch_scc1 .LBB237_12
; %bb.13:
	s_bitcmp1_b32 s35, 0
	s_cselect_b64 s[38:39], -1, 0
	s_and_b64 vcc, exec, s[38:39]
	s_cbranch_vccnz .LBB237_17
; %bb.14:
	s_load_dwordx2 s[38:39], s[30:31], 0x1c
	s_load_dword s37, s[30:31], 0x24
	s_load_dwordx2 s[40:41], s[30:31], 0xdc
	s_waitcnt lgkmcnt(0)
	v_mul_hi_u32 v3, s39, v1
	v_add_u32_e32 v3, v1, v3
	v_lshrrev_b32_e32 v3, s37, v3
	v_mul_lo_u32 v3, v3, s38
	s_load_dword s37, s[30:31], 0xe4
	v_sub_u32_e32 v3, v1, v3
	v_mad_u64_u32 v[0:1], s[30:31], v3, s40, v[0:1]
	v_mad_u64_u32 v[4:5], s[30:31], v3, s41, v[4:5]
	s_waitcnt lgkmcnt(0)
	v_mad_u64_u32 v[2:3], s[30:31], v3, s37, v[2:3]
	s_cbranch_execz .LBB237_18
	s_branch .LBB237_20
.LBB237_15:
                                        ; implicit-def: $vgpr0
                                        ; implicit-def: $vgpr4
                                        ; implicit-def: $vgpr2
	s_branch .LBB237_18
.LBB237_16:
	v_mov_b32_e32 v0, 0
	v_mov_b32_e32 v4, 0
	;; [unrolled: 1-line block ×3, first 2 shown]
.LBB237_17:
	s_cbranch_execnz .LBB237_20
.LBB237_18:
	s_waitcnt lgkmcnt(0)
	v_mul_hi_u32 v0, s9, v31
	s_andn2_b64 vcc, exec, s[24:25]
	v_add_u32_e32 v0, v31, v0
	v_lshrrev_b32_e32 v1, s10, v0
	v_mul_lo_u32 v0, v1, s8
	v_sub_u32_e32 v2, v31, v0
	v_mul_lo_u32 v0, v2, s4
	v_mul_lo_u32 v4, v2, s5
	;; [unrolled: 1-line block ×3, first 2 shown]
	s_cbranch_vccnz .LBB237_20
; %bb.19:
	v_mul_hi_u32 v3, s22, v1
	v_add_u32_e32 v3, v1, v3
	v_lshrrev_b32_e32 v3, s23, v3
	v_mul_lo_u32 v3, v3, s11
	v_sub_u32_e32 v3, v1, v3
	v_mad_u64_u32 v[0:1], s[30:31], v3, s7, v[0:1]
	v_mad_u64_u32 v[4:5], s[30:31], v3, s20, v[4:5]
	;; [unrolled: 1-line block ×3, first 2 shown]
.LBB237_20:
	s_waitcnt lgkmcnt(0)
	global_load_ushort v1, v4, s[2:3]
	global_load_ushort v3, v2, s[18:19]
	v_add_u32_e32 v31, 0x80, v31
	s_waitcnt vmcnt(1)
	v_ashrrev_i16_e32 v2, 15, v1
	s_waitcnt vmcnt(0)
	v_ashrrev_i32_sdwa v1, v3, sext(v1) dst_sel:DWORD dst_unused:UNUSED_PAD src0_sel:DWORD src1_sel:WORD_0
	v_cmp_lt_u32_e32 vcc, 14, v3
	v_cndmask_b32_e32 v1, v1, v2, vcc
	global_store_short v0, v1, s[0:1]
	s_or_b64 exec, exec, s[28:29]
	v_cmp_gt_i32_e32 vcc, s36, v31
	s_and_saveexec_b64 s[28:29], vcc
	s_cbranch_execz .LBB237_3
.LBB237_21:
	s_andn2_b64 vcc, exec, s[14:15]
	s_cbranch_vccnz .LBB237_27
; %bb.22:
	s_andn2_b64 vcc, exec, s[26:27]
	s_cbranch_vccnz .LBB237_28
; %bb.23:
	s_add_i32 s30, s35, 1
	s_and_b32 s37, s30, 30
	s_add_u32 s30, s12, 0xffffffe8
	s_addc_u32 s31, s13, -1
	v_mov_b32_e32 v2, 0
	v_mov_b32_e32 v4, 0
	;; [unrolled: 1-line block ×4, first 2 shown]
.LBB237_24:                             ; =>This Inner Loop Header: Depth=1
	s_load_dwordx4 s[40:43], s[30:31], 0x1c
	s_load_dwordx2 s[38:39], s[30:31], 0x2c
	s_load_dwordx2 s[48:49], s[30:31], 0xec
	s_load_dwordx4 s[44:47], s[30:31], 0xdc
	s_add_u32 s30, s30, 24
	s_waitcnt lgkmcnt(0)
	v_mul_hi_u32 v3, s41, v1
	s_addc_u32 s31, s31, 0
	s_add_i32 s37, s37, -2
	s_cmp_eq_u32 s37, 0
	v_add_u32_e32 v3, v1, v3
	v_lshrrev_b32_e32 v3, s42, v3
	v_mul_lo_u32 v5, v3, s40
	v_mul_hi_u32 v6, s38, v3
	v_sub_u32_e32 v5, v1, v5
	v_add_u32_e32 v1, v3, v6
	v_lshrrev_b32_e32 v1, s39, v1
	v_mul_lo_u32 v8, v1, s43
	v_mul_lo_u32 v6, v5, s44
	;; [unrolled: 1-line block ×4, first 2 shown]
	v_sub_u32_e32 v3, v3, v8
	v_mul_lo_u32 v8, v3, s47
	v_mul_lo_u32 v9, v3, s48
	;; [unrolled: 1-line block ×3, first 2 shown]
	v_add3_u32 v0, v6, v0, v8
	v_add3_u32 v4, v7, v4, v9
	;; [unrolled: 1-line block ×3, first 2 shown]
	s_cbranch_scc0 .LBB237_24
; %bb.25:
	s_bitcmp1_b32 s35, 0
	s_cselect_b64 s[38:39], -1, 0
	s_and_b64 vcc, exec, s[38:39]
	s_cbranch_vccnz .LBB237_29
; %bb.26:
	s_load_dwordx2 s[38:39], s[30:31], 0x1c
	s_load_dword s37, s[30:31], 0x24
	s_load_dwordx2 s[40:41], s[30:31], 0xdc
	s_waitcnt lgkmcnt(0)
	v_mul_hi_u32 v3, s39, v1
	v_add_u32_e32 v3, v1, v3
	v_lshrrev_b32_e32 v3, s37, v3
	v_mul_lo_u32 v3, v3, s38
	s_load_dword s37, s[30:31], 0xe4
	v_sub_u32_e32 v3, v1, v3
	v_mad_u64_u32 v[0:1], s[30:31], v3, s40, v[0:1]
	v_mad_u64_u32 v[4:5], s[30:31], v3, s41, v[4:5]
	s_waitcnt lgkmcnt(0)
	v_mad_u64_u32 v[2:3], s[30:31], v3, s37, v[2:3]
	s_branch .LBB237_29
.LBB237_27:
                                        ; implicit-def: $vgpr0
                                        ; implicit-def: $vgpr4
                                        ; implicit-def: $vgpr2
	s_branch .LBB237_30
.LBB237_28:
	v_mov_b32_e32 v0, 0
	v_mov_b32_e32 v4, 0
	;; [unrolled: 1-line block ×3, first 2 shown]
.LBB237_29:
	s_cbranch_execnz .LBB237_32
.LBB237_30:
	s_waitcnt lgkmcnt(0)
	v_mul_hi_u32 v0, s9, v31
	s_andn2_b64 vcc, exec, s[24:25]
	v_add_u32_e32 v0, v31, v0
	v_lshrrev_b32_e32 v1, s10, v0
	v_mul_lo_u32 v0, v1, s8
	v_sub_u32_e32 v2, v31, v0
	v_mul_lo_u32 v0, v2, s4
	v_mul_lo_u32 v4, v2, s5
	;; [unrolled: 1-line block ×3, first 2 shown]
	s_cbranch_vccnz .LBB237_32
; %bb.31:
	v_mul_hi_u32 v3, s22, v1
	v_add_u32_e32 v3, v1, v3
	v_lshrrev_b32_e32 v3, s23, v3
	v_mul_lo_u32 v3, v3, s11
	v_sub_u32_e32 v3, v1, v3
	v_mad_u64_u32 v[0:1], s[30:31], v3, s7, v[0:1]
	v_mad_u64_u32 v[4:5], s[30:31], v3, s20, v[4:5]
	;; [unrolled: 1-line block ×3, first 2 shown]
.LBB237_32:
	s_waitcnt lgkmcnt(0)
	global_load_ushort v1, v4, s[2:3]
	global_load_ushort v3, v2, s[18:19]
	v_add_u32_e32 v31, 0x80, v31
	s_waitcnt vmcnt(1)
	v_ashrrev_i16_e32 v2, 15, v1
	s_waitcnt vmcnt(0)
	v_ashrrev_i32_sdwa v1, v3, sext(v1) dst_sel:DWORD dst_unused:UNUSED_PAD src0_sel:DWORD src1_sel:WORD_0
	v_cmp_lt_u32_e32 vcc, 14, v3
	v_cndmask_b32_e32 v1, v1, v2, vcc
	global_store_short v0, v1, s[0:1]
	s_or_b64 exec, exec, s[28:29]
	v_cmp_gt_i32_e32 vcc, s36, v31
	s_and_saveexec_b64 s[28:29], vcc
	s_cbranch_execz .LBB237_4
.LBB237_33:
	s_andn2_b64 vcc, exec, s[14:15]
	s_cbranch_vccnz .LBB237_39
; %bb.34:
	s_andn2_b64 vcc, exec, s[26:27]
	s_cbranch_vccnz .LBB237_40
; %bb.35:
	s_add_i32 s30, s35, 1
	s_and_b32 s37, s30, 30
	s_add_u32 s30, s12, 0xffffffe8
	s_addc_u32 s31, s13, -1
	v_mov_b32_e32 v2, 0
	v_mov_b32_e32 v4, 0
	v_mov_b32_e32 v0, 0
	v_mov_b32_e32 v1, v31
.LBB237_36:                             ; =>This Inner Loop Header: Depth=1
	s_load_dwordx4 s[40:43], s[30:31], 0x1c
	s_load_dwordx2 s[38:39], s[30:31], 0x2c
	s_load_dwordx2 s[48:49], s[30:31], 0xec
	s_load_dwordx4 s[44:47], s[30:31], 0xdc
	s_add_u32 s30, s30, 24
	s_waitcnt lgkmcnt(0)
	v_mul_hi_u32 v3, s41, v1
	s_addc_u32 s31, s31, 0
	s_add_i32 s37, s37, -2
	s_cmp_eq_u32 s37, 0
	v_add_u32_e32 v3, v1, v3
	v_lshrrev_b32_e32 v3, s42, v3
	v_mul_lo_u32 v5, v3, s40
	v_mul_hi_u32 v6, s38, v3
	v_sub_u32_e32 v5, v1, v5
	v_add_u32_e32 v1, v3, v6
	v_lshrrev_b32_e32 v1, s39, v1
	v_mul_lo_u32 v8, v1, s43
	v_mul_lo_u32 v6, v5, s44
	;; [unrolled: 1-line block ×4, first 2 shown]
	v_sub_u32_e32 v3, v3, v8
	v_mul_lo_u32 v8, v3, s47
	v_mul_lo_u32 v9, v3, s48
	;; [unrolled: 1-line block ×3, first 2 shown]
	v_add3_u32 v0, v6, v0, v8
	v_add3_u32 v4, v7, v4, v9
	;; [unrolled: 1-line block ×3, first 2 shown]
	s_cbranch_scc0 .LBB237_36
; %bb.37:
	s_bitcmp1_b32 s35, 0
	s_cselect_b64 s[38:39], -1, 0
	s_and_b64 vcc, exec, s[38:39]
	s_cbranch_vccnz .LBB237_41
; %bb.38:
	s_load_dwordx2 s[38:39], s[30:31], 0x1c
	s_load_dword s37, s[30:31], 0x24
	s_load_dwordx2 s[40:41], s[30:31], 0xdc
	s_waitcnt lgkmcnt(0)
	v_mul_hi_u32 v3, s39, v1
	v_add_u32_e32 v3, v1, v3
	v_lshrrev_b32_e32 v3, s37, v3
	v_mul_lo_u32 v3, v3, s38
	s_load_dword s37, s[30:31], 0xe4
	v_sub_u32_e32 v3, v1, v3
	v_mad_u64_u32 v[0:1], s[30:31], v3, s40, v[0:1]
	v_mad_u64_u32 v[4:5], s[30:31], v3, s41, v[4:5]
	s_waitcnt lgkmcnt(0)
	v_mad_u64_u32 v[2:3], s[30:31], v3, s37, v[2:3]
	s_branch .LBB237_41
.LBB237_39:
                                        ; implicit-def: $vgpr0
                                        ; implicit-def: $vgpr4
                                        ; implicit-def: $vgpr2
	s_branch .LBB237_42
.LBB237_40:
	v_mov_b32_e32 v0, 0
	v_mov_b32_e32 v4, 0
	;; [unrolled: 1-line block ×3, first 2 shown]
.LBB237_41:
	s_cbranch_execnz .LBB237_44
.LBB237_42:
	s_waitcnt lgkmcnt(0)
	v_mul_hi_u32 v0, s9, v31
	s_andn2_b64 vcc, exec, s[24:25]
	v_add_u32_e32 v0, v31, v0
	v_lshrrev_b32_e32 v1, s10, v0
	v_mul_lo_u32 v0, v1, s8
	v_sub_u32_e32 v2, v31, v0
	v_mul_lo_u32 v0, v2, s4
	v_mul_lo_u32 v4, v2, s5
	;; [unrolled: 1-line block ×3, first 2 shown]
	s_cbranch_vccnz .LBB237_44
; %bb.43:
	v_mul_hi_u32 v3, s22, v1
	v_add_u32_e32 v3, v1, v3
	v_lshrrev_b32_e32 v3, s23, v3
	v_mul_lo_u32 v3, v3, s11
	v_sub_u32_e32 v3, v1, v3
	v_mad_u64_u32 v[0:1], s[30:31], v3, s7, v[0:1]
	v_mad_u64_u32 v[4:5], s[30:31], v3, s20, v[4:5]
	;; [unrolled: 1-line block ×3, first 2 shown]
.LBB237_44:
	s_waitcnt lgkmcnt(0)
	global_load_ushort v1, v4, s[2:3]
	global_load_ushort v3, v2, s[18:19]
	v_add_u32_e32 v31, 0x80, v31
	s_waitcnt vmcnt(1)
	v_ashrrev_i16_e32 v2, 15, v1
	s_waitcnt vmcnt(0)
	v_ashrrev_i32_sdwa v1, v3, sext(v1) dst_sel:DWORD dst_unused:UNUSED_PAD src0_sel:DWORD src1_sel:WORD_0
	v_cmp_lt_u32_e32 vcc, 14, v3
	v_cndmask_b32_e32 v1, v1, v2, vcc
	global_store_short v0, v1, s[0:1]
	s_or_b64 exec, exec, s[28:29]
	v_cmp_gt_i32_e32 vcc, s36, v31
	s_and_saveexec_b64 s[28:29], vcc
	s_cbranch_execz .LBB237_5
.LBB237_45:
	s_andn2_b64 vcc, exec, s[14:15]
	s_cbranch_vccnz .LBB237_51
; %bb.46:
	s_andn2_b64 vcc, exec, s[26:27]
	s_cbranch_vccnz .LBB237_52
; %bb.47:
	s_add_i32 s30, s35, 1
	s_and_b32 s37, s30, 30
	s_add_u32 s30, s12, 0xffffffe8
	s_addc_u32 s31, s13, -1
	v_mov_b32_e32 v2, 0
	v_mov_b32_e32 v4, 0
	;; [unrolled: 1-line block ×4, first 2 shown]
.LBB237_48:                             ; =>This Inner Loop Header: Depth=1
	s_load_dwordx4 s[40:43], s[30:31], 0x1c
	s_load_dwordx2 s[38:39], s[30:31], 0x2c
	s_load_dwordx2 s[48:49], s[30:31], 0xec
	s_load_dwordx4 s[44:47], s[30:31], 0xdc
	s_add_u32 s30, s30, 24
	s_waitcnt lgkmcnt(0)
	v_mul_hi_u32 v3, s41, v1
	s_addc_u32 s31, s31, 0
	s_add_i32 s37, s37, -2
	s_cmp_eq_u32 s37, 0
	v_add_u32_e32 v3, v1, v3
	v_lshrrev_b32_e32 v3, s42, v3
	v_mul_lo_u32 v5, v3, s40
	v_mul_hi_u32 v6, s38, v3
	v_sub_u32_e32 v5, v1, v5
	v_add_u32_e32 v1, v3, v6
	v_lshrrev_b32_e32 v1, s39, v1
	v_mul_lo_u32 v8, v1, s43
	v_mul_lo_u32 v6, v5, s44
	;; [unrolled: 1-line block ×4, first 2 shown]
	v_sub_u32_e32 v3, v3, v8
	v_mul_lo_u32 v8, v3, s47
	v_mul_lo_u32 v9, v3, s48
	;; [unrolled: 1-line block ×3, first 2 shown]
	v_add3_u32 v0, v6, v0, v8
	v_add3_u32 v4, v7, v4, v9
	;; [unrolled: 1-line block ×3, first 2 shown]
	s_cbranch_scc0 .LBB237_48
; %bb.49:
	s_bitcmp1_b32 s35, 0
	s_cselect_b64 s[38:39], -1, 0
	s_and_b64 vcc, exec, s[38:39]
	s_cbranch_vccnz .LBB237_53
; %bb.50:
	s_load_dwordx2 s[38:39], s[30:31], 0x1c
	s_load_dword s37, s[30:31], 0x24
	s_load_dwordx2 s[40:41], s[30:31], 0xdc
	s_waitcnt lgkmcnt(0)
	v_mul_hi_u32 v3, s39, v1
	v_add_u32_e32 v3, v1, v3
	v_lshrrev_b32_e32 v3, s37, v3
	v_mul_lo_u32 v3, v3, s38
	s_load_dword s37, s[30:31], 0xe4
	v_sub_u32_e32 v3, v1, v3
	v_mad_u64_u32 v[0:1], s[30:31], v3, s40, v[0:1]
	v_mad_u64_u32 v[4:5], s[30:31], v3, s41, v[4:5]
	s_waitcnt lgkmcnt(0)
	v_mad_u64_u32 v[2:3], s[30:31], v3, s37, v[2:3]
	s_branch .LBB237_53
.LBB237_51:
                                        ; implicit-def: $vgpr0
                                        ; implicit-def: $vgpr4
                                        ; implicit-def: $vgpr2
	s_branch .LBB237_54
.LBB237_52:
	v_mov_b32_e32 v0, 0
	v_mov_b32_e32 v4, 0
	;; [unrolled: 1-line block ×3, first 2 shown]
.LBB237_53:
	s_cbranch_execnz .LBB237_56
.LBB237_54:
	s_waitcnt lgkmcnt(0)
	v_mul_hi_u32 v0, s9, v31
	s_andn2_b64 vcc, exec, s[24:25]
	v_add_u32_e32 v0, v31, v0
	v_lshrrev_b32_e32 v1, s10, v0
	v_mul_lo_u32 v0, v1, s8
	v_sub_u32_e32 v2, v31, v0
	v_mul_lo_u32 v0, v2, s4
	v_mul_lo_u32 v4, v2, s5
	;; [unrolled: 1-line block ×3, first 2 shown]
	s_cbranch_vccnz .LBB237_56
; %bb.55:
	v_mul_hi_u32 v3, s22, v1
	v_add_u32_e32 v3, v1, v3
	v_lshrrev_b32_e32 v3, s23, v3
	v_mul_lo_u32 v3, v3, s11
	v_sub_u32_e32 v3, v1, v3
	v_mad_u64_u32 v[0:1], s[30:31], v3, s7, v[0:1]
	v_mad_u64_u32 v[4:5], s[30:31], v3, s20, v[4:5]
	;; [unrolled: 1-line block ×3, first 2 shown]
.LBB237_56:
	s_waitcnt lgkmcnt(0)
	global_load_ushort v1, v4, s[2:3]
	global_load_ushort v3, v2, s[18:19]
	v_add_u32_e32 v31, 0x80, v31
	s_waitcnt vmcnt(1)
	v_ashrrev_i16_e32 v2, 15, v1
	s_waitcnt vmcnt(0)
	v_ashrrev_i32_sdwa v1, v3, sext(v1) dst_sel:DWORD dst_unused:UNUSED_PAD src0_sel:DWORD src1_sel:WORD_0
	v_cmp_lt_u32_e32 vcc, 14, v3
	v_cndmask_b32_e32 v1, v1, v2, vcc
	global_store_short v0, v1, s[0:1]
	s_or_b64 exec, exec, s[28:29]
	v_cmp_gt_i32_e32 vcc, s36, v31
	s_and_saveexec_b64 s[28:29], vcc
	s_cbranch_execz .LBB237_6
.LBB237_57:
	s_andn2_b64 vcc, exec, s[14:15]
	s_cbranch_vccnz .LBB237_63
; %bb.58:
	s_andn2_b64 vcc, exec, s[26:27]
	s_cbranch_vccnz .LBB237_64
; %bb.59:
	s_add_i32 s30, s35, 1
	s_and_b32 s37, s30, 30
	s_add_u32 s30, s12, 0xffffffe8
	s_addc_u32 s31, s13, -1
	v_mov_b32_e32 v2, 0
	v_mov_b32_e32 v4, 0
	;; [unrolled: 1-line block ×4, first 2 shown]
.LBB237_60:                             ; =>This Inner Loop Header: Depth=1
	s_load_dwordx4 s[40:43], s[30:31], 0x1c
	s_load_dwordx2 s[38:39], s[30:31], 0x2c
	s_load_dwordx2 s[48:49], s[30:31], 0xec
	s_load_dwordx4 s[44:47], s[30:31], 0xdc
	s_add_u32 s30, s30, 24
	s_waitcnt lgkmcnt(0)
	v_mul_hi_u32 v3, s41, v1
	s_addc_u32 s31, s31, 0
	s_add_i32 s37, s37, -2
	s_cmp_eq_u32 s37, 0
	v_add_u32_e32 v3, v1, v3
	v_lshrrev_b32_e32 v3, s42, v3
	v_mul_lo_u32 v5, v3, s40
	v_mul_hi_u32 v6, s38, v3
	v_sub_u32_e32 v5, v1, v5
	v_add_u32_e32 v1, v3, v6
	v_lshrrev_b32_e32 v1, s39, v1
	v_mul_lo_u32 v8, v1, s43
	v_mul_lo_u32 v6, v5, s44
	;; [unrolled: 1-line block ×4, first 2 shown]
	v_sub_u32_e32 v3, v3, v8
	v_mul_lo_u32 v8, v3, s47
	v_mul_lo_u32 v9, v3, s48
	;; [unrolled: 1-line block ×3, first 2 shown]
	v_add3_u32 v0, v6, v0, v8
	v_add3_u32 v4, v7, v4, v9
	;; [unrolled: 1-line block ×3, first 2 shown]
	s_cbranch_scc0 .LBB237_60
; %bb.61:
	s_bitcmp1_b32 s35, 0
	s_cselect_b64 s[38:39], -1, 0
	s_and_b64 vcc, exec, s[38:39]
	s_cbranch_vccnz .LBB237_65
; %bb.62:
	s_load_dwordx2 s[38:39], s[30:31], 0x1c
	s_load_dword s37, s[30:31], 0x24
	s_load_dwordx2 s[40:41], s[30:31], 0xdc
	s_waitcnt lgkmcnt(0)
	v_mul_hi_u32 v3, s39, v1
	v_add_u32_e32 v3, v1, v3
	v_lshrrev_b32_e32 v3, s37, v3
	v_mul_lo_u32 v3, v3, s38
	s_load_dword s37, s[30:31], 0xe4
	v_sub_u32_e32 v3, v1, v3
	v_mad_u64_u32 v[0:1], s[30:31], v3, s40, v[0:1]
	v_mad_u64_u32 v[4:5], s[30:31], v3, s41, v[4:5]
	s_waitcnt lgkmcnt(0)
	v_mad_u64_u32 v[2:3], s[30:31], v3, s37, v[2:3]
	s_branch .LBB237_65
.LBB237_63:
                                        ; implicit-def: $vgpr0
                                        ; implicit-def: $vgpr4
                                        ; implicit-def: $vgpr2
	s_branch .LBB237_66
.LBB237_64:
	v_mov_b32_e32 v0, 0
	v_mov_b32_e32 v4, 0
	;; [unrolled: 1-line block ×3, first 2 shown]
.LBB237_65:
	s_cbranch_execnz .LBB237_68
.LBB237_66:
	s_waitcnt lgkmcnt(0)
	v_mul_hi_u32 v0, s9, v31
	s_andn2_b64 vcc, exec, s[24:25]
	v_add_u32_e32 v0, v31, v0
	v_lshrrev_b32_e32 v1, s10, v0
	v_mul_lo_u32 v0, v1, s8
	v_sub_u32_e32 v2, v31, v0
	v_mul_lo_u32 v0, v2, s4
	v_mul_lo_u32 v4, v2, s5
	;; [unrolled: 1-line block ×3, first 2 shown]
	s_cbranch_vccnz .LBB237_68
; %bb.67:
	v_mul_hi_u32 v3, s22, v1
	v_add_u32_e32 v3, v1, v3
	v_lshrrev_b32_e32 v3, s23, v3
	v_mul_lo_u32 v3, v3, s11
	v_sub_u32_e32 v3, v1, v3
	v_mad_u64_u32 v[0:1], s[30:31], v3, s7, v[0:1]
	v_mad_u64_u32 v[4:5], s[30:31], v3, s20, v[4:5]
	v_mad_u64_u32 v[2:3], s[30:31], v3, s21, v[2:3]
.LBB237_68:
	s_waitcnt lgkmcnt(0)
	global_load_ushort v1, v4, s[2:3]
	global_load_ushort v3, v2, s[18:19]
	v_add_u32_e32 v31, 0x80, v31
	s_waitcnt vmcnt(1)
	v_ashrrev_i16_e32 v2, 15, v1
	s_waitcnt vmcnt(0)
	v_ashrrev_i32_sdwa v1, v3, sext(v1) dst_sel:DWORD dst_unused:UNUSED_PAD src0_sel:DWORD src1_sel:WORD_0
	v_cmp_lt_u32_e32 vcc, 14, v3
	v_cndmask_b32_e32 v1, v1, v2, vcc
	global_store_short v0, v1, s[0:1]
	s_or_b64 exec, exec, s[28:29]
	v_cmp_gt_i32_e32 vcc, s36, v31
	s_and_saveexec_b64 s[28:29], vcc
	s_cbranch_execz .LBB237_7
.LBB237_69:
	s_andn2_b64 vcc, exec, s[14:15]
	s_cbranch_vccnz .LBB237_75
; %bb.70:
	s_andn2_b64 vcc, exec, s[26:27]
	s_cbranch_vccnz .LBB237_76
; %bb.71:
	s_add_i32 s30, s35, 1
	s_and_b32 s37, s30, 30
	s_add_u32 s30, s12, 0xffffffe8
	s_addc_u32 s31, s13, -1
	v_mov_b32_e32 v2, 0
	v_mov_b32_e32 v4, 0
	;; [unrolled: 1-line block ×4, first 2 shown]
.LBB237_72:                             ; =>This Inner Loop Header: Depth=1
	s_load_dwordx4 s[40:43], s[30:31], 0x1c
	s_load_dwordx2 s[38:39], s[30:31], 0x2c
	s_load_dwordx2 s[48:49], s[30:31], 0xec
	s_load_dwordx4 s[44:47], s[30:31], 0xdc
	s_add_u32 s30, s30, 24
	s_waitcnt lgkmcnt(0)
	v_mul_hi_u32 v3, s41, v1
	s_addc_u32 s31, s31, 0
	s_add_i32 s37, s37, -2
	s_cmp_eq_u32 s37, 0
	v_add_u32_e32 v3, v1, v3
	v_lshrrev_b32_e32 v3, s42, v3
	v_mul_lo_u32 v5, v3, s40
	v_mul_hi_u32 v6, s38, v3
	v_sub_u32_e32 v5, v1, v5
	v_add_u32_e32 v1, v3, v6
	v_lshrrev_b32_e32 v1, s39, v1
	v_mul_lo_u32 v8, v1, s43
	v_mul_lo_u32 v6, v5, s44
	;; [unrolled: 1-line block ×4, first 2 shown]
	v_sub_u32_e32 v3, v3, v8
	v_mul_lo_u32 v8, v3, s47
	v_mul_lo_u32 v9, v3, s48
	;; [unrolled: 1-line block ×3, first 2 shown]
	v_add3_u32 v0, v6, v0, v8
	v_add3_u32 v4, v7, v4, v9
	;; [unrolled: 1-line block ×3, first 2 shown]
	s_cbranch_scc0 .LBB237_72
; %bb.73:
	s_bitcmp1_b32 s35, 0
	s_cselect_b64 s[38:39], -1, 0
	s_and_b64 vcc, exec, s[38:39]
	s_cbranch_vccnz .LBB237_77
; %bb.74:
	s_load_dwordx2 s[38:39], s[30:31], 0x1c
	s_load_dword s37, s[30:31], 0x24
	s_load_dwordx2 s[40:41], s[30:31], 0xdc
	s_waitcnt lgkmcnt(0)
	v_mul_hi_u32 v3, s39, v1
	v_add_u32_e32 v3, v1, v3
	v_lshrrev_b32_e32 v3, s37, v3
	v_mul_lo_u32 v3, v3, s38
	s_load_dword s37, s[30:31], 0xe4
	v_sub_u32_e32 v3, v1, v3
	v_mad_u64_u32 v[0:1], s[30:31], v3, s40, v[0:1]
	v_mad_u64_u32 v[4:5], s[30:31], v3, s41, v[4:5]
	s_waitcnt lgkmcnt(0)
	v_mad_u64_u32 v[2:3], s[30:31], v3, s37, v[2:3]
	s_branch .LBB237_77
.LBB237_75:
                                        ; implicit-def: $vgpr0
                                        ; implicit-def: $vgpr4
                                        ; implicit-def: $vgpr2
	s_branch .LBB237_78
.LBB237_76:
	v_mov_b32_e32 v0, 0
	v_mov_b32_e32 v4, 0
	;; [unrolled: 1-line block ×3, first 2 shown]
.LBB237_77:
	s_cbranch_execnz .LBB237_80
.LBB237_78:
	s_waitcnt lgkmcnt(0)
	v_mul_hi_u32 v0, s9, v31
	s_andn2_b64 vcc, exec, s[24:25]
	v_add_u32_e32 v0, v31, v0
	v_lshrrev_b32_e32 v1, s10, v0
	v_mul_lo_u32 v0, v1, s8
	v_sub_u32_e32 v2, v31, v0
	v_mul_lo_u32 v0, v2, s4
	v_mul_lo_u32 v4, v2, s5
	;; [unrolled: 1-line block ×3, first 2 shown]
	s_cbranch_vccnz .LBB237_80
; %bb.79:
	v_mul_hi_u32 v3, s22, v1
	v_add_u32_e32 v3, v1, v3
	v_lshrrev_b32_e32 v3, s23, v3
	v_mul_lo_u32 v3, v3, s11
	v_sub_u32_e32 v3, v1, v3
	v_mad_u64_u32 v[0:1], s[30:31], v3, s7, v[0:1]
	v_mad_u64_u32 v[4:5], s[30:31], v3, s20, v[4:5]
	;; [unrolled: 1-line block ×3, first 2 shown]
.LBB237_80:
	s_waitcnt lgkmcnt(0)
	global_load_ushort v1, v4, s[2:3]
	global_load_ushort v3, v2, s[18:19]
	v_add_u32_e32 v31, 0x80, v31
	s_waitcnt vmcnt(1)
	v_ashrrev_i16_e32 v2, 15, v1
	s_waitcnt vmcnt(0)
	v_ashrrev_i32_sdwa v1, v3, sext(v1) dst_sel:DWORD dst_unused:UNUSED_PAD src0_sel:DWORD src1_sel:WORD_0
	v_cmp_lt_u32_e32 vcc, 14, v3
	v_cndmask_b32_e32 v1, v1, v2, vcc
	global_store_short v0, v1, s[0:1]
	s_or_b64 exec, exec, s[28:29]
	v_cmp_gt_i32_e32 vcc, s36, v31
	s_and_saveexec_b64 s[28:29], vcc
	s_cbranch_execz .LBB237_8
.LBB237_81:
	s_andn2_b64 vcc, exec, s[14:15]
	s_cbranch_vccnz .LBB237_87
; %bb.82:
	s_andn2_b64 vcc, exec, s[26:27]
	s_cbranch_vccnz .LBB237_88
; %bb.83:
	s_add_i32 s30, s35, 1
	s_and_b32 s37, s30, 30
	s_add_u32 s30, s12, 0xffffffe8
	s_addc_u32 s31, s13, -1
	v_mov_b32_e32 v2, 0
	v_mov_b32_e32 v4, 0
	;; [unrolled: 1-line block ×4, first 2 shown]
.LBB237_84:                             ; =>This Inner Loop Header: Depth=1
	s_load_dwordx4 s[40:43], s[30:31], 0x1c
	s_load_dwordx2 s[38:39], s[30:31], 0x2c
	s_load_dwordx2 s[48:49], s[30:31], 0xec
	s_load_dwordx4 s[44:47], s[30:31], 0xdc
	s_add_u32 s30, s30, 24
	s_waitcnt lgkmcnt(0)
	v_mul_hi_u32 v3, s41, v1
	s_addc_u32 s31, s31, 0
	s_add_i32 s37, s37, -2
	s_cmp_eq_u32 s37, 0
	v_add_u32_e32 v3, v1, v3
	v_lshrrev_b32_e32 v3, s42, v3
	v_mul_lo_u32 v5, v3, s40
	v_mul_hi_u32 v6, s38, v3
	v_sub_u32_e32 v5, v1, v5
	v_add_u32_e32 v1, v3, v6
	v_lshrrev_b32_e32 v1, s39, v1
	v_mul_lo_u32 v8, v1, s43
	v_mul_lo_u32 v6, v5, s44
	;; [unrolled: 1-line block ×4, first 2 shown]
	v_sub_u32_e32 v3, v3, v8
	v_mul_lo_u32 v8, v3, s47
	v_mul_lo_u32 v9, v3, s48
	;; [unrolled: 1-line block ×3, first 2 shown]
	v_add3_u32 v0, v6, v0, v8
	v_add3_u32 v4, v7, v4, v9
	;; [unrolled: 1-line block ×3, first 2 shown]
	s_cbranch_scc0 .LBB237_84
; %bb.85:
	s_bitcmp1_b32 s35, 0
	s_cselect_b64 s[38:39], -1, 0
	s_and_b64 vcc, exec, s[38:39]
	s_cbranch_vccnz .LBB237_89
; %bb.86:
	s_load_dwordx2 s[38:39], s[30:31], 0x1c
	s_load_dword s37, s[30:31], 0x24
	s_load_dwordx2 s[40:41], s[30:31], 0xdc
	s_waitcnt lgkmcnt(0)
	v_mul_hi_u32 v3, s39, v1
	v_add_u32_e32 v3, v1, v3
	v_lshrrev_b32_e32 v3, s37, v3
	v_mul_lo_u32 v3, v3, s38
	s_load_dword s37, s[30:31], 0xe4
	v_sub_u32_e32 v3, v1, v3
	v_mad_u64_u32 v[0:1], s[30:31], v3, s40, v[0:1]
	v_mad_u64_u32 v[4:5], s[30:31], v3, s41, v[4:5]
	s_waitcnt lgkmcnt(0)
	v_mad_u64_u32 v[2:3], s[30:31], v3, s37, v[2:3]
	s_branch .LBB237_89
.LBB237_87:
                                        ; implicit-def: $vgpr0
                                        ; implicit-def: $vgpr4
                                        ; implicit-def: $vgpr2
	s_branch .LBB237_90
.LBB237_88:
	v_mov_b32_e32 v0, 0
	v_mov_b32_e32 v4, 0
	;; [unrolled: 1-line block ×3, first 2 shown]
.LBB237_89:
	s_cbranch_execnz .LBB237_92
.LBB237_90:
	s_waitcnt lgkmcnt(0)
	v_mul_hi_u32 v0, s9, v31
	s_andn2_b64 vcc, exec, s[24:25]
	v_add_u32_e32 v0, v31, v0
	v_lshrrev_b32_e32 v1, s10, v0
	v_mul_lo_u32 v0, v1, s8
	v_sub_u32_e32 v2, v31, v0
	v_mul_lo_u32 v0, v2, s4
	v_mul_lo_u32 v4, v2, s5
	;; [unrolled: 1-line block ×3, first 2 shown]
	s_cbranch_vccnz .LBB237_92
; %bb.91:
	v_mul_hi_u32 v3, s22, v1
	v_add_u32_e32 v3, v1, v3
	v_lshrrev_b32_e32 v3, s23, v3
	v_mul_lo_u32 v3, v3, s11
	v_sub_u32_e32 v3, v1, v3
	v_mad_u64_u32 v[0:1], s[30:31], v3, s7, v[0:1]
	v_mad_u64_u32 v[4:5], s[30:31], v3, s20, v[4:5]
	v_mad_u64_u32 v[2:3], s[30:31], v3, s21, v[2:3]
.LBB237_92:
	s_waitcnt lgkmcnt(0)
	global_load_ushort v1, v4, s[2:3]
	global_load_ushort v3, v2, s[18:19]
	v_add_u32_e32 v31, 0x80, v31
	s_waitcnt vmcnt(1)
	v_ashrrev_i16_e32 v2, 15, v1
	s_waitcnt vmcnt(0)
	v_ashrrev_i32_sdwa v1, v3, sext(v1) dst_sel:DWORD dst_unused:UNUSED_PAD src0_sel:DWORD src1_sel:WORD_0
	v_cmp_lt_u32_e32 vcc, 14, v3
	v_cndmask_b32_e32 v1, v1, v2, vcc
	global_store_short v0, v1, s[0:1]
	s_or_b64 exec, exec, s[28:29]
	v_cmp_gt_i32_e32 vcc, s36, v31
	s_and_saveexec_b64 s[28:29], vcc
	s_cbranch_execz .LBB237_105
.LBB237_93:
	s_andn2_b64 vcc, exec, s[14:15]
	s_cbranch_vccnz .LBB237_99
; %bb.94:
	s_andn2_b64 vcc, exec, s[26:27]
	s_cbranch_vccnz .LBB237_100
; %bb.95:
	s_add_i32 s26, s35, 1
	s_and_b32 s30, s26, 30
	s_add_u32 s26, s12, 0xffffffe8
	s_addc_u32 s27, s13, -1
	v_mov_b32_e32 v2, 0
	v_mov_b32_e32 v4, 0
	;; [unrolled: 1-line block ×4, first 2 shown]
.LBB237_96:                             ; =>This Inner Loop Header: Depth=1
	s_load_dwordx4 s[36:39], s[26:27], 0x1c
	s_load_dwordx2 s[44:45], s[26:27], 0x2c
	s_load_dwordx2 s[46:47], s[26:27], 0xec
	s_load_dwordx4 s[40:43], s[26:27], 0xdc
	s_add_u32 s26, s26, 24
	s_waitcnt lgkmcnt(0)
	v_mul_hi_u32 v3, s37, v1
	s_addc_u32 s27, s27, 0
	s_add_i32 s30, s30, -2
	s_cmp_eq_u32 s30, 0
	v_add_u32_e32 v3, v1, v3
	v_lshrrev_b32_e32 v3, s38, v3
	v_mul_lo_u32 v5, v3, s36
	v_mul_hi_u32 v6, s44, v3
	v_sub_u32_e32 v5, v1, v5
	v_add_u32_e32 v1, v3, v6
	v_lshrrev_b32_e32 v1, s45, v1
	v_mul_lo_u32 v8, v1, s39
	v_mul_lo_u32 v6, v5, s40
	v_mul_lo_u32 v7, v5, s41
	v_mul_lo_u32 v5, v5, s42
	v_sub_u32_e32 v3, v3, v8
	v_mul_lo_u32 v8, v3, s43
	v_mul_lo_u32 v9, v3, s46
	v_mul_lo_u32 v3, v3, s47
	v_add3_u32 v0, v6, v0, v8
	v_add3_u32 v4, v7, v4, v9
	;; [unrolled: 1-line block ×3, first 2 shown]
	s_cbranch_scc0 .LBB237_96
; %bb.97:
	s_bitcmp1_b32 s35, 0
	s_cselect_b64 s[30:31], -1, 0
	s_and_b64 vcc, exec, s[30:31]
	s_cbranch_vccnz .LBB237_101
; %bb.98:
	s_load_dwordx2 s[30:31], s[26:27], 0x1c
	s_load_dword s35, s[26:27], 0x24
	s_load_dwordx2 s[36:37], s[26:27], 0xdc
	s_waitcnt lgkmcnt(0)
	v_mul_hi_u32 v3, s31, v1
	v_add_u32_e32 v3, v1, v3
	v_lshrrev_b32_e32 v3, s35, v3
	v_mul_lo_u32 v3, v3, s30
	s_load_dword s30, s[26:27], 0xe4
	v_sub_u32_e32 v3, v1, v3
	v_mad_u64_u32 v[0:1], s[26:27], v3, s36, v[0:1]
	v_mad_u64_u32 v[4:5], s[26:27], v3, s37, v[4:5]
	s_waitcnt lgkmcnt(0)
	v_mad_u64_u32 v[2:3], s[26:27], v3, s30, v[2:3]
	s_branch .LBB237_101
.LBB237_99:
                                        ; implicit-def: $vgpr0
                                        ; implicit-def: $vgpr4
                                        ; implicit-def: $vgpr2
	s_branch .LBB237_102
.LBB237_100:
	v_mov_b32_e32 v0, 0
	v_mov_b32_e32 v4, 0
	v_mov_b32_e32 v2, 0
.LBB237_101:
	s_cbranch_execnz .LBB237_104
.LBB237_102:
	s_waitcnt lgkmcnt(0)
	v_mul_hi_u32 v0, s9, v31
	s_andn2_b64 vcc, exec, s[24:25]
	v_add_u32_e32 v0, v31, v0
	v_lshrrev_b32_e32 v1, s10, v0
	v_mul_lo_u32 v0, v1, s8
	v_sub_u32_e32 v2, v31, v0
	v_mul_lo_u32 v0, v2, s4
	v_mul_lo_u32 v4, v2, s5
	;; [unrolled: 1-line block ×3, first 2 shown]
	s_cbranch_vccnz .LBB237_104
; %bb.103:
	v_mul_hi_u32 v3, s22, v1
	v_add_u32_e32 v3, v1, v3
	v_lshrrev_b32_e32 v3, s23, v3
	v_mul_lo_u32 v3, v3, s11
	v_sub_u32_e32 v3, v1, v3
	v_mad_u64_u32 v[0:1], s[4:5], v3, s7, v[0:1]
	v_mad_u64_u32 v[4:5], s[4:5], v3, s20, v[4:5]
	;; [unrolled: 1-line block ×3, first 2 shown]
.LBB237_104:
	s_waitcnt lgkmcnt(0)
	global_load_ushort v1, v4, s[2:3]
	global_load_ushort v3, v2, s[18:19]
	s_waitcnt vmcnt(1)
	v_ashrrev_i16_e32 v2, 15, v1
	s_waitcnt vmcnt(0)
	v_ashrrev_i32_sdwa v1, v3, sext(v1) dst_sel:DWORD dst_unused:UNUSED_PAD src0_sel:DWORD src1_sel:WORD_0
	v_cmp_lt_u32_e32 vcc, 14, v3
	v_cndmask_b32_e32 v1, v1, v2, vcc
	global_store_short v0, v1, s[0:1]
.LBB237_105:
	s_or_b64 exec, exec, s[28:29]
                                        ; implicit-def: $vgpr41
                                        ; implicit-def: $vgpr31
.LBB237_106:
	s_waitcnt lgkmcnt(0)
	s_andn2_saveexec_b64 s[0:1], s[16:17]
	s_cbranch_execz .LBB237_113
; %bb.107:
	v_cndmask_b32_e64 v0, 0, 1, s[14:15]
	v_cmp_ne_u32_e64 s[0:1], 1, v0
	s_andn2_b64 vcc, exec, s[14:15]
	s_cbranch_vccnz .LBB237_114
; %bb.108:
	s_cmp_lg_u32 s33, 0
	s_cbranch_scc0 .LBB237_115
; %bb.109:
	s_min_u32 s4, s34, 15
	s_add_i32 s2, s4, 1
	s_and_b32 s5, s2, 30
	s_add_u32 s2, s12, 0xffffffe8
	s_addc_u32 s3, s13, -1
	v_mov_b32_e32 v2, 0
	v_mov_b32_e32 v4, 0
	;; [unrolled: 1-line block ×4, first 2 shown]
.LBB237_110:                            ; =>This Inner Loop Header: Depth=1
	s_load_dwordx4 s[8:11], s[2:3], 0x1c
	s_load_dwordx2 s[6:7], s[2:3], 0x2c
	s_load_dwordx2 s[14:15], s[2:3], 0xec
	s_load_dwordx4 s[16:19], s[2:3], 0xdc
	s_add_u32 s2, s2, 24
	s_waitcnt lgkmcnt(0)
	v_mul_hi_u32 v3, s9, v1
	s_addc_u32 s3, s3, 0
	s_add_i32 s5, s5, -2
	s_cmp_lg_u32 s5, 0
	v_add_u32_e32 v3, v1, v3
	v_lshrrev_b32_e32 v3, s10, v3
	v_mul_lo_u32 v5, v3, s8
	v_mul_hi_u32 v6, s6, v3
	v_sub_u32_e32 v5, v1, v5
	v_add_u32_e32 v1, v3, v6
	v_lshrrev_b32_e32 v1, s7, v1
	v_mul_lo_u32 v8, v1, s11
	v_mul_lo_u32 v6, v5, s16
	;; [unrolled: 1-line block ×4, first 2 shown]
	v_sub_u32_e32 v3, v3, v8
	v_mul_lo_u32 v8, v3, s19
	v_mul_lo_u32 v9, v3, s14
	;; [unrolled: 1-line block ×3, first 2 shown]
	v_add3_u32 v0, v6, v0, v8
	v_add3_u32 v4, v7, v4, v9
	;; [unrolled: 1-line block ×3, first 2 shown]
	s_cbranch_scc1 .LBB237_110
; %bb.111:
	s_bitcmp1_b32 s4, 0
	s_cselect_b64 s[4:5], -1, 0
	s_and_b64 vcc, exec, s[4:5]
	s_cbranch_vccnz .LBB237_116
; %bb.112:
	s_load_dwordx2 s[4:5], s[2:3], 0x1c
	s_load_dword s8, s[2:3], 0x24
	s_load_dwordx2 s[6:7], s[2:3], 0xdc
	s_waitcnt lgkmcnt(0)
	v_mul_hi_u32 v3, s5, v1
	v_add_u32_e32 v3, v1, v3
	v_lshrrev_b32_e32 v3, s8, v3
	v_mul_lo_u32 v3, v3, s4
	s_load_dword s4, s[2:3], 0xe4
	v_sub_u32_e32 v3, v1, v3
	v_mad_u64_u32 v[0:1], s[2:3], v3, s6, v[0:1]
	v_mad_u64_u32 v[4:5], s[2:3], v3, s7, v[4:5]
	s_waitcnt lgkmcnt(0)
	v_mad_u64_u32 v[2:3], s[2:3], v3, s4, v[2:3]
	s_cbranch_execz .LBB237_117
	s_branch .LBB237_119
.LBB237_113:
	s_endpgm
.LBB237_114:
                                        ; implicit-def: $vgpr0
                                        ; implicit-def: $vgpr4
                                        ; implicit-def: $vgpr2
	s_branch .LBB237_117
.LBB237_115:
	v_mov_b32_e32 v0, 0
	v_mov_b32_e32 v4, 0
	;; [unrolled: 1-line block ×3, first 2 shown]
.LBB237_116:
	s_cbranch_execnz .LBB237_119
.LBB237_117:
	s_load_dwordx4 s[4:7], s[12:13], 0x4
	s_load_dwordx4 s[8:11], s[12:13], 0xc4
	s_cmp_lt_u32 s33, 2
	s_waitcnt lgkmcnt(0)
	v_mul_hi_u32 v0, s5, v31
	v_add_u32_e32 v0, v31, v0
	v_lshrrev_b32_e32 v1, s6, v0
	v_mul_lo_u32 v0, v1, s4
	v_sub_u32_e32 v2, v31, v0
	v_mul_lo_u32 v0, v2, s8
	v_mul_lo_u32 v4, v2, s9
	;; [unrolled: 1-line block ×3, first 2 shown]
	s_cbranch_scc1 .LBB237_119
; %bb.118:
	s_load_dwordx4 s[4:7], s[12:13], 0x10
	s_load_dwordx4 s[8:11], s[12:13], 0xd0
	s_waitcnt lgkmcnt(0)
	v_mul_hi_u32 v3, s5, v1
	v_add_u32_e32 v3, v1, v3
	v_lshrrev_b32_e32 v3, s6, v3
	v_mul_lo_u32 v3, v3, s4
	v_sub_u32_e32 v3, v1, v3
	v_mad_u64_u32 v[0:1], s[2:3], v3, s8, v[0:1]
	v_mad_u64_u32 v[4:5], s[2:3], v3, s9, v[4:5]
	;; [unrolled: 1-line block ×3, first 2 shown]
.LBB237_119:
	s_and_b64 vcc, exec, s[0:1]
	v_add_u32_e32 v1, 0x80, v31
	s_cbranch_vccnz .LBB237_125
; %bb.120:
	s_cmp_lg_u32 s33, 0
	s_cbranch_scc0 .LBB237_126
; %bb.121:
	s_min_u32 s4, s34, 15
	s_add_i32 s2, s4, 1
	s_and_b32 s5, s2, 30
	s_add_u32 s2, s12, 0xffffffe8
	s_addc_u32 s3, s13, -1
	v_mov_b32_e32 v7, 0
	v_mov_b32_e32 v9, 0
	;; [unrolled: 1-line block ×4, first 2 shown]
.LBB237_122:                            ; =>This Inner Loop Header: Depth=1
	s_load_dwordx4 s[8:11], s[2:3], 0x1c
	s_load_dwordx2 s[6:7], s[2:3], 0x2c
	s_load_dwordx2 s[14:15], s[2:3], 0xec
	s_load_dwordx4 s[16:19], s[2:3], 0xdc
	s_add_u32 s2, s2, 24
	s_waitcnt lgkmcnt(0)
	v_mul_hi_u32 v6, s9, v3
	s_addc_u32 s3, s3, 0
	s_add_i32 s5, s5, -2
	s_cmp_lg_u32 s5, 0
	v_add_u32_e32 v6, v3, v6
	v_lshrrev_b32_e32 v6, s10, v6
	v_mul_lo_u32 v8, v6, s8
	v_mul_hi_u32 v10, s6, v6
	v_sub_u32_e32 v8, v3, v8
	v_add_u32_e32 v3, v6, v10
	v_lshrrev_b32_e32 v3, s7, v3
	v_mul_lo_u32 v12, v3, s11
	v_mul_lo_u32 v10, v8, s16
	;; [unrolled: 1-line block ×4, first 2 shown]
	v_sub_u32_e32 v6, v6, v12
	v_mul_lo_u32 v12, v6, s19
	v_mul_lo_u32 v13, v6, s14
	;; [unrolled: 1-line block ×3, first 2 shown]
	v_add3_u32 v5, v10, v5, v12
	v_add3_u32 v9, v11, v9, v13
	;; [unrolled: 1-line block ×3, first 2 shown]
	s_cbranch_scc1 .LBB237_122
; %bb.123:
	s_bitcmp1_b32 s4, 0
	s_cselect_b64 s[4:5], -1, 0
	s_and_b64 vcc, exec, s[4:5]
	s_cbranch_vccnz .LBB237_127
; %bb.124:
	s_load_dwordx2 s[4:5], s[2:3], 0x1c
	s_load_dword s8, s[2:3], 0x24
	s_load_dwordx2 s[6:7], s[2:3], 0xdc
	s_waitcnt lgkmcnt(0)
	v_mul_hi_u32 v6, s5, v3
	v_add_u32_e32 v6, v3, v6
	v_lshrrev_b32_e32 v6, s8, v6
	v_mul_lo_u32 v6, v6, s4
	s_load_dword s4, s[2:3], 0xe4
	v_sub_u32_e32 v3, v3, v6
	v_mad_u64_u32 v[5:6], s[2:3], v3, s6, v[5:6]
	v_mad_u64_u32 v[9:10], s[2:3], v3, s7, v[9:10]
	s_waitcnt lgkmcnt(0)
	v_mad_u64_u32 v[7:8], s[2:3], v3, s4, v[7:8]
	s_cbranch_execz .LBB237_128
	s_branch .LBB237_130
.LBB237_125:
                                        ; implicit-def: $vgpr5
                                        ; implicit-def: $vgpr9
                                        ; implicit-def: $vgpr7
	s_branch .LBB237_128
.LBB237_126:
	v_mov_b32_e32 v5, 0
	v_mov_b32_e32 v9, 0
	;; [unrolled: 1-line block ×3, first 2 shown]
.LBB237_127:
	s_cbranch_execnz .LBB237_130
.LBB237_128:
	s_load_dwordx4 s[4:7], s[12:13], 0x4
	s_load_dwordx4 s[8:11], s[12:13], 0xc4
	s_cmp_lt_u32 s33, 2
	s_waitcnt lgkmcnt(0)
	v_mul_hi_u32 v3, s5, v1
	v_add_u32_e32 v3, v1, v3
	v_lshrrev_b32_e32 v3, s6, v3
	v_mul_lo_u32 v5, v3, s4
	v_sub_u32_e32 v1, v1, v5
	v_mul_lo_u32 v5, v1, s8
	v_mul_lo_u32 v9, v1, s9
	;; [unrolled: 1-line block ×3, first 2 shown]
	s_cbranch_scc1 .LBB237_130
; %bb.129:
	s_load_dwordx4 s[4:7], s[12:13], 0x10
	s_load_dwordx4 s[8:11], s[12:13], 0xd0
	s_waitcnt lgkmcnt(0)
	v_mul_hi_u32 v1, s5, v3
	v_add_u32_e32 v1, v3, v1
	v_lshrrev_b32_e32 v1, s6, v1
	v_mul_lo_u32 v1, v1, s4
	v_sub_u32_e32 v1, v3, v1
	v_mad_u64_u32 v[5:6], s[2:3], v1, s8, v[5:6]
	v_mad_u64_u32 v[9:10], s[2:3], v1, s9, v[9:10]
	;; [unrolled: 1-line block ×3, first 2 shown]
.LBB237_130:
	s_and_b64 vcc, exec, s[0:1]
	v_add_u32_e32 v1, 0x100, v31
	s_cbranch_vccnz .LBB237_136
; %bb.131:
	s_cmp_lg_u32 s33, 0
	s_cbranch_scc0 .LBB237_137
; %bb.132:
	s_min_u32 s4, s34, 15
	s_add_i32 s2, s4, 1
	s_and_b32 s5, s2, 30
	s_add_u32 s2, s12, 0xffffffe8
	s_addc_u32 s3, s13, -1
	v_mov_b32_e32 v12, 0
	v_mov_b32_e32 v14, 0
	;; [unrolled: 1-line block ×4, first 2 shown]
.LBB237_133:                            ; =>This Inner Loop Header: Depth=1
	s_load_dwordx4 s[8:11], s[2:3], 0x1c
	s_load_dwordx2 s[6:7], s[2:3], 0x2c
	s_load_dwordx2 s[14:15], s[2:3], 0xec
	s_load_dwordx4 s[16:19], s[2:3], 0xdc
	s_add_u32 s2, s2, 24
	s_waitcnt lgkmcnt(0)
	v_mul_hi_u32 v6, s9, v3
	s_addc_u32 s3, s3, 0
	s_add_i32 s5, s5, -2
	s_cmp_lg_u32 s5, 0
	v_add_u32_e32 v6, v3, v6
	v_lshrrev_b32_e32 v6, s10, v6
	v_mul_lo_u32 v8, v6, s8
	v_mul_hi_u32 v11, s6, v6
	v_sub_u32_e32 v8, v3, v8
	v_add_u32_e32 v3, v6, v11
	v_lshrrev_b32_e32 v3, s7, v3
	v_mul_lo_u32 v15, v3, s11
	v_mul_lo_u32 v11, v8, s16
	;; [unrolled: 1-line block ×4, first 2 shown]
	v_sub_u32_e32 v6, v6, v15
	v_mul_lo_u32 v15, v6, s19
	v_mul_lo_u32 v16, v6, s14
	;; [unrolled: 1-line block ×3, first 2 shown]
	v_add3_u32 v10, v11, v10, v15
	v_add3_u32 v14, v13, v14, v16
	;; [unrolled: 1-line block ×3, first 2 shown]
	s_cbranch_scc1 .LBB237_133
; %bb.134:
	s_bitcmp1_b32 s4, 0
	s_cselect_b64 s[4:5], -1, 0
	s_and_b64 vcc, exec, s[4:5]
	s_cbranch_vccnz .LBB237_138
; %bb.135:
	s_load_dwordx2 s[4:5], s[2:3], 0x1c
	s_load_dword s8, s[2:3], 0x24
	s_load_dwordx2 s[6:7], s[2:3], 0xdc
	s_waitcnt lgkmcnt(0)
	v_mul_hi_u32 v6, s5, v3
	v_add_u32_e32 v6, v3, v6
	v_lshrrev_b32_e32 v6, s8, v6
	v_mul_lo_u32 v6, v6, s4
	s_load_dword s4, s[2:3], 0xe4
	v_sub_u32_e32 v3, v3, v6
	v_mad_u64_u32 v[10:11], s[2:3], v3, s6, v[10:11]
	v_mad_u64_u32 v[14:15], s[2:3], v3, s7, v[14:15]
	s_waitcnt lgkmcnt(0)
	v_mad_u64_u32 v[12:13], s[2:3], v3, s4, v[12:13]
	s_cbranch_execz .LBB237_139
	s_branch .LBB237_141
.LBB237_136:
                                        ; implicit-def: $vgpr10
                                        ; implicit-def: $vgpr14
                                        ; implicit-def: $vgpr12
	s_branch .LBB237_139
.LBB237_137:
	v_mov_b32_e32 v10, 0
	v_mov_b32_e32 v14, 0
	v_mov_b32_e32 v12, 0
.LBB237_138:
	s_cbranch_execnz .LBB237_141
.LBB237_139:
	s_load_dwordx4 s[4:7], s[12:13], 0x4
	s_load_dwordx4 s[8:11], s[12:13], 0xc4
	s_cmp_lt_u32 s33, 2
	s_waitcnt lgkmcnt(0)
	v_mul_hi_u32 v3, s5, v1
	v_add_u32_e32 v3, v1, v3
	v_lshrrev_b32_e32 v3, s6, v3
	v_mul_lo_u32 v6, v3, s4
	v_sub_u32_e32 v1, v1, v6
	v_mul_lo_u32 v10, v1, s8
	v_mul_lo_u32 v14, v1, s9
	;; [unrolled: 1-line block ×3, first 2 shown]
	s_cbranch_scc1 .LBB237_141
; %bb.140:
	s_load_dwordx4 s[4:7], s[12:13], 0x10
	s_load_dwordx4 s[8:11], s[12:13], 0xd0
	s_waitcnt lgkmcnt(0)
	v_mul_hi_u32 v1, s5, v3
	v_add_u32_e32 v1, v3, v1
	v_lshrrev_b32_e32 v1, s6, v1
	v_mul_lo_u32 v1, v1, s4
	v_sub_u32_e32 v1, v3, v1
	v_mad_u64_u32 v[10:11], s[2:3], v1, s8, v[10:11]
	v_mad_u64_u32 v[14:15], s[2:3], v1, s9, v[14:15]
	;; [unrolled: 1-line block ×3, first 2 shown]
.LBB237_141:
	s_and_b64 vcc, exec, s[0:1]
	v_add_u32_e32 v1, 0x180, v31
	s_cbranch_vccnz .LBB237_147
; %bb.142:
	s_cmp_lg_u32 s33, 0
	s_cbranch_scc0 .LBB237_148
; %bb.143:
	s_min_u32 s4, s34, 15
	s_add_i32 s2, s4, 1
	s_and_b32 s5, s2, 30
	s_add_u32 s2, s12, 0xffffffe8
	s_addc_u32 s3, s13, -1
	v_mov_b32_e32 v19, 0
	v_mov_b32_e32 v17, 0
	;; [unrolled: 1-line block ×4, first 2 shown]
.LBB237_144:                            ; =>This Inner Loop Header: Depth=1
	s_load_dwordx4 s[8:11], s[2:3], 0x1c
	s_load_dwordx2 s[6:7], s[2:3], 0x2c
	s_load_dwordx2 s[14:15], s[2:3], 0xec
	s_load_dwordx4 s[16:19], s[2:3], 0xdc
	s_add_u32 s2, s2, 24
	s_waitcnt lgkmcnt(0)
	v_mul_hi_u32 v6, s9, v3
	s_addc_u32 s3, s3, 0
	s_add_i32 s5, s5, -2
	s_cmp_lg_u32 s5, 0
	v_add_u32_e32 v6, v3, v6
	v_lshrrev_b32_e32 v6, s10, v6
	v_mul_lo_u32 v8, v6, s8
	v_mul_hi_u32 v11, s6, v6
	v_sub_u32_e32 v8, v3, v8
	v_add_u32_e32 v3, v6, v11
	v_lshrrev_b32_e32 v3, s7, v3
	v_mul_lo_u32 v16, v3, s11
	v_mul_lo_u32 v11, v8, s16
	;; [unrolled: 1-line block ×4, first 2 shown]
	v_sub_u32_e32 v6, v6, v16
	v_mul_lo_u32 v16, v6, s19
	v_mul_lo_u32 v18, v6, s14
	;; [unrolled: 1-line block ×3, first 2 shown]
	v_add3_u32 v15, v11, v15, v16
	v_add3_u32 v17, v13, v17, v18
	;; [unrolled: 1-line block ×3, first 2 shown]
	s_cbranch_scc1 .LBB237_144
; %bb.145:
	s_bitcmp1_b32 s4, 0
	s_cselect_b64 s[4:5], -1, 0
	s_and_b64 vcc, exec, s[4:5]
	s_cbranch_vccnz .LBB237_149
; %bb.146:
	s_load_dwordx2 s[4:5], s[2:3], 0x1c
	s_load_dword s8, s[2:3], 0x24
	s_load_dwordx2 s[6:7], s[2:3], 0xdc
	s_waitcnt lgkmcnt(0)
	v_mul_hi_u32 v6, s5, v3
	v_add_u32_e32 v6, v3, v6
	v_lshrrev_b32_e32 v6, s8, v6
	v_mul_lo_u32 v6, v6, s4
	s_load_dword s4, s[2:3], 0xe4
	v_sub_u32_e32 v3, v3, v6
	v_mad_u64_u32 v[15:16], s[2:3], v3, s6, v[15:16]
	v_mad_u64_u32 v[17:18], s[2:3], v3, s7, v[17:18]
	s_waitcnt lgkmcnt(0)
	v_mad_u64_u32 v[19:20], s[2:3], v3, s4, v[19:20]
	s_cbranch_execz .LBB237_150
	s_branch .LBB237_152
.LBB237_147:
                                        ; implicit-def: $vgpr15
                                        ; implicit-def: $vgpr17
                                        ; implicit-def: $vgpr19
	s_branch .LBB237_150
.LBB237_148:
	v_mov_b32_e32 v15, 0
	v_mov_b32_e32 v17, 0
	;; [unrolled: 1-line block ×3, first 2 shown]
.LBB237_149:
	s_cbranch_execnz .LBB237_152
.LBB237_150:
	s_load_dwordx4 s[4:7], s[12:13], 0x4
	s_load_dwordx4 s[8:11], s[12:13], 0xc4
	s_cmp_lt_u32 s33, 2
	s_waitcnt lgkmcnt(0)
	v_mul_hi_u32 v3, s5, v1
	v_add_u32_e32 v3, v1, v3
	v_lshrrev_b32_e32 v3, s6, v3
	v_mul_lo_u32 v6, v3, s4
	v_sub_u32_e32 v1, v1, v6
	v_mul_lo_u32 v15, v1, s8
	v_mul_lo_u32 v17, v1, s9
	;; [unrolled: 1-line block ×3, first 2 shown]
	s_cbranch_scc1 .LBB237_152
; %bb.151:
	s_load_dwordx4 s[4:7], s[12:13], 0x10
	s_load_dwordx4 s[8:11], s[12:13], 0xd0
	s_waitcnt lgkmcnt(0)
	v_mul_hi_u32 v1, s5, v3
	v_add_u32_e32 v1, v3, v1
	v_lshrrev_b32_e32 v1, s6, v1
	v_mul_lo_u32 v1, v1, s4
	v_sub_u32_e32 v1, v3, v1
	v_mad_u64_u32 v[15:16], s[2:3], v1, s8, v[15:16]
	v_mad_u64_u32 v[17:18], s[2:3], v1, s9, v[17:18]
	;; [unrolled: 1-line block ×3, first 2 shown]
.LBB237_152:
	s_and_b64 vcc, exec, s[0:1]
	v_add_u32_e32 v1, 0x200, v31
	s_cbranch_vccnz .LBB237_158
; %bb.153:
	s_cmp_lg_u32 s33, 0
	s_cbranch_scc0 .LBB237_159
; %bb.154:
	s_min_u32 s4, s34, 15
	s_add_i32 s2, s4, 1
	s_and_b32 s5, s2, 30
	s_add_u32 s2, s12, 0xffffffe8
	s_addc_u32 s3, s13, -1
	v_mov_b32_e32 v24, 0
	v_mov_b32_e32 v22, 0
	;; [unrolled: 1-line block ×4, first 2 shown]
.LBB237_155:                            ; =>This Inner Loop Header: Depth=1
	s_load_dwordx4 s[8:11], s[2:3], 0x1c
	s_load_dwordx2 s[6:7], s[2:3], 0x2c
	s_load_dwordx2 s[14:15], s[2:3], 0xec
	s_load_dwordx4 s[16:19], s[2:3], 0xdc
	s_add_u32 s2, s2, 24
	s_waitcnt lgkmcnt(0)
	v_mul_hi_u32 v6, s9, v3
	s_addc_u32 s3, s3, 0
	s_add_i32 s5, s5, -2
	s_cmp_lg_u32 s5, 0
	v_add_u32_e32 v6, v3, v6
	v_lshrrev_b32_e32 v6, s10, v6
	v_mul_lo_u32 v8, v6, s8
	v_mul_hi_u32 v11, s6, v6
	v_sub_u32_e32 v8, v3, v8
	v_add_u32_e32 v3, v6, v11
	v_lshrrev_b32_e32 v3, s7, v3
	v_mul_lo_u32 v16, v3, s11
	v_mul_lo_u32 v11, v8, s16
	;; [unrolled: 1-line block ×4, first 2 shown]
	v_sub_u32_e32 v6, v6, v16
	v_mul_lo_u32 v16, v6, s19
	v_mul_lo_u32 v18, v6, s14
	;; [unrolled: 1-line block ×3, first 2 shown]
	v_add3_u32 v20, v11, v20, v16
	v_add3_u32 v22, v13, v22, v18
	;; [unrolled: 1-line block ×3, first 2 shown]
	s_cbranch_scc1 .LBB237_155
; %bb.156:
	s_bitcmp1_b32 s4, 0
	s_cselect_b64 s[4:5], -1, 0
	s_and_b64 vcc, exec, s[4:5]
	s_cbranch_vccnz .LBB237_160
; %bb.157:
	s_load_dwordx2 s[4:5], s[2:3], 0x1c
	s_load_dword s8, s[2:3], 0x24
	s_load_dwordx2 s[6:7], s[2:3], 0xdc
	s_waitcnt lgkmcnt(0)
	v_mul_hi_u32 v6, s5, v3
	v_add_u32_e32 v6, v3, v6
	v_lshrrev_b32_e32 v6, s8, v6
	v_mul_lo_u32 v6, v6, s4
	s_load_dword s4, s[2:3], 0xe4
	v_sub_u32_e32 v3, v3, v6
	v_mad_u64_u32 v[20:21], s[2:3], v3, s6, v[20:21]
	v_mad_u64_u32 v[22:23], s[2:3], v3, s7, v[22:23]
	s_waitcnt lgkmcnt(0)
	v_mad_u64_u32 v[24:25], s[2:3], v3, s4, v[24:25]
	s_cbranch_execz .LBB237_161
	s_branch .LBB237_163
.LBB237_158:
                                        ; implicit-def: $vgpr20
                                        ; implicit-def: $vgpr22
                                        ; implicit-def: $vgpr24
	s_branch .LBB237_161
.LBB237_159:
	v_mov_b32_e32 v20, 0
	v_mov_b32_e32 v22, 0
	;; [unrolled: 1-line block ×3, first 2 shown]
.LBB237_160:
	s_cbranch_execnz .LBB237_163
.LBB237_161:
	s_load_dwordx4 s[4:7], s[12:13], 0x4
	s_load_dwordx4 s[8:11], s[12:13], 0xc4
	s_cmp_lt_u32 s33, 2
	s_waitcnt lgkmcnt(0)
	v_mul_hi_u32 v3, s5, v1
	v_add_u32_e32 v3, v1, v3
	v_lshrrev_b32_e32 v3, s6, v3
	v_mul_lo_u32 v6, v3, s4
	v_sub_u32_e32 v1, v1, v6
	v_mul_lo_u32 v20, v1, s8
	v_mul_lo_u32 v22, v1, s9
	;; [unrolled: 1-line block ×3, first 2 shown]
	s_cbranch_scc1 .LBB237_163
; %bb.162:
	s_load_dwordx4 s[4:7], s[12:13], 0x10
	s_load_dwordx4 s[8:11], s[12:13], 0xd0
	s_waitcnt lgkmcnt(0)
	v_mul_hi_u32 v1, s5, v3
	v_add_u32_e32 v1, v3, v1
	v_lshrrev_b32_e32 v1, s6, v1
	v_mul_lo_u32 v1, v1, s4
	v_sub_u32_e32 v1, v3, v1
	v_mad_u64_u32 v[20:21], s[2:3], v1, s8, v[20:21]
	v_mad_u64_u32 v[22:23], s[2:3], v1, s9, v[22:23]
	;; [unrolled: 1-line block ×3, first 2 shown]
.LBB237_163:
	s_and_b64 vcc, exec, s[0:1]
	v_add_u32_e32 v1, 0x280, v31
	s_cbranch_vccnz .LBB237_169
; %bb.164:
	s_cmp_lg_u32 s33, 0
	s_cbranch_scc0 .LBB237_170
; %bb.165:
	s_min_u32 s4, s34, 15
	s_add_i32 s2, s4, 1
	s_and_b32 s5, s2, 30
	s_add_u32 s2, s12, 0xffffffe8
	s_addc_u32 s3, s13, -1
	v_mov_b32_e32 v27, 0
	v_mov_b32_e32 v29, 0
	;; [unrolled: 1-line block ×4, first 2 shown]
.LBB237_166:                            ; =>This Inner Loop Header: Depth=1
	s_load_dwordx4 s[8:11], s[2:3], 0x1c
	s_load_dwordx2 s[6:7], s[2:3], 0x2c
	s_load_dwordx2 s[14:15], s[2:3], 0xec
	s_load_dwordx4 s[16:19], s[2:3], 0xdc
	s_add_u32 s2, s2, 24
	s_waitcnt lgkmcnt(0)
	v_mul_hi_u32 v6, s9, v3
	s_addc_u32 s3, s3, 0
	s_add_i32 s5, s5, -2
	s_cmp_lg_u32 s5, 0
	v_add_u32_e32 v6, v3, v6
	v_lshrrev_b32_e32 v6, s10, v6
	v_mul_lo_u32 v8, v6, s8
	v_mul_hi_u32 v11, s6, v6
	v_sub_u32_e32 v8, v3, v8
	v_add_u32_e32 v3, v6, v11
	v_lshrrev_b32_e32 v3, s7, v3
	v_mul_lo_u32 v16, v3, s11
	v_mul_lo_u32 v11, v8, s16
	;; [unrolled: 1-line block ×4, first 2 shown]
	v_sub_u32_e32 v6, v6, v16
	v_mul_lo_u32 v16, v6, s19
	v_mul_lo_u32 v18, v6, s14
	;; [unrolled: 1-line block ×3, first 2 shown]
	v_add3_u32 v25, v11, v25, v16
	v_add3_u32 v29, v13, v29, v18
	;; [unrolled: 1-line block ×3, first 2 shown]
	s_cbranch_scc1 .LBB237_166
; %bb.167:
	s_bitcmp1_b32 s4, 0
	s_cselect_b64 s[4:5], -1, 0
	s_and_b64 vcc, exec, s[4:5]
	s_cbranch_vccnz .LBB237_171
; %bb.168:
	s_load_dwordx2 s[4:5], s[2:3], 0x1c
	s_load_dword s8, s[2:3], 0x24
	s_load_dwordx2 s[6:7], s[2:3], 0xdc
	s_waitcnt lgkmcnt(0)
	v_mul_hi_u32 v6, s5, v3
	v_add_u32_e32 v6, v3, v6
	v_lshrrev_b32_e32 v6, s8, v6
	v_mul_lo_u32 v6, v6, s4
	s_load_dword s4, s[2:3], 0xe4
	v_sub_u32_e32 v3, v3, v6
	v_mad_u64_u32 v[25:26], s[2:3], v3, s6, v[25:26]
	v_mad_u64_u32 v[29:30], s[2:3], v3, s7, v[29:30]
	s_waitcnt lgkmcnt(0)
	v_mad_u64_u32 v[27:28], s[2:3], v3, s4, v[27:28]
	s_cbranch_execz .LBB237_172
	s_branch .LBB237_174
.LBB237_169:
                                        ; implicit-def: $vgpr25
                                        ; implicit-def: $vgpr29
                                        ; implicit-def: $vgpr27
	s_branch .LBB237_172
.LBB237_170:
	v_mov_b32_e32 v25, 0
	v_mov_b32_e32 v29, 0
	;; [unrolled: 1-line block ×3, first 2 shown]
.LBB237_171:
	s_cbranch_execnz .LBB237_174
.LBB237_172:
	s_load_dwordx4 s[4:7], s[12:13], 0x4
	s_load_dwordx4 s[8:11], s[12:13], 0xc4
	s_cmp_lt_u32 s33, 2
	s_waitcnt lgkmcnt(0)
	v_mul_hi_u32 v3, s5, v1
	v_add_u32_e32 v3, v1, v3
	v_lshrrev_b32_e32 v3, s6, v3
	v_mul_lo_u32 v6, v3, s4
	v_sub_u32_e32 v1, v1, v6
	v_mul_lo_u32 v25, v1, s8
	v_mul_lo_u32 v29, v1, s9
	;; [unrolled: 1-line block ×3, first 2 shown]
	s_cbranch_scc1 .LBB237_174
; %bb.173:
	s_load_dwordx4 s[4:7], s[12:13], 0x10
	s_load_dwordx4 s[8:11], s[12:13], 0xd0
	s_waitcnt lgkmcnt(0)
	v_mul_hi_u32 v1, s5, v3
	v_add_u32_e32 v1, v3, v1
	v_lshrrev_b32_e32 v1, s6, v1
	v_mul_lo_u32 v1, v1, s4
	v_sub_u32_e32 v1, v3, v1
	v_mad_u64_u32 v[25:26], s[2:3], v1, s8, v[25:26]
	v_mad_u64_u32 v[29:30], s[2:3], v1, s9, v[29:30]
	;; [unrolled: 1-line block ×3, first 2 shown]
.LBB237_174:
	s_and_b64 vcc, exec, s[0:1]
	v_add_u32_e32 v1, 0x300, v31
	s_cbranch_vccnz .LBB237_180
; %bb.175:
	s_cmp_lg_u32 s33, 0
	s_cbranch_scc0 .LBB237_181
; %bb.176:
	s_min_u32 s4, s34, 15
	s_add_i32 s2, s4, 1
	s_and_b32 s5, s2, 30
	s_add_u32 s2, s12, 0xffffffe8
	s_addc_u32 s3, s13, -1
	v_mov_b32_e32 v32, 0
	v_mov_b32_e32 v34, 0
	;; [unrolled: 1-line block ×4, first 2 shown]
.LBB237_177:                            ; =>This Inner Loop Header: Depth=1
	s_load_dwordx4 s[8:11], s[2:3], 0x1c
	s_load_dwordx2 s[6:7], s[2:3], 0x2c
	s_load_dwordx2 s[14:15], s[2:3], 0xec
	s_load_dwordx4 s[16:19], s[2:3], 0xdc
	s_add_u32 s2, s2, 24
	s_waitcnt lgkmcnt(0)
	v_mul_hi_u32 v6, s9, v3
	s_addc_u32 s3, s3, 0
	s_add_i32 s5, s5, -2
	s_cmp_lg_u32 s5, 0
	v_add_u32_e32 v6, v3, v6
	v_lshrrev_b32_e32 v6, s10, v6
	v_mul_lo_u32 v8, v6, s8
	v_mul_hi_u32 v11, s6, v6
	v_sub_u32_e32 v8, v3, v8
	v_add_u32_e32 v3, v6, v11
	v_lshrrev_b32_e32 v3, s7, v3
	v_mul_lo_u32 v16, v3, s11
	v_mul_lo_u32 v11, v8, s16
	;; [unrolled: 1-line block ×4, first 2 shown]
	v_sub_u32_e32 v6, v6, v16
	v_mul_lo_u32 v16, v6, s19
	v_mul_lo_u32 v18, v6, s14
	;; [unrolled: 1-line block ×3, first 2 shown]
	v_add3_u32 v30, v11, v30, v16
	v_add3_u32 v34, v13, v34, v18
	;; [unrolled: 1-line block ×3, first 2 shown]
	s_cbranch_scc1 .LBB237_177
; %bb.178:
	s_bitcmp1_b32 s4, 0
	s_cselect_b64 s[4:5], -1, 0
	s_and_b64 vcc, exec, s[4:5]
	s_cbranch_vccnz .LBB237_182
; %bb.179:
	s_load_dwordx2 s[4:5], s[2:3], 0x1c
	s_load_dword s8, s[2:3], 0x24
	s_load_dwordx2 s[6:7], s[2:3], 0xdc
	s_waitcnt lgkmcnt(0)
	v_mul_hi_u32 v6, s5, v3
	v_add_u32_e32 v6, v3, v6
	v_lshrrev_b32_e32 v6, s8, v6
	v_mul_lo_u32 v6, v6, s4
	s_load_dword s4, s[2:3], 0xe4
	v_sub_u32_e32 v3, v3, v6
	v_mad_u64_u32 v[30:31], s[2:3], v3, s6, v[30:31]
	v_mad_u64_u32 v[34:35], s[2:3], v3, s7, v[34:35]
	s_waitcnt lgkmcnt(0)
	v_mad_u64_u32 v[32:33], s[2:3], v3, s4, v[32:33]
	s_cbranch_execz .LBB237_183
	s_branch .LBB237_185
.LBB237_180:
                                        ; implicit-def: $vgpr30
                                        ; implicit-def: $vgpr34
                                        ; implicit-def: $vgpr32
	s_branch .LBB237_183
.LBB237_181:
	v_mov_b32_e32 v30, 0
	v_mov_b32_e32 v34, 0
	;; [unrolled: 1-line block ×3, first 2 shown]
.LBB237_182:
	s_cbranch_execnz .LBB237_185
.LBB237_183:
	s_load_dwordx4 s[4:7], s[12:13], 0x4
	s_load_dwordx4 s[8:11], s[12:13], 0xc4
	s_cmp_lt_u32 s33, 2
	s_waitcnt lgkmcnt(0)
	v_mul_hi_u32 v3, s5, v1
	v_add_u32_e32 v3, v1, v3
	v_lshrrev_b32_e32 v3, s6, v3
	v_mul_lo_u32 v6, v3, s4
	v_sub_u32_e32 v1, v1, v6
	v_mul_lo_u32 v30, v1, s8
	v_mul_lo_u32 v34, v1, s9
	;; [unrolled: 1-line block ×3, first 2 shown]
	s_cbranch_scc1 .LBB237_185
; %bb.184:
	s_load_dwordx4 s[4:7], s[12:13], 0x10
	s_load_dwordx4 s[8:11], s[12:13], 0xd0
	s_waitcnt lgkmcnt(0)
	v_mul_hi_u32 v1, s5, v3
	v_add_u32_e32 v1, v3, v1
	v_lshrrev_b32_e32 v1, s6, v1
	v_mul_lo_u32 v1, v1, s4
	v_sub_u32_e32 v1, v3, v1
	v_mad_u64_u32 v[30:31], s[2:3], v1, s8, v[30:31]
	v_mad_u64_u32 v[34:35], s[2:3], v1, s9, v[34:35]
	;; [unrolled: 1-line block ×3, first 2 shown]
.LBB237_185:
	s_and_b64 vcc, exec, s[0:1]
	s_cbranch_vccnz .LBB237_191
; %bb.186:
	s_cmp_lg_u32 s33, 0
	s_cbranch_scc0 .LBB237_192
; %bb.187:
	s_min_u32 s2, s34, 15
	s_add_i32 s0, s2, 1
	s_and_b32 s3, s0, 30
	s_add_u32 s0, s12, 0xffffffe8
	s_addc_u32 s1, s13, -1
	v_mov_b32_e32 v37, 0
	v_mov_b32_e32 v39, 0
	;; [unrolled: 1-line block ×4, first 2 shown]
.LBB237_188:                            ; =>This Inner Loop Header: Depth=1
	s_load_dwordx4 s[4:7], s[0:1], 0x1c
	s_load_dwordx2 s[14:15], s[0:1], 0x2c
	s_load_dwordx2 s[16:17], s[0:1], 0xec
	s_load_dwordx4 s[8:11], s[0:1], 0xdc
	s_add_u32 s0, s0, 24
	s_waitcnt lgkmcnt(0)
	v_mul_hi_u32 v3, s5, v1
	s_addc_u32 s1, s1, 0
	s_add_i32 s3, s3, -2
	s_cmp_lg_u32 s3, 0
	v_add_u32_e32 v3, v1, v3
	v_lshrrev_b32_e32 v3, s6, v3
	v_mul_lo_u32 v6, v3, s4
	v_mul_hi_u32 v8, s14, v3
	v_sub_u32_e32 v6, v1, v6
	v_add_u32_e32 v1, v3, v8
	v_lshrrev_b32_e32 v1, s15, v1
	v_mul_lo_u32 v13, v1, s7
	v_mul_lo_u32 v8, v6, s8
	;; [unrolled: 1-line block ×4, first 2 shown]
	v_sub_u32_e32 v3, v3, v13
	v_mul_lo_u32 v13, v3, s11
	v_mul_lo_u32 v16, v3, s16
	;; [unrolled: 1-line block ×3, first 2 shown]
	v_add3_u32 v35, v8, v35, v13
	v_add3_u32 v39, v11, v39, v16
	;; [unrolled: 1-line block ×3, first 2 shown]
	s_cbranch_scc1 .LBB237_188
; %bb.189:
	s_bitcmp1_b32 s2, 0
	s_cselect_b64 s[2:3], -1, 0
	s_and_b64 vcc, exec, s[2:3]
	s_cbranch_vccnz .LBB237_193
; %bb.190:
	s_load_dwordx2 s[2:3], s[0:1], 0x1c
	s_load_dword s6, s[0:1], 0x24
	s_load_dwordx2 s[4:5], s[0:1], 0xdc
	s_waitcnt lgkmcnt(0)
	v_mul_hi_u32 v3, s3, v1
	v_add_u32_e32 v3, v1, v3
	v_lshrrev_b32_e32 v3, s6, v3
	v_mul_lo_u32 v3, v3, s2
	s_load_dword s2, s[0:1], 0xe4
	v_sub_u32_e32 v1, v1, v3
	v_mad_u64_u32 v[35:36], s[0:1], v1, s4, v[35:36]
	v_mad_u64_u32 v[39:40], s[0:1], v1, s5, v[39:40]
	s_waitcnt lgkmcnt(0)
	v_mad_u64_u32 v[37:38], s[0:1], v1, s2, v[37:38]
	s_cbranch_execz .LBB237_194
	s_branch .LBB237_196
.LBB237_191:
                                        ; implicit-def: $vgpr35
                                        ; implicit-def: $vgpr39
                                        ; implicit-def: $vgpr37
	s_branch .LBB237_194
.LBB237_192:
	v_mov_b32_e32 v35, 0
	v_mov_b32_e32 v39, 0
	;; [unrolled: 1-line block ×3, first 2 shown]
.LBB237_193:
	s_cbranch_execnz .LBB237_196
.LBB237_194:
	s_load_dwordx4 s[0:3], s[12:13], 0x4
	s_load_dwordx4 s[4:7], s[12:13], 0xc4
	s_cmp_lt_u32 s33, 2
	s_waitcnt lgkmcnt(0)
	v_mul_hi_u32 v1, s1, v41
	v_add_u32_e32 v1, v41, v1
	v_lshrrev_b32_e32 v1, s2, v1
	v_mul_lo_u32 v3, v1, s0
	v_sub_u32_e32 v3, v41, v3
	v_mul_lo_u32 v35, v3, s4
	v_mul_lo_u32 v39, v3, s5
	;; [unrolled: 1-line block ×3, first 2 shown]
	s_cbranch_scc1 .LBB237_196
; %bb.195:
	s_load_dwordx4 s[0:3], s[12:13], 0x10
	s_load_dwordx4 s[4:7], s[12:13], 0xd0
	s_waitcnt lgkmcnt(0)
	v_mul_hi_u32 v3, s1, v1
	v_add_u32_e32 v3, v1, v3
	v_lshrrev_b32_e32 v3, s2, v3
	v_mul_lo_u32 v3, v3, s0
	v_sub_u32_e32 v1, v1, v3
	v_mad_u64_u32 v[35:36], s[0:1], v1, s4, v[35:36]
	v_mad_u64_u32 v[39:40], s[0:1], v1, s5, v[39:40]
	;; [unrolled: 1-line block ×3, first 2 shown]
.LBB237_196:
	s_load_dwordx4 s[8:11], s[12:13], 0x188
	s_load_dwordx2 s[0:1], s[12:13], 0x198
	s_waitcnt lgkmcnt(0)
	global_load_ushort v1, v9, s[10:11]
	s_nop 0
	global_load_ushort v3, v7, s[0:1]
	global_load_ushort v6, v14, s[10:11]
	;; [unrolled: 1-line block ×7, first 2 shown]
                                        ; kill: killed $vgpr19
                                        ; kill: killed $vgpr4
                                        ; kill: killed $vgpr9
                                        ; kill: killed $vgpr2
                                        ; kill: killed $vgpr14
                                        ; kill: killed $vgpr7
                                        ; kill: killed $vgpr17
                                        ; kill: killed $vgpr12
	s_nop 0
	global_load_ushort v2, v22, s[10:11]
	global_load_ushort v4, v24, s[0:1]
	;; [unrolled: 1-line block ×8, first 2 shown]
	s_waitcnt vmcnt(15)
	v_ashrrev_i16_e32 v21, 15, v1
	s_waitcnt vmcnt(14)
	v_ashrrev_i32_sdwa v1, v3, sext(v1) dst_sel:DWORD dst_unused:UNUSED_PAD src0_sel:DWORD src1_sel:WORD_0
	v_cmp_lt_u32_e32 vcc, 14, v3
	s_waitcnt vmcnt(13)
	v_ashrrev_i16_e32 v3, 15, v6
	s_waitcnt vmcnt(12)
	v_ashrrev_i32_sdwa v6, v8, sext(v6) dst_sel:DWORD dst_unused:UNUSED_PAD src0_sel:DWORD src1_sel:WORD_0
	v_cmp_lt_u32_e64 s[0:1], 14, v8
	s_waitcnt vmcnt(11)
	v_ashrrev_i16_e32 v8, 15, v11
	s_waitcnt vmcnt(10)
	v_ashrrev_i32_sdwa v11, v13, sext(v11) dst_sel:DWORD dst_unused:UNUSED_PAD src0_sel:DWORD src1_sel:WORD_0
	v_cmp_lt_u32_e64 s[2:3], 14, v13
	;; [unrolled: 5-line block ×3, first 2 shown]
	v_cndmask_b32_e64 v13, v16, v13, s[4:5]
	v_cndmask_b32_e32 v1, v1, v21, vcc
	v_cndmask_b32_e64 v3, v6, v3, s[0:1]
	v_cndmask_b32_e64 v8, v11, v8, s[2:3]
	s_waitcnt vmcnt(7)
	v_ashrrev_i16_e32 v16, 15, v2
	s_waitcnt vmcnt(6)
	v_ashrrev_i32_sdwa v2, v4, sext(v2) dst_sel:DWORD dst_unused:UNUSED_PAD src0_sel:DWORD src1_sel:WORD_0
	v_cmp_lt_u32_e32 vcc, 14, v4
	s_waitcnt vmcnt(5)
	v_ashrrev_i16_e32 v18, 15, v7
	s_waitcnt vmcnt(4)
	v_ashrrev_i32_sdwa v7, v9, sext(v7) dst_sel:DWORD dst_unused:UNUSED_PAD src0_sel:DWORD src1_sel:WORD_0
	v_cndmask_b32_e32 v2, v2, v16, vcc
	v_cmp_lt_u32_e32 vcc, 14, v9
	s_waitcnt vmcnt(3)
	v_ashrrev_i16_e32 v6, 15, v12
	s_waitcnt vmcnt(2)
	v_ashrrev_i32_sdwa v12, v14, sext(v12) dst_sel:DWORD dst_unused:UNUSED_PAD src0_sel:DWORD src1_sel:WORD_0
	v_cndmask_b32_e32 v4, v7, v18, vcc
	;; [unrolled: 6-line block ×3, first 2 shown]
	v_cmp_lt_u32_e32 vcc, 14, v19
	v_cndmask_b32_e32 v7, v17, v11, vcc
	global_store_short v0, v13, s[8:9]
	global_store_short v5, v1, s[8:9]
	;; [unrolled: 1-line block ×8, first 2 shown]
	s_endpgm
	.section	.rodata,"a",@progbits
	.p2align	6, 0x0
	.amdhsa_kernel _ZN2at6native32elementwise_kernel_manual_unrollILi128ELi8EZNS0_22gpu_kernel_impl_nocastINS0_13BinaryFunctorIsssZZZNS0_18rshift_kernel_cudaERNS_18TensorIteratorBaseEENKUlvE_clEvENKUlvE3_clEvEUlssE_EEEEvS5_RKT_EUlibE_EEviT1_
		.amdhsa_group_segment_fixed_size 0
		.amdhsa_private_segment_fixed_size 0
		.amdhsa_kernarg_size 432
		.amdhsa_user_sgpr_count 6
		.amdhsa_user_sgpr_private_segment_buffer 1
		.amdhsa_user_sgpr_dispatch_ptr 0
		.amdhsa_user_sgpr_queue_ptr 0
		.amdhsa_user_sgpr_kernarg_segment_ptr 1
		.amdhsa_user_sgpr_dispatch_id 0
		.amdhsa_user_sgpr_flat_scratch_init 0
		.amdhsa_user_sgpr_private_segment_size 0
		.amdhsa_uses_dynamic_stack 0
		.amdhsa_system_sgpr_private_segment_wavefront_offset 0
		.amdhsa_system_sgpr_workgroup_id_x 1
		.amdhsa_system_sgpr_workgroup_id_y 0
		.amdhsa_system_sgpr_workgroup_id_z 0
		.amdhsa_system_sgpr_workgroup_info 0
		.amdhsa_system_vgpr_workitem_id 0
		.amdhsa_next_free_vgpr 42
		.amdhsa_next_free_sgpr 50
		.amdhsa_reserve_vcc 1
		.amdhsa_reserve_flat_scratch 0
		.amdhsa_float_round_mode_32 0
		.amdhsa_float_round_mode_16_64 0
		.amdhsa_float_denorm_mode_32 3
		.amdhsa_float_denorm_mode_16_64 3
		.amdhsa_dx10_clamp 1
		.amdhsa_ieee_mode 1
		.amdhsa_fp16_overflow 0
		.amdhsa_exception_fp_ieee_invalid_op 0
		.amdhsa_exception_fp_denorm_src 0
		.amdhsa_exception_fp_ieee_div_zero 0
		.amdhsa_exception_fp_ieee_overflow 0
		.amdhsa_exception_fp_ieee_underflow 0
		.amdhsa_exception_fp_ieee_inexact 0
		.amdhsa_exception_int_div_zero 0
	.end_amdhsa_kernel
	.section	.text._ZN2at6native32elementwise_kernel_manual_unrollILi128ELi8EZNS0_22gpu_kernel_impl_nocastINS0_13BinaryFunctorIsssZZZNS0_18rshift_kernel_cudaERNS_18TensorIteratorBaseEENKUlvE_clEvENKUlvE3_clEvEUlssE_EEEEvS5_RKT_EUlibE_EEviT1_,"axG",@progbits,_ZN2at6native32elementwise_kernel_manual_unrollILi128ELi8EZNS0_22gpu_kernel_impl_nocastINS0_13BinaryFunctorIsssZZZNS0_18rshift_kernel_cudaERNS_18TensorIteratorBaseEENKUlvE_clEvENKUlvE3_clEvEUlssE_EEEEvS5_RKT_EUlibE_EEviT1_,comdat
.Lfunc_end237:
	.size	_ZN2at6native32elementwise_kernel_manual_unrollILi128ELi8EZNS0_22gpu_kernel_impl_nocastINS0_13BinaryFunctorIsssZZZNS0_18rshift_kernel_cudaERNS_18TensorIteratorBaseEENKUlvE_clEvENKUlvE3_clEvEUlssE_EEEEvS5_RKT_EUlibE_EEviT1_, .Lfunc_end237-_ZN2at6native32elementwise_kernel_manual_unrollILi128ELi8EZNS0_22gpu_kernel_impl_nocastINS0_13BinaryFunctorIsssZZZNS0_18rshift_kernel_cudaERNS_18TensorIteratorBaseEENKUlvE_clEvENKUlvE3_clEvEUlssE_EEEEvS5_RKT_EUlibE_EEviT1_
                                        ; -- End function
	.set _ZN2at6native32elementwise_kernel_manual_unrollILi128ELi8EZNS0_22gpu_kernel_impl_nocastINS0_13BinaryFunctorIsssZZZNS0_18rshift_kernel_cudaERNS_18TensorIteratorBaseEENKUlvE_clEvENKUlvE3_clEvEUlssE_EEEEvS5_RKT_EUlibE_EEviT1_.num_vgpr, 42
	.set _ZN2at6native32elementwise_kernel_manual_unrollILi128ELi8EZNS0_22gpu_kernel_impl_nocastINS0_13BinaryFunctorIsssZZZNS0_18rshift_kernel_cudaERNS_18TensorIteratorBaseEENKUlvE_clEvENKUlvE3_clEvEUlssE_EEEEvS5_RKT_EUlibE_EEviT1_.num_agpr, 0
	.set _ZN2at6native32elementwise_kernel_manual_unrollILi128ELi8EZNS0_22gpu_kernel_impl_nocastINS0_13BinaryFunctorIsssZZZNS0_18rshift_kernel_cudaERNS_18TensorIteratorBaseEENKUlvE_clEvENKUlvE3_clEvEUlssE_EEEEvS5_RKT_EUlibE_EEviT1_.numbered_sgpr, 50
	.set _ZN2at6native32elementwise_kernel_manual_unrollILi128ELi8EZNS0_22gpu_kernel_impl_nocastINS0_13BinaryFunctorIsssZZZNS0_18rshift_kernel_cudaERNS_18TensorIteratorBaseEENKUlvE_clEvENKUlvE3_clEvEUlssE_EEEEvS5_RKT_EUlibE_EEviT1_.num_named_barrier, 0
	.set _ZN2at6native32elementwise_kernel_manual_unrollILi128ELi8EZNS0_22gpu_kernel_impl_nocastINS0_13BinaryFunctorIsssZZZNS0_18rshift_kernel_cudaERNS_18TensorIteratorBaseEENKUlvE_clEvENKUlvE3_clEvEUlssE_EEEEvS5_RKT_EUlibE_EEviT1_.private_seg_size, 0
	.set _ZN2at6native32elementwise_kernel_manual_unrollILi128ELi8EZNS0_22gpu_kernel_impl_nocastINS0_13BinaryFunctorIsssZZZNS0_18rshift_kernel_cudaERNS_18TensorIteratorBaseEENKUlvE_clEvENKUlvE3_clEvEUlssE_EEEEvS5_RKT_EUlibE_EEviT1_.uses_vcc, 1
	.set _ZN2at6native32elementwise_kernel_manual_unrollILi128ELi8EZNS0_22gpu_kernel_impl_nocastINS0_13BinaryFunctorIsssZZZNS0_18rshift_kernel_cudaERNS_18TensorIteratorBaseEENKUlvE_clEvENKUlvE3_clEvEUlssE_EEEEvS5_RKT_EUlibE_EEviT1_.uses_flat_scratch, 0
	.set _ZN2at6native32elementwise_kernel_manual_unrollILi128ELi8EZNS0_22gpu_kernel_impl_nocastINS0_13BinaryFunctorIsssZZZNS0_18rshift_kernel_cudaERNS_18TensorIteratorBaseEENKUlvE_clEvENKUlvE3_clEvEUlssE_EEEEvS5_RKT_EUlibE_EEviT1_.has_dyn_sized_stack, 0
	.set _ZN2at6native32elementwise_kernel_manual_unrollILi128ELi8EZNS0_22gpu_kernel_impl_nocastINS0_13BinaryFunctorIsssZZZNS0_18rshift_kernel_cudaERNS_18TensorIteratorBaseEENKUlvE_clEvENKUlvE3_clEvEUlssE_EEEEvS5_RKT_EUlibE_EEviT1_.has_recursion, 0
	.set _ZN2at6native32elementwise_kernel_manual_unrollILi128ELi8EZNS0_22gpu_kernel_impl_nocastINS0_13BinaryFunctorIsssZZZNS0_18rshift_kernel_cudaERNS_18TensorIteratorBaseEENKUlvE_clEvENKUlvE3_clEvEUlssE_EEEEvS5_RKT_EUlibE_EEviT1_.has_indirect_call, 0
	.section	.AMDGPU.csdata,"",@progbits
; Kernel info:
; codeLenInByte = 9540
; TotalNumSgprs: 54
; NumVgprs: 42
; ScratchSize: 0
; MemoryBound: 0
; FloatMode: 240
; IeeeMode: 1
; LDSByteSize: 0 bytes/workgroup (compile time only)
; SGPRBlocks: 6
; VGPRBlocks: 10
; NumSGPRsForWavesPerEU: 54
; NumVGPRsForWavesPerEU: 42
; Occupancy: 5
; WaveLimiterHint : 1
; COMPUTE_PGM_RSRC2:SCRATCH_EN: 0
; COMPUTE_PGM_RSRC2:USER_SGPR: 6
; COMPUTE_PGM_RSRC2:TRAP_HANDLER: 0
; COMPUTE_PGM_RSRC2:TGID_X_EN: 1
; COMPUTE_PGM_RSRC2:TGID_Y_EN: 0
; COMPUTE_PGM_RSRC2:TGID_Z_EN: 0
; COMPUTE_PGM_RSRC2:TIDIG_COMP_CNT: 0
	.section	.text._ZN2at6native32elementwise_kernel_manual_unrollILi128ELi4EZNS0_15gpu_kernel_implINS0_13BinaryFunctorIsssZZZNS0_18rshift_kernel_cudaERNS_18TensorIteratorBaseEENKUlvE_clEvENKUlvE3_clEvEUlssE_EEEEvS5_RKT_EUlibE_EEviT1_,"axG",@progbits,_ZN2at6native32elementwise_kernel_manual_unrollILi128ELi4EZNS0_15gpu_kernel_implINS0_13BinaryFunctorIsssZZZNS0_18rshift_kernel_cudaERNS_18TensorIteratorBaseEENKUlvE_clEvENKUlvE3_clEvEUlssE_EEEEvS5_RKT_EUlibE_EEviT1_,comdat
	.globl	_ZN2at6native32elementwise_kernel_manual_unrollILi128ELi4EZNS0_15gpu_kernel_implINS0_13BinaryFunctorIsssZZZNS0_18rshift_kernel_cudaERNS_18TensorIteratorBaseEENKUlvE_clEvENKUlvE3_clEvEUlssE_EEEEvS5_RKT_EUlibE_EEviT1_ ; -- Begin function _ZN2at6native32elementwise_kernel_manual_unrollILi128ELi4EZNS0_15gpu_kernel_implINS0_13BinaryFunctorIsssZZZNS0_18rshift_kernel_cudaERNS_18TensorIteratorBaseEENKUlvE_clEvENKUlvE3_clEvEUlssE_EEEEvS5_RKT_EUlibE_EEviT1_
	.p2align	8
	.type	_ZN2at6native32elementwise_kernel_manual_unrollILi128ELi4EZNS0_15gpu_kernel_implINS0_13BinaryFunctorIsssZZZNS0_18rshift_kernel_cudaERNS_18TensorIteratorBaseEENKUlvE_clEvENKUlvE3_clEvEUlssE_EEEEvS5_RKT_EUlibE_EEviT1_,@function
_ZN2at6native32elementwise_kernel_manual_unrollILi128ELi4EZNS0_15gpu_kernel_implINS0_13BinaryFunctorIsssZZZNS0_18rshift_kernel_cudaERNS_18TensorIteratorBaseEENKUlvE_clEvENKUlvE3_clEvEUlssE_EEEEvS5_RKT_EUlibE_EEviT1_: ; @_ZN2at6native32elementwise_kernel_manual_unrollILi128ELi4EZNS0_15gpu_kernel_implINS0_13BinaryFunctorIsssZZZNS0_18rshift_kernel_cudaERNS_18TensorIteratorBaseEENKUlvE_clEvENKUlvE3_clEvEUlssE_EEEEvS5_RKT_EUlibE_EEviT1_
; %bb.0:
	v_mov_b32_e32 v1, 0
	global_load_ushort v2, v1, s[4:5] offset:45
	global_load_sbyte v3, v1, s[4:5] offset:47
	s_load_dword s48, s[4:5], 0x0
	s_load_dwordx4 s[8:11], s[4:5], 0x8
	s_load_dwordx2 s[2:3], s[4:5], 0x18
	s_load_dwordx4 s[12:15], s[4:5], 0x20
	v_lshl_or_b32 v14, s6, 9, v0
	v_or_b32_e32 v0, 0x180, v14
	s_mov_b64 s[16:17], 0
	s_waitcnt lgkmcnt(0)
	v_cmp_le_i32_e32 vcc, s48, v0
	s_mov_b64 s[6:7], 0
	s_waitcnt vmcnt(1)
	v_readfirstlane_b32 s33, v2
	s_waitcnt vmcnt(0)
	v_readfirstlane_b32 s15, v3
	s_lshr_b32 s54, s33, 8
	s_and_saveexec_b64 s[0:1], vcc
	s_xor_b64 s[4:5], exec, s[0:1]
	s_cbranch_execz .LBB238_1512
; %bb.1:
	v_cmp_gt_i32_e32 vcc, s48, v14
	s_mov_b64 s[0:1], -1
	s_mov_b64 s[26:27], 0
	s_mov_b64 s[20:21], 0
	;; [unrolled: 1-line block ×3, first 2 shown]
	s_and_saveexec_b64 s[22:23], vcc
	s_cbranch_execz .LBB238_375
; %bb.2:
	v_mul_lo_u32 v0, v14, s13
	v_mov_b32_e32 v1, s11
	s_and_b32 s18, s54, 0xff
	s_cmp_lt_i32 s18, 11
	v_ashrrev_i32_e32 v3, 31, v0
	v_add_co_u32_e32 v2, vcc, s10, v0
	v_addc_co_u32_e32 v3, vcc, v1, v3, vcc
	s_cbranch_scc1 .LBB238_9
; %bb.3:
	s_and_b32 s19, 0xffff, s18
	s_cmp_gt_i32 s19, 25
	s_cbranch_scc0 .LBB238_18
; %bb.4:
	s_cmp_gt_i32 s19, 28
	s_cbranch_scc0 .LBB238_28
; %bb.5:
	s_cmp_gt_i32 s19, 43
	s_cbranch_scc0 .LBB238_31
; %bb.6:
	s_cmp_gt_i32 s19, 45
	s_cbranch_scc0 .LBB238_34
; %bb.7:
	s_cmp_eq_u32 s19, 46
	s_cbranch_scc0 .LBB238_37
; %bb.8:
	global_load_dword v0, v[2:3], off
	s_waitcnt vmcnt(0)
	v_lshlrev_b32_e32 v0, 16, v0
	v_cvt_i32_f32_e32 v0, v0
	s_branch .LBB238_39
.LBB238_9:
                                        ; implicit-def: $vgpr0
	s_mov_b64 s[0:1], 0
	s_cbranch_execnz .LBB238_101
.LBB238_10:
	s_andn2_b64 vcc, exec, s[0:1]
	s_cbranch_vccnz .LBB238_148
.LBB238_11:
	s_waitcnt vmcnt(0)
	v_mul_lo_u32 v1, v14, s14
	v_mov_b32_e32 v2, s3
	s_and_b32 s24, s15, 0xff
	s_cmp_lt_i32 s24, 11
	v_ashrrev_i32_e32 v3, 31, v1
	v_add_co_u32_e32 v1, vcc, s2, v1
	v_addc_co_u32_e32 v2, vcc, v2, v3, vcc
	s_cbranch_scc1 .LBB238_19
; %bb.12:
	s_and_b32 s25, 0xffff, s24
	s_cmp_gt_i32 s25, 25
	s_cbranch_scc0 .LBB238_29
; %bb.13:
	s_cmp_gt_i32 s25, 28
	s_cbranch_scc0 .LBB238_32
; %bb.14:
	;; [unrolled: 3-line block ×4, first 2 shown]
	s_cmp_eq_u32 s25, 46
	s_mov_b64 s[6:7], 0
	s_cbranch_scc0 .LBB238_149
; %bb.17:
	global_load_dword v3, v[1:2], off
	s_mov_b64 s[0:1], -1
	s_mov_b64 s[18:19], 0
	s_waitcnt vmcnt(0)
	v_lshlrev_b32_e32 v3, 16, v3
	v_cvt_i32_f32_e32 v3, v3
	s_branch .LBB238_151
.LBB238_18:
	s_mov_b64 s[0:1], 0
                                        ; implicit-def: $vgpr0
	s_cbranch_execnz .LBB238_68
	s_branch .LBB238_100
.LBB238_19:
	s_mov_b64 s[18:19], 0
                                        ; implicit-def: $vgpr3
	s_mov_b64 s[0:1], 0
	s_cbranch_execnz .LBB238_324
.LBB238_20:
	s_andn2_b64 vcc, exec, s[0:1]
	s_cbranch_vccnz .LBB238_372
.LBB238_21:
	v_mul_lo_u32 v2, v14, s12
	v_ashrrev_i16_e32 v1, 15, v0
	s_waitcnt vmcnt(0)
	v_ashrrev_i32_sdwa v0, v3, sext(v0) dst_sel:DWORD dst_unused:UNUSED_PAD src0_sel:WORD_0 src1_sel:WORD_0
	v_cmp_lt_u16_e32 vcc, 14, v3
	v_cndmask_b32_e32 v4, v0, v1, vcc
	v_ashrrev_i32_e32 v1, 31, v2
	v_mov_b32_e32 v3, s9
	s_and_b32 s30, s33, 0xff
	v_add_co_u32_e32 v0, vcc, s8, v2
	s_cmp_lt_i32 s30, 11
	v_addc_co_u32_e32 v1, vcc, v3, v1, vcc
	s_cbranch_scc1 .LBB238_30
; %bb.22:
	s_and_b32 s31, 0xffff, s30
	s_cmp_gt_i32 s31, 25
	s_cbranch_scc0 .LBB238_33
; %bb.23:
	s_cmp_gt_i32 s31, 28
	s_cbranch_scc0 .LBB238_36
; %bb.24:
	;; [unrolled: 3-line block ×4, first 2 shown]
	s_mov_b64 s[24:25], 0
	s_mov_b64 s[0:1], -1
	s_cmp_eq_u32 s31, 46
	s_mov_b64 s[6:7], 0
	s_cbranch_scc0 .LBB238_155
; %bb.27:
	v_cvt_f32_i32_sdwa v2, sext(v4) dst_sel:DWORD dst_unused:UNUSED_PAD src0_sel:WORD_0
	s_movk_i32 s0, 0x7fff
	s_mov_b64 s[6:7], -1
	v_bfe_u32 v3, v2, 16, 1
	v_add3_u32 v2, v2, v3, s0
	v_lshrrev_b32_e32 v2, 16, v2
	global_store_dword v[0:1], v2, off
	s_mov_b64 s[0:1], 0
	s_branch .LBB238_155
.LBB238_28:
	s_mov_b64 s[6:7], -1
	s_mov_b64 s[0:1], 0
                                        ; implicit-def: $vgpr0
	s_branch .LBB238_51
.LBB238_29:
	s_mov_b64 s[6:7], -1
	s_mov_b64 s[18:19], 0
	s_mov_b64 s[0:1], 0
                                        ; implicit-def: $vgpr3
	s_branch .LBB238_290
.LBB238_30:
	s_mov_b64 s[24:25], -1
	s_mov_b64 s[0:1], 0
	s_mov_b64 s[6:7], 0
	s_branch .LBB238_224
.LBB238_31:
	s_mov_b64 s[6:7], -1
	s_mov_b64 s[0:1], 0
                                        ; implicit-def: $vgpr0
	s_branch .LBB238_46
.LBB238_32:
	s_mov_b64 s[6:7], -1
	s_mov_b64 s[18:19], 0
	s_mov_b64 s[0:1], 0
                                        ; implicit-def: $vgpr3
	s_branch .LBB238_273
.LBB238_33:
	s_mov_b64 s[24:25], -1
	s_mov_b64 s[0:1], 0
	s_mov_b64 s[6:7], 0
	s_branch .LBB238_182
.LBB238_34:
	s_mov_b64 s[6:7], -1
	s_branch .LBB238_38
.LBB238_35:
	s_mov_b64 s[6:7], -1
	s_mov_b64 s[18:19], 0
	s_mov_b64 s[0:1], 0
                                        ; implicit-def: $vgpr3
	s_branch .LBB238_268
.LBB238_36:
	s_mov_b64 s[24:25], -1
	s_mov_b64 s[0:1], 0
	s_mov_b64 s[6:7], 0
	s_branch .LBB238_165
.LBB238_37:
	s_mov_b64 s[20:21], -1
.LBB238_38:
	s_mov_b64 s[0:1], 0
                                        ; implicit-def: $vgpr0
.LBB238_39:
	s_and_b64 vcc, exec, s[6:7]
	s_cbranch_vccz .LBB238_45
; %bb.40:
	s_cmp_eq_u32 s19, 44
	s_cbranch_scc0 .LBB238_44
; %bb.41:
	global_load_ubyte v0, v[2:3], off
	s_mov_b64 s[0:1], -1
	s_mov_b64 s[20:21], 0
	s_waitcnt vmcnt(0)
	v_lshlrev_b32_e32 v1, 23, v0
	v_cvt_i32_f32_e32 v1, v1
	v_cmp_ne_u32_e32 vcc, 0, v0
	v_cndmask_b32_e32 v0, 0, v1, vcc
	s_branch .LBB238_45
.LBB238_42:
	s_mov_b64 s[6:7], -1
	s_mov_b64 s[18:19], 0
	s_branch .LBB238_150
.LBB238_43:
	s_mov_b64 s[24:25], -1
	s_mov_b64 s[0:1], 0
	s_mov_b64 s[6:7], 0
	s_branch .LBB238_161
.LBB238_44:
	s_mov_b64 s[20:21], -1
                                        ; implicit-def: $vgpr0
.LBB238_45:
	s_mov_b64 s[6:7], 0
.LBB238_46:
	s_and_b64 vcc, exec, s[6:7]
	s_cbranch_vccz .LBB238_50
; %bb.47:
	s_cmp_eq_u32 s19, 29
	s_cbranch_scc0 .LBB238_49
; %bb.48:
	global_load_dwordx2 v[0:1], v[2:3], off
	s_mov_b64 s[0:1], -1
	s_mov_b64 s[20:21], 0
	s_branch .LBB238_50
.LBB238_49:
	s_mov_b64 s[20:21], -1
                                        ; implicit-def: $vgpr0
.LBB238_50:
	s_mov_b64 s[6:7], 0
.LBB238_51:
	s_and_b64 vcc, exec, s[6:7]
	s_cbranch_vccz .LBB238_67
; %bb.52:
	s_cmp_lt_i32 s19, 27
	s_cbranch_scc1 .LBB238_55
; %bb.53:
	s_cmp_gt_i32 s19, 27
	s_cbranch_scc0 .LBB238_56
; %bb.54:
	global_load_dword v0, v[2:3], off
	s_mov_b64 s[0:1], 0
	s_branch .LBB238_57
.LBB238_55:
	s_mov_b64 s[0:1], -1
                                        ; implicit-def: $vgpr0
	s_branch .LBB238_60
.LBB238_56:
	s_mov_b64 s[0:1], -1
                                        ; implicit-def: $vgpr0
.LBB238_57:
	s_andn2_b64 vcc, exec, s[0:1]
	s_cbranch_vccnz .LBB238_59
; %bb.58:
	global_load_ushort v0, v[2:3], off
.LBB238_59:
	s_mov_b64 s[0:1], 0
.LBB238_60:
	s_andn2_b64 vcc, exec, s[0:1]
	s_cbranch_vccnz .LBB238_66
; %bb.61:
	global_load_ubyte v1, v[2:3], off
	s_movk_i32 s0, 0x7f
	s_mov_b64 s[6:7], 0
	s_waitcnt vmcnt(0)
	v_cmp_lt_i16_e32 vcc, s0, v1
	s_and_saveexec_b64 s[0:1], vcc
	s_xor_b64 s[0:1], exec, s[0:1]
	s_cbranch_execz .LBB238_77
; %bb.62:
	s_movk_i32 s6, 0x80
	v_cmp_ne_u16_e32 vcc, s6, v1
	s_and_b64 s[6:7], vcc, exec
	s_andn2_saveexec_b64 s[0:1], s[0:1]
	s_cbranch_execnz .LBB238_78
.LBB238_63:
	s_or_b64 exec, exec, s[0:1]
	v_mov_b32_e32 v0, 0
	s_and_saveexec_b64 s[0:1], s[6:7]
	s_cbranch_execz .LBB238_65
.LBB238_64:
	v_lshlrev_b32_e32 v0, 24, v1
	v_and_b32_e32 v1, 0xffff, v1
	v_and_b32_e32 v4, 7, v1
	v_ffbh_u32_e32 v6, v4
	v_min_u32_e32 v6, 32, v6
	v_subrev_u32_e32 v7, 28, v6
	v_bfe_u32 v5, v1, 3, 4
	v_lshlrev_b32_e32 v1, v7, v1
	v_sub_u32_e32 v6, 29, v6
	v_and_b32_e32 v1, 7, v1
	v_cmp_eq_u32_e32 vcc, 0, v5
	v_cndmask_b32_e32 v5, v5, v6, vcc
	v_cndmask_b32_e32 v1, v4, v1, vcc
	v_mov_b32_e32 v4, 0x3b800000
	v_lshlrev_b32_e32 v1, 20, v1
	v_and_b32_e32 v0, 0x80000000, v0
	v_lshl_add_u32 v4, v5, 23, v4
	v_or3_b32 v0, v0, v4, v1
	v_cvt_i32_f32_e32 v0, v0
.LBB238_65:
	s_or_b64 exec, exec, s[0:1]
.LBB238_66:
	s_mov_b64 s[0:1], -1
.LBB238_67:
	s_branch .LBB238_100
.LBB238_68:
	s_cmp_gt_i32 s19, 22
	s_cbranch_scc0 .LBB238_76
; %bb.69:
	s_cmp_lt_i32 s19, 24
	s_cbranch_scc1 .LBB238_79
; %bb.70:
	s_cmp_gt_i32 s19, 24
	s_cbranch_scc0 .LBB238_80
; %bb.71:
	global_load_ubyte v1, v[2:3], off
	s_movk_i32 s0, 0x7f
	s_mov_b64 s[6:7], 0
	s_waitcnt vmcnt(0)
	v_cmp_lt_i16_e32 vcc, s0, v1
	s_and_saveexec_b64 s[0:1], vcc
	s_xor_b64 s[0:1], exec, s[0:1]
	s_cbranch_execz .LBB238_92
; %bb.72:
	s_movk_i32 s6, 0x80
	v_cmp_ne_u16_e32 vcc, s6, v1
	s_and_b64 s[6:7], vcc, exec
	s_andn2_saveexec_b64 s[0:1], s[0:1]
	s_cbranch_execnz .LBB238_93
.LBB238_73:
	s_or_b64 exec, exec, s[0:1]
	v_mov_b32_e32 v0, 0
	s_and_saveexec_b64 s[0:1], s[6:7]
	s_cbranch_execz .LBB238_75
.LBB238_74:
	v_lshlrev_b32_e32 v0, 24, v1
	v_and_b32_e32 v1, 0xffff, v1
	v_and_b32_e32 v4, 3, v1
	v_ffbh_u32_e32 v6, v4
	v_min_u32_e32 v6, 32, v6
	v_subrev_u32_e32 v7, 29, v6
	v_bfe_u32 v5, v1, 2, 5
	v_lshlrev_b32_e32 v1, v7, v1
	v_sub_u32_e32 v6, 30, v6
	v_and_b32_e32 v1, 3, v1
	v_cmp_eq_u32_e32 vcc, 0, v5
	v_cndmask_b32_e32 v5, v5, v6, vcc
	v_cndmask_b32_e32 v1, v4, v1, vcc
	v_mov_b32_e32 v4, 0x37800000
	v_lshlrev_b32_e32 v1, 21, v1
	v_and_b32_e32 v0, 0x80000000, v0
	v_lshl_add_u32 v4, v5, 23, v4
	v_or3_b32 v0, v0, v4, v1
	v_cvt_i32_f32_e32 v0, v0
.LBB238_75:
	s_or_b64 exec, exec, s[0:1]
	s_mov_b64 s[0:1], 0
	s_branch .LBB238_81
.LBB238_76:
	s_mov_b64 s[6:7], -1
                                        ; implicit-def: $vgpr0
	s_branch .LBB238_87
.LBB238_77:
	s_andn2_saveexec_b64 s[0:1], s[0:1]
	s_cbranch_execz .LBB238_63
.LBB238_78:
	v_cmp_ne_u16_e32 vcc, 0, v1
	s_andn2_b64 s[6:7], s[6:7], exec
	s_and_b64 s[24:25], vcc, exec
	s_or_b64 s[6:7], s[6:7], s[24:25]
	s_or_b64 exec, exec, s[0:1]
	v_mov_b32_e32 v0, 0
	s_and_saveexec_b64 s[0:1], s[6:7]
	s_cbranch_execnz .LBB238_64
	s_branch .LBB238_65
.LBB238_79:
	s_mov_b64 s[0:1], -1
                                        ; implicit-def: $vgpr0
	s_branch .LBB238_84
.LBB238_80:
	s_mov_b64 s[0:1], -1
                                        ; implicit-def: $vgpr0
.LBB238_81:
	s_and_b64 vcc, exec, s[0:1]
	s_cbranch_vccz .LBB238_83
; %bb.82:
	global_load_ubyte v0, v[2:3], off
	s_mov_b32 s0, 0x7f800000
	s_waitcnt vmcnt(0)
	v_lshlrev_b32_e32 v0, 24, v0
	v_and_b32_e32 v1, 0x7f000000, v0
	v_ffbh_u32_e32 v4, v1
	v_min_u32_e32 v4, 32, v4
	v_sub_u32_e64 v4, v4, 4 clamp
	v_lshlrev_b32_e32 v6, v4, v1
	v_lshlrev_b32_e32 v4, 23, v4
	v_lshrrev_b32_e32 v6, 4, v6
	v_add_u32_e32 v5, 0x1000000, v1
	v_sub_u32_e32 v4, v6, v4
	v_ashrrev_i32_e32 v5, 8, v5
	v_add_u32_e32 v4, 0x3c000000, v4
	v_and_or_b32 v4, v5, s0, v4
	v_cmp_ne_u32_e32 vcc, 0, v1
	v_cndmask_b32_e32 v1, 0, v4, vcc
	s_brev_b32 s0, 1
	v_and_or_b32 v0, v0, s0, v1
	v_cvt_i32_f32_e32 v0, v0
.LBB238_83:
	s_mov_b64 s[0:1], 0
.LBB238_84:
	s_andn2_b64 vcc, exec, s[0:1]
	s_cbranch_vccnz .LBB238_86
; %bb.85:
	global_load_ubyte v0, v[2:3], off
	s_movk_i32 s0, 0x7f00
	s_brev_b32 s1, 16
	s_waitcnt vmcnt(0)
	v_lshlrev_b16_e32 v1, 8, v0
	v_lshlrev_b32_e32 v0, 25, v0
	v_lshrrev_b32_e32 v4, 4, v0
	v_and_or_b32 v5, v1, s0, 0.5
	v_or_b32_e32 v4, 0x70000000, v4
	v_add_f32_e32 v5, -0.5, v5
	v_mul_f32_e32 v4, 0x7800000, v4
	v_cmp_gt_u32_e32 vcc, s1, v0
	v_bfe_i32 v1, v1, 0, 16
	v_cndmask_b32_e32 v0, v4, v5, vcc
	s_brev_b32 s0, 1
	v_and_or_b32 v0, v1, s0, v0
	v_cvt_i32_f32_e32 v0, v0
.LBB238_86:
	s_mov_b64 s[6:7], 0
	s_mov_b64 s[0:1], -1
.LBB238_87:
	s_andn2_b64 vcc, exec, s[6:7]
	s_cbranch_vccnz .LBB238_100
; %bb.88:
	s_cmp_gt_i32 s19, 14
	s_cbranch_scc0 .LBB238_91
; %bb.89:
	s_cmp_eq_u32 s19, 15
	s_cbranch_scc0 .LBB238_94
; %bb.90:
	global_load_ushort v0, v[2:3], off
	s_mov_b64 s[0:1], -1
	s_mov_b64 s[20:21], 0
	s_waitcnt vmcnt(0)
	v_lshlrev_b32_e32 v0, 16, v0
	v_cvt_i32_f32_e32 v0, v0
	s_branch .LBB238_95
.LBB238_91:
	s_mov_b64 s[6:7], -1
                                        ; implicit-def: $vgpr0
	s_branch .LBB238_96
.LBB238_92:
	s_andn2_saveexec_b64 s[0:1], s[0:1]
	s_cbranch_execz .LBB238_73
.LBB238_93:
	v_cmp_ne_u16_e32 vcc, 0, v1
	s_andn2_b64 s[6:7], s[6:7], exec
	s_and_b64 s[24:25], vcc, exec
	s_or_b64 s[6:7], s[6:7], s[24:25]
	s_or_b64 exec, exec, s[0:1]
	v_mov_b32_e32 v0, 0
	s_and_saveexec_b64 s[0:1], s[6:7]
	s_cbranch_execnz .LBB238_74
	s_branch .LBB238_75
.LBB238_94:
	s_mov_b64 s[20:21], -1
                                        ; implicit-def: $vgpr0
.LBB238_95:
	s_mov_b64 s[6:7], 0
.LBB238_96:
	s_and_b64 vcc, exec, s[6:7]
	s_cbranch_vccz .LBB238_100
; %bb.97:
	s_cmp_eq_u32 s19, 11
	s_cbranch_scc0 .LBB238_99
; %bb.98:
	global_load_ubyte v0, v[2:3], off
	s_mov_b64 s[0:1], -1
	s_mov_b64 s[20:21], 0
	s_waitcnt vmcnt(0)
	v_cmp_ne_u16_e32 vcc, 0, v0
	v_cndmask_b32_e64 v0, 0, 1, vcc
	s_branch .LBB238_100
.LBB238_99:
	s_mov_b64 s[20:21], -1
                                        ; implicit-def: $vgpr0
.LBB238_100:
	s_branch .LBB238_10
.LBB238_101:
	s_and_b32 s6, 0xffff, s18
	s_cmp_lt_i32 s6, 5
	s_cbranch_scc1 .LBB238_106
; %bb.102:
	s_cmp_lt_i32 s6, 8
	s_cbranch_scc1 .LBB238_107
; %bb.103:
	;; [unrolled: 3-line block ×3, first 2 shown]
	s_cmp_gt_i32 s6, 9
	s_cbranch_scc0 .LBB238_109
; %bb.105:
	global_load_dwordx2 v[0:1], v[2:3], off
	s_mov_b64 s[0:1], 0
	s_waitcnt vmcnt(0)
	v_cvt_i32_f64_e32 v0, v[0:1]
	s_branch .LBB238_110
.LBB238_106:
                                        ; implicit-def: $vgpr0
	s_branch .LBB238_128
.LBB238_107:
	s_mov_b64 s[0:1], -1
                                        ; implicit-def: $vgpr0
	s_branch .LBB238_116
.LBB238_108:
	s_mov_b64 s[0:1], -1
                                        ; implicit-def: $vgpr0
	s_branch .LBB238_113
.LBB238_109:
	s_mov_b64 s[0:1], -1
                                        ; implicit-def: $vgpr0
.LBB238_110:
	s_andn2_b64 vcc, exec, s[0:1]
	s_cbranch_vccnz .LBB238_112
; %bb.111:
	global_load_dword v0, v[2:3], off
	s_waitcnt vmcnt(0)
	v_cvt_i32_f32_e32 v0, v0
.LBB238_112:
	s_mov_b64 s[0:1], 0
.LBB238_113:
	s_andn2_b64 vcc, exec, s[0:1]
	s_cbranch_vccnz .LBB238_115
; %bb.114:
	global_load_dword v0, v[2:3], off
	s_waitcnt vmcnt(0)
	v_cvt_i16_f16_e32 v0, v0
.LBB238_115:
	s_mov_b64 s[0:1], 0
.LBB238_116:
	s_andn2_b64 vcc, exec, s[0:1]
	s_cbranch_vccnz .LBB238_127
; %bb.117:
	s_cmp_lt_i32 s6, 6
	s_cbranch_scc1 .LBB238_120
; %bb.118:
	s_cmp_gt_i32 s6, 6
	s_cbranch_scc0 .LBB238_121
; %bb.119:
	global_load_dwordx2 v[0:1], v[2:3], off
	s_mov_b64 s[0:1], 0
	s_waitcnt vmcnt(0)
	v_cvt_i32_f64_e32 v0, v[0:1]
	s_branch .LBB238_122
.LBB238_120:
	s_mov_b64 s[0:1], -1
                                        ; implicit-def: $vgpr0
	s_branch .LBB238_125
.LBB238_121:
	s_mov_b64 s[0:1], -1
                                        ; implicit-def: $vgpr0
.LBB238_122:
	s_andn2_b64 vcc, exec, s[0:1]
	s_cbranch_vccnz .LBB238_124
; %bb.123:
	global_load_dword v0, v[2:3], off
	s_waitcnt vmcnt(0)
	v_cvt_i32_f32_e32 v0, v0
.LBB238_124:
	s_mov_b64 s[0:1], 0
.LBB238_125:
	s_andn2_b64 vcc, exec, s[0:1]
	s_cbranch_vccnz .LBB238_127
; %bb.126:
	global_load_ushort v0, v[2:3], off
	s_waitcnt vmcnt(0)
	v_cvt_i16_f16_e32 v0, v0
.LBB238_127:
	s_cbranch_execnz .LBB238_147
.LBB238_128:
	s_cmp_lt_i32 s6, 2
	s_cbranch_scc1 .LBB238_132
; %bb.129:
	s_cmp_lt_i32 s6, 3
	s_cbranch_scc1 .LBB238_133
; %bb.130:
	s_cmp_gt_i32 s6, 3
	s_cbranch_scc0 .LBB238_134
; %bb.131:
	global_load_dwordx2 v[0:1], v[2:3], off
	s_mov_b64 s[0:1], 0
	s_branch .LBB238_135
.LBB238_132:
	s_mov_b64 s[0:1], -1
                                        ; implicit-def: $vgpr0
	s_branch .LBB238_141
.LBB238_133:
	s_mov_b64 s[0:1], -1
                                        ; implicit-def: $vgpr0
	s_branch .LBB238_138
.LBB238_134:
	s_mov_b64 s[0:1], -1
                                        ; implicit-def: $vgpr0
.LBB238_135:
	s_andn2_b64 vcc, exec, s[0:1]
	s_cbranch_vccnz .LBB238_137
; %bb.136:
	global_load_dword v0, v[2:3], off
.LBB238_137:
	s_mov_b64 s[0:1], 0
.LBB238_138:
	s_andn2_b64 vcc, exec, s[0:1]
	s_cbranch_vccnz .LBB238_140
; %bb.139:
	global_load_ushort v0, v[2:3], off
.LBB238_140:
	s_mov_b64 s[0:1], 0
.LBB238_141:
	s_andn2_b64 vcc, exec, s[0:1]
	s_cbranch_vccnz .LBB238_147
; %bb.142:
	s_cmp_gt_i32 s6, 0
	s_cbranch_scc0 .LBB238_144
; %bb.143:
	global_load_sbyte v0, v[2:3], off
	s_mov_b64 s[0:1], 0
	s_branch .LBB238_145
.LBB238_144:
	s_mov_b64 s[0:1], -1
                                        ; implicit-def: $vgpr0
.LBB238_145:
	s_andn2_b64 vcc, exec, s[0:1]
	s_cbranch_vccnz .LBB238_147
; %bb.146:
	global_load_ubyte v0, v[2:3], off
.LBB238_147:
	s_branch .LBB238_11
.LBB238_148:
	s_mov_b64 s[0:1], 0
	s_mov_b64 s[18:19], 0
	s_branch .LBB238_373
.LBB238_149:
	s_mov_b64 s[18:19], -1
.LBB238_150:
	s_mov_b64 s[0:1], 0
                                        ; implicit-def: $vgpr3
.LBB238_151:
	s_and_b64 vcc, exec, s[6:7]
	s_cbranch_vccz .LBB238_267
; %bb.152:
	s_cmp_eq_u32 s25, 44
	s_cbranch_scc0 .LBB238_266
; %bb.153:
	global_load_ubyte v3, v[1:2], off
	s_mov_b64 s[0:1], -1
	s_mov_b64 s[18:19], 0
	s_waitcnt vmcnt(0)
	v_lshlrev_b32_e32 v4, 23, v3
	v_cvt_i32_f32_e32 v4, v4
	v_cmp_ne_u32_e32 vcc, 0, v3
	v_cndmask_b32_e32 v3, 0, v4, vcc
	s_branch .LBB238_267
.LBB238_154:
	s_mov_b64 s[24:25], -1
	s_mov_b64 s[0:1], 0
	s_mov_b64 s[6:7], 0
.LBB238_155:
	s_and_b64 vcc, exec, s[24:25]
	s_cbranch_vccz .LBB238_160
; %bb.156:
	s_cmp_eq_u32 s31, 44
	s_mov_b64 s[0:1], -1
	s_cbranch_scc0 .LBB238_160
; %bb.157:
	v_cvt_f32_i32_sdwa v2, sext(v4) dst_sel:DWORD dst_unused:UNUSED_PAD src0_sel:WORD_0
	s_movk_i32 s0, 0xff
	v_mov_b32_e32 v5, 0xff
	v_bfe_u32 v3, v2, 23, 8
	v_cmp_ne_u32_e32 vcc, s0, v3
	s_and_saveexec_b64 s[6:7], vcc
; %bb.158:
	s_mov_b32 s0, 0x3fffff
	v_lshrrev_b32_e32 v5, 23, v2
	v_and_b32_e32 v6, 0x400000, v2
	v_and_or_b32 v2, v2, s0, v3
	v_cmp_ne_u32_e32 vcc, 0, v6
	v_cmp_ne_u32_e64 s[0:1], 0, v2
	s_and_b64 s[0:1], vcc, s[0:1]
	v_cndmask_b32_e64 v2, 0, 1, s[0:1]
	v_add_u32_e32 v5, v5, v2
; %bb.159:
	s_or_b64 exec, exec, s[6:7]
	s_mov_b64 s[6:7], -1
	s_mov_b64 s[0:1], 0
	global_store_byte v[0:1], v5, off
.LBB238_160:
	s_mov_b64 s[24:25], 0
.LBB238_161:
	s_and_b64 vcc, exec, s[24:25]
	s_cbranch_vccz .LBB238_164
; %bb.162:
	s_cmp_eq_u32 s31, 29
	s_mov_b64 s[0:1], -1
	s_cbranch_scc0 .LBB238_164
; %bb.163:
	v_bfe_i32 v2, v4, 0, 16
	v_ashrrev_i32_e32 v3, 31, v2
	global_store_dwordx2 v[0:1], v[2:3], off
	s_mov_b64 s[6:7], -1
	s_mov_b64 s[0:1], 0
.LBB238_164:
	s_mov_b64 s[24:25], 0
.LBB238_165:
	s_and_b64 vcc, exec, s[24:25]
	s_cbranch_vccz .LBB238_181
; %bb.166:
	s_cmp_lt_i32 s31, 27
	s_mov_b64 s[6:7], -1
	s_cbranch_scc1 .LBB238_172
; %bb.167:
	s_cmp_gt_i32 s31, 27
	s_cbranch_scc0 .LBB238_169
; %bb.168:
	v_bfe_i32 v2, v4, 0, 16
	s_mov_b64 s[6:7], 0
	global_store_dword v[0:1], v2, off
.LBB238_169:
	s_andn2_b64 vcc, exec, s[6:7]
	s_cbranch_vccnz .LBB238_171
; %bb.170:
	global_store_short v[0:1], v4, off
.LBB238_171:
	s_mov_b64 s[6:7], 0
.LBB238_172:
	s_andn2_b64 vcc, exec, s[6:7]
	s_cbranch_vccnz .LBB238_180
; %bb.173:
	v_cvt_f32_i32_sdwa v2, sext(v4) dst_sel:DWORD dst_unused:UNUSED_PAD src0_sel:WORD_0
	s_mov_b32 s6, 0x43800000
	v_mov_b32_e32 v5, 0x80
	v_and_b32_e32 v3, 0x7fffffff, v2
	v_cmp_gt_u32_e32 vcc, s6, v3
	s_and_saveexec_b64 s[6:7], vcc
	s_cbranch_execz .LBB238_179
; %bb.174:
	s_mov_b32 s24, 0x3bffffff
	v_cmp_lt_u32_e32 vcc, s24, v3
	s_mov_b64 s[24:25], 0
                                        ; implicit-def: $vgpr3
	s_and_saveexec_b64 s[28:29], vcc
	s_xor_b64 s[28:29], exec, s[28:29]
	s_cbranch_execz .LBB238_404
; %bb.175:
	v_bfe_u32 v3, v2, 20, 1
	s_mov_b32 s34, 0x487ffff
	v_add3_u32 v3, v2, v3, s34
	s_mov_b64 s[24:25], exec
	v_lshrrev_b32_e32 v3, 20, v3
	s_andn2_saveexec_b64 s[28:29], s[28:29]
	s_cbranch_execnz .LBB238_405
.LBB238_176:
	s_or_b64 exec, exec, s[28:29]
	v_mov_b32_e32 v5, 0
	s_and_saveexec_b64 s[28:29], s[24:25]
.LBB238_177:
	v_lshrrev_b32_e32 v2, 24, v2
	s_movk_i32 s24, 0x80
	v_and_or_b32 v5, v2, s24, v3
.LBB238_178:
	s_or_b64 exec, exec, s[28:29]
.LBB238_179:
	s_or_b64 exec, exec, s[6:7]
	global_store_byte v[0:1], v5, off
.LBB238_180:
	s_mov_b64 s[6:7], -1
.LBB238_181:
	s_mov_b64 s[24:25], 0
.LBB238_182:
	s_and_b64 vcc, exec, s[24:25]
	s_cbranch_vccz .LBB238_223
; %bb.183:
	s_cmp_gt_i32 s31, 22
	s_mov_b64 s[24:25], -1
	s_cbranch_scc0 .LBB238_215
; %bb.184:
	s_cmp_lt_i32 s31, 24
	s_mov_b64 s[6:7], -1
	s_cbranch_scc1 .LBB238_204
; %bb.185:
	s_cmp_gt_i32 s31, 24
	s_cbranch_scc0 .LBB238_193
; %bb.186:
	v_cvt_f32_i32_sdwa v2, sext(v4) dst_sel:DWORD dst_unused:UNUSED_PAD src0_sel:WORD_0
	s_mov_b32 s6, 0x47800000
	v_mov_b32_e32 v5, 0x80
	v_and_b32_e32 v3, 0x7fffffff, v2
	v_cmp_gt_u32_e32 vcc, s6, v3
	s_and_saveexec_b64 s[6:7], vcc
	s_cbranch_execz .LBB238_192
; %bb.187:
	s_mov_b32 s24, 0x37ffffff
	v_cmp_lt_u32_e32 vcc, s24, v3
	s_mov_b64 s[24:25], 0
                                        ; implicit-def: $vgpr3
	s_and_saveexec_b64 s[28:29], vcc
	s_xor_b64 s[28:29], exec, s[28:29]
	s_cbranch_execz .LBB238_519
; %bb.188:
	v_bfe_u32 v3, v2, 21, 1
	s_mov_b32 s34, 0x88fffff
	v_add3_u32 v3, v2, v3, s34
	s_mov_b64 s[24:25], exec
	v_lshrrev_b32_e32 v3, 21, v3
	s_andn2_saveexec_b64 s[28:29], s[28:29]
	s_cbranch_execnz .LBB238_520
.LBB238_189:
	s_or_b64 exec, exec, s[28:29]
	v_mov_b32_e32 v5, 0
	s_and_saveexec_b64 s[28:29], s[24:25]
.LBB238_190:
	v_lshrrev_b32_e32 v2, 24, v2
	s_movk_i32 s24, 0x80
	v_and_or_b32 v5, v2, s24, v3
.LBB238_191:
	s_or_b64 exec, exec, s[28:29]
.LBB238_192:
	s_or_b64 exec, exec, s[6:7]
	s_mov_b64 s[6:7], 0
	global_store_byte v[0:1], v5, off
.LBB238_193:
	s_and_b64 vcc, exec, s[6:7]
	s_cbranch_vccz .LBB238_203
; %bb.194:
	v_cvt_f32_i32_sdwa v2, sext(v4) dst_sel:DWORD dst_unused:UNUSED_PAD src0_sel:WORD_0
	s_mov_b32 s6, 0x43f00000
                                        ; implicit-def: $vgpr3
	v_and_b32_e32 v5, 0x7fffffff, v2
	v_cmp_gt_u32_e32 vcc, s6, v5
	s_and_saveexec_b64 s[6:7], vcc
	s_xor_b64 s[6:7], exec, s[6:7]
	s_cbranch_execz .LBB238_200
; %bb.195:
	s_mov_b32 s24, 0x3c7fffff
	v_cmp_lt_u32_e32 vcc, s24, v5
                                        ; implicit-def: $vgpr3
	s_and_saveexec_b64 s[24:25], vcc
	s_xor_b64 s[24:25], exec, s[24:25]
; %bb.196:
	v_bfe_u32 v3, v2, 20, 1
	s_mov_b32 s28, 0x407ffff
	v_add3_u32 v3, v2, v3, s28
	v_lshrrev_b32_e32 v5, 20, v3
	v_and_b32_e32 v3, 0xff00000, v3
	s_mov_b32 s28, 0x7f00000
	v_mov_b32_e32 v6, 0x7e
	v_cmp_ne_u32_e32 vcc, s28, v3
	v_cndmask_b32_e32 v3, v6, v5, vcc
; %bb.197:
	s_andn2_saveexec_b64 s[24:25], s[24:25]
; %bb.198:
	s_mov_b32 s28, 0x46800000
	v_add_f32_e64 v3, |v2|, s28
; %bb.199:
	s_or_b64 exec, exec, s[24:25]
                                        ; implicit-def: $vgpr5
.LBB238_200:
	s_andn2_saveexec_b64 s[6:7], s[6:7]
; %bb.201:
	s_mov_b32 s24, 0x7f800000
	v_mov_b32_e32 v3, 0x7e
	v_mov_b32_e32 v6, 0x7f
	v_cmp_lt_u32_e32 vcc, s24, v5
	v_cndmask_b32_e32 v3, v3, v6, vcc
; %bb.202:
	s_or_b64 exec, exec, s[6:7]
	v_lshrrev_b32_e32 v2, 24, v2
	s_movk_i32 s6, 0x80
	v_and_or_b32 v2, v2, s6, v3
	global_store_byte v[0:1], v2, off
.LBB238_203:
	s_mov_b64 s[6:7], 0
.LBB238_204:
	s_andn2_b64 vcc, exec, s[6:7]
	s_cbranch_vccnz .LBB238_214
; %bb.205:
	v_cvt_f32_i32_sdwa v2, sext(v4) dst_sel:DWORD dst_unused:UNUSED_PAD src0_sel:WORD_0
	s_mov_b32 s6, 0x47800000
                                        ; implicit-def: $vgpr3
	v_and_b32_e32 v5, 0x7fffffff, v2
	v_cmp_gt_u32_e32 vcc, s6, v5
	s_and_saveexec_b64 s[6:7], vcc
	s_xor_b64 s[6:7], exec, s[6:7]
	s_cbranch_execz .LBB238_211
; %bb.206:
	s_mov_b32 s24, 0x387fffff
	v_cmp_lt_u32_e32 vcc, s24, v5
                                        ; implicit-def: $vgpr3
	s_and_saveexec_b64 s[24:25], vcc
	s_xor_b64 s[24:25], exec, s[24:25]
; %bb.207:
	v_bfe_u32 v3, v2, 21, 1
	s_mov_b32 s28, 0x80fffff
	v_add3_u32 v3, v2, v3, s28
	v_lshrrev_b32_e32 v3, 21, v3
; %bb.208:
	s_andn2_saveexec_b64 s[24:25], s[24:25]
; %bb.209:
	s_mov_b32 s28, 0x43000000
	v_add_f32_e64 v3, |v2|, s28
; %bb.210:
	s_or_b64 exec, exec, s[24:25]
                                        ; implicit-def: $vgpr5
.LBB238_211:
	s_andn2_saveexec_b64 s[6:7], s[6:7]
; %bb.212:
	s_mov_b32 s24, 0x7f800000
	v_mov_b32_e32 v3, 0x7c
	v_mov_b32_e32 v6, 0x7f
	v_cmp_lt_u32_e32 vcc, s24, v5
	v_cndmask_b32_e32 v3, v3, v6, vcc
; %bb.213:
	s_or_b64 exec, exec, s[6:7]
	v_lshrrev_b32_e32 v2, 24, v2
	s_movk_i32 s6, 0x80
	v_and_or_b32 v2, v2, s6, v3
	global_store_byte v[0:1], v2, off
.LBB238_214:
	s_mov_b64 s[24:25], 0
	s_mov_b64 s[6:7], -1
.LBB238_215:
	s_andn2_b64 vcc, exec, s[24:25]
	s_cbranch_vccnz .LBB238_223
; %bb.216:
	s_cmp_gt_i32 s31, 14
	s_mov_b64 s[24:25], -1
	s_cbranch_scc0 .LBB238_220
; %bb.217:
	s_cmp_eq_u32 s31, 15
	s_mov_b64 s[0:1], -1
	s_cbranch_scc0 .LBB238_219
; %bb.218:
	v_cvt_f32_i32_sdwa v2, sext(v4) dst_sel:DWORD dst_unused:UNUSED_PAD src0_sel:WORD_0
	s_movk_i32 s0, 0x7fff
	s_mov_b64 s[6:7], -1
	v_bfe_u32 v3, v2, 16, 1
	v_add3_u32 v2, v2, v3, s0
	global_store_short_d16_hi v[0:1], v2, off
	s_mov_b64 s[0:1], 0
.LBB238_219:
	s_mov_b64 s[24:25], 0
.LBB238_220:
	s_and_b64 vcc, exec, s[24:25]
	s_cbranch_vccz .LBB238_223
; %bb.221:
	s_cmp_eq_u32 s31, 11
	s_mov_b64 s[0:1], -1
	s_cbranch_scc0 .LBB238_223
; %bb.222:
	v_cmp_ne_u16_e32 vcc, 0, v4
	v_cndmask_b32_e64 v2, 0, 1, vcc
	s_mov_b64 s[6:7], -1
	s_mov_b64 s[0:1], 0
	global_store_byte v[0:1], v2, off
.LBB238_223:
	s_mov_b64 s[24:25], 0
.LBB238_224:
	s_and_b64 vcc, exec, s[24:25]
	s_cbranch_vccz .LBB238_263
; %bb.225:
	s_and_b32 s24, 0xffff, s30
	s_cmp_lt_i32 s24, 5
	s_mov_b64 s[6:7], -1
	s_cbranch_scc1 .LBB238_246
; %bb.226:
	s_cmp_lt_i32 s24, 8
	s_cbranch_scc1 .LBB238_236
; %bb.227:
	s_cmp_lt_i32 s24, 9
	s_cbranch_scc1 .LBB238_233
; %bb.228:
	s_cmp_gt_i32 s24, 9
	s_cbranch_scc0 .LBB238_230
; %bb.229:
	v_bfe_i32 v2, v4, 0, 16
	v_cvt_f64_i32_e32 v[5:6], v2
	v_mov_b32_e32 v7, 0
	v_mov_b32_e32 v8, v7
	s_mov_b64 s[6:7], 0
	global_store_dwordx4 v[0:1], v[5:8], off
.LBB238_230:
	s_andn2_b64 vcc, exec, s[6:7]
	s_cbranch_vccnz .LBB238_232
; %bb.231:
	v_cvt_f32_i32_sdwa v2, sext(v4) dst_sel:DWORD dst_unused:UNUSED_PAD src0_sel:WORD_0
	v_mov_b32_e32 v3, 0
	global_store_dwordx2 v[0:1], v[2:3], off
.LBB238_232:
	s_mov_b64 s[6:7], 0
.LBB238_233:
	s_andn2_b64 vcc, exec, s[6:7]
	s_cbranch_vccnz .LBB238_235
; %bb.234:
	v_cvt_f16_i16_e32 v2, v4
	global_store_dword v[0:1], v2, off
.LBB238_235:
	s_mov_b64 s[6:7], 0
.LBB238_236:
	s_andn2_b64 vcc, exec, s[6:7]
	s_cbranch_vccnz .LBB238_245
; %bb.237:
	s_cmp_lt_i32 s24, 6
	s_mov_b64 s[6:7], -1
	s_cbranch_scc1 .LBB238_243
; %bb.238:
	s_cmp_gt_i32 s24, 6
	s_cbranch_scc0 .LBB238_240
; %bb.239:
	v_bfe_i32 v2, v4, 0, 16
	v_cvt_f64_i32_e32 v[2:3], v2
	s_mov_b64 s[6:7], 0
	global_store_dwordx2 v[0:1], v[2:3], off
.LBB238_240:
	s_andn2_b64 vcc, exec, s[6:7]
	s_cbranch_vccnz .LBB238_242
; %bb.241:
	v_cvt_f32_i32_sdwa v2, sext(v4) dst_sel:DWORD dst_unused:UNUSED_PAD src0_sel:WORD_0
	global_store_dword v[0:1], v2, off
.LBB238_242:
	s_mov_b64 s[6:7], 0
.LBB238_243:
	s_andn2_b64 vcc, exec, s[6:7]
	s_cbranch_vccnz .LBB238_245
; %bb.244:
	v_cvt_f16_i16_e32 v2, v4
	global_store_short v[0:1], v2, off
.LBB238_245:
	s_mov_b64 s[6:7], 0
.LBB238_246:
	s_andn2_b64 vcc, exec, s[6:7]
	s_cbranch_vccnz .LBB238_262
; %bb.247:
	s_cmp_lt_i32 s24, 2
	s_mov_b64 s[6:7], -1
	s_cbranch_scc1 .LBB238_257
; %bb.248:
	s_cmp_lt_i32 s24, 3
	s_cbranch_scc1 .LBB238_254
; %bb.249:
	s_cmp_gt_i32 s24, 3
	v_bfe_i32 v2, v4, 0, 16
	s_cbranch_scc0 .LBB238_251
; %bb.250:
	v_ashrrev_i32_e32 v3, 31, v2
	global_store_dwordx2 v[0:1], v[2:3], off
	s_mov_b64 s[6:7], 0
.LBB238_251:
	s_andn2_b64 vcc, exec, s[6:7]
	s_cbranch_vccnz .LBB238_253
; %bb.252:
	global_store_dword v[0:1], v2, off
.LBB238_253:
	s_mov_b64 s[6:7], 0
.LBB238_254:
	s_andn2_b64 vcc, exec, s[6:7]
	s_cbranch_vccnz .LBB238_256
; %bb.255:
	global_store_short v[0:1], v4, off
.LBB238_256:
	s_mov_b64 s[6:7], 0
.LBB238_257:
	s_andn2_b64 vcc, exec, s[6:7]
	s_cbranch_vccnz .LBB238_262
; %bb.258:
	s_cmp_gt_i32 s24, 0
	s_mov_b64 s[6:7], -1
	s_cbranch_scc0 .LBB238_260
; %bb.259:
	global_store_byte v[0:1], v4, off
	s_mov_b64 s[6:7], 0
.LBB238_260:
	s_andn2_b64 vcc, exec, s[6:7]
	s_cbranch_vccnz .LBB238_262
; %bb.261:
	global_store_byte v[0:1], v4, off
.LBB238_262:
	s_mov_b64 s[6:7], -1
.LBB238_263:
	s_andn2_b64 vcc, exec, s[6:7]
	s_cbranch_vccnz .LBB238_265
; %bb.264:
	v_add_u32_e32 v14, 0x80, v14
	s_mov_b64 s[24:25], -1
	s_branch .LBB238_374
.LBB238_265:
	s_mov_b64 s[24:25], 0
                                        ; implicit-def: $vgpr14
	s_branch .LBB238_374
.LBB238_266:
	s_mov_b64 s[18:19], -1
                                        ; implicit-def: $vgpr3
.LBB238_267:
	s_mov_b64 s[6:7], 0
.LBB238_268:
	s_and_b64 vcc, exec, s[6:7]
	s_cbranch_vccz .LBB238_272
; %bb.269:
	s_cmp_eq_u32 s25, 29
	s_cbranch_scc0 .LBB238_271
; %bb.270:
	global_load_dwordx2 v[3:4], v[1:2], off
	s_mov_b64 s[0:1], -1
	s_mov_b64 s[18:19], 0
	s_branch .LBB238_272
.LBB238_271:
	s_mov_b64 s[18:19], -1
                                        ; implicit-def: $vgpr3
.LBB238_272:
	s_mov_b64 s[6:7], 0
.LBB238_273:
	s_and_b64 vcc, exec, s[6:7]
	s_cbranch_vccz .LBB238_289
; %bb.274:
	s_cmp_lt_i32 s25, 27
	s_cbranch_scc1 .LBB238_277
; %bb.275:
	s_cmp_gt_i32 s25, 27
	s_cbranch_scc0 .LBB238_278
; %bb.276:
	global_load_dword v3, v[1:2], off
	s_mov_b64 s[0:1], 0
	s_branch .LBB238_279
.LBB238_277:
	s_mov_b64 s[0:1], -1
                                        ; implicit-def: $vgpr3
	s_branch .LBB238_282
.LBB238_278:
	s_mov_b64 s[0:1], -1
                                        ; implicit-def: $vgpr3
.LBB238_279:
	s_andn2_b64 vcc, exec, s[0:1]
	s_cbranch_vccnz .LBB238_281
; %bb.280:
	global_load_ushort v3, v[1:2], off
.LBB238_281:
	s_mov_b64 s[0:1], 0
.LBB238_282:
	s_andn2_b64 vcc, exec, s[0:1]
	s_cbranch_vccnz .LBB238_288
; %bb.283:
	global_load_ubyte v4, v[1:2], off
	s_movk_i32 s0, 0x7f
	s_mov_b64 s[6:7], 0
	s_waitcnt vmcnt(0)
	v_cmp_lt_i16_e32 vcc, s0, v4
	s_and_saveexec_b64 s[0:1], vcc
	s_xor_b64 s[0:1], exec, s[0:1]
	s_cbranch_execz .LBB238_300
; %bb.284:
	s_movk_i32 s6, 0x80
	v_cmp_ne_u16_e32 vcc, s6, v4
	s_and_b64 s[6:7], vcc, exec
	s_andn2_saveexec_b64 s[0:1], s[0:1]
	s_cbranch_execnz .LBB238_301
.LBB238_285:
	s_or_b64 exec, exec, s[0:1]
	v_mov_b32_e32 v3, 0
	s_and_saveexec_b64 s[0:1], s[6:7]
	s_cbranch_execz .LBB238_287
.LBB238_286:
	v_lshlrev_b32_e32 v3, 24, v4
	v_and_b32_e32 v4, 0xffff, v4
	v_and_b32_e32 v5, 7, v4
	v_ffbh_u32_e32 v7, v5
	v_min_u32_e32 v7, 32, v7
	v_subrev_u32_e32 v8, 28, v7
	v_bfe_u32 v6, v4, 3, 4
	v_lshlrev_b32_e32 v4, v8, v4
	v_sub_u32_e32 v7, 29, v7
	v_and_b32_e32 v4, 7, v4
	v_cmp_eq_u32_e32 vcc, 0, v6
	v_cndmask_b32_e32 v6, v6, v7, vcc
	v_cndmask_b32_e32 v4, v5, v4, vcc
	v_mov_b32_e32 v5, 0x3b800000
	v_lshlrev_b32_e32 v4, 20, v4
	v_and_b32_e32 v3, 0x80000000, v3
	v_lshl_add_u32 v5, v6, 23, v5
	v_or3_b32 v3, v3, v5, v4
	v_cvt_i32_f32_e32 v3, v3
.LBB238_287:
	s_or_b64 exec, exec, s[0:1]
.LBB238_288:
	s_mov_b64 s[0:1], -1
.LBB238_289:
	s_mov_b64 s[6:7], 0
.LBB238_290:
	s_and_b64 vcc, exec, s[6:7]
	s_cbranch_vccz .LBB238_323
; %bb.291:
	s_cmp_gt_i32 s25, 22
	s_cbranch_scc0 .LBB238_299
; %bb.292:
	s_cmp_lt_i32 s25, 24
	s_cbranch_scc1 .LBB238_302
; %bb.293:
	s_cmp_gt_i32 s25, 24
	s_cbranch_scc0 .LBB238_303
; %bb.294:
	global_load_ubyte v4, v[1:2], off
	s_movk_i32 s0, 0x7f
	s_mov_b64 s[6:7], 0
	s_waitcnt vmcnt(0)
	v_cmp_lt_i16_e32 vcc, s0, v4
	s_and_saveexec_b64 s[0:1], vcc
	s_xor_b64 s[0:1], exec, s[0:1]
	s_cbranch_execz .LBB238_315
; %bb.295:
	s_movk_i32 s6, 0x80
	v_cmp_ne_u16_e32 vcc, s6, v4
	s_and_b64 s[6:7], vcc, exec
	s_andn2_saveexec_b64 s[0:1], s[0:1]
	s_cbranch_execnz .LBB238_316
.LBB238_296:
	s_or_b64 exec, exec, s[0:1]
	v_mov_b32_e32 v3, 0
	s_and_saveexec_b64 s[0:1], s[6:7]
	s_cbranch_execz .LBB238_298
.LBB238_297:
	v_lshlrev_b32_e32 v3, 24, v4
	v_and_b32_e32 v4, 0xffff, v4
	v_and_b32_e32 v5, 3, v4
	v_ffbh_u32_e32 v7, v5
	v_min_u32_e32 v7, 32, v7
	v_subrev_u32_e32 v8, 29, v7
	v_bfe_u32 v6, v4, 2, 5
	v_lshlrev_b32_e32 v4, v8, v4
	v_sub_u32_e32 v7, 30, v7
	v_and_b32_e32 v4, 3, v4
	v_cmp_eq_u32_e32 vcc, 0, v6
	v_cndmask_b32_e32 v6, v6, v7, vcc
	v_cndmask_b32_e32 v4, v5, v4, vcc
	v_mov_b32_e32 v5, 0x37800000
	v_lshlrev_b32_e32 v4, 21, v4
	v_and_b32_e32 v3, 0x80000000, v3
	v_lshl_add_u32 v5, v6, 23, v5
	v_or3_b32 v3, v3, v5, v4
	v_cvt_i32_f32_e32 v3, v3
.LBB238_298:
	s_or_b64 exec, exec, s[0:1]
	s_mov_b64 s[0:1], 0
	s_branch .LBB238_304
.LBB238_299:
	s_mov_b64 s[6:7], -1
                                        ; implicit-def: $vgpr3
	s_branch .LBB238_310
.LBB238_300:
	s_andn2_saveexec_b64 s[0:1], s[0:1]
	s_cbranch_execz .LBB238_285
.LBB238_301:
	v_cmp_ne_u16_e32 vcc, 0, v4
	s_andn2_b64 s[6:7], s[6:7], exec
	s_and_b64 s[28:29], vcc, exec
	s_or_b64 s[6:7], s[6:7], s[28:29]
	s_or_b64 exec, exec, s[0:1]
	v_mov_b32_e32 v3, 0
	s_and_saveexec_b64 s[0:1], s[6:7]
	s_cbranch_execnz .LBB238_286
	s_branch .LBB238_287
.LBB238_302:
	s_mov_b64 s[0:1], -1
                                        ; implicit-def: $vgpr3
	s_branch .LBB238_307
.LBB238_303:
	s_mov_b64 s[0:1], -1
                                        ; implicit-def: $vgpr3
.LBB238_304:
	s_and_b64 vcc, exec, s[0:1]
	s_cbranch_vccz .LBB238_306
; %bb.305:
	global_load_ubyte v3, v[1:2], off
	s_mov_b32 s0, 0x7f800000
	s_waitcnt vmcnt(0)
	v_lshlrev_b32_e32 v3, 24, v3
	v_and_b32_e32 v4, 0x7f000000, v3
	v_ffbh_u32_e32 v5, v4
	v_min_u32_e32 v5, 32, v5
	v_sub_u32_e64 v5, v5, 4 clamp
	v_lshlrev_b32_e32 v7, v5, v4
	v_lshlrev_b32_e32 v5, 23, v5
	v_lshrrev_b32_e32 v7, 4, v7
	v_add_u32_e32 v6, 0x1000000, v4
	v_sub_u32_e32 v5, v7, v5
	v_ashrrev_i32_e32 v6, 8, v6
	v_add_u32_e32 v5, 0x3c000000, v5
	v_and_or_b32 v5, v6, s0, v5
	v_cmp_ne_u32_e32 vcc, 0, v4
	v_cndmask_b32_e32 v4, 0, v5, vcc
	s_brev_b32 s0, 1
	v_and_or_b32 v3, v3, s0, v4
	v_cvt_i32_f32_e32 v3, v3
.LBB238_306:
	s_mov_b64 s[0:1], 0
.LBB238_307:
	s_andn2_b64 vcc, exec, s[0:1]
	s_cbranch_vccnz .LBB238_309
; %bb.308:
	global_load_ubyte v3, v[1:2], off
	s_movk_i32 s0, 0x7f00
	s_brev_b32 s1, 16
	s_waitcnt vmcnt(0)
	v_lshlrev_b16_e32 v4, 8, v3
	v_lshlrev_b32_e32 v3, 25, v3
	v_lshrrev_b32_e32 v5, 4, v3
	v_and_or_b32 v6, v4, s0, 0.5
	v_or_b32_e32 v5, 0x70000000, v5
	v_add_f32_e32 v6, -0.5, v6
	v_mul_f32_e32 v5, 0x7800000, v5
	v_cmp_gt_u32_e32 vcc, s1, v3
	v_bfe_i32 v4, v4, 0, 16
	v_cndmask_b32_e32 v3, v5, v6, vcc
	s_brev_b32 s0, 1
	v_and_or_b32 v3, v4, s0, v3
	v_cvt_i32_f32_e32 v3, v3
.LBB238_309:
	s_mov_b64 s[6:7], 0
	s_mov_b64 s[0:1], -1
.LBB238_310:
	s_andn2_b64 vcc, exec, s[6:7]
	s_cbranch_vccnz .LBB238_323
; %bb.311:
	s_cmp_gt_i32 s25, 14
	s_cbranch_scc0 .LBB238_314
; %bb.312:
	s_cmp_eq_u32 s25, 15
	s_cbranch_scc0 .LBB238_317
; %bb.313:
	global_load_ushort v3, v[1:2], off
	s_mov_b64 s[0:1], -1
	s_mov_b64 s[18:19], 0
	s_waitcnt vmcnt(0)
	v_lshlrev_b32_e32 v3, 16, v3
	v_cvt_i32_f32_e32 v3, v3
	s_branch .LBB238_318
.LBB238_314:
	s_mov_b64 s[6:7], -1
                                        ; implicit-def: $vgpr3
	s_branch .LBB238_319
.LBB238_315:
	s_andn2_saveexec_b64 s[0:1], s[0:1]
	s_cbranch_execz .LBB238_296
.LBB238_316:
	v_cmp_ne_u16_e32 vcc, 0, v4
	s_andn2_b64 s[6:7], s[6:7], exec
	s_and_b64 s[28:29], vcc, exec
	s_or_b64 s[6:7], s[6:7], s[28:29]
	s_or_b64 exec, exec, s[0:1]
	v_mov_b32_e32 v3, 0
	s_and_saveexec_b64 s[0:1], s[6:7]
	s_cbranch_execnz .LBB238_297
	s_branch .LBB238_298
.LBB238_317:
	s_mov_b64 s[18:19], -1
                                        ; implicit-def: $vgpr3
.LBB238_318:
	s_mov_b64 s[6:7], 0
.LBB238_319:
	s_and_b64 vcc, exec, s[6:7]
	s_cbranch_vccz .LBB238_323
; %bb.320:
	s_cmp_eq_u32 s25, 11
	s_cbranch_scc0 .LBB238_322
; %bb.321:
	global_load_ubyte v3, v[1:2], off
	s_mov_b64 s[0:1], -1
	s_mov_b64 s[18:19], 0
	s_waitcnt vmcnt(0)
	v_cmp_ne_u16_e32 vcc, 0, v3
	v_cndmask_b32_e64 v3, 0, 1, vcc
	s_branch .LBB238_323
.LBB238_322:
	s_mov_b64 s[18:19], -1
                                        ; implicit-def: $vgpr3
.LBB238_323:
	s_branch .LBB238_20
.LBB238_324:
	s_and_b32 s6, 0xffff, s24
	s_cmp_lt_i32 s6, 5
	s_cbranch_scc1 .LBB238_329
; %bb.325:
	s_cmp_lt_i32 s6, 8
	s_cbranch_scc1 .LBB238_330
; %bb.326:
	;; [unrolled: 3-line block ×3, first 2 shown]
	s_cmp_gt_i32 s6, 9
	s_cbranch_scc0 .LBB238_332
; %bb.328:
	global_load_dwordx2 v[3:4], v[1:2], off
	s_mov_b64 s[0:1], 0
	s_waitcnt vmcnt(0)
	v_cvt_i32_f64_e32 v3, v[3:4]
	s_branch .LBB238_333
.LBB238_329:
	s_mov_b64 s[0:1], -1
                                        ; implicit-def: $vgpr3
	s_branch .LBB238_351
.LBB238_330:
	s_mov_b64 s[0:1], -1
                                        ; implicit-def: $vgpr3
	s_branch .LBB238_339
.LBB238_331:
	s_mov_b64 s[0:1], -1
                                        ; implicit-def: $vgpr3
	s_branch .LBB238_336
.LBB238_332:
	s_mov_b64 s[0:1], -1
                                        ; implicit-def: $vgpr3
.LBB238_333:
	s_andn2_b64 vcc, exec, s[0:1]
	s_cbranch_vccnz .LBB238_335
; %bb.334:
	global_load_dword v3, v[1:2], off
	s_waitcnt vmcnt(0)
	v_cvt_i32_f32_e32 v3, v3
.LBB238_335:
	s_mov_b64 s[0:1], 0
.LBB238_336:
	s_andn2_b64 vcc, exec, s[0:1]
	s_cbranch_vccnz .LBB238_338
; %bb.337:
	global_load_dword v3, v[1:2], off
	s_waitcnt vmcnt(0)
	v_cvt_i16_f16_e32 v3, v3
.LBB238_338:
	s_mov_b64 s[0:1], 0
.LBB238_339:
	s_andn2_b64 vcc, exec, s[0:1]
	s_cbranch_vccnz .LBB238_350
; %bb.340:
	s_cmp_lt_i32 s6, 6
	s_cbranch_scc1 .LBB238_343
; %bb.341:
	s_cmp_gt_i32 s6, 6
	s_cbranch_scc0 .LBB238_344
; %bb.342:
	global_load_dwordx2 v[3:4], v[1:2], off
	s_mov_b64 s[0:1], 0
	s_waitcnt vmcnt(0)
	v_cvt_i32_f64_e32 v3, v[3:4]
	s_branch .LBB238_345
.LBB238_343:
	s_mov_b64 s[0:1], -1
                                        ; implicit-def: $vgpr3
	s_branch .LBB238_348
.LBB238_344:
	s_mov_b64 s[0:1], -1
                                        ; implicit-def: $vgpr3
.LBB238_345:
	s_andn2_b64 vcc, exec, s[0:1]
	s_cbranch_vccnz .LBB238_347
; %bb.346:
	global_load_dword v3, v[1:2], off
	s_waitcnt vmcnt(0)
	v_cvt_i32_f32_e32 v3, v3
.LBB238_347:
	s_mov_b64 s[0:1], 0
.LBB238_348:
	s_andn2_b64 vcc, exec, s[0:1]
	s_cbranch_vccnz .LBB238_350
; %bb.349:
	global_load_ushort v3, v[1:2], off
	s_waitcnt vmcnt(0)
	v_cvt_i16_f16_e32 v3, v3
.LBB238_350:
	s_mov_b64 s[0:1], 0
.LBB238_351:
	s_andn2_b64 vcc, exec, s[0:1]
	s_cbranch_vccnz .LBB238_371
; %bb.352:
	s_cmp_lt_i32 s6, 2
	s_cbranch_scc1 .LBB238_356
; %bb.353:
	s_cmp_lt_i32 s6, 3
	s_cbranch_scc1 .LBB238_357
; %bb.354:
	s_cmp_gt_i32 s6, 3
	s_cbranch_scc0 .LBB238_358
; %bb.355:
	global_load_dwordx2 v[3:4], v[1:2], off
	s_mov_b64 s[0:1], 0
	s_branch .LBB238_359
.LBB238_356:
	s_mov_b64 s[0:1], -1
                                        ; implicit-def: $vgpr3
	s_branch .LBB238_365
.LBB238_357:
	s_mov_b64 s[0:1], -1
                                        ; implicit-def: $vgpr3
	s_branch .LBB238_362
.LBB238_358:
	s_mov_b64 s[0:1], -1
                                        ; implicit-def: $vgpr3
.LBB238_359:
	s_andn2_b64 vcc, exec, s[0:1]
	s_cbranch_vccnz .LBB238_361
; %bb.360:
	global_load_dword v3, v[1:2], off
.LBB238_361:
	s_mov_b64 s[0:1], 0
.LBB238_362:
	s_andn2_b64 vcc, exec, s[0:1]
	s_cbranch_vccnz .LBB238_364
; %bb.363:
	global_load_ushort v3, v[1:2], off
.LBB238_364:
	s_mov_b64 s[0:1], 0
.LBB238_365:
	s_andn2_b64 vcc, exec, s[0:1]
	s_cbranch_vccnz .LBB238_371
; %bb.366:
	s_cmp_gt_i32 s6, 0
	s_cbranch_scc0 .LBB238_368
; %bb.367:
	global_load_sbyte v3, v[1:2], off
	s_mov_b64 s[0:1], 0
	s_branch .LBB238_369
.LBB238_368:
	s_mov_b64 s[0:1], -1
                                        ; implicit-def: $vgpr3
.LBB238_369:
	s_andn2_b64 vcc, exec, s[0:1]
	s_cbranch_vccnz .LBB238_371
; %bb.370:
	global_load_ubyte v3, v[1:2], off
.LBB238_371:
	s_branch .LBB238_21
.LBB238_372:
	s_mov_b64 s[0:1], 0
.LBB238_373:
                                        ; implicit-def: $vgpr14
	s_mov_b64 s[24:25], 0
.LBB238_374:
	s_and_b64 s[6:7], s[0:1], exec
	s_and_b64 s[18:19], s[18:19], exec
	;; [unrolled: 1-line block ×3, first 2 shown]
	s_orn2_b64 s[0:1], s[24:25], exec
.LBB238_375:
	s_or_b64 exec, exec, s[22:23]
	s_mov_b64 s[30:31], 0
	s_mov_b64 s[28:29], 0
                                        ; implicit-def: $sgpr55
                                        ; implicit-def: $vgpr2_vgpr3
                                        ; implicit-def: $vgpr0
	s_and_saveexec_b64 s[22:23], s[0:1]
	s_cbranch_execz .LBB238_384
; %bb.376:
	v_cmp_gt_i32_e32 vcc, s48, v14
	s_mov_b64 s[0:1], -1
	s_mov_b64 s[24:25], s[20:21]
	s_mov_b64 s[26:27], s[18:19]
	;; [unrolled: 1-line block ×3, first 2 shown]
	s_and_saveexec_b64 s[30:31], vcc
	s_cbranch_execz .LBB238_757
; %bb.377:
	s_waitcnt vmcnt(0)
	v_mul_lo_u32 v0, v14, s13
	v_mov_b32_e32 v1, s11
	s_and_b32 s28, s54, 0xff
	s_cmp_lt_i32 s28, 11
	v_ashrrev_i32_e32 v3, 31, v0
	v_add_co_u32_e32 v2, vcc, s10, v0
	v_addc_co_u32_e32 v3, vcc, v1, v3, vcc
	s_cbranch_scc1 .LBB238_387
; %bb.378:
	s_and_b32 s29, 0xffff, s28
	s_cmp_gt_i32 s29, 25
	s_cbranch_scc0 .LBB238_396
; %bb.379:
	s_cmp_gt_i32 s29, 28
	s_cbranch_scc0 .LBB238_398
; %bb.380:
	;; [unrolled: 3-line block ×4, first 2 shown]
	s_cmp_eq_u32 s29, 46
	s_mov_b64 s[26:27], 0
	s_cbranch_scc0 .LBB238_406
; %bb.383:
	global_load_dword v0, v[2:3], off
	s_mov_b64 s[24:25], 0
	s_waitcnt vmcnt(0)
	v_lshlrev_b32_e32 v0, 16, v0
	v_cvt_i32_f32_e32 v0, v0
	s_branch .LBB238_407
.LBB238_384:
	s_or_b64 exec, exec, s[22:23]
	s_mov_b64 s[22:23], 0
	s_and_saveexec_b64 s[0:1], s[20:21]
	s_cbranch_execnz .LBB238_1220
.LBB238_385:
	s_or_b64 exec, exec, s[0:1]
	s_and_saveexec_b64 s[0:1], s[26:27]
	s_xor_b64 s[0:1], exec, s[0:1]
	s_cbranch_execz .LBB238_1221
.LBB238_386:
	s_waitcnt vmcnt(0)
	global_load_ubyte v0, v[2:3], off
	s_or_b64 s[28:29], s[28:29], exec
	s_waitcnt vmcnt(0)
	v_cmp_ne_u16_e32 vcc, 0, v0
	v_cndmask_b32_e64 v0, 0, 1, vcc
	s_or_b64 exec, exec, s[0:1]
	s_and_saveexec_b64 s[0:1], s[30:31]
	s_cbranch_execz .LBB238_1267
	s_branch .LBB238_1222
.LBB238_387:
	s_mov_b64 s[0:1], 0
                                        ; implicit-def: $vgpr0
	s_mov_b64 s[24:25], s[20:21]
	s_cbranch_execnz .LBB238_469
.LBB238_388:
	s_andn2_b64 vcc, exec, s[0:1]
	s_cbranch_vccnz .LBB238_517
.LBB238_389:
	s_waitcnt vmcnt(0)
	v_mul_lo_u32 v1, v14, s14
	v_mov_b32_e32 v2, s3
	s_and_b32 s34, s15, 0xff
	s_cmp_lt_i32 s34, 11
	v_ashrrev_i32_e32 v3, 31, v1
	v_add_co_u32_e32 v1, vcc, s2, v1
	v_addc_co_u32_e32 v2, vcc, v2, v3, vcc
	s_cbranch_scc1 .LBB238_397
; %bb.390:
	s_and_b32 s35, 0xffff, s34
	s_cmp_gt_i32 s35, 25
	s_cbranch_scc0 .LBB238_399
; %bb.391:
	s_cmp_gt_i32 s35, 28
	s_cbranch_scc0 .LBB238_401
; %bb.392:
	;; [unrolled: 3-line block ×4, first 2 shown]
	s_cmp_eq_u32 s35, 46
	s_mov_b64 s[28:29], 0
	s_cbranch_scc0 .LBB238_521
; %bb.395:
	global_load_dword v3, v[1:2], off
	s_mov_b64 s[0:1], -1
	s_mov_b64 s[26:27], 0
	s_waitcnt vmcnt(0)
	v_lshlrev_b32_e32 v3, 16, v3
	v_cvt_i32_f32_e32 v3, v3
	s_branch .LBB238_522
.LBB238_396:
	s_mov_b64 s[26:27], -1
	s_mov_b64 s[0:1], 0
	s_mov_b64 s[24:25], s[20:21]
                                        ; implicit-def: $vgpr0
	s_branch .LBB238_435
.LBB238_397:
	s_mov_b64 s[28:29], -1
	s_mov_b64 s[0:1], 0
                                        ; implicit-def: $vgpr3
	s_mov_b64 s[26:27], s[18:19]
	s_branch .LBB238_583
.LBB238_398:
	s_mov_b64 s[26:27], -1
	s_mov_b64 s[0:1], 0
	s_mov_b64 s[24:25], s[20:21]
                                        ; implicit-def: $vgpr0
	s_branch .LBB238_418
.LBB238_399:
	s_mov_b64 s[28:29], -1
	s_mov_b64 s[0:1], 0
	s_mov_b64 s[26:27], s[18:19]
                                        ; implicit-def: $vgpr3
	s_branch .LBB238_549
.LBB238_400:
	s_mov_b64 s[26:27], -1
	s_mov_b64 s[0:1], 0
	s_mov_b64 s[24:25], s[20:21]
                                        ; implicit-def: $vgpr0
	s_branch .LBB238_413
.LBB238_401:
	s_mov_b64 s[28:29], -1
	s_mov_b64 s[0:1], 0
	s_mov_b64 s[26:27], s[18:19]
                                        ; implicit-def: $vgpr3
	s_branch .LBB238_532
.LBB238_402:
	s_mov_b64 s[26:27], -1
	s_mov_b64 s[0:1], 0
	s_mov_b64 s[24:25], s[20:21]
                                        ; implicit-def: $vgpr0
	s_branch .LBB238_407
.LBB238_403:
	s_mov_b64 s[28:29], -1
	s_mov_b64 s[0:1], 0
	s_mov_b64 s[26:27], s[18:19]
                                        ; implicit-def: $vgpr3
	s_branch .LBB238_527
.LBB238_404:
	s_andn2_saveexec_b64 s[28:29], s[28:29]
	s_cbranch_execz .LBB238_176
.LBB238_405:
	s_mov_b32 s34, 0x46000000
	v_add_f32_e64 v3, |v2|, s34
	v_and_b32_e32 v3, 0xff, v3
	v_cmp_ne_u32_e32 vcc, 0, v3
	s_andn2_b64 s[24:25], s[24:25], exec
	s_and_b64 s[34:35], vcc, exec
	s_or_b64 s[24:25], s[24:25], s[34:35]
	s_or_b64 exec, exec, s[28:29]
	v_mov_b32_e32 v5, 0
	s_and_saveexec_b64 s[28:29], s[24:25]
	s_cbranch_execnz .LBB238_177
	s_branch .LBB238_178
.LBB238_406:
	s_mov_b64 s[24:25], -1
                                        ; implicit-def: $vgpr0
	s_mov_b64 s[0:1], 0
.LBB238_407:
	s_and_b64 vcc, exec, s[26:27]
	s_cbranch_vccz .LBB238_412
; %bb.408:
	s_cmp_eq_u32 s29, 44
	s_cbranch_scc0 .LBB238_411
; %bb.409:
	global_load_ubyte v0, v[2:3], off
	s_mov_b64 s[0:1], -1
	s_mov_b64 s[24:25], 0
	s_waitcnt vmcnt(0)
	v_lshlrev_b32_e32 v1, 23, v0
	v_cvt_i32_f32_e32 v1, v1
	v_cmp_ne_u32_e32 vcc, 0, v0
	v_cndmask_b32_e32 v0, 0, v1, vcc
	s_branch .LBB238_412
.LBB238_410:
	s_mov_b64 s[28:29], -1
	s_mov_b64 s[0:1], 0
	s_mov_b64 s[26:27], s[18:19]
                                        ; implicit-def: $vgpr3
	s_branch .LBB238_522
.LBB238_411:
	s_mov_b64 s[24:25], -1
                                        ; implicit-def: $vgpr0
.LBB238_412:
	s_mov_b64 s[26:27], 0
.LBB238_413:
	s_and_b64 vcc, exec, s[26:27]
	s_cbranch_vccz .LBB238_417
; %bb.414:
	s_cmp_eq_u32 s29, 29
	s_cbranch_scc0 .LBB238_416
; %bb.415:
	global_load_dwordx2 v[0:1], v[2:3], off
	s_mov_b64 s[0:1], -1
	s_mov_b64 s[24:25], 0
	s_branch .LBB238_417
.LBB238_416:
	s_mov_b64 s[24:25], -1
                                        ; implicit-def: $vgpr0
.LBB238_417:
	s_mov_b64 s[26:27], 0
.LBB238_418:
	s_and_b64 vcc, exec, s[26:27]
	s_cbranch_vccz .LBB238_434
; %bb.419:
	s_cmp_lt_i32 s29, 27
	s_cbranch_scc1 .LBB238_422
; %bb.420:
	s_cmp_gt_i32 s29, 27
	s_cbranch_scc0 .LBB238_423
; %bb.421:
	global_load_dword v0, v[2:3], off
	s_mov_b64 s[0:1], 0
	s_branch .LBB238_424
.LBB238_422:
	s_mov_b64 s[0:1], -1
                                        ; implicit-def: $vgpr0
	s_branch .LBB238_427
.LBB238_423:
	s_mov_b64 s[0:1], -1
                                        ; implicit-def: $vgpr0
.LBB238_424:
	s_andn2_b64 vcc, exec, s[0:1]
	s_cbranch_vccnz .LBB238_426
; %bb.425:
	global_load_ushort v0, v[2:3], off
.LBB238_426:
	s_mov_b64 s[0:1], 0
.LBB238_427:
	s_andn2_b64 vcc, exec, s[0:1]
	s_cbranch_vccnz .LBB238_433
; %bb.428:
	global_load_ubyte v1, v[2:3], off
	s_movk_i32 s0, 0x7f
	s_mov_b64 s[26:27], 0
	s_waitcnt vmcnt(0)
	v_cmp_lt_i16_e32 vcc, s0, v1
	s_and_saveexec_b64 s[0:1], vcc
	s_xor_b64 s[0:1], exec, s[0:1]
	s_cbranch_execz .LBB238_445
; %bb.429:
	s_movk_i32 s26, 0x80
	v_cmp_ne_u16_e32 vcc, s26, v1
	s_and_b64 s[26:27], vcc, exec
	s_andn2_saveexec_b64 s[0:1], s[0:1]
	s_cbranch_execnz .LBB238_446
.LBB238_430:
	s_or_b64 exec, exec, s[0:1]
	v_mov_b32_e32 v0, 0
	s_and_saveexec_b64 s[0:1], s[26:27]
	s_cbranch_execz .LBB238_432
.LBB238_431:
	v_lshlrev_b32_e32 v0, 24, v1
	v_and_b32_e32 v1, 0xffff, v1
	v_and_b32_e32 v4, 7, v1
	v_ffbh_u32_e32 v6, v4
	v_min_u32_e32 v6, 32, v6
	v_subrev_u32_e32 v7, 28, v6
	v_bfe_u32 v5, v1, 3, 4
	v_lshlrev_b32_e32 v1, v7, v1
	v_sub_u32_e32 v6, 29, v6
	v_and_b32_e32 v1, 7, v1
	v_cmp_eq_u32_e32 vcc, 0, v5
	v_cndmask_b32_e32 v5, v5, v6, vcc
	v_cndmask_b32_e32 v1, v4, v1, vcc
	v_mov_b32_e32 v4, 0x3b800000
	v_lshlrev_b32_e32 v1, 20, v1
	v_and_b32_e32 v0, 0x80000000, v0
	v_lshl_add_u32 v4, v5, 23, v4
	v_or3_b32 v0, v0, v4, v1
	v_cvt_i32_f32_e32 v0, v0
.LBB238_432:
	s_or_b64 exec, exec, s[0:1]
.LBB238_433:
	s_mov_b64 s[0:1], -1
.LBB238_434:
	s_mov_b64 s[26:27], 0
.LBB238_435:
	s_and_b64 vcc, exec, s[26:27]
	s_cbranch_vccz .LBB238_468
; %bb.436:
	s_cmp_gt_i32 s29, 22
	s_cbranch_scc0 .LBB238_444
; %bb.437:
	s_cmp_lt_i32 s29, 24
	s_cbranch_scc1 .LBB238_447
; %bb.438:
	s_cmp_gt_i32 s29, 24
	s_cbranch_scc0 .LBB238_448
; %bb.439:
	global_load_ubyte v1, v[2:3], off
	s_movk_i32 s0, 0x7f
	s_mov_b64 s[26:27], 0
	s_waitcnt vmcnt(0)
	v_cmp_lt_i16_e32 vcc, s0, v1
	s_and_saveexec_b64 s[0:1], vcc
	s_xor_b64 s[0:1], exec, s[0:1]
	s_cbranch_execz .LBB238_460
; %bb.440:
	s_movk_i32 s26, 0x80
	v_cmp_ne_u16_e32 vcc, s26, v1
	s_and_b64 s[26:27], vcc, exec
	s_andn2_saveexec_b64 s[0:1], s[0:1]
	s_cbranch_execnz .LBB238_461
.LBB238_441:
	s_or_b64 exec, exec, s[0:1]
	v_mov_b32_e32 v0, 0
	s_and_saveexec_b64 s[0:1], s[26:27]
	s_cbranch_execz .LBB238_443
.LBB238_442:
	v_lshlrev_b32_e32 v0, 24, v1
	v_and_b32_e32 v1, 0xffff, v1
	v_and_b32_e32 v4, 3, v1
	v_ffbh_u32_e32 v6, v4
	v_min_u32_e32 v6, 32, v6
	v_subrev_u32_e32 v7, 29, v6
	v_bfe_u32 v5, v1, 2, 5
	v_lshlrev_b32_e32 v1, v7, v1
	v_sub_u32_e32 v6, 30, v6
	v_and_b32_e32 v1, 3, v1
	v_cmp_eq_u32_e32 vcc, 0, v5
	v_cndmask_b32_e32 v5, v5, v6, vcc
	v_cndmask_b32_e32 v1, v4, v1, vcc
	v_mov_b32_e32 v4, 0x37800000
	v_lshlrev_b32_e32 v1, 21, v1
	v_and_b32_e32 v0, 0x80000000, v0
	v_lshl_add_u32 v4, v5, 23, v4
	v_or3_b32 v0, v0, v4, v1
	v_cvt_i32_f32_e32 v0, v0
.LBB238_443:
	s_or_b64 exec, exec, s[0:1]
	s_mov_b64 s[0:1], 0
	s_branch .LBB238_449
.LBB238_444:
	s_mov_b64 s[26:27], -1
                                        ; implicit-def: $vgpr0
	s_branch .LBB238_455
.LBB238_445:
	s_andn2_saveexec_b64 s[0:1], s[0:1]
	s_cbranch_execz .LBB238_430
.LBB238_446:
	v_cmp_ne_u16_e32 vcc, 0, v1
	s_andn2_b64 s[26:27], s[26:27], exec
	s_and_b64 s[34:35], vcc, exec
	s_or_b64 s[26:27], s[26:27], s[34:35]
	s_or_b64 exec, exec, s[0:1]
	v_mov_b32_e32 v0, 0
	s_and_saveexec_b64 s[0:1], s[26:27]
	s_cbranch_execnz .LBB238_431
	s_branch .LBB238_432
.LBB238_447:
	s_mov_b64 s[0:1], -1
                                        ; implicit-def: $vgpr0
	s_branch .LBB238_452
.LBB238_448:
	s_mov_b64 s[0:1], -1
                                        ; implicit-def: $vgpr0
.LBB238_449:
	s_and_b64 vcc, exec, s[0:1]
	s_cbranch_vccz .LBB238_451
; %bb.450:
	global_load_ubyte v0, v[2:3], off
	s_mov_b32 s0, 0x7f800000
	s_waitcnt vmcnt(0)
	v_lshlrev_b32_e32 v0, 24, v0
	v_and_b32_e32 v1, 0x7f000000, v0
	v_ffbh_u32_e32 v4, v1
	v_min_u32_e32 v4, 32, v4
	v_sub_u32_e64 v4, v4, 4 clamp
	v_lshlrev_b32_e32 v6, v4, v1
	v_lshlrev_b32_e32 v4, 23, v4
	v_lshrrev_b32_e32 v6, 4, v6
	v_add_u32_e32 v5, 0x1000000, v1
	v_sub_u32_e32 v4, v6, v4
	v_ashrrev_i32_e32 v5, 8, v5
	v_add_u32_e32 v4, 0x3c000000, v4
	v_and_or_b32 v4, v5, s0, v4
	v_cmp_ne_u32_e32 vcc, 0, v1
	v_cndmask_b32_e32 v1, 0, v4, vcc
	s_brev_b32 s0, 1
	v_and_or_b32 v0, v0, s0, v1
	v_cvt_i32_f32_e32 v0, v0
.LBB238_451:
	s_mov_b64 s[0:1], 0
.LBB238_452:
	s_andn2_b64 vcc, exec, s[0:1]
	s_cbranch_vccnz .LBB238_454
; %bb.453:
	global_load_ubyte v0, v[2:3], off
	s_movk_i32 s0, 0x7f00
	s_brev_b32 s1, 16
	s_waitcnt vmcnt(0)
	v_lshlrev_b16_e32 v1, 8, v0
	v_lshlrev_b32_e32 v0, 25, v0
	v_lshrrev_b32_e32 v4, 4, v0
	v_and_or_b32 v5, v1, s0, 0.5
	v_or_b32_e32 v4, 0x70000000, v4
	v_add_f32_e32 v5, -0.5, v5
	v_mul_f32_e32 v4, 0x7800000, v4
	v_cmp_gt_u32_e32 vcc, s1, v0
	v_bfe_i32 v1, v1, 0, 16
	v_cndmask_b32_e32 v0, v4, v5, vcc
	s_brev_b32 s0, 1
	v_and_or_b32 v0, v1, s0, v0
	v_cvt_i32_f32_e32 v0, v0
.LBB238_454:
	s_mov_b64 s[26:27], 0
	s_mov_b64 s[0:1], -1
.LBB238_455:
	s_andn2_b64 vcc, exec, s[26:27]
	s_cbranch_vccnz .LBB238_468
; %bb.456:
	s_cmp_gt_i32 s29, 14
	s_cbranch_scc0 .LBB238_459
; %bb.457:
	s_cmp_eq_u32 s29, 15
	s_cbranch_scc0 .LBB238_462
; %bb.458:
	global_load_ushort v0, v[2:3], off
	s_mov_b64 s[0:1], -1
	s_mov_b64 s[24:25], 0
	s_waitcnt vmcnt(0)
	v_lshlrev_b32_e32 v0, 16, v0
	v_cvt_i32_f32_e32 v0, v0
	s_branch .LBB238_463
.LBB238_459:
	s_mov_b64 s[26:27], -1
                                        ; implicit-def: $vgpr0
	s_branch .LBB238_464
.LBB238_460:
	s_andn2_saveexec_b64 s[0:1], s[0:1]
	s_cbranch_execz .LBB238_441
.LBB238_461:
	v_cmp_ne_u16_e32 vcc, 0, v1
	s_andn2_b64 s[26:27], s[26:27], exec
	s_and_b64 s[34:35], vcc, exec
	s_or_b64 s[26:27], s[26:27], s[34:35]
	s_or_b64 exec, exec, s[0:1]
	v_mov_b32_e32 v0, 0
	s_and_saveexec_b64 s[0:1], s[26:27]
	s_cbranch_execnz .LBB238_442
	s_branch .LBB238_443
.LBB238_462:
	s_mov_b64 s[24:25], -1
                                        ; implicit-def: $vgpr0
.LBB238_463:
	s_mov_b64 s[26:27], 0
.LBB238_464:
	s_and_b64 vcc, exec, s[26:27]
	s_cbranch_vccz .LBB238_468
; %bb.465:
	s_cmp_eq_u32 s29, 11
	s_cbranch_scc0 .LBB238_467
; %bb.466:
	global_load_ubyte v0, v[2:3], off
	s_mov_b64 s[0:1], -1
	s_mov_b64 s[24:25], 0
	s_waitcnt vmcnt(0)
	v_cmp_ne_u16_e32 vcc, 0, v0
	v_cndmask_b32_e64 v0, 0, 1, vcc
	s_branch .LBB238_468
.LBB238_467:
	s_mov_b64 s[24:25], -1
                                        ; implicit-def: $vgpr0
.LBB238_468:
	s_branch .LBB238_388
.LBB238_469:
	s_and_b32 s26, 0xffff, s28
	s_cmp_lt_i32 s26, 5
	s_cbranch_scc1 .LBB238_474
; %bb.470:
	s_cmp_lt_i32 s26, 8
	s_cbranch_scc1 .LBB238_475
; %bb.471:
	;; [unrolled: 3-line block ×3, first 2 shown]
	s_cmp_gt_i32 s26, 9
	s_cbranch_scc0 .LBB238_477
; %bb.473:
	global_load_dwordx2 v[0:1], v[2:3], off
	s_mov_b64 s[0:1], 0
	s_waitcnt vmcnt(0)
	v_cvt_i32_f64_e32 v0, v[0:1]
	s_branch .LBB238_478
.LBB238_474:
	s_mov_b64 s[0:1], -1
                                        ; implicit-def: $vgpr0
	s_branch .LBB238_496
.LBB238_475:
	s_mov_b64 s[0:1], -1
                                        ; implicit-def: $vgpr0
	s_branch .LBB238_484
.LBB238_476:
	s_mov_b64 s[0:1], -1
                                        ; implicit-def: $vgpr0
	s_branch .LBB238_481
.LBB238_477:
	s_mov_b64 s[0:1], -1
                                        ; implicit-def: $vgpr0
.LBB238_478:
	s_andn2_b64 vcc, exec, s[0:1]
	s_cbranch_vccnz .LBB238_480
; %bb.479:
	global_load_dword v0, v[2:3], off
	s_waitcnt vmcnt(0)
	v_cvt_i32_f32_e32 v0, v0
.LBB238_480:
	s_mov_b64 s[0:1], 0
.LBB238_481:
	s_andn2_b64 vcc, exec, s[0:1]
	s_cbranch_vccnz .LBB238_483
; %bb.482:
	global_load_dword v0, v[2:3], off
	s_waitcnt vmcnt(0)
	v_cvt_i16_f16_e32 v0, v0
.LBB238_483:
	s_mov_b64 s[0:1], 0
.LBB238_484:
	s_andn2_b64 vcc, exec, s[0:1]
	s_cbranch_vccnz .LBB238_495
; %bb.485:
	s_cmp_lt_i32 s26, 6
	s_cbranch_scc1 .LBB238_488
; %bb.486:
	s_cmp_gt_i32 s26, 6
	s_cbranch_scc0 .LBB238_489
; %bb.487:
	global_load_dwordx2 v[0:1], v[2:3], off
	s_mov_b64 s[0:1], 0
	s_waitcnt vmcnt(0)
	v_cvt_i32_f64_e32 v0, v[0:1]
	s_branch .LBB238_490
.LBB238_488:
	s_mov_b64 s[0:1], -1
                                        ; implicit-def: $vgpr0
	s_branch .LBB238_493
.LBB238_489:
	s_mov_b64 s[0:1], -1
                                        ; implicit-def: $vgpr0
.LBB238_490:
	s_andn2_b64 vcc, exec, s[0:1]
	s_cbranch_vccnz .LBB238_492
; %bb.491:
	global_load_dword v0, v[2:3], off
	s_waitcnt vmcnt(0)
	v_cvt_i32_f32_e32 v0, v0
.LBB238_492:
	s_mov_b64 s[0:1], 0
.LBB238_493:
	s_andn2_b64 vcc, exec, s[0:1]
	s_cbranch_vccnz .LBB238_495
; %bb.494:
	global_load_ushort v0, v[2:3], off
	s_waitcnt vmcnt(0)
	v_cvt_i16_f16_e32 v0, v0
.LBB238_495:
	s_mov_b64 s[0:1], 0
.LBB238_496:
	s_andn2_b64 vcc, exec, s[0:1]
	s_cbranch_vccnz .LBB238_516
; %bb.497:
	s_cmp_lt_i32 s26, 2
	s_cbranch_scc1 .LBB238_501
; %bb.498:
	s_cmp_lt_i32 s26, 3
	s_cbranch_scc1 .LBB238_502
; %bb.499:
	s_cmp_gt_i32 s26, 3
	s_cbranch_scc0 .LBB238_503
; %bb.500:
	global_load_dwordx2 v[0:1], v[2:3], off
	s_mov_b64 s[0:1], 0
	s_branch .LBB238_504
.LBB238_501:
	s_mov_b64 s[0:1], -1
                                        ; implicit-def: $vgpr0
	s_branch .LBB238_510
.LBB238_502:
	s_mov_b64 s[0:1], -1
                                        ; implicit-def: $vgpr0
	s_branch .LBB238_507
.LBB238_503:
	s_mov_b64 s[0:1], -1
                                        ; implicit-def: $vgpr0
.LBB238_504:
	s_andn2_b64 vcc, exec, s[0:1]
	s_cbranch_vccnz .LBB238_506
; %bb.505:
	global_load_dword v0, v[2:3], off
.LBB238_506:
	s_mov_b64 s[0:1], 0
.LBB238_507:
	s_andn2_b64 vcc, exec, s[0:1]
	s_cbranch_vccnz .LBB238_509
; %bb.508:
	global_load_ushort v0, v[2:3], off
.LBB238_509:
	s_mov_b64 s[0:1], 0
.LBB238_510:
	s_andn2_b64 vcc, exec, s[0:1]
	s_cbranch_vccnz .LBB238_516
; %bb.511:
	s_cmp_gt_i32 s26, 0
	s_cbranch_scc0 .LBB238_513
; %bb.512:
	global_load_sbyte v0, v[2:3], off
	s_mov_b64 s[0:1], 0
	s_branch .LBB238_514
.LBB238_513:
	s_mov_b64 s[0:1], -1
                                        ; implicit-def: $vgpr0
.LBB238_514:
	s_andn2_b64 vcc, exec, s[0:1]
	s_cbranch_vccnz .LBB238_516
; %bb.515:
	global_load_ubyte v0, v[2:3], off
.LBB238_516:
	s_branch .LBB238_389
.LBB238_517:
	s_mov_b64 s[34:35], 0
	s_mov_b64 s[0:1], s[6:7]
	s_mov_b64 s[26:27], s[18:19]
.LBB238_518:
                                        ; implicit-def: $vgpr14
	s_branch .LBB238_756
.LBB238_519:
	s_andn2_saveexec_b64 s[28:29], s[28:29]
	s_cbranch_execz .LBB238_189
.LBB238_520:
	s_mov_b32 s34, 0x42800000
	v_add_f32_e64 v3, |v2|, s34
	v_and_b32_e32 v3, 0xff, v3
	v_cmp_ne_u32_e32 vcc, 0, v3
	s_andn2_b64 s[24:25], s[24:25], exec
	s_and_b64 s[34:35], vcc, exec
	s_or_b64 s[24:25], s[24:25], s[34:35]
	s_or_b64 exec, exec, s[28:29]
	v_mov_b32_e32 v5, 0
	s_and_saveexec_b64 s[28:29], s[24:25]
	s_cbranch_execnz .LBB238_190
	s_branch .LBB238_191
.LBB238_521:
	s_mov_b64 s[26:27], -1
                                        ; implicit-def: $vgpr3
	s_mov_b64 s[0:1], 0
.LBB238_522:
	s_and_b64 vcc, exec, s[28:29]
	s_cbranch_vccz .LBB238_526
; %bb.523:
	s_cmp_eq_u32 s35, 44
	s_cbranch_scc0 .LBB238_525
; %bb.524:
	global_load_ubyte v3, v[1:2], off
	s_mov_b64 s[0:1], -1
	s_mov_b64 s[26:27], 0
	s_waitcnt vmcnt(0)
	v_lshlrev_b32_e32 v4, 23, v3
	v_cvt_i32_f32_e32 v4, v4
	v_cmp_ne_u32_e32 vcc, 0, v3
	v_cndmask_b32_e32 v3, 0, v4, vcc
	s_branch .LBB238_526
.LBB238_525:
	s_mov_b64 s[26:27], -1
                                        ; implicit-def: $vgpr3
.LBB238_526:
	s_mov_b64 s[28:29], 0
.LBB238_527:
	s_and_b64 vcc, exec, s[28:29]
	s_cbranch_vccz .LBB238_531
; %bb.528:
	s_cmp_eq_u32 s35, 29
	s_cbranch_scc0 .LBB238_530
; %bb.529:
	global_load_dwordx2 v[3:4], v[1:2], off
	s_mov_b64 s[0:1], -1
	s_mov_b64 s[26:27], 0
	s_branch .LBB238_531
.LBB238_530:
	s_mov_b64 s[26:27], -1
                                        ; implicit-def: $vgpr3
.LBB238_531:
	s_mov_b64 s[28:29], 0
.LBB238_532:
	s_and_b64 vcc, exec, s[28:29]
	s_cbranch_vccz .LBB238_548
; %bb.533:
	s_cmp_lt_i32 s35, 27
	s_cbranch_scc1 .LBB238_536
; %bb.534:
	s_cmp_gt_i32 s35, 27
	s_cbranch_scc0 .LBB238_537
; %bb.535:
	global_load_dword v3, v[1:2], off
	s_mov_b64 s[0:1], 0
	s_branch .LBB238_538
.LBB238_536:
	s_mov_b64 s[0:1], -1
                                        ; implicit-def: $vgpr3
	s_branch .LBB238_541
.LBB238_537:
	s_mov_b64 s[0:1], -1
                                        ; implicit-def: $vgpr3
.LBB238_538:
	s_andn2_b64 vcc, exec, s[0:1]
	s_cbranch_vccnz .LBB238_540
; %bb.539:
	global_load_ushort v3, v[1:2], off
.LBB238_540:
	s_mov_b64 s[0:1], 0
.LBB238_541:
	s_andn2_b64 vcc, exec, s[0:1]
	s_cbranch_vccnz .LBB238_547
; %bb.542:
	global_load_ubyte v4, v[1:2], off
	s_movk_i32 s0, 0x7f
	s_mov_b64 s[28:29], 0
	s_waitcnt vmcnt(0)
	v_cmp_lt_i16_e32 vcc, s0, v4
	s_and_saveexec_b64 s[0:1], vcc
	s_xor_b64 s[0:1], exec, s[0:1]
	s_cbranch_execz .LBB238_559
; %bb.543:
	s_movk_i32 s28, 0x80
	v_cmp_ne_u16_e32 vcc, s28, v4
	s_and_b64 s[28:29], vcc, exec
	s_andn2_saveexec_b64 s[0:1], s[0:1]
	s_cbranch_execnz .LBB238_560
.LBB238_544:
	s_or_b64 exec, exec, s[0:1]
	v_mov_b32_e32 v3, 0
	s_and_saveexec_b64 s[0:1], s[28:29]
	s_cbranch_execz .LBB238_546
.LBB238_545:
	v_lshlrev_b32_e32 v3, 24, v4
	v_and_b32_e32 v4, 0xffff, v4
	v_and_b32_e32 v5, 7, v4
	v_ffbh_u32_e32 v7, v5
	v_min_u32_e32 v7, 32, v7
	v_subrev_u32_e32 v8, 28, v7
	v_bfe_u32 v6, v4, 3, 4
	v_lshlrev_b32_e32 v4, v8, v4
	v_sub_u32_e32 v7, 29, v7
	v_and_b32_e32 v4, 7, v4
	v_cmp_eq_u32_e32 vcc, 0, v6
	v_cndmask_b32_e32 v6, v6, v7, vcc
	v_cndmask_b32_e32 v4, v5, v4, vcc
	v_mov_b32_e32 v5, 0x3b800000
	v_lshlrev_b32_e32 v4, 20, v4
	v_and_b32_e32 v3, 0x80000000, v3
	v_lshl_add_u32 v5, v6, 23, v5
	v_or3_b32 v3, v3, v5, v4
	v_cvt_i32_f32_e32 v3, v3
.LBB238_546:
	s_or_b64 exec, exec, s[0:1]
.LBB238_547:
	s_mov_b64 s[0:1], -1
.LBB238_548:
	s_mov_b64 s[28:29], 0
.LBB238_549:
	s_and_b64 vcc, exec, s[28:29]
	s_cbranch_vccz .LBB238_582
; %bb.550:
	s_cmp_gt_i32 s35, 22
	s_cbranch_scc0 .LBB238_558
; %bb.551:
	s_cmp_lt_i32 s35, 24
	s_cbranch_scc1 .LBB238_561
; %bb.552:
	s_cmp_gt_i32 s35, 24
	s_cbranch_scc0 .LBB238_562
; %bb.553:
	global_load_ubyte v4, v[1:2], off
	s_movk_i32 s0, 0x7f
	s_mov_b64 s[28:29], 0
	s_waitcnt vmcnt(0)
	v_cmp_lt_i16_e32 vcc, s0, v4
	s_and_saveexec_b64 s[0:1], vcc
	s_xor_b64 s[0:1], exec, s[0:1]
	s_cbranch_execz .LBB238_574
; %bb.554:
	s_movk_i32 s28, 0x80
	v_cmp_ne_u16_e32 vcc, s28, v4
	s_and_b64 s[28:29], vcc, exec
	s_andn2_saveexec_b64 s[0:1], s[0:1]
	s_cbranch_execnz .LBB238_575
.LBB238_555:
	s_or_b64 exec, exec, s[0:1]
	v_mov_b32_e32 v3, 0
	s_and_saveexec_b64 s[0:1], s[28:29]
	s_cbranch_execz .LBB238_557
.LBB238_556:
	v_lshlrev_b32_e32 v3, 24, v4
	v_and_b32_e32 v4, 0xffff, v4
	v_and_b32_e32 v5, 3, v4
	v_ffbh_u32_e32 v7, v5
	v_min_u32_e32 v7, 32, v7
	v_subrev_u32_e32 v8, 29, v7
	v_bfe_u32 v6, v4, 2, 5
	v_lshlrev_b32_e32 v4, v8, v4
	v_sub_u32_e32 v7, 30, v7
	v_and_b32_e32 v4, 3, v4
	v_cmp_eq_u32_e32 vcc, 0, v6
	v_cndmask_b32_e32 v6, v6, v7, vcc
	v_cndmask_b32_e32 v4, v5, v4, vcc
	v_mov_b32_e32 v5, 0x37800000
	v_lshlrev_b32_e32 v4, 21, v4
	v_and_b32_e32 v3, 0x80000000, v3
	v_lshl_add_u32 v5, v6, 23, v5
	v_or3_b32 v3, v3, v5, v4
	v_cvt_i32_f32_e32 v3, v3
.LBB238_557:
	s_or_b64 exec, exec, s[0:1]
	s_mov_b64 s[0:1], 0
	s_branch .LBB238_563
.LBB238_558:
	s_mov_b64 s[28:29], -1
                                        ; implicit-def: $vgpr3
	s_branch .LBB238_569
.LBB238_559:
	s_andn2_saveexec_b64 s[0:1], s[0:1]
	s_cbranch_execz .LBB238_544
.LBB238_560:
	v_cmp_ne_u16_e32 vcc, 0, v4
	s_andn2_b64 s[28:29], s[28:29], exec
	s_and_b64 s[36:37], vcc, exec
	s_or_b64 s[28:29], s[28:29], s[36:37]
	s_or_b64 exec, exec, s[0:1]
	v_mov_b32_e32 v3, 0
	s_and_saveexec_b64 s[0:1], s[28:29]
	s_cbranch_execnz .LBB238_545
	s_branch .LBB238_546
.LBB238_561:
	s_mov_b64 s[0:1], -1
                                        ; implicit-def: $vgpr3
	s_branch .LBB238_566
.LBB238_562:
	s_mov_b64 s[0:1], -1
                                        ; implicit-def: $vgpr3
.LBB238_563:
	s_and_b64 vcc, exec, s[0:1]
	s_cbranch_vccz .LBB238_565
; %bb.564:
	global_load_ubyte v3, v[1:2], off
	s_mov_b32 s0, 0x7f800000
	s_waitcnt vmcnt(0)
	v_lshlrev_b32_e32 v3, 24, v3
	v_and_b32_e32 v4, 0x7f000000, v3
	v_ffbh_u32_e32 v5, v4
	v_min_u32_e32 v5, 32, v5
	v_sub_u32_e64 v5, v5, 4 clamp
	v_lshlrev_b32_e32 v7, v5, v4
	v_lshlrev_b32_e32 v5, 23, v5
	v_lshrrev_b32_e32 v7, 4, v7
	v_add_u32_e32 v6, 0x1000000, v4
	v_sub_u32_e32 v5, v7, v5
	v_ashrrev_i32_e32 v6, 8, v6
	v_add_u32_e32 v5, 0x3c000000, v5
	v_and_or_b32 v5, v6, s0, v5
	v_cmp_ne_u32_e32 vcc, 0, v4
	v_cndmask_b32_e32 v4, 0, v5, vcc
	s_brev_b32 s0, 1
	v_and_or_b32 v3, v3, s0, v4
	v_cvt_i32_f32_e32 v3, v3
.LBB238_565:
	s_mov_b64 s[0:1], 0
.LBB238_566:
	s_andn2_b64 vcc, exec, s[0:1]
	s_cbranch_vccnz .LBB238_568
; %bb.567:
	global_load_ubyte v3, v[1:2], off
	s_movk_i32 s0, 0x7f00
	s_brev_b32 s1, 16
	s_waitcnt vmcnt(0)
	v_lshlrev_b16_e32 v4, 8, v3
	v_lshlrev_b32_e32 v3, 25, v3
	v_lshrrev_b32_e32 v5, 4, v3
	v_and_or_b32 v6, v4, s0, 0.5
	v_or_b32_e32 v5, 0x70000000, v5
	v_add_f32_e32 v6, -0.5, v6
	v_mul_f32_e32 v5, 0x7800000, v5
	v_cmp_gt_u32_e32 vcc, s1, v3
	v_bfe_i32 v4, v4, 0, 16
	v_cndmask_b32_e32 v3, v5, v6, vcc
	s_brev_b32 s0, 1
	v_and_or_b32 v3, v4, s0, v3
	v_cvt_i32_f32_e32 v3, v3
.LBB238_568:
	s_mov_b64 s[28:29], 0
	s_mov_b64 s[0:1], -1
.LBB238_569:
	s_andn2_b64 vcc, exec, s[28:29]
	s_cbranch_vccnz .LBB238_582
; %bb.570:
	s_cmp_gt_i32 s35, 14
	s_cbranch_scc0 .LBB238_573
; %bb.571:
	s_cmp_eq_u32 s35, 15
	s_cbranch_scc0 .LBB238_576
; %bb.572:
	global_load_ushort v3, v[1:2], off
	s_mov_b64 s[0:1], -1
	s_mov_b64 s[26:27], 0
	s_waitcnt vmcnt(0)
	v_lshlrev_b32_e32 v3, 16, v3
	v_cvt_i32_f32_e32 v3, v3
	s_branch .LBB238_577
.LBB238_573:
	s_mov_b64 s[28:29], -1
                                        ; implicit-def: $vgpr3
	s_branch .LBB238_578
.LBB238_574:
	s_andn2_saveexec_b64 s[0:1], s[0:1]
	s_cbranch_execz .LBB238_555
.LBB238_575:
	v_cmp_ne_u16_e32 vcc, 0, v4
	s_andn2_b64 s[28:29], s[28:29], exec
	s_and_b64 s[36:37], vcc, exec
	s_or_b64 s[28:29], s[28:29], s[36:37]
	s_or_b64 exec, exec, s[0:1]
	v_mov_b32_e32 v3, 0
	s_and_saveexec_b64 s[0:1], s[28:29]
	s_cbranch_execnz .LBB238_556
	s_branch .LBB238_557
.LBB238_576:
	s_mov_b64 s[26:27], -1
                                        ; implicit-def: $vgpr3
.LBB238_577:
	s_mov_b64 s[28:29], 0
.LBB238_578:
	s_and_b64 vcc, exec, s[28:29]
	s_cbranch_vccz .LBB238_582
; %bb.579:
	s_cmp_eq_u32 s35, 11
	s_cbranch_scc0 .LBB238_581
; %bb.580:
	global_load_ubyte v3, v[1:2], off
	s_mov_b64 s[0:1], -1
	s_mov_b64 s[26:27], 0
	s_waitcnt vmcnt(0)
	v_cmp_ne_u16_e32 vcc, 0, v3
	v_cndmask_b32_e64 v3, 0, 1, vcc
	s_branch .LBB238_582
.LBB238_581:
	s_mov_b64 s[26:27], -1
                                        ; implicit-def: $vgpr3
.LBB238_582:
	s_mov_b64 s[28:29], 0
.LBB238_583:
	s_and_b64 vcc, exec, s[28:29]
	s_cbranch_vccz .LBB238_632
; %bb.584:
	s_and_b32 s28, 0xffff, s34
	s_cmp_lt_i32 s28, 5
	s_cbranch_scc1 .LBB238_589
; %bb.585:
	s_cmp_lt_i32 s28, 8
	s_cbranch_scc1 .LBB238_590
; %bb.586:
	;; [unrolled: 3-line block ×3, first 2 shown]
	s_cmp_gt_i32 s28, 9
	s_cbranch_scc0 .LBB238_592
; %bb.588:
	global_load_dwordx2 v[3:4], v[1:2], off
	s_mov_b64 s[0:1], 0
	s_waitcnt vmcnt(0)
	v_cvt_i32_f64_e32 v3, v[3:4]
	s_branch .LBB238_593
.LBB238_589:
	s_mov_b64 s[0:1], -1
                                        ; implicit-def: $vgpr3
	s_branch .LBB238_611
.LBB238_590:
	s_mov_b64 s[0:1], -1
                                        ; implicit-def: $vgpr3
	s_branch .LBB238_599
.LBB238_591:
	s_mov_b64 s[0:1], -1
                                        ; implicit-def: $vgpr3
	s_branch .LBB238_596
.LBB238_592:
	s_mov_b64 s[0:1], -1
                                        ; implicit-def: $vgpr3
.LBB238_593:
	s_andn2_b64 vcc, exec, s[0:1]
	s_cbranch_vccnz .LBB238_595
; %bb.594:
	global_load_dword v3, v[1:2], off
	s_waitcnt vmcnt(0)
	v_cvt_i32_f32_e32 v3, v3
.LBB238_595:
	s_mov_b64 s[0:1], 0
.LBB238_596:
	s_andn2_b64 vcc, exec, s[0:1]
	s_cbranch_vccnz .LBB238_598
; %bb.597:
	global_load_dword v3, v[1:2], off
	s_waitcnt vmcnt(0)
	v_cvt_i16_f16_e32 v3, v3
.LBB238_598:
	s_mov_b64 s[0:1], 0
.LBB238_599:
	s_andn2_b64 vcc, exec, s[0:1]
	s_cbranch_vccnz .LBB238_610
; %bb.600:
	s_cmp_lt_i32 s28, 6
	s_cbranch_scc1 .LBB238_603
; %bb.601:
	s_cmp_gt_i32 s28, 6
	s_cbranch_scc0 .LBB238_604
; %bb.602:
	global_load_dwordx2 v[3:4], v[1:2], off
	s_mov_b64 s[0:1], 0
	s_waitcnt vmcnt(0)
	v_cvt_i32_f64_e32 v3, v[3:4]
	s_branch .LBB238_605
.LBB238_603:
	s_mov_b64 s[0:1], -1
                                        ; implicit-def: $vgpr3
	s_branch .LBB238_608
.LBB238_604:
	s_mov_b64 s[0:1], -1
                                        ; implicit-def: $vgpr3
.LBB238_605:
	s_andn2_b64 vcc, exec, s[0:1]
	s_cbranch_vccnz .LBB238_607
; %bb.606:
	global_load_dword v3, v[1:2], off
	s_waitcnt vmcnt(0)
	v_cvt_i32_f32_e32 v3, v3
.LBB238_607:
	s_mov_b64 s[0:1], 0
.LBB238_608:
	s_andn2_b64 vcc, exec, s[0:1]
	s_cbranch_vccnz .LBB238_610
; %bb.609:
	global_load_ushort v3, v[1:2], off
	s_waitcnt vmcnt(0)
	v_cvt_i16_f16_e32 v3, v3
.LBB238_610:
	s_mov_b64 s[0:1], 0
.LBB238_611:
	s_andn2_b64 vcc, exec, s[0:1]
	s_cbranch_vccnz .LBB238_631
; %bb.612:
	s_cmp_lt_i32 s28, 2
	s_cbranch_scc1 .LBB238_616
; %bb.613:
	s_cmp_lt_i32 s28, 3
	s_cbranch_scc1 .LBB238_617
; %bb.614:
	s_cmp_gt_i32 s28, 3
	s_cbranch_scc0 .LBB238_618
; %bb.615:
	global_load_dwordx2 v[3:4], v[1:2], off
	s_mov_b64 s[0:1], 0
	s_branch .LBB238_619
.LBB238_616:
	s_mov_b64 s[0:1], -1
                                        ; implicit-def: $vgpr3
	s_branch .LBB238_625
.LBB238_617:
	s_mov_b64 s[0:1], -1
                                        ; implicit-def: $vgpr3
	s_branch .LBB238_622
.LBB238_618:
	s_mov_b64 s[0:1], -1
                                        ; implicit-def: $vgpr3
.LBB238_619:
	s_andn2_b64 vcc, exec, s[0:1]
	s_cbranch_vccnz .LBB238_621
; %bb.620:
	global_load_dword v3, v[1:2], off
.LBB238_621:
	s_mov_b64 s[0:1], 0
.LBB238_622:
	s_andn2_b64 vcc, exec, s[0:1]
	s_cbranch_vccnz .LBB238_624
; %bb.623:
	global_load_ushort v3, v[1:2], off
.LBB238_624:
	s_mov_b64 s[0:1], 0
.LBB238_625:
	s_andn2_b64 vcc, exec, s[0:1]
	s_cbranch_vccnz .LBB238_631
; %bb.626:
	s_cmp_gt_i32 s28, 0
	s_cbranch_scc0 .LBB238_628
; %bb.627:
	global_load_sbyte v3, v[1:2], off
	s_mov_b64 s[0:1], 0
	s_branch .LBB238_629
.LBB238_628:
	s_mov_b64 s[0:1], -1
                                        ; implicit-def: $vgpr3
.LBB238_629:
	s_andn2_b64 vcc, exec, s[0:1]
	s_cbranch_vccnz .LBB238_631
; %bb.630:
	global_load_ubyte v3, v[1:2], off
.LBB238_631:
	s_mov_b64 s[0:1], -1
.LBB238_632:
	s_andn2_b64 vcc, exec, s[0:1]
	s_cbranch_vccnz .LBB238_640
; %bb.633:
	v_mul_lo_u32 v2, v14, s12
	v_ashrrev_i16_e32 v1, 15, v0
	s_waitcnt vmcnt(0)
	v_ashrrev_i32_sdwa v0, v3, sext(v0) dst_sel:DWORD dst_unused:UNUSED_PAD src0_sel:WORD_0 src1_sel:WORD_0
	v_cmp_lt_u16_e32 vcc, 14, v3
	v_cndmask_b32_e32 v4, v0, v1, vcc
	v_ashrrev_i32_e32 v1, 31, v2
	v_mov_b32_e32 v3, s9
	s_and_b32 s38, s33, 0xff
	v_add_co_u32_e32 v0, vcc, s8, v2
	s_cmp_lt_i32 s38, 11
	v_addc_co_u32_e32 v1, vcc, v3, v1, vcc
	s_cbranch_scc1 .LBB238_641
; %bb.634:
	s_and_b32 s39, 0xffff, s38
	s_cmp_gt_i32 s39, 25
	s_cbranch_scc0 .LBB238_642
; %bb.635:
	s_cmp_gt_i32 s39, 28
	s_cbranch_scc0 .LBB238_643
; %bb.636:
	;; [unrolled: 3-line block ×4, first 2 shown]
	s_mov_b64 s[34:35], 0
	s_mov_b64 s[0:1], -1
	s_cmp_eq_u32 s39, 46
	s_mov_b64 s[28:29], 0
	s_cbranch_scc0 .LBB238_646
; %bb.639:
	v_cvt_f32_i32_sdwa v2, sext(v4) dst_sel:DWORD dst_unused:UNUSED_PAD src0_sel:WORD_0
	s_movk_i32 s0, 0x7fff
	s_mov_b64 s[28:29], -1
	v_bfe_u32 v3, v2, 16, 1
	v_add3_u32 v2, v2, v3, s0
	v_lshrrev_b32_e32 v2, 16, v2
	global_store_dword v[0:1], v2, off
	s_mov_b64 s[0:1], 0
	s_branch .LBB238_646
.LBB238_640:
	s_mov_b64 s[34:35], 0
                                        ; implicit-def: $vgpr14
	s_mov_b64 s[0:1], s[6:7]
	s_branch .LBB238_756
.LBB238_641:
	s_mov_b64 s[34:35], -1
	s_mov_b64 s[28:29], 0
	s_mov_b64 s[0:1], s[6:7]
	s_branch .LBB238_715
.LBB238_642:
	s_mov_b64 s[34:35], -1
	s_mov_b64 s[28:29], 0
	s_mov_b64 s[0:1], s[6:7]
	s_branch .LBB238_673
.LBB238_643:
	s_mov_b64 s[34:35], -1
	s_mov_b64 s[28:29], 0
	s_mov_b64 s[0:1], s[6:7]
	s_branch .LBB238_656
.LBB238_644:
	s_mov_b64 s[34:35], -1
	s_mov_b64 s[28:29], 0
	s_mov_b64 s[0:1], s[6:7]
	s_branch .LBB238_652
.LBB238_645:
	s_mov_b64 s[34:35], -1
	s_mov_b64 s[28:29], 0
	s_mov_b64 s[0:1], s[6:7]
.LBB238_646:
	s_and_b64 vcc, exec, s[34:35]
	s_cbranch_vccz .LBB238_651
; %bb.647:
	s_cmp_eq_u32 s39, 44
	s_mov_b64 s[0:1], -1
	s_cbranch_scc0 .LBB238_651
; %bb.648:
	v_cvt_f32_i32_sdwa v2, sext(v4) dst_sel:DWORD dst_unused:UNUSED_PAD src0_sel:WORD_0
	s_movk_i32 s0, 0xff
	v_mov_b32_e32 v5, 0xff
	v_bfe_u32 v3, v2, 23, 8
	v_cmp_ne_u32_e32 vcc, s0, v3
	s_and_saveexec_b64 s[28:29], vcc
; %bb.649:
	s_mov_b32 s0, 0x3fffff
	v_lshrrev_b32_e32 v5, 23, v2
	v_and_b32_e32 v6, 0x400000, v2
	v_and_or_b32 v2, v2, s0, v3
	v_cmp_ne_u32_e32 vcc, 0, v6
	v_cmp_ne_u32_e64 s[0:1], 0, v2
	s_and_b64 s[0:1], vcc, s[0:1]
	v_cndmask_b32_e64 v2, 0, 1, s[0:1]
	v_add_u32_e32 v5, v5, v2
; %bb.650:
	s_or_b64 exec, exec, s[28:29]
	s_mov_b64 s[28:29], -1
	s_mov_b64 s[0:1], 0
	global_store_byte v[0:1], v5, off
.LBB238_651:
	s_mov_b64 s[34:35], 0
.LBB238_652:
	s_and_b64 vcc, exec, s[34:35]
	s_cbranch_vccz .LBB238_655
; %bb.653:
	s_cmp_eq_u32 s39, 29
	s_mov_b64 s[0:1], -1
	s_cbranch_scc0 .LBB238_655
; %bb.654:
	v_bfe_i32 v2, v4, 0, 16
	v_ashrrev_i32_e32 v3, 31, v2
	global_store_dwordx2 v[0:1], v[2:3], off
	s_mov_b64 s[28:29], -1
	s_mov_b64 s[0:1], 0
.LBB238_655:
	s_mov_b64 s[34:35], 0
.LBB238_656:
	s_and_b64 vcc, exec, s[34:35]
	s_cbranch_vccz .LBB238_672
; %bb.657:
	s_cmp_lt_i32 s39, 27
	s_mov_b64 s[28:29], -1
	s_cbranch_scc1 .LBB238_663
; %bb.658:
	s_cmp_gt_i32 s39, 27
	s_cbranch_scc0 .LBB238_660
; %bb.659:
	v_bfe_i32 v2, v4, 0, 16
	s_mov_b64 s[28:29], 0
	global_store_dword v[0:1], v2, off
.LBB238_660:
	s_andn2_b64 vcc, exec, s[28:29]
	s_cbranch_vccnz .LBB238_662
; %bb.661:
	global_store_short v[0:1], v4, off
.LBB238_662:
	s_mov_b64 s[28:29], 0
.LBB238_663:
	s_andn2_b64 vcc, exec, s[28:29]
	s_cbranch_vccnz .LBB238_671
; %bb.664:
	v_cvt_f32_i32_sdwa v2, sext(v4) dst_sel:DWORD dst_unused:UNUSED_PAD src0_sel:WORD_0
	s_mov_b32 s28, 0x43800000
	v_mov_b32_e32 v5, 0x80
	v_and_b32_e32 v3, 0x7fffffff, v2
	v_cmp_gt_u32_e32 vcc, s28, v3
	s_and_saveexec_b64 s[28:29], vcc
	s_cbranch_execz .LBB238_670
; %bb.665:
	s_mov_b32 s34, 0x3bffffff
	v_cmp_lt_u32_e32 vcc, s34, v3
	s_mov_b64 s[34:35], 0
                                        ; implicit-def: $vgpr3
	s_and_saveexec_b64 s[36:37], vcc
	s_xor_b64 s[36:37], exec, s[36:37]
	s_cbranch_execz .LBB238_772
; %bb.666:
	v_bfe_u32 v3, v2, 20, 1
	s_mov_b32 s40, 0x487ffff
	v_add3_u32 v3, v2, v3, s40
	s_mov_b64 s[34:35], exec
	v_lshrrev_b32_e32 v3, 20, v3
	s_andn2_saveexec_b64 s[36:37], s[36:37]
	s_cbranch_execnz .LBB238_773
.LBB238_667:
	s_or_b64 exec, exec, s[36:37]
	v_mov_b32_e32 v5, 0
	s_and_saveexec_b64 s[36:37], s[34:35]
.LBB238_668:
	v_lshrrev_b32_e32 v2, 24, v2
	s_movk_i32 s34, 0x80
	v_and_or_b32 v5, v2, s34, v3
.LBB238_669:
	s_or_b64 exec, exec, s[36:37]
.LBB238_670:
	s_or_b64 exec, exec, s[28:29]
	global_store_byte v[0:1], v5, off
.LBB238_671:
	s_mov_b64 s[28:29], -1
.LBB238_672:
	s_mov_b64 s[34:35], 0
.LBB238_673:
	s_and_b64 vcc, exec, s[34:35]
	s_cbranch_vccz .LBB238_714
; %bb.674:
	s_cmp_gt_i32 s39, 22
	s_mov_b64 s[34:35], -1
	s_cbranch_scc0 .LBB238_706
; %bb.675:
	s_cmp_lt_i32 s39, 24
	s_mov_b64 s[28:29], -1
	s_cbranch_scc1 .LBB238_695
; %bb.676:
	s_cmp_gt_i32 s39, 24
	s_cbranch_scc0 .LBB238_684
; %bb.677:
	v_cvt_f32_i32_sdwa v2, sext(v4) dst_sel:DWORD dst_unused:UNUSED_PAD src0_sel:WORD_0
	s_mov_b32 s28, 0x47800000
	v_mov_b32_e32 v5, 0x80
	v_and_b32_e32 v3, 0x7fffffff, v2
	v_cmp_gt_u32_e32 vcc, s28, v3
	s_and_saveexec_b64 s[28:29], vcc
	s_cbranch_execz .LBB238_683
; %bb.678:
	s_mov_b32 s34, 0x37ffffff
	v_cmp_lt_u32_e32 vcc, s34, v3
	s_mov_b64 s[34:35], 0
                                        ; implicit-def: $vgpr3
	s_and_saveexec_b64 s[36:37], vcc
	s_xor_b64 s[36:37], exec, s[36:37]
	s_cbranch_execz .LBB238_900
; %bb.679:
	v_bfe_u32 v3, v2, 21, 1
	s_mov_b32 s40, 0x88fffff
	v_add3_u32 v3, v2, v3, s40
	s_mov_b64 s[34:35], exec
	v_lshrrev_b32_e32 v3, 21, v3
	s_andn2_saveexec_b64 s[36:37], s[36:37]
	s_cbranch_execnz .LBB238_901
.LBB238_680:
	s_or_b64 exec, exec, s[36:37]
	v_mov_b32_e32 v5, 0
	s_and_saveexec_b64 s[36:37], s[34:35]
.LBB238_681:
	v_lshrrev_b32_e32 v2, 24, v2
	s_movk_i32 s34, 0x80
	v_and_or_b32 v5, v2, s34, v3
.LBB238_682:
	s_or_b64 exec, exec, s[36:37]
.LBB238_683:
	s_or_b64 exec, exec, s[28:29]
	s_mov_b64 s[28:29], 0
	global_store_byte v[0:1], v5, off
.LBB238_684:
	s_and_b64 vcc, exec, s[28:29]
	s_cbranch_vccz .LBB238_694
; %bb.685:
	v_cvt_f32_i32_sdwa v2, sext(v4) dst_sel:DWORD dst_unused:UNUSED_PAD src0_sel:WORD_0
	s_mov_b32 s28, 0x43f00000
                                        ; implicit-def: $vgpr3
	v_and_b32_e32 v5, 0x7fffffff, v2
	v_cmp_gt_u32_e32 vcc, s28, v5
	s_and_saveexec_b64 s[28:29], vcc
	s_xor_b64 s[28:29], exec, s[28:29]
	s_cbranch_execz .LBB238_691
; %bb.686:
	s_mov_b32 s34, 0x3c7fffff
	v_cmp_lt_u32_e32 vcc, s34, v5
                                        ; implicit-def: $vgpr3
	s_and_saveexec_b64 s[34:35], vcc
	s_xor_b64 s[34:35], exec, s[34:35]
; %bb.687:
	v_bfe_u32 v3, v2, 20, 1
	s_mov_b32 s36, 0x407ffff
	v_add3_u32 v3, v2, v3, s36
	v_lshrrev_b32_e32 v5, 20, v3
	v_and_b32_e32 v3, 0xff00000, v3
	s_mov_b32 s36, 0x7f00000
	v_mov_b32_e32 v6, 0x7e
	v_cmp_ne_u32_e32 vcc, s36, v3
	v_cndmask_b32_e32 v3, v6, v5, vcc
; %bb.688:
	s_andn2_saveexec_b64 s[34:35], s[34:35]
; %bb.689:
	s_mov_b32 s36, 0x46800000
	v_add_f32_e64 v3, |v2|, s36
; %bb.690:
	s_or_b64 exec, exec, s[34:35]
                                        ; implicit-def: $vgpr5
.LBB238_691:
	s_andn2_saveexec_b64 s[28:29], s[28:29]
; %bb.692:
	s_mov_b32 s34, 0x7f800000
	v_mov_b32_e32 v3, 0x7e
	v_mov_b32_e32 v6, 0x7f
	v_cmp_lt_u32_e32 vcc, s34, v5
	v_cndmask_b32_e32 v3, v3, v6, vcc
; %bb.693:
	s_or_b64 exec, exec, s[28:29]
	v_lshrrev_b32_e32 v2, 24, v2
	s_movk_i32 s28, 0x80
	v_and_or_b32 v2, v2, s28, v3
	global_store_byte v[0:1], v2, off
.LBB238_694:
	s_mov_b64 s[28:29], 0
.LBB238_695:
	s_andn2_b64 vcc, exec, s[28:29]
	s_cbranch_vccnz .LBB238_705
; %bb.696:
	v_cvt_f32_i32_sdwa v2, sext(v4) dst_sel:DWORD dst_unused:UNUSED_PAD src0_sel:WORD_0
	s_mov_b32 s28, 0x47800000
                                        ; implicit-def: $vgpr3
	v_and_b32_e32 v5, 0x7fffffff, v2
	v_cmp_gt_u32_e32 vcc, s28, v5
	s_and_saveexec_b64 s[28:29], vcc
	s_xor_b64 s[28:29], exec, s[28:29]
	s_cbranch_execz .LBB238_702
; %bb.697:
	s_mov_b32 s34, 0x387fffff
	v_cmp_lt_u32_e32 vcc, s34, v5
                                        ; implicit-def: $vgpr3
	s_and_saveexec_b64 s[34:35], vcc
	s_xor_b64 s[34:35], exec, s[34:35]
; %bb.698:
	v_bfe_u32 v3, v2, 21, 1
	s_mov_b32 s36, 0x80fffff
	v_add3_u32 v3, v2, v3, s36
	v_lshrrev_b32_e32 v3, 21, v3
; %bb.699:
	s_andn2_saveexec_b64 s[34:35], s[34:35]
; %bb.700:
	s_mov_b32 s36, 0x43000000
	v_add_f32_e64 v3, |v2|, s36
; %bb.701:
	s_or_b64 exec, exec, s[34:35]
                                        ; implicit-def: $vgpr5
.LBB238_702:
	s_andn2_saveexec_b64 s[28:29], s[28:29]
; %bb.703:
	s_mov_b32 s34, 0x7f800000
	v_mov_b32_e32 v3, 0x7c
	v_mov_b32_e32 v6, 0x7f
	v_cmp_lt_u32_e32 vcc, s34, v5
	v_cndmask_b32_e32 v3, v3, v6, vcc
; %bb.704:
	s_or_b64 exec, exec, s[28:29]
	v_lshrrev_b32_e32 v2, 24, v2
	s_movk_i32 s28, 0x80
	v_and_or_b32 v2, v2, s28, v3
	global_store_byte v[0:1], v2, off
.LBB238_705:
	s_mov_b64 s[34:35], 0
	s_mov_b64 s[28:29], -1
.LBB238_706:
	s_andn2_b64 vcc, exec, s[34:35]
	s_cbranch_vccnz .LBB238_714
; %bb.707:
	s_cmp_gt_i32 s39, 14
	s_mov_b64 s[34:35], -1
	s_cbranch_scc0 .LBB238_711
; %bb.708:
	s_cmp_eq_u32 s39, 15
	s_mov_b64 s[0:1], -1
	s_cbranch_scc0 .LBB238_710
; %bb.709:
	v_cvt_f32_i32_sdwa v2, sext(v4) dst_sel:DWORD dst_unused:UNUSED_PAD src0_sel:WORD_0
	s_movk_i32 s0, 0x7fff
	s_mov_b64 s[28:29], -1
	v_bfe_u32 v3, v2, 16, 1
	v_add3_u32 v2, v2, v3, s0
	global_store_short_d16_hi v[0:1], v2, off
	s_mov_b64 s[0:1], 0
.LBB238_710:
	s_mov_b64 s[34:35], 0
.LBB238_711:
	s_and_b64 vcc, exec, s[34:35]
	s_cbranch_vccz .LBB238_714
; %bb.712:
	s_cmp_eq_u32 s39, 11
	s_mov_b64 s[0:1], -1
	s_cbranch_scc0 .LBB238_714
; %bb.713:
	v_cmp_ne_u16_e32 vcc, 0, v4
	v_cndmask_b32_e64 v2, 0, 1, vcc
	s_mov_b64 s[28:29], -1
	s_mov_b64 s[0:1], 0
	global_store_byte v[0:1], v2, off
.LBB238_714:
	s_mov_b64 s[34:35], 0
.LBB238_715:
	s_and_b64 vcc, exec, s[34:35]
	s_cbranch_vccz .LBB238_754
; %bb.716:
	s_and_b32 s34, 0xffff, s38
	s_cmp_lt_i32 s34, 5
	s_mov_b64 s[28:29], -1
	s_cbranch_scc1 .LBB238_737
; %bb.717:
	s_cmp_lt_i32 s34, 8
	s_cbranch_scc1 .LBB238_727
; %bb.718:
	s_cmp_lt_i32 s34, 9
	s_cbranch_scc1 .LBB238_724
; %bb.719:
	s_cmp_gt_i32 s34, 9
	s_cbranch_scc0 .LBB238_721
; %bb.720:
	v_bfe_i32 v2, v4, 0, 16
	v_cvt_f64_i32_e32 v[5:6], v2
	v_mov_b32_e32 v7, 0
	v_mov_b32_e32 v8, v7
	s_mov_b64 s[28:29], 0
	global_store_dwordx4 v[0:1], v[5:8], off
.LBB238_721:
	s_andn2_b64 vcc, exec, s[28:29]
	s_cbranch_vccnz .LBB238_723
; %bb.722:
	v_cvt_f32_i32_sdwa v2, sext(v4) dst_sel:DWORD dst_unused:UNUSED_PAD src0_sel:WORD_0
	v_mov_b32_e32 v3, 0
	global_store_dwordx2 v[0:1], v[2:3], off
.LBB238_723:
	s_mov_b64 s[28:29], 0
.LBB238_724:
	s_andn2_b64 vcc, exec, s[28:29]
	s_cbranch_vccnz .LBB238_726
; %bb.725:
	v_cvt_f16_i16_e32 v2, v4
	global_store_dword v[0:1], v2, off
.LBB238_726:
	s_mov_b64 s[28:29], 0
.LBB238_727:
	s_andn2_b64 vcc, exec, s[28:29]
	s_cbranch_vccnz .LBB238_736
; %bb.728:
	s_cmp_lt_i32 s34, 6
	s_mov_b64 s[28:29], -1
	s_cbranch_scc1 .LBB238_734
; %bb.729:
	s_cmp_gt_i32 s34, 6
	s_cbranch_scc0 .LBB238_731
; %bb.730:
	v_bfe_i32 v2, v4, 0, 16
	v_cvt_f64_i32_e32 v[2:3], v2
	s_mov_b64 s[28:29], 0
	global_store_dwordx2 v[0:1], v[2:3], off
.LBB238_731:
	s_andn2_b64 vcc, exec, s[28:29]
	s_cbranch_vccnz .LBB238_733
; %bb.732:
	v_cvt_f32_i32_sdwa v2, sext(v4) dst_sel:DWORD dst_unused:UNUSED_PAD src0_sel:WORD_0
	global_store_dword v[0:1], v2, off
.LBB238_733:
	s_mov_b64 s[28:29], 0
.LBB238_734:
	s_andn2_b64 vcc, exec, s[28:29]
	s_cbranch_vccnz .LBB238_736
; %bb.735:
	v_cvt_f16_i16_e32 v2, v4
	global_store_short v[0:1], v2, off
.LBB238_736:
	s_mov_b64 s[28:29], 0
.LBB238_737:
	s_andn2_b64 vcc, exec, s[28:29]
	s_cbranch_vccnz .LBB238_753
; %bb.738:
	s_cmp_lt_i32 s34, 2
	s_mov_b64 s[28:29], -1
	s_cbranch_scc1 .LBB238_748
; %bb.739:
	s_cmp_lt_i32 s34, 3
	s_cbranch_scc1 .LBB238_745
; %bb.740:
	s_cmp_gt_i32 s34, 3
	v_bfe_i32 v2, v4, 0, 16
	s_cbranch_scc0 .LBB238_742
; %bb.741:
	v_ashrrev_i32_e32 v3, 31, v2
	s_mov_b64 s[28:29], 0
	global_store_dwordx2 v[0:1], v[2:3], off
.LBB238_742:
	s_andn2_b64 vcc, exec, s[28:29]
	s_cbranch_vccnz .LBB238_744
; %bb.743:
	global_store_dword v[0:1], v2, off
.LBB238_744:
	s_mov_b64 s[28:29], 0
.LBB238_745:
	s_andn2_b64 vcc, exec, s[28:29]
	s_cbranch_vccnz .LBB238_747
; %bb.746:
	global_store_short v[0:1], v4, off
.LBB238_747:
	s_mov_b64 s[28:29], 0
.LBB238_748:
	s_andn2_b64 vcc, exec, s[28:29]
	s_cbranch_vccnz .LBB238_753
; %bb.749:
	s_cmp_gt_i32 s34, 0
	s_mov_b64 s[28:29], -1
	s_cbranch_scc0 .LBB238_751
; %bb.750:
	s_mov_b64 s[28:29], 0
	global_store_byte v[0:1], v4, off
.LBB238_751:
	s_andn2_b64 vcc, exec, s[28:29]
	s_cbranch_vccnz .LBB238_753
; %bb.752:
	global_store_byte v[0:1], v4, off
.LBB238_753:
	s_mov_b64 s[28:29], -1
.LBB238_754:
	s_andn2_b64 vcc, exec, s[28:29]
	s_cbranch_vccnz .LBB238_767
; %bb.755:
	v_add_u32_e32 v14, 0x80, v14
	s_mov_b64 s[34:35], -1
.LBB238_756:
	s_andn2_b64 s[28:29], s[6:7], exec
	s_and_b64 s[0:1], s[0:1], exec
	s_or_b64 s[28:29], s[28:29], s[0:1]
	s_andn2_b64 s[0:1], s[18:19], exec
	s_and_b64 s[26:27], s[26:27], exec
	s_or_b64 s[26:27], s[0:1], s[26:27]
	;; [unrolled: 3-line block ×3, first 2 shown]
	s_orn2_b64 s[0:1], s[34:35], exec
.LBB238_757:
	s_or_b64 exec, exec, s[30:31]
	s_mov_b64 s[34:35], 0
	s_mov_b64 s[36:37], 0
	;; [unrolled: 1-line block ×3, first 2 shown]
                                        ; implicit-def: $sgpr55
                                        ; implicit-def: $vgpr2_vgpr3
                                        ; implicit-def: $vgpr0
	s_and_saveexec_b64 s[30:31], s[0:1]
	s_cbranch_execz .LBB238_1219
; %bb.758:
	v_cmp_gt_i32_e32 vcc, s48, v14
	s_mov_b64 s[46:47], -1
	s_mov_b64 s[0:1], s[24:25]
	s_mov_b64 s[38:39], s[26:27]
	;; [unrolled: 1-line block ×3, first 2 shown]
	s_and_saveexec_b64 s[34:35], vcc
	s_cbranch_execz .LBB238_1138
; %bb.759:
	s_waitcnt vmcnt(0)
	v_mul_lo_u32 v0, v14, s13
	v_mov_b32_e32 v1, s11
	s_and_b32 s40, s54, 0xff
	s_cmp_lt_i32 s40, 11
	v_ashrrev_i32_e32 v3, 31, v0
	v_add_co_u32_e32 v2, vcc, s10, v0
	v_addc_co_u32_e32 v3, vcc, v1, v3, vcc
	s_cbranch_scc1 .LBB238_766
; %bb.760:
	s_and_b32 s41, 0xffff, s40
	s_cmp_gt_i32 s41, 25
	s_cbranch_scc0 .LBB238_768
; %bb.761:
	s_cmp_gt_i32 s41, 28
	s_cbranch_scc0 .LBB238_769
; %bb.762:
	;; [unrolled: 3-line block ×4, first 2 shown]
	s_cmp_eq_u32 s41, 46
	s_mov_b64 s[38:39], 0
	s_cbranch_scc0 .LBB238_774
; %bb.765:
	global_load_dword v0, v[2:3], off
	s_mov_b64 s[0:1], -1
	s_waitcnt vmcnt(0)
	v_lshlrev_b32_e32 v0, 16, v0
	v_cvt_i32_f32_e32 v0, v0
	s_branch .LBB238_775
.LBB238_766:
	s_mov_b64 s[38:39], -1
	s_mov_b64 s[0:1], 0
                                        ; implicit-def: $vgpr0
	s_mov_b64 s[36:37], s[24:25]
	s_branch .LBB238_836
.LBB238_767:
	s_mov_b64 s[34:35], 0
	s_branch .LBB238_518
.LBB238_768:
	s_mov_b64 s[38:39], -1
	s_mov_b64 s[0:1], 0
	s_mov_b64 s[36:37], s[24:25]
                                        ; implicit-def: $vgpr0
	s_branch .LBB238_802
.LBB238_769:
	s_mov_b64 s[38:39], -1
	s_mov_b64 s[0:1], 0
	s_mov_b64 s[36:37], s[24:25]
                                        ; implicit-def: $vgpr0
	s_branch .LBB238_785
.LBB238_770:
	s_mov_b64 s[38:39], -1
	s_mov_b64 s[0:1], 0
	s_mov_b64 s[36:37], s[24:25]
                                        ; implicit-def: $vgpr0
	s_branch .LBB238_780
.LBB238_771:
	s_mov_b64 s[38:39], -1
	s_mov_b64 s[0:1], 0
	s_mov_b64 s[36:37], s[24:25]
                                        ; implicit-def: $vgpr0
	s_branch .LBB238_775
.LBB238_772:
	s_andn2_saveexec_b64 s[36:37], s[36:37]
	s_cbranch_execz .LBB238_667
.LBB238_773:
	s_mov_b32 s40, 0x46000000
	v_add_f32_e64 v3, |v2|, s40
	v_and_b32_e32 v3, 0xff, v3
	v_cmp_ne_u32_e32 vcc, 0, v3
	s_andn2_b64 s[34:35], s[34:35], exec
	s_and_b64 s[40:41], vcc, exec
	s_or_b64 s[34:35], s[34:35], s[40:41]
	s_or_b64 exec, exec, s[36:37]
	v_mov_b32_e32 v5, 0
	s_and_saveexec_b64 s[36:37], s[34:35]
	s_cbranch_execnz .LBB238_668
	s_branch .LBB238_669
.LBB238_774:
	s_mov_b64 s[36:37], -1
                                        ; implicit-def: $vgpr0
	s_mov_b64 s[0:1], 0
.LBB238_775:
	s_and_b64 vcc, exec, s[38:39]
	s_cbranch_vccz .LBB238_779
; %bb.776:
	s_cmp_eq_u32 s41, 44
	s_cbranch_scc0 .LBB238_778
; %bb.777:
	global_load_ubyte v0, v[2:3], off
	s_mov_b64 s[0:1], -1
	s_mov_b64 s[36:37], 0
	s_waitcnt vmcnt(0)
	v_lshlrev_b32_e32 v1, 23, v0
	v_cvt_i32_f32_e32 v1, v1
	v_cmp_ne_u32_e32 vcc, 0, v0
	v_cndmask_b32_e32 v0, 0, v1, vcc
	s_branch .LBB238_779
.LBB238_778:
	s_mov_b64 s[36:37], -1
                                        ; implicit-def: $vgpr0
.LBB238_779:
	s_mov_b64 s[38:39], 0
.LBB238_780:
	s_and_b64 vcc, exec, s[38:39]
	s_cbranch_vccz .LBB238_784
; %bb.781:
	s_cmp_eq_u32 s41, 29
	s_cbranch_scc0 .LBB238_783
; %bb.782:
	global_load_dwordx2 v[0:1], v[2:3], off
	s_mov_b64 s[0:1], -1
	s_mov_b64 s[36:37], 0
	s_branch .LBB238_784
.LBB238_783:
	s_mov_b64 s[36:37], -1
                                        ; implicit-def: $vgpr0
.LBB238_784:
	s_mov_b64 s[38:39], 0
.LBB238_785:
	s_and_b64 vcc, exec, s[38:39]
	s_cbranch_vccz .LBB238_801
; %bb.786:
	s_cmp_lt_i32 s41, 27
	s_cbranch_scc1 .LBB238_789
; %bb.787:
	s_cmp_gt_i32 s41, 27
	s_cbranch_scc0 .LBB238_790
; %bb.788:
	global_load_dword v0, v[2:3], off
	s_mov_b64 s[0:1], 0
	s_branch .LBB238_791
.LBB238_789:
	s_mov_b64 s[0:1], -1
                                        ; implicit-def: $vgpr0
	s_branch .LBB238_794
.LBB238_790:
	s_mov_b64 s[0:1], -1
                                        ; implicit-def: $vgpr0
.LBB238_791:
	s_andn2_b64 vcc, exec, s[0:1]
	s_cbranch_vccnz .LBB238_793
; %bb.792:
	global_load_ushort v0, v[2:3], off
.LBB238_793:
	s_mov_b64 s[0:1], 0
.LBB238_794:
	s_andn2_b64 vcc, exec, s[0:1]
	s_cbranch_vccnz .LBB238_800
; %bb.795:
	global_load_ubyte v1, v[2:3], off
	s_movk_i32 s0, 0x7f
	s_mov_b64 s[38:39], 0
	s_waitcnt vmcnt(0)
	v_cmp_lt_i16_e32 vcc, s0, v1
	s_and_saveexec_b64 s[0:1], vcc
	s_xor_b64 s[0:1], exec, s[0:1]
	s_cbranch_execz .LBB238_812
; %bb.796:
	s_movk_i32 s38, 0x80
	v_cmp_ne_u16_e32 vcc, s38, v1
	s_and_b64 s[38:39], vcc, exec
	s_andn2_saveexec_b64 s[0:1], s[0:1]
	s_cbranch_execnz .LBB238_813
.LBB238_797:
	s_or_b64 exec, exec, s[0:1]
	v_mov_b32_e32 v0, 0
	s_and_saveexec_b64 s[0:1], s[38:39]
	s_cbranch_execz .LBB238_799
.LBB238_798:
	v_lshlrev_b32_e32 v0, 24, v1
	v_and_b32_e32 v1, 0xffff, v1
	v_and_b32_e32 v4, 7, v1
	v_ffbh_u32_e32 v6, v4
	v_min_u32_e32 v6, 32, v6
	v_subrev_u32_e32 v7, 28, v6
	v_bfe_u32 v5, v1, 3, 4
	v_lshlrev_b32_e32 v1, v7, v1
	v_sub_u32_e32 v6, 29, v6
	v_and_b32_e32 v1, 7, v1
	v_cmp_eq_u32_e32 vcc, 0, v5
	v_cndmask_b32_e32 v5, v5, v6, vcc
	v_cndmask_b32_e32 v1, v4, v1, vcc
	v_mov_b32_e32 v4, 0x3b800000
	v_lshlrev_b32_e32 v1, 20, v1
	v_and_b32_e32 v0, 0x80000000, v0
	v_lshl_add_u32 v4, v5, 23, v4
	v_or3_b32 v0, v0, v4, v1
	v_cvt_i32_f32_e32 v0, v0
.LBB238_799:
	s_or_b64 exec, exec, s[0:1]
.LBB238_800:
	s_mov_b64 s[0:1], -1
.LBB238_801:
	s_mov_b64 s[38:39], 0
.LBB238_802:
	s_and_b64 vcc, exec, s[38:39]
	s_cbranch_vccz .LBB238_835
; %bb.803:
	s_cmp_gt_i32 s41, 22
	s_cbranch_scc0 .LBB238_811
; %bb.804:
	s_cmp_lt_i32 s41, 24
	s_cbranch_scc1 .LBB238_814
; %bb.805:
	s_cmp_gt_i32 s41, 24
	s_cbranch_scc0 .LBB238_815
; %bb.806:
	global_load_ubyte v1, v[2:3], off
	s_movk_i32 s0, 0x7f
	s_mov_b64 s[38:39], 0
	s_waitcnt vmcnt(0)
	v_cmp_lt_i16_e32 vcc, s0, v1
	s_and_saveexec_b64 s[0:1], vcc
	s_xor_b64 s[0:1], exec, s[0:1]
	s_cbranch_execz .LBB238_827
; %bb.807:
	s_movk_i32 s38, 0x80
	v_cmp_ne_u16_e32 vcc, s38, v1
	s_and_b64 s[38:39], vcc, exec
	s_andn2_saveexec_b64 s[0:1], s[0:1]
	s_cbranch_execnz .LBB238_828
.LBB238_808:
	s_or_b64 exec, exec, s[0:1]
	v_mov_b32_e32 v0, 0
	s_and_saveexec_b64 s[0:1], s[38:39]
	s_cbranch_execz .LBB238_810
.LBB238_809:
	v_lshlrev_b32_e32 v0, 24, v1
	v_and_b32_e32 v1, 0xffff, v1
	v_and_b32_e32 v4, 3, v1
	v_ffbh_u32_e32 v6, v4
	v_min_u32_e32 v6, 32, v6
	v_subrev_u32_e32 v7, 29, v6
	v_bfe_u32 v5, v1, 2, 5
	v_lshlrev_b32_e32 v1, v7, v1
	v_sub_u32_e32 v6, 30, v6
	v_and_b32_e32 v1, 3, v1
	v_cmp_eq_u32_e32 vcc, 0, v5
	v_cndmask_b32_e32 v5, v5, v6, vcc
	v_cndmask_b32_e32 v1, v4, v1, vcc
	v_mov_b32_e32 v4, 0x37800000
	v_lshlrev_b32_e32 v1, 21, v1
	v_and_b32_e32 v0, 0x80000000, v0
	v_lshl_add_u32 v4, v5, 23, v4
	v_or3_b32 v0, v0, v4, v1
	v_cvt_i32_f32_e32 v0, v0
.LBB238_810:
	s_or_b64 exec, exec, s[0:1]
	s_mov_b64 s[0:1], 0
	s_branch .LBB238_816
.LBB238_811:
	s_mov_b64 s[38:39], -1
                                        ; implicit-def: $vgpr0
	s_branch .LBB238_822
.LBB238_812:
	s_andn2_saveexec_b64 s[0:1], s[0:1]
	s_cbranch_execz .LBB238_797
.LBB238_813:
	v_cmp_ne_u16_e32 vcc, 0, v1
	s_andn2_b64 s[38:39], s[38:39], exec
	s_and_b64 s[42:43], vcc, exec
	s_or_b64 s[38:39], s[38:39], s[42:43]
	s_or_b64 exec, exec, s[0:1]
	v_mov_b32_e32 v0, 0
	s_and_saveexec_b64 s[0:1], s[38:39]
	s_cbranch_execnz .LBB238_798
	s_branch .LBB238_799
.LBB238_814:
	s_mov_b64 s[0:1], -1
                                        ; implicit-def: $vgpr0
	s_branch .LBB238_819
.LBB238_815:
	s_mov_b64 s[0:1], -1
                                        ; implicit-def: $vgpr0
.LBB238_816:
	s_and_b64 vcc, exec, s[0:1]
	s_cbranch_vccz .LBB238_818
; %bb.817:
	global_load_ubyte v0, v[2:3], off
	s_mov_b32 s0, 0x7f800000
	s_waitcnt vmcnt(0)
	v_lshlrev_b32_e32 v0, 24, v0
	v_and_b32_e32 v1, 0x7f000000, v0
	v_ffbh_u32_e32 v4, v1
	v_min_u32_e32 v4, 32, v4
	v_sub_u32_e64 v4, v4, 4 clamp
	v_lshlrev_b32_e32 v6, v4, v1
	v_lshlrev_b32_e32 v4, 23, v4
	v_lshrrev_b32_e32 v6, 4, v6
	v_add_u32_e32 v5, 0x1000000, v1
	v_sub_u32_e32 v4, v6, v4
	v_ashrrev_i32_e32 v5, 8, v5
	v_add_u32_e32 v4, 0x3c000000, v4
	v_and_or_b32 v4, v5, s0, v4
	v_cmp_ne_u32_e32 vcc, 0, v1
	v_cndmask_b32_e32 v1, 0, v4, vcc
	s_brev_b32 s0, 1
	v_and_or_b32 v0, v0, s0, v1
	v_cvt_i32_f32_e32 v0, v0
.LBB238_818:
	s_mov_b64 s[0:1], 0
.LBB238_819:
	s_andn2_b64 vcc, exec, s[0:1]
	s_cbranch_vccnz .LBB238_821
; %bb.820:
	global_load_ubyte v0, v[2:3], off
	s_movk_i32 s0, 0x7f00
	s_brev_b32 s1, 16
	s_waitcnt vmcnt(0)
	v_lshlrev_b16_e32 v1, 8, v0
	v_lshlrev_b32_e32 v0, 25, v0
	v_lshrrev_b32_e32 v4, 4, v0
	v_and_or_b32 v5, v1, s0, 0.5
	v_or_b32_e32 v4, 0x70000000, v4
	v_add_f32_e32 v5, -0.5, v5
	v_mul_f32_e32 v4, 0x7800000, v4
	v_cmp_gt_u32_e32 vcc, s1, v0
	v_bfe_i32 v1, v1, 0, 16
	v_cndmask_b32_e32 v0, v4, v5, vcc
	s_brev_b32 s0, 1
	v_and_or_b32 v0, v1, s0, v0
	v_cvt_i32_f32_e32 v0, v0
.LBB238_821:
	s_mov_b64 s[38:39], 0
	s_mov_b64 s[0:1], -1
.LBB238_822:
	s_andn2_b64 vcc, exec, s[38:39]
	s_cbranch_vccnz .LBB238_835
; %bb.823:
	s_cmp_gt_i32 s41, 14
	s_cbranch_scc0 .LBB238_826
; %bb.824:
	s_cmp_eq_u32 s41, 15
	s_cbranch_scc0 .LBB238_829
; %bb.825:
	global_load_ushort v0, v[2:3], off
	s_mov_b64 s[0:1], -1
	s_mov_b64 s[36:37], 0
	s_waitcnt vmcnt(0)
	v_lshlrev_b32_e32 v0, 16, v0
	v_cvt_i32_f32_e32 v0, v0
	s_branch .LBB238_830
.LBB238_826:
	s_mov_b64 s[38:39], -1
                                        ; implicit-def: $vgpr0
	s_branch .LBB238_831
.LBB238_827:
	s_andn2_saveexec_b64 s[0:1], s[0:1]
	s_cbranch_execz .LBB238_808
.LBB238_828:
	v_cmp_ne_u16_e32 vcc, 0, v1
	s_andn2_b64 s[38:39], s[38:39], exec
	s_and_b64 s[42:43], vcc, exec
	s_or_b64 s[38:39], s[38:39], s[42:43]
	s_or_b64 exec, exec, s[0:1]
	v_mov_b32_e32 v0, 0
	s_and_saveexec_b64 s[0:1], s[38:39]
	s_cbranch_execnz .LBB238_809
	s_branch .LBB238_810
.LBB238_829:
	s_mov_b64 s[36:37], -1
                                        ; implicit-def: $vgpr0
.LBB238_830:
	s_mov_b64 s[38:39], 0
.LBB238_831:
	s_and_b64 vcc, exec, s[38:39]
	s_cbranch_vccz .LBB238_835
; %bb.832:
	s_cmp_eq_u32 s41, 11
	s_cbranch_scc0 .LBB238_834
; %bb.833:
	global_load_ubyte v0, v[2:3], off
	s_mov_b64 s[0:1], -1
	s_mov_b64 s[36:37], 0
	s_waitcnt vmcnt(0)
	v_cmp_ne_u16_e32 vcc, 0, v0
	v_cndmask_b32_e64 v0, 0, 1, vcc
	s_branch .LBB238_835
.LBB238_834:
	s_mov_b64 s[36:37], -1
                                        ; implicit-def: $vgpr0
.LBB238_835:
	s_mov_b64 s[38:39], 0
.LBB238_836:
	s_and_b64 vcc, exec, s[38:39]
	s_cbranch_vccz .LBB238_885
; %bb.837:
	s_and_b32 s38, 0xffff, s40
	s_cmp_lt_i32 s38, 5
	s_cbranch_scc1 .LBB238_842
; %bb.838:
	s_cmp_lt_i32 s38, 8
	s_cbranch_scc1 .LBB238_843
; %bb.839:
	;; [unrolled: 3-line block ×3, first 2 shown]
	s_cmp_gt_i32 s38, 9
	s_cbranch_scc0 .LBB238_845
; %bb.841:
	global_load_dwordx2 v[0:1], v[2:3], off
	s_mov_b64 s[0:1], 0
	s_waitcnt vmcnt(0)
	v_cvt_i32_f64_e32 v0, v[0:1]
	s_branch .LBB238_846
.LBB238_842:
	s_mov_b64 s[0:1], -1
                                        ; implicit-def: $vgpr0
	s_branch .LBB238_864
.LBB238_843:
	s_mov_b64 s[0:1], -1
                                        ; implicit-def: $vgpr0
	s_branch .LBB238_852
.LBB238_844:
	s_mov_b64 s[0:1], -1
                                        ; implicit-def: $vgpr0
	s_branch .LBB238_849
.LBB238_845:
	s_mov_b64 s[0:1], -1
                                        ; implicit-def: $vgpr0
.LBB238_846:
	s_andn2_b64 vcc, exec, s[0:1]
	s_cbranch_vccnz .LBB238_848
; %bb.847:
	global_load_dword v0, v[2:3], off
	s_waitcnt vmcnt(0)
	v_cvt_i32_f32_e32 v0, v0
.LBB238_848:
	s_mov_b64 s[0:1], 0
.LBB238_849:
	s_andn2_b64 vcc, exec, s[0:1]
	s_cbranch_vccnz .LBB238_851
; %bb.850:
	global_load_dword v0, v[2:3], off
	s_waitcnt vmcnt(0)
	v_cvt_i16_f16_e32 v0, v0
.LBB238_851:
	s_mov_b64 s[0:1], 0
.LBB238_852:
	s_andn2_b64 vcc, exec, s[0:1]
	s_cbranch_vccnz .LBB238_863
; %bb.853:
	s_cmp_lt_i32 s38, 6
	s_cbranch_scc1 .LBB238_856
; %bb.854:
	s_cmp_gt_i32 s38, 6
	s_cbranch_scc0 .LBB238_857
; %bb.855:
	global_load_dwordx2 v[0:1], v[2:3], off
	s_mov_b64 s[0:1], 0
	s_waitcnt vmcnt(0)
	v_cvt_i32_f64_e32 v0, v[0:1]
	s_branch .LBB238_858
.LBB238_856:
	s_mov_b64 s[0:1], -1
                                        ; implicit-def: $vgpr0
	s_branch .LBB238_861
.LBB238_857:
	s_mov_b64 s[0:1], -1
                                        ; implicit-def: $vgpr0
.LBB238_858:
	s_andn2_b64 vcc, exec, s[0:1]
	s_cbranch_vccnz .LBB238_860
; %bb.859:
	global_load_dword v0, v[2:3], off
	s_waitcnt vmcnt(0)
	v_cvt_i32_f32_e32 v0, v0
.LBB238_860:
	s_mov_b64 s[0:1], 0
.LBB238_861:
	s_andn2_b64 vcc, exec, s[0:1]
	s_cbranch_vccnz .LBB238_863
; %bb.862:
	global_load_ushort v0, v[2:3], off
	s_waitcnt vmcnt(0)
	v_cvt_i16_f16_e32 v0, v0
.LBB238_863:
	s_mov_b64 s[0:1], 0
.LBB238_864:
	s_andn2_b64 vcc, exec, s[0:1]
	s_cbranch_vccnz .LBB238_884
; %bb.865:
	s_cmp_lt_i32 s38, 2
	s_cbranch_scc1 .LBB238_869
; %bb.866:
	s_cmp_lt_i32 s38, 3
	s_cbranch_scc1 .LBB238_870
; %bb.867:
	s_cmp_gt_i32 s38, 3
	s_cbranch_scc0 .LBB238_871
; %bb.868:
	global_load_dwordx2 v[0:1], v[2:3], off
	s_mov_b64 s[0:1], 0
	s_branch .LBB238_872
.LBB238_869:
	s_mov_b64 s[0:1], -1
                                        ; implicit-def: $vgpr0
	s_branch .LBB238_878
.LBB238_870:
	s_mov_b64 s[0:1], -1
                                        ; implicit-def: $vgpr0
	s_branch .LBB238_875
.LBB238_871:
	s_mov_b64 s[0:1], -1
                                        ; implicit-def: $vgpr0
.LBB238_872:
	s_andn2_b64 vcc, exec, s[0:1]
	s_cbranch_vccnz .LBB238_874
; %bb.873:
	global_load_dword v0, v[2:3], off
.LBB238_874:
	s_mov_b64 s[0:1], 0
.LBB238_875:
	s_andn2_b64 vcc, exec, s[0:1]
	s_cbranch_vccnz .LBB238_877
; %bb.876:
	global_load_ushort v0, v[2:3], off
.LBB238_877:
	s_mov_b64 s[0:1], 0
.LBB238_878:
	s_andn2_b64 vcc, exec, s[0:1]
	s_cbranch_vccnz .LBB238_884
; %bb.879:
	s_cmp_gt_i32 s38, 0
	s_cbranch_scc0 .LBB238_881
; %bb.880:
	global_load_sbyte v0, v[2:3], off
	s_mov_b64 s[0:1], 0
	s_branch .LBB238_882
.LBB238_881:
	s_mov_b64 s[0:1], -1
                                        ; implicit-def: $vgpr0
.LBB238_882:
	s_andn2_b64 vcc, exec, s[0:1]
	s_cbranch_vccnz .LBB238_884
; %bb.883:
	global_load_ubyte v0, v[2:3], off
.LBB238_884:
	s_mov_b64 s[0:1], -1
.LBB238_885:
	s_andn2_b64 vcc, exec, s[0:1]
	s_cbranch_vccnz .LBB238_893
; %bb.886:
	s_waitcnt vmcnt(0)
	v_mul_lo_u32 v1, v14, s14
	v_mov_b32_e32 v2, s3
	s_and_b32 s42, s15, 0xff
	s_cmp_lt_i32 s42, 11
	v_ashrrev_i32_e32 v3, 31, v1
	v_add_co_u32_e32 v1, vcc, s2, v1
	v_addc_co_u32_e32 v2, vcc, v2, v3, vcc
	s_cbranch_scc1 .LBB238_895
; %bb.887:
	s_and_b32 s43, 0xffff, s42
	s_cmp_gt_i32 s43, 25
	s_cbranch_scc0 .LBB238_896
; %bb.888:
	s_cmp_gt_i32 s43, 28
	s_cbranch_scc0 .LBB238_897
; %bb.889:
	;; [unrolled: 3-line block ×4, first 2 shown]
	s_cmp_eq_u32 s43, 46
	s_mov_b64 s[40:41], 0
	s_cbranch_scc0 .LBB238_902
; %bb.892:
	global_load_dword v3, v[1:2], off
	s_mov_b64 s[0:1], -1
	s_mov_b64 s[38:39], 0
	s_waitcnt vmcnt(0)
	v_lshlrev_b32_e32 v3, 16, v3
	v_cvt_i32_f32_e32 v3, v3
	s_branch .LBB238_903
.LBB238_893:
	s_mov_b64 s[42:43], 0
	s_mov_b64 s[0:1], s[28:29]
	;; [unrolled: 1-line block ×3, first 2 shown]
.LBB238_894:
                                        ; implicit-def: $vgpr14
	s_branch .LBB238_1137
.LBB238_895:
	s_mov_b64 s[40:41], -1
	s_mov_b64 s[0:1], 0
                                        ; implicit-def: $vgpr3
	s_mov_b64 s[38:39], s[26:27]
	s_branch .LBB238_964
.LBB238_896:
	s_mov_b64 s[40:41], -1
	s_mov_b64 s[0:1], 0
	s_mov_b64 s[38:39], s[26:27]
                                        ; implicit-def: $vgpr3
	s_branch .LBB238_930
.LBB238_897:
	s_mov_b64 s[40:41], -1
	s_mov_b64 s[0:1], 0
	s_mov_b64 s[38:39], s[26:27]
                                        ; implicit-def: $vgpr3
	s_branch .LBB238_913
.LBB238_898:
	s_mov_b64 s[40:41], -1
	s_mov_b64 s[0:1], 0
	s_mov_b64 s[38:39], s[26:27]
                                        ; implicit-def: $vgpr3
	s_branch .LBB238_908
.LBB238_899:
	s_mov_b64 s[40:41], -1
	s_mov_b64 s[0:1], 0
	s_mov_b64 s[38:39], s[26:27]
                                        ; implicit-def: $vgpr3
	s_branch .LBB238_903
.LBB238_900:
	s_andn2_saveexec_b64 s[36:37], s[36:37]
	s_cbranch_execz .LBB238_680
.LBB238_901:
	s_mov_b32 s40, 0x42800000
	v_add_f32_e64 v3, |v2|, s40
	v_and_b32_e32 v3, 0xff, v3
	v_cmp_ne_u32_e32 vcc, 0, v3
	s_andn2_b64 s[34:35], s[34:35], exec
	s_and_b64 s[40:41], vcc, exec
	s_or_b64 s[34:35], s[34:35], s[40:41]
	s_or_b64 exec, exec, s[36:37]
	v_mov_b32_e32 v5, 0
	s_and_saveexec_b64 s[36:37], s[34:35]
	s_cbranch_execnz .LBB238_681
	s_branch .LBB238_682
.LBB238_902:
	s_mov_b64 s[38:39], -1
                                        ; implicit-def: $vgpr3
	s_mov_b64 s[0:1], 0
.LBB238_903:
	s_and_b64 vcc, exec, s[40:41]
	s_cbranch_vccz .LBB238_907
; %bb.904:
	s_cmp_eq_u32 s43, 44
	s_cbranch_scc0 .LBB238_906
; %bb.905:
	global_load_ubyte v3, v[1:2], off
	s_mov_b64 s[0:1], -1
	s_mov_b64 s[38:39], 0
	s_waitcnt vmcnt(0)
	v_lshlrev_b32_e32 v4, 23, v3
	v_cvt_i32_f32_e32 v4, v4
	v_cmp_ne_u32_e32 vcc, 0, v3
	v_cndmask_b32_e32 v3, 0, v4, vcc
	s_branch .LBB238_907
.LBB238_906:
	s_mov_b64 s[38:39], -1
                                        ; implicit-def: $vgpr3
.LBB238_907:
	s_mov_b64 s[40:41], 0
.LBB238_908:
	s_and_b64 vcc, exec, s[40:41]
	s_cbranch_vccz .LBB238_912
; %bb.909:
	s_cmp_eq_u32 s43, 29
	s_cbranch_scc0 .LBB238_911
; %bb.910:
	global_load_dwordx2 v[3:4], v[1:2], off
	s_mov_b64 s[0:1], -1
	s_mov_b64 s[38:39], 0
	s_branch .LBB238_912
.LBB238_911:
	s_mov_b64 s[38:39], -1
                                        ; implicit-def: $vgpr3
.LBB238_912:
	s_mov_b64 s[40:41], 0
.LBB238_913:
	s_and_b64 vcc, exec, s[40:41]
	s_cbranch_vccz .LBB238_929
; %bb.914:
	s_cmp_lt_i32 s43, 27
	s_cbranch_scc1 .LBB238_917
; %bb.915:
	s_cmp_gt_i32 s43, 27
	s_cbranch_scc0 .LBB238_918
; %bb.916:
	global_load_dword v3, v[1:2], off
	s_mov_b64 s[0:1], 0
	s_branch .LBB238_919
.LBB238_917:
	s_mov_b64 s[0:1], -1
                                        ; implicit-def: $vgpr3
	s_branch .LBB238_922
.LBB238_918:
	s_mov_b64 s[0:1], -1
                                        ; implicit-def: $vgpr3
.LBB238_919:
	s_andn2_b64 vcc, exec, s[0:1]
	s_cbranch_vccnz .LBB238_921
; %bb.920:
	global_load_ushort v3, v[1:2], off
.LBB238_921:
	s_mov_b64 s[0:1], 0
.LBB238_922:
	s_andn2_b64 vcc, exec, s[0:1]
	s_cbranch_vccnz .LBB238_928
; %bb.923:
	global_load_ubyte v4, v[1:2], off
	s_movk_i32 s0, 0x7f
	s_mov_b64 s[40:41], 0
	s_waitcnt vmcnt(0)
	v_cmp_lt_i16_e32 vcc, s0, v4
	s_and_saveexec_b64 s[0:1], vcc
	s_xor_b64 s[0:1], exec, s[0:1]
	s_cbranch_execz .LBB238_940
; %bb.924:
	s_movk_i32 s40, 0x80
	v_cmp_ne_u16_e32 vcc, s40, v4
	s_and_b64 s[40:41], vcc, exec
	s_andn2_saveexec_b64 s[0:1], s[0:1]
	s_cbranch_execnz .LBB238_941
.LBB238_925:
	s_or_b64 exec, exec, s[0:1]
	v_mov_b32_e32 v3, 0
	s_and_saveexec_b64 s[0:1], s[40:41]
	s_cbranch_execz .LBB238_927
.LBB238_926:
	v_lshlrev_b32_e32 v3, 24, v4
	v_and_b32_e32 v4, 0xffff, v4
	v_and_b32_e32 v5, 7, v4
	v_ffbh_u32_e32 v7, v5
	v_min_u32_e32 v7, 32, v7
	v_subrev_u32_e32 v8, 28, v7
	v_bfe_u32 v6, v4, 3, 4
	v_lshlrev_b32_e32 v4, v8, v4
	v_sub_u32_e32 v7, 29, v7
	v_and_b32_e32 v4, 7, v4
	v_cmp_eq_u32_e32 vcc, 0, v6
	v_cndmask_b32_e32 v6, v6, v7, vcc
	v_cndmask_b32_e32 v4, v5, v4, vcc
	v_mov_b32_e32 v5, 0x3b800000
	v_lshlrev_b32_e32 v4, 20, v4
	v_and_b32_e32 v3, 0x80000000, v3
	v_lshl_add_u32 v5, v6, 23, v5
	v_or3_b32 v3, v3, v5, v4
	v_cvt_i32_f32_e32 v3, v3
.LBB238_927:
	s_or_b64 exec, exec, s[0:1]
.LBB238_928:
	s_mov_b64 s[0:1], -1
.LBB238_929:
	s_mov_b64 s[40:41], 0
.LBB238_930:
	s_and_b64 vcc, exec, s[40:41]
	s_cbranch_vccz .LBB238_963
; %bb.931:
	s_cmp_gt_i32 s43, 22
	s_cbranch_scc0 .LBB238_939
; %bb.932:
	s_cmp_lt_i32 s43, 24
	s_cbranch_scc1 .LBB238_942
; %bb.933:
	s_cmp_gt_i32 s43, 24
	s_cbranch_scc0 .LBB238_943
; %bb.934:
	global_load_ubyte v4, v[1:2], off
	s_movk_i32 s0, 0x7f
	s_mov_b64 s[40:41], 0
	s_waitcnt vmcnt(0)
	v_cmp_lt_i16_e32 vcc, s0, v4
	s_and_saveexec_b64 s[0:1], vcc
	s_xor_b64 s[0:1], exec, s[0:1]
	s_cbranch_execz .LBB238_955
; %bb.935:
	s_movk_i32 s40, 0x80
	v_cmp_ne_u16_e32 vcc, s40, v4
	s_and_b64 s[40:41], vcc, exec
	s_andn2_saveexec_b64 s[0:1], s[0:1]
	s_cbranch_execnz .LBB238_956
.LBB238_936:
	s_or_b64 exec, exec, s[0:1]
	v_mov_b32_e32 v3, 0
	s_and_saveexec_b64 s[0:1], s[40:41]
	s_cbranch_execz .LBB238_938
.LBB238_937:
	v_lshlrev_b32_e32 v3, 24, v4
	v_and_b32_e32 v4, 0xffff, v4
	v_and_b32_e32 v5, 3, v4
	v_ffbh_u32_e32 v7, v5
	v_min_u32_e32 v7, 32, v7
	v_subrev_u32_e32 v8, 29, v7
	v_bfe_u32 v6, v4, 2, 5
	v_lshlrev_b32_e32 v4, v8, v4
	v_sub_u32_e32 v7, 30, v7
	v_and_b32_e32 v4, 3, v4
	v_cmp_eq_u32_e32 vcc, 0, v6
	v_cndmask_b32_e32 v6, v6, v7, vcc
	v_cndmask_b32_e32 v4, v5, v4, vcc
	v_mov_b32_e32 v5, 0x37800000
	v_lshlrev_b32_e32 v4, 21, v4
	v_and_b32_e32 v3, 0x80000000, v3
	v_lshl_add_u32 v5, v6, 23, v5
	v_or3_b32 v3, v3, v5, v4
	v_cvt_i32_f32_e32 v3, v3
.LBB238_938:
	s_or_b64 exec, exec, s[0:1]
	s_mov_b64 s[0:1], 0
	s_branch .LBB238_944
.LBB238_939:
	s_mov_b64 s[40:41], -1
                                        ; implicit-def: $vgpr3
	s_branch .LBB238_950
.LBB238_940:
	s_andn2_saveexec_b64 s[0:1], s[0:1]
	s_cbranch_execz .LBB238_925
.LBB238_941:
	v_cmp_ne_u16_e32 vcc, 0, v4
	s_andn2_b64 s[40:41], s[40:41], exec
	s_and_b64 s[44:45], vcc, exec
	s_or_b64 s[40:41], s[40:41], s[44:45]
	s_or_b64 exec, exec, s[0:1]
	v_mov_b32_e32 v3, 0
	s_and_saveexec_b64 s[0:1], s[40:41]
	s_cbranch_execnz .LBB238_926
	s_branch .LBB238_927
.LBB238_942:
	s_mov_b64 s[0:1], -1
                                        ; implicit-def: $vgpr3
	s_branch .LBB238_947
.LBB238_943:
	s_mov_b64 s[0:1], -1
                                        ; implicit-def: $vgpr3
.LBB238_944:
	s_and_b64 vcc, exec, s[0:1]
	s_cbranch_vccz .LBB238_946
; %bb.945:
	global_load_ubyte v3, v[1:2], off
	s_mov_b32 s0, 0x7f800000
	s_waitcnt vmcnt(0)
	v_lshlrev_b32_e32 v3, 24, v3
	v_and_b32_e32 v4, 0x7f000000, v3
	v_ffbh_u32_e32 v5, v4
	v_min_u32_e32 v5, 32, v5
	v_sub_u32_e64 v5, v5, 4 clamp
	v_lshlrev_b32_e32 v7, v5, v4
	v_lshlrev_b32_e32 v5, 23, v5
	v_lshrrev_b32_e32 v7, 4, v7
	v_add_u32_e32 v6, 0x1000000, v4
	v_sub_u32_e32 v5, v7, v5
	v_ashrrev_i32_e32 v6, 8, v6
	v_add_u32_e32 v5, 0x3c000000, v5
	v_and_or_b32 v5, v6, s0, v5
	v_cmp_ne_u32_e32 vcc, 0, v4
	v_cndmask_b32_e32 v4, 0, v5, vcc
	s_brev_b32 s0, 1
	v_and_or_b32 v3, v3, s0, v4
	v_cvt_i32_f32_e32 v3, v3
.LBB238_946:
	s_mov_b64 s[0:1], 0
.LBB238_947:
	s_andn2_b64 vcc, exec, s[0:1]
	s_cbranch_vccnz .LBB238_949
; %bb.948:
	global_load_ubyte v3, v[1:2], off
	s_movk_i32 s0, 0x7f00
	s_brev_b32 s1, 16
	s_waitcnt vmcnt(0)
	v_lshlrev_b16_e32 v4, 8, v3
	v_lshlrev_b32_e32 v3, 25, v3
	v_lshrrev_b32_e32 v5, 4, v3
	v_and_or_b32 v6, v4, s0, 0.5
	v_or_b32_e32 v5, 0x70000000, v5
	v_add_f32_e32 v6, -0.5, v6
	v_mul_f32_e32 v5, 0x7800000, v5
	v_cmp_gt_u32_e32 vcc, s1, v3
	v_bfe_i32 v4, v4, 0, 16
	v_cndmask_b32_e32 v3, v5, v6, vcc
	s_brev_b32 s0, 1
	v_and_or_b32 v3, v4, s0, v3
	v_cvt_i32_f32_e32 v3, v3
.LBB238_949:
	s_mov_b64 s[40:41], 0
	s_mov_b64 s[0:1], -1
.LBB238_950:
	s_andn2_b64 vcc, exec, s[40:41]
	s_cbranch_vccnz .LBB238_963
; %bb.951:
	s_cmp_gt_i32 s43, 14
	s_cbranch_scc0 .LBB238_954
; %bb.952:
	s_cmp_eq_u32 s43, 15
	s_cbranch_scc0 .LBB238_957
; %bb.953:
	global_load_ushort v3, v[1:2], off
	s_mov_b64 s[0:1], -1
	s_mov_b64 s[38:39], 0
	s_waitcnt vmcnt(0)
	v_lshlrev_b32_e32 v3, 16, v3
	v_cvt_i32_f32_e32 v3, v3
	s_branch .LBB238_958
.LBB238_954:
	s_mov_b64 s[40:41], -1
                                        ; implicit-def: $vgpr3
	s_branch .LBB238_959
.LBB238_955:
	s_andn2_saveexec_b64 s[0:1], s[0:1]
	s_cbranch_execz .LBB238_936
.LBB238_956:
	v_cmp_ne_u16_e32 vcc, 0, v4
	s_andn2_b64 s[40:41], s[40:41], exec
	s_and_b64 s[44:45], vcc, exec
	s_or_b64 s[40:41], s[40:41], s[44:45]
	s_or_b64 exec, exec, s[0:1]
	v_mov_b32_e32 v3, 0
	s_and_saveexec_b64 s[0:1], s[40:41]
	s_cbranch_execnz .LBB238_937
	s_branch .LBB238_938
.LBB238_957:
	s_mov_b64 s[38:39], -1
                                        ; implicit-def: $vgpr3
.LBB238_958:
	s_mov_b64 s[40:41], 0
.LBB238_959:
	s_and_b64 vcc, exec, s[40:41]
	s_cbranch_vccz .LBB238_963
; %bb.960:
	s_cmp_eq_u32 s43, 11
	s_cbranch_scc0 .LBB238_962
; %bb.961:
	global_load_ubyte v3, v[1:2], off
	s_mov_b64 s[0:1], -1
	s_mov_b64 s[38:39], 0
	s_waitcnt vmcnt(0)
	v_cmp_ne_u16_e32 vcc, 0, v3
	v_cndmask_b32_e64 v3, 0, 1, vcc
	s_branch .LBB238_963
.LBB238_962:
	s_mov_b64 s[38:39], -1
                                        ; implicit-def: $vgpr3
.LBB238_963:
	s_mov_b64 s[40:41], 0
.LBB238_964:
	s_and_b64 vcc, exec, s[40:41]
	s_cbranch_vccz .LBB238_1013
; %bb.965:
	s_and_b32 s40, 0xffff, s42
	s_cmp_lt_i32 s40, 5
	s_cbranch_scc1 .LBB238_970
; %bb.966:
	s_cmp_lt_i32 s40, 8
	s_cbranch_scc1 .LBB238_971
; %bb.967:
	;; [unrolled: 3-line block ×3, first 2 shown]
	s_cmp_gt_i32 s40, 9
	s_cbranch_scc0 .LBB238_973
; %bb.969:
	global_load_dwordx2 v[3:4], v[1:2], off
	s_mov_b64 s[0:1], 0
	s_waitcnt vmcnt(0)
	v_cvt_i32_f64_e32 v3, v[3:4]
	s_branch .LBB238_974
.LBB238_970:
	s_mov_b64 s[0:1], -1
                                        ; implicit-def: $vgpr3
	s_branch .LBB238_992
.LBB238_971:
	s_mov_b64 s[0:1], -1
                                        ; implicit-def: $vgpr3
	s_branch .LBB238_980
.LBB238_972:
	s_mov_b64 s[0:1], -1
                                        ; implicit-def: $vgpr3
	s_branch .LBB238_977
.LBB238_973:
	s_mov_b64 s[0:1], -1
                                        ; implicit-def: $vgpr3
.LBB238_974:
	s_andn2_b64 vcc, exec, s[0:1]
	s_cbranch_vccnz .LBB238_976
; %bb.975:
	global_load_dword v3, v[1:2], off
	s_waitcnt vmcnt(0)
	v_cvt_i32_f32_e32 v3, v3
.LBB238_976:
	s_mov_b64 s[0:1], 0
.LBB238_977:
	s_andn2_b64 vcc, exec, s[0:1]
	s_cbranch_vccnz .LBB238_979
; %bb.978:
	global_load_dword v3, v[1:2], off
	s_waitcnt vmcnt(0)
	v_cvt_i16_f16_e32 v3, v3
.LBB238_979:
	s_mov_b64 s[0:1], 0
.LBB238_980:
	s_andn2_b64 vcc, exec, s[0:1]
	s_cbranch_vccnz .LBB238_991
; %bb.981:
	s_cmp_lt_i32 s40, 6
	s_cbranch_scc1 .LBB238_984
; %bb.982:
	s_cmp_gt_i32 s40, 6
	s_cbranch_scc0 .LBB238_985
; %bb.983:
	global_load_dwordx2 v[3:4], v[1:2], off
	s_mov_b64 s[0:1], 0
	s_waitcnt vmcnt(0)
	v_cvt_i32_f64_e32 v3, v[3:4]
	s_branch .LBB238_986
.LBB238_984:
	s_mov_b64 s[0:1], -1
                                        ; implicit-def: $vgpr3
	s_branch .LBB238_989
.LBB238_985:
	s_mov_b64 s[0:1], -1
                                        ; implicit-def: $vgpr3
.LBB238_986:
	s_andn2_b64 vcc, exec, s[0:1]
	s_cbranch_vccnz .LBB238_988
; %bb.987:
	global_load_dword v3, v[1:2], off
	s_waitcnt vmcnt(0)
	v_cvt_i32_f32_e32 v3, v3
.LBB238_988:
	s_mov_b64 s[0:1], 0
.LBB238_989:
	s_andn2_b64 vcc, exec, s[0:1]
	s_cbranch_vccnz .LBB238_991
; %bb.990:
	global_load_ushort v3, v[1:2], off
	s_waitcnt vmcnt(0)
	v_cvt_i16_f16_e32 v3, v3
.LBB238_991:
	s_mov_b64 s[0:1], 0
.LBB238_992:
	s_andn2_b64 vcc, exec, s[0:1]
	s_cbranch_vccnz .LBB238_1012
; %bb.993:
	s_cmp_lt_i32 s40, 2
	s_cbranch_scc1 .LBB238_997
; %bb.994:
	s_cmp_lt_i32 s40, 3
	s_cbranch_scc1 .LBB238_998
; %bb.995:
	s_cmp_gt_i32 s40, 3
	s_cbranch_scc0 .LBB238_999
; %bb.996:
	global_load_dwordx2 v[3:4], v[1:2], off
	s_mov_b64 s[0:1], 0
	s_branch .LBB238_1000
.LBB238_997:
	s_mov_b64 s[0:1], -1
                                        ; implicit-def: $vgpr3
	s_branch .LBB238_1006
.LBB238_998:
	s_mov_b64 s[0:1], -1
                                        ; implicit-def: $vgpr3
	s_branch .LBB238_1003
.LBB238_999:
	s_mov_b64 s[0:1], -1
                                        ; implicit-def: $vgpr3
.LBB238_1000:
	s_andn2_b64 vcc, exec, s[0:1]
	s_cbranch_vccnz .LBB238_1002
; %bb.1001:
	global_load_dword v3, v[1:2], off
.LBB238_1002:
	s_mov_b64 s[0:1], 0
.LBB238_1003:
	s_andn2_b64 vcc, exec, s[0:1]
	s_cbranch_vccnz .LBB238_1005
; %bb.1004:
	global_load_ushort v3, v[1:2], off
.LBB238_1005:
	s_mov_b64 s[0:1], 0
.LBB238_1006:
	s_andn2_b64 vcc, exec, s[0:1]
	s_cbranch_vccnz .LBB238_1012
; %bb.1007:
	s_cmp_gt_i32 s40, 0
	s_cbranch_scc0 .LBB238_1009
; %bb.1008:
	global_load_sbyte v3, v[1:2], off
	s_mov_b64 s[0:1], 0
	s_branch .LBB238_1010
.LBB238_1009:
	s_mov_b64 s[0:1], -1
                                        ; implicit-def: $vgpr3
.LBB238_1010:
	s_andn2_b64 vcc, exec, s[0:1]
	s_cbranch_vccnz .LBB238_1012
; %bb.1011:
	global_load_ubyte v3, v[1:2], off
.LBB238_1012:
	s_mov_b64 s[0:1], -1
.LBB238_1013:
	s_andn2_b64 vcc, exec, s[0:1]
	s_cbranch_vccnz .LBB238_1021
; %bb.1014:
	v_mul_lo_u32 v2, v14, s12
	v_ashrrev_i16_e32 v1, 15, v0
	s_waitcnt vmcnt(0)
	v_ashrrev_i32_sdwa v0, v3, sext(v0) dst_sel:DWORD dst_unused:UNUSED_PAD src0_sel:WORD_0 src1_sel:WORD_0
	v_cmp_lt_u16_e32 vcc, 14, v3
	v_cndmask_b32_e32 v4, v0, v1, vcc
	v_ashrrev_i32_e32 v1, 31, v2
	v_mov_b32_e32 v3, s9
	s_and_b32 s46, s33, 0xff
	v_add_co_u32_e32 v0, vcc, s8, v2
	s_cmp_lt_i32 s46, 11
	v_addc_co_u32_e32 v1, vcc, v3, v1, vcc
	s_cbranch_scc1 .LBB238_1022
; %bb.1015:
	s_and_b32 s47, 0xffff, s46
	s_cmp_gt_i32 s47, 25
	s_cbranch_scc0 .LBB238_1023
; %bb.1016:
	s_cmp_gt_i32 s47, 28
	s_cbranch_scc0 .LBB238_1024
; %bb.1017:
	;; [unrolled: 3-line block ×4, first 2 shown]
	s_mov_b64 s[42:43], 0
	s_mov_b64 s[0:1], -1
	s_cmp_eq_u32 s47, 46
	s_mov_b64 s[40:41], 0
	s_cbranch_scc0 .LBB238_1027
; %bb.1020:
	v_cvt_f32_i32_sdwa v2, sext(v4) dst_sel:DWORD dst_unused:UNUSED_PAD src0_sel:WORD_0
	s_movk_i32 s0, 0x7fff
	s_mov_b64 s[40:41], -1
	v_bfe_u32 v3, v2, 16, 1
	v_add3_u32 v2, v2, v3, s0
	v_lshrrev_b32_e32 v2, 16, v2
	global_store_dword v[0:1], v2, off
	s_mov_b64 s[0:1], 0
	s_branch .LBB238_1027
.LBB238_1021:
	s_mov_b64 s[42:43], 0
                                        ; implicit-def: $vgpr14
	s_mov_b64 s[0:1], s[28:29]
	s_branch .LBB238_1137
.LBB238_1022:
	s_mov_b64 s[42:43], -1
	s_mov_b64 s[40:41], 0
	s_mov_b64 s[0:1], s[28:29]
	s_branch .LBB238_1096
.LBB238_1023:
	s_mov_b64 s[42:43], -1
	s_mov_b64 s[40:41], 0
	s_mov_b64 s[0:1], s[28:29]
	s_branch .LBB238_1054
.LBB238_1024:
	s_mov_b64 s[42:43], -1
	s_mov_b64 s[40:41], 0
	s_mov_b64 s[0:1], s[28:29]
	s_branch .LBB238_1037
.LBB238_1025:
	s_mov_b64 s[42:43], -1
	s_mov_b64 s[40:41], 0
	s_mov_b64 s[0:1], s[28:29]
	s_branch .LBB238_1033
.LBB238_1026:
	s_mov_b64 s[42:43], -1
	s_mov_b64 s[40:41], 0
	s_mov_b64 s[0:1], s[28:29]
.LBB238_1027:
	s_and_b64 vcc, exec, s[42:43]
	s_cbranch_vccz .LBB238_1032
; %bb.1028:
	s_cmp_eq_u32 s47, 44
	s_mov_b64 s[0:1], -1
	s_cbranch_scc0 .LBB238_1032
; %bb.1029:
	v_cvt_f32_i32_sdwa v2, sext(v4) dst_sel:DWORD dst_unused:UNUSED_PAD src0_sel:WORD_0
	s_movk_i32 s0, 0xff
	v_mov_b32_e32 v5, 0xff
	v_bfe_u32 v3, v2, 23, 8
	v_cmp_ne_u32_e32 vcc, s0, v3
	s_and_saveexec_b64 s[40:41], vcc
; %bb.1030:
	s_mov_b32 s0, 0x3fffff
	v_lshrrev_b32_e32 v5, 23, v2
	v_and_b32_e32 v6, 0x400000, v2
	v_and_or_b32 v2, v2, s0, v3
	v_cmp_ne_u32_e32 vcc, 0, v6
	v_cmp_ne_u32_e64 s[0:1], 0, v2
	s_and_b64 s[0:1], vcc, s[0:1]
	v_cndmask_b32_e64 v2, 0, 1, s[0:1]
	v_add_u32_e32 v5, v5, v2
; %bb.1031:
	s_or_b64 exec, exec, s[40:41]
	s_mov_b64 s[40:41], -1
	s_mov_b64 s[0:1], 0
	global_store_byte v[0:1], v5, off
.LBB238_1032:
	s_mov_b64 s[42:43], 0
.LBB238_1033:
	s_and_b64 vcc, exec, s[42:43]
	s_cbranch_vccz .LBB238_1036
; %bb.1034:
	s_cmp_eq_u32 s47, 29
	s_mov_b64 s[0:1], -1
	s_cbranch_scc0 .LBB238_1036
; %bb.1035:
	v_bfe_i32 v2, v4, 0, 16
	v_ashrrev_i32_e32 v3, 31, v2
	global_store_dwordx2 v[0:1], v[2:3], off
	s_mov_b64 s[40:41], -1
	s_mov_b64 s[0:1], 0
.LBB238_1036:
	s_mov_b64 s[42:43], 0
.LBB238_1037:
	s_and_b64 vcc, exec, s[42:43]
	s_cbranch_vccz .LBB238_1053
; %bb.1038:
	s_cmp_lt_i32 s47, 27
	s_mov_b64 s[40:41], -1
	s_cbranch_scc1 .LBB238_1044
; %bb.1039:
	s_cmp_gt_i32 s47, 27
	s_cbranch_scc0 .LBB238_1041
; %bb.1040:
	v_bfe_i32 v2, v4, 0, 16
	s_mov_b64 s[40:41], 0
	global_store_dword v[0:1], v2, off
.LBB238_1041:
	s_andn2_b64 vcc, exec, s[40:41]
	s_cbranch_vccnz .LBB238_1043
; %bb.1042:
	global_store_short v[0:1], v4, off
.LBB238_1043:
	s_mov_b64 s[40:41], 0
.LBB238_1044:
	s_andn2_b64 vcc, exec, s[40:41]
	s_cbranch_vccnz .LBB238_1052
; %bb.1045:
	v_cvt_f32_i32_sdwa v2, sext(v4) dst_sel:DWORD dst_unused:UNUSED_PAD src0_sel:WORD_0
	s_mov_b32 s40, 0x43800000
	v_mov_b32_e32 v5, 0x80
	v_and_b32_e32 v3, 0x7fffffff, v2
	v_cmp_gt_u32_e32 vcc, s40, v3
	s_and_saveexec_b64 s[40:41], vcc
	s_cbranch_execz .LBB238_1051
; %bb.1046:
	s_mov_b32 s42, 0x3bffffff
	v_cmp_lt_u32_e32 vcc, s42, v3
	s_mov_b64 s[42:43], 0
                                        ; implicit-def: $vgpr3
	s_and_saveexec_b64 s[44:45], vcc
	s_xor_b64 s[44:45], exec, s[44:45]
	s_cbranch_execz .LBB238_1153
; %bb.1047:
	v_bfe_u32 v3, v2, 20, 1
	s_mov_b32 s49, 0x487ffff
	v_add3_u32 v3, v2, v3, s49
	s_mov_b64 s[42:43], exec
	v_lshrrev_b32_e32 v3, 20, v3
	s_andn2_saveexec_b64 s[44:45], s[44:45]
	s_cbranch_execnz .LBB238_1154
.LBB238_1048:
	s_or_b64 exec, exec, s[44:45]
	v_mov_b32_e32 v5, 0
	s_and_saveexec_b64 s[44:45], s[42:43]
.LBB238_1049:
	v_lshrrev_b32_e32 v2, 24, v2
	s_movk_i32 s42, 0x80
	v_and_or_b32 v5, v2, s42, v3
.LBB238_1050:
	s_or_b64 exec, exec, s[44:45]
.LBB238_1051:
	s_or_b64 exec, exec, s[40:41]
	global_store_byte v[0:1], v5, off
.LBB238_1052:
	s_mov_b64 s[40:41], -1
.LBB238_1053:
	s_mov_b64 s[42:43], 0
.LBB238_1054:
	s_and_b64 vcc, exec, s[42:43]
	s_cbranch_vccz .LBB238_1095
; %bb.1055:
	s_cmp_gt_i32 s47, 22
	s_mov_b64 s[42:43], -1
	s_cbranch_scc0 .LBB238_1087
; %bb.1056:
	s_cmp_lt_i32 s47, 24
	s_mov_b64 s[40:41], -1
	s_cbranch_scc1 .LBB238_1076
; %bb.1057:
	s_cmp_gt_i32 s47, 24
	s_cbranch_scc0 .LBB238_1065
; %bb.1058:
	v_cvt_f32_i32_sdwa v2, sext(v4) dst_sel:DWORD dst_unused:UNUSED_PAD src0_sel:WORD_0
	s_mov_b32 s40, 0x47800000
	v_mov_b32_e32 v5, 0x80
	v_and_b32_e32 v3, 0x7fffffff, v2
	v_cmp_gt_u32_e32 vcc, s40, v3
	s_and_saveexec_b64 s[40:41], vcc
	s_cbranch_execz .LBB238_1064
; %bb.1059:
	s_mov_b32 s42, 0x37ffffff
	v_cmp_lt_u32_e32 vcc, s42, v3
	s_mov_b64 s[42:43], 0
                                        ; implicit-def: $vgpr3
	s_and_saveexec_b64 s[44:45], vcc
	s_xor_b64 s[44:45], exec, s[44:45]
	s_cbranch_execz .LBB238_2147
; %bb.1060:
	v_bfe_u32 v3, v2, 21, 1
	s_mov_b32 s49, 0x88fffff
	v_add3_u32 v3, v2, v3, s49
	s_mov_b64 s[42:43], exec
	v_lshrrev_b32_e32 v3, 21, v3
	s_andn2_saveexec_b64 s[44:45], s[44:45]
	s_cbranch_execnz .LBB238_2148
.LBB238_1061:
	s_or_b64 exec, exec, s[44:45]
	v_mov_b32_e32 v5, 0
	s_and_saveexec_b64 s[44:45], s[42:43]
.LBB238_1062:
	v_lshrrev_b32_e32 v2, 24, v2
	s_movk_i32 s42, 0x80
	v_and_or_b32 v5, v2, s42, v3
.LBB238_1063:
	s_or_b64 exec, exec, s[44:45]
.LBB238_1064:
	s_or_b64 exec, exec, s[40:41]
	s_mov_b64 s[40:41], 0
	global_store_byte v[0:1], v5, off
.LBB238_1065:
	s_and_b64 vcc, exec, s[40:41]
	s_cbranch_vccz .LBB238_1075
; %bb.1066:
	v_cvt_f32_i32_sdwa v2, sext(v4) dst_sel:DWORD dst_unused:UNUSED_PAD src0_sel:WORD_0
	s_mov_b32 s40, 0x43f00000
                                        ; implicit-def: $vgpr3
	v_and_b32_e32 v5, 0x7fffffff, v2
	v_cmp_gt_u32_e32 vcc, s40, v5
	s_and_saveexec_b64 s[40:41], vcc
	s_xor_b64 s[40:41], exec, s[40:41]
	s_cbranch_execz .LBB238_1072
; %bb.1067:
	s_mov_b32 s42, 0x3c7fffff
	v_cmp_lt_u32_e32 vcc, s42, v5
                                        ; implicit-def: $vgpr3
	s_and_saveexec_b64 s[42:43], vcc
	s_xor_b64 s[42:43], exec, s[42:43]
; %bb.1068:
	v_bfe_u32 v3, v2, 20, 1
	s_mov_b32 s44, 0x407ffff
	v_add3_u32 v3, v2, v3, s44
	v_lshrrev_b32_e32 v5, 20, v3
	v_and_b32_e32 v3, 0xff00000, v3
	s_mov_b32 s44, 0x7f00000
	v_mov_b32_e32 v6, 0x7e
	v_cmp_ne_u32_e32 vcc, s44, v3
	v_cndmask_b32_e32 v3, v6, v5, vcc
; %bb.1069:
	s_andn2_saveexec_b64 s[42:43], s[42:43]
; %bb.1070:
	s_mov_b32 s44, 0x46800000
	v_add_f32_e64 v3, |v2|, s44
; %bb.1071:
	s_or_b64 exec, exec, s[42:43]
                                        ; implicit-def: $vgpr5
.LBB238_1072:
	s_andn2_saveexec_b64 s[40:41], s[40:41]
; %bb.1073:
	s_mov_b32 s42, 0x7f800000
	v_mov_b32_e32 v3, 0x7e
	v_mov_b32_e32 v6, 0x7f
	v_cmp_lt_u32_e32 vcc, s42, v5
	v_cndmask_b32_e32 v3, v3, v6, vcc
; %bb.1074:
	s_or_b64 exec, exec, s[40:41]
	v_lshrrev_b32_e32 v2, 24, v2
	s_movk_i32 s40, 0x80
	v_and_or_b32 v2, v2, s40, v3
	global_store_byte v[0:1], v2, off
.LBB238_1075:
	s_mov_b64 s[40:41], 0
.LBB238_1076:
	s_andn2_b64 vcc, exec, s[40:41]
	s_cbranch_vccnz .LBB238_1086
; %bb.1077:
	v_cvt_f32_i32_sdwa v2, sext(v4) dst_sel:DWORD dst_unused:UNUSED_PAD src0_sel:WORD_0
	s_mov_b32 s40, 0x47800000
                                        ; implicit-def: $vgpr3
	v_and_b32_e32 v5, 0x7fffffff, v2
	v_cmp_gt_u32_e32 vcc, s40, v5
	s_and_saveexec_b64 s[40:41], vcc
	s_xor_b64 s[40:41], exec, s[40:41]
	s_cbranch_execz .LBB238_1083
; %bb.1078:
	s_mov_b32 s42, 0x387fffff
	v_cmp_lt_u32_e32 vcc, s42, v5
                                        ; implicit-def: $vgpr3
	s_and_saveexec_b64 s[42:43], vcc
	s_xor_b64 s[42:43], exec, s[42:43]
; %bb.1079:
	v_bfe_u32 v3, v2, 21, 1
	s_mov_b32 s44, 0x80fffff
	v_add3_u32 v3, v2, v3, s44
	v_lshrrev_b32_e32 v3, 21, v3
; %bb.1080:
	s_andn2_saveexec_b64 s[42:43], s[42:43]
; %bb.1081:
	s_mov_b32 s44, 0x43000000
	v_add_f32_e64 v3, |v2|, s44
; %bb.1082:
	s_or_b64 exec, exec, s[42:43]
                                        ; implicit-def: $vgpr5
.LBB238_1083:
	s_andn2_saveexec_b64 s[40:41], s[40:41]
; %bb.1084:
	s_mov_b32 s42, 0x7f800000
	v_mov_b32_e32 v3, 0x7c
	v_mov_b32_e32 v6, 0x7f
	v_cmp_lt_u32_e32 vcc, s42, v5
	v_cndmask_b32_e32 v3, v3, v6, vcc
; %bb.1085:
	s_or_b64 exec, exec, s[40:41]
	v_lshrrev_b32_e32 v2, 24, v2
	s_movk_i32 s40, 0x80
	v_and_or_b32 v2, v2, s40, v3
	global_store_byte v[0:1], v2, off
.LBB238_1086:
	s_mov_b64 s[42:43], 0
	s_mov_b64 s[40:41], -1
.LBB238_1087:
	s_andn2_b64 vcc, exec, s[42:43]
	s_cbranch_vccnz .LBB238_1095
; %bb.1088:
	s_cmp_gt_i32 s47, 14
	s_mov_b64 s[42:43], -1
	s_cbranch_scc0 .LBB238_1092
; %bb.1089:
	s_cmp_eq_u32 s47, 15
	s_mov_b64 s[0:1], -1
	s_cbranch_scc0 .LBB238_1091
; %bb.1090:
	v_cvt_f32_i32_sdwa v2, sext(v4) dst_sel:DWORD dst_unused:UNUSED_PAD src0_sel:WORD_0
	s_movk_i32 s0, 0x7fff
	s_mov_b64 s[40:41], -1
	v_bfe_u32 v3, v2, 16, 1
	v_add3_u32 v2, v2, v3, s0
	global_store_short_d16_hi v[0:1], v2, off
	s_mov_b64 s[0:1], 0
.LBB238_1091:
	s_mov_b64 s[42:43], 0
.LBB238_1092:
	s_and_b64 vcc, exec, s[42:43]
	s_cbranch_vccz .LBB238_1095
; %bb.1093:
	s_cmp_eq_u32 s47, 11
	s_mov_b64 s[0:1], -1
	s_cbranch_scc0 .LBB238_1095
; %bb.1094:
	v_cmp_ne_u16_e32 vcc, 0, v4
	v_cndmask_b32_e64 v2, 0, 1, vcc
	s_mov_b64 s[40:41], -1
	s_mov_b64 s[0:1], 0
	global_store_byte v[0:1], v2, off
.LBB238_1095:
	s_mov_b64 s[42:43], 0
.LBB238_1096:
	s_and_b64 vcc, exec, s[42:43]
	s_cbranch_vccz .LBB238_1135
; %bb.1097:
	s_and_b32 s42, 0xffff, s46
	s_cmp_lt_i32 s42, 5
	s_mov_b64 s[40:41], -1
	s_cbranch_scc1 .LBB238_1118
; %bb.1098:
	s_cmp_lt_i32 s42, 8
	s_cbranch_scc1 .LBB238_1108
; %bb.1099:
	s_cmp_lt_i32 s42, 9
	s_cbranch_scc1 .LBB238_1105
; %bb.1100:
	s_cmp_gt_i32 s42, 9
	s_cbranch_scc0 .LBB238_1102
; %bb.1101:
	v_bfe_i32 v2, v4, 0, 16
	v_cvt_f64_i32_e32 v[5:6], v2
	v_mov_b32_e32 v7, 0
	v_mov_b32_e32 v8, v7
	s_mov_b64 s[40:41], 0
	global_store_dwordx4 v[0:1], v[5:8], off
.LBB238_1102:
	s_andn2_b64 vcc, exec, s[40:41]
	s_cbranch_vccnz .LBB238_1104
; %bb.1103:
	v_cvt_f32_i32_sdwa v2, sext(v4) dst_sel:DWORD dst_unused:UNUSED_PAD src0_sel:WORD_0
	v_mov_b32_e32 v3, 0
	global_store_dwordx2 v[0:1], v[2:3], off
.LBB238_1104:
	s_mov_b64 s[40:41], 0
.LBB238_1105:
	s_andn2_b64 vcc, exec, s[40:41]
	s_cbranch_vccnz .LBB238_1107
; %bb.1106:
	v_cvt_f16_i16_e32 v2, v4
	global_store_dword v[0:1], v2, off
.LBB238_1107:
	s_mov_b64 s[40:41], 0
.LBB238_1108:
	s_andn2_b64 vcc, exec, s[40:41]
	s_cbranch_vccnz .LBB238_1117
; %bb.1109:
	s_cmp_lt_i32 s42, 6
	s_mov_b64 s[40:41], -1
	s_cbranch_scc1 .LBB238_1115
; %bb.1110:
	s_cmp_gt_i32 s42, 6
	s_cbranch_scc0 .LBB238_1112
; %bb.1111:
	v_bfe_i32 v2, v4, 0, 16
	v_cvt_f64_i32_e32 v[2:3], v2
	s_mov_b64 s[40:41], 0
	global_store_dwordx2 v[0:1], v[2:3], off
.LBB238_1112:
	s_andn2_b64 vcc, exec, s[40:41]
	s_cbranch_vccnz .LBB238_1114
; %bb.1113:
	v_cvt_f32_i32_sdwa v2, sext(v4) dst_sel:DWORD dst_unused:UNUSED_PAD src0_sel:WORD_0
	global_store_dword v[0:1], v2, off
.LBB238_1114:
	s_mov_b64 s[40:41], 0
.LBB238_1115:
	s_andn2_b64 vcc, exec, s[40:41]
	s_cbranch_vccnz .LBB238_1117
; %bb.1116:
	v_cvt_f16_i16_e32 v2, v4
	global_store_short v[0:1], v2, off
.LBB238_1117:
	s_mov_b64 s[40:41], 0
.LBB238_1118:
	s_andn2_b64 vcc, exec, s[40:41]
	s_cbranch_vccnz .LBB238_1134
; %bb.1119:
	s_cmp_lt_i32 s42, 2
	s_mov_b64 s[40:41], -1
	s_cbranch_scc1 .LBB238_1129
; %bb.1120:
	s_cmp_lt_i32 s42, 3
	s_cbranch_scc1 .LBB238_1126
; %bb.1121:
	s_cmp_gt_i32 s42, 3
	v_bfe_i32 v2, v4, 0, 16
	s_cbranch_scc0 .LBB238_1123
; %bb.1122:
	v_ashrrev_i32_e32 v3, 31, v2
	s_mov_b64 s[40:41], 0
	global_store_dwordx2 v[0:1], v[2:3], off
.LBB238_1123:
	s_andn2_b64 vcc, exec, s[40:41]
	s_cbranch_vccnz .LBB238_1125
; %bb.1124:
	global_store_dword v[0:1], v2, off
.LBB238_1125:
	s_mov_b64 s[40:41], 0
.LBB238_1126:
	s_andn2_b64 vcc, exec, s[40:41]
	s_cbranch_vccnz .LBB238_1128
; %bb.1127:
	global_store_short v[0:1], v4, off
.LBB238_1128:
	s_mov_b64 s[40:41], 0
.LBB238_1129:
	s_andn2_b64 vcc, exec, s[40:41]
	s_cbranch_vccnz .LBB238_1134
; %bb.1130:
	s_cmp_gt_i32 s42, 0
	s_mov_b64 s[40:41], -1
	s_cbranch_scc0 .LBB238_1132
; %bb.1131:
	s_mov_b64 s[40:41], 0
	global_store_byte v[0:1], v4, off
.LBB238_1132:
	s_andn2_b64 vcc, exec, s[40:41]
	s_cbranch_vccnz .LBB238_1134
; %bb.1133:
	global_store_byte v[0:1], v4, off
.LBB238_1134:
	s_mov_b64 s[40:41], -1
.LBB238_1135:
	s_andn2_b64 vcc, exec, s[40:41]
	s_cbranch_vccnz .LBB238_1148
; %bb.1136:
	v_add_u32_e32 v14, 0x80, v14
	s_mov_b64 s[42:43], -1
.LBB238_1137:
	s_andn2_b64 s[40:41], s[28:29], exec
	s_and_b64 s[0:1], s[0:1], exec
	s_or_b64 s[40:41], s[40:41], s[0:1]
	s_andn2_b64 s[0:1], s[26:27], exec
	s_and_b64 s[38:39], s[38:39], exec
	s_or_b64 s[38:39], s[0:1], s[38:39]
	;; [unrolled: 3-line block ×3, first 2 shown]
	s_orn2_b64 s[46:47], s[42:43], exec
.LBB238_1138:
	s_or_b64 exec, exec, s[34:35]
	s_mov_b64 s[42:43], 0
	s_mov_b64 s[36:37], 0
	s_mov_b64 s[44:45], 0
                                        ; implicit-def: $sgpr55
                                        ; implicit-def: $vgpr2_vgpr3
                                        ; implicit-def: $vgpr0
	s_and_saveexec_b64 s[34:35], s[46:47]
	s_cbranch_execz .LBB238_1218
; %bb.1139:
	v_cmp_gt_i32_e32 vcc, s48, v14
	s_mov_b64 s[46:47], 0
	s_mov_b64 s[48:49], s[0:1]
	;; [unrolled: 1-line block ×4, first 2 shown]
                                        ; implicit-def: $sgpr55
                                        ; implicit-def: $vgpr2_vgpr3
                                        ; implicit-def: $vgpr0
	s_and_saveexec_b64 s[36:37], vcc
	s_cbranch_execz .LBB238_1217
; %bb.1140:
	s_waitcnt vmcnt(0)
	v_mul_lo_u32 v0, v14, s13
	v_mov_b32_e32 v1, s11
	s_and_b32 s55, s54, 0xff
	s_cmp_lt_i32 s55, 11
	v_ashrrev_i32_e32 v3, 31, v0
	v_add_co_u32_e32 v2, vcc, s10, v0
	v_addc_co_u32_e32 v3, vcc, v1, v3, vcc
	s_cbranch_scc1 .LBB238_1147
; %bb.1141:
	s_and_b32 s50, 0xffff, s55
	s_cmp_gt_i32 s50, 25
	s_cbranch_scc0 .LBB238_1149
; %bb.1142:
	s_cmp_gt_i32 s50, 28
	s_cbranch_scc0 .LBB238_1150
; %bb.1143:
	;; [unrolled: 3-line block ×4, first 2 shown]
	s_cmp_eq_u32 s50, 46
	s_mov_b64 s[48:49], 0
	s_cbranch_scc0 .LBB238_1155
; %bb.1146:
	global_load_dword v0, v[2:3], off
	s_mov_b64 s[46:47], -1
	s_waitcnt vmcnt(0)
	v_lshlrev_b32_e32 v0, 16, v0
	v_cvt_i32_f32_e32 v0, v0
	s_branch .LBB238_1157
.LBB238_1147:
	s_mov_b64 s[48:49], -1
                                        ; implicit-def: $vgpr0
	s_mov_b64 s[42:43], s[0:1]
	s_branch .LBB238_1216
.LBB238_1148:
	s_mov_b64 s[42:43], 0
	s_branch .LBB238_894
.LBB238_1149:
	s_mov_b64 s[48:49], -1
	s_mov_b64 s[42:43], s[0:1]
                                        ; implicit-def: $vgpr0
	s_branch .LBB238_1184
.LBB238_1150:
	s_mov_b64 s[48:49], -1
	s_mov_b64 s[42:43], s[0:1]
                                        ; implicit-def: $vgpr0
	s_branch .LBB238_1167
.LBB238_1151:
	s_mov_b64 s[48:49], -1
	s_mov_b64 s[42:43], s[0:1]
                                        ; implicit-def: $vgpr0
	s_branch .LBB238_1162
.LBB238_1152:
	s_mov_b64 s[48:49], -1
	s_mov_b64 s[42:43], s[0:1]
	s_branch .LBB238_1156
.LBB238_1153:
	s_andn2_saveexec_b64 s[44:45], s[44:45]
	s_cbranch_execz .LBB238_1048
.LBB238_1154:
	s_mov_b32 s49, 0x46000000
	v_add_f32_e64 v3, |v2|, s49
	v_and_b32_e32 v3, 0xff, v3
	v_cmp_ne_u32_e32 vcc, 0, v3
	s_andn2_b64 s[42:43], s[42:43], exec
	s_and_b64 s[50:51], vcc, exec
	s_or_b64 s[42:43], s[42:43], s[50:51]
	s_or_b64 exec, exec, s[44:45]
	v_mov_b32_e32 v5, 0
	s_and_saveexec_b64 s[44:45], s[42:43]
	s_cbranch_execnz .LBB238_1049
	s_branch .LBB238_1050
.LBB238_1155:
	s_mov_b64 s[42:43], -1
.LBB238_1156:
                                        ; implicit-def: $vgpr0
.LBB238_1157:
	s_and_b64 vcc, exec, s[48:49]
	s_cbranch_vccz .LBB238_1161
; %bb.1158:
	s_cmp_eq_u32 s50, 44
	s_cbranch_scc0 .LBB238_1160
; %bb.1159:
	global_load_ubyte v0, v[2:3], off
	s_mov_b64 s[42:43], 0
	s_mov_b64 s[46:47], -1
	s_waitcnt vmcnt(0)
	v_lshlrev_b32_e32 v1, 23, v0
	v_cvt_i32_f32_e32 v1, v1
	v_cmp_ne_u32_e32 vcc, 0, v0
	v_cndmask_b32_e32 v0, 0, v1, vcc
	s_branch .LBB238_1161
.LBB238_1160:
	s_mov_b64 s[42:43], -1
                                        ; implicit-def: $vgpr0
.LBB238_1161:
	s_mov_b64 s[48:49], 0
.LBB238_1162:
	s_and_b64 vcc, exec, s[48:49]
	s_cbranch_vccz .LBB238_1166
; %bb.1163:
	s_cmp_eq_u32 s50, 29
	s_cbranch_scc0 .LBB238_1165
; %bb.1164:
	global_load_dwordx2 v[0:1], v[2:3], off
	s_mov_b64 s[42:43], 0
	s_mov_b64 s[46:47], -1
	s_branch .LBB238_1166
.LBB238_1165:
	s_mov_b64 s[42:43], -1
                                        ; implicit-def: $vgpr0
.LBB238_1166:
	s_mov_b64 s[48:49], 0
.LBB238_1167:
	s_and_b64 vcc, exec, s[48:49]
	s_cbranch_vccz .LBB238_1183
; %bb.1168:
	s_cmp_lt_i32 s50, 27
	s_cbranch_scc1 .LBB238_1171
; %bb.1169:
	s_cmp_gt_i32 s50, 27
	s_cbranch_scc0 .LBB238_1172
; %bb.1170:
	global_load_dword v0, v[2:3], off
	s_mov_b64 s[46:47], 0
	s_branch .LBB238_1173
.LBB238_1171:
	s_mov_b64 s[46:47], -1
                                        ; implicit-def: $vgpr0
	s_branch .LBB238_1176
.LBB238_1172:
	s_mov_b64 s[46:47], -1
                                        ; implicit-def: $vgpr0
.LBB238_1173:
	s_andn2_b64 vcc, exec, s[46:47]
	s_cbranch_vccnz .LBB238_1175
; %bb.1174:
	global_load_ushort v0, v[2:3], off
.LBB238_1175:
	s_mov_b64 s[46:47], 0
.LBB238_1176:
	s_andn2_b64 vcc, exec, s[46:47]
	s_cbranch_vccnz .LBB238_1182
; %bb.1177:
	global_load_ubyte v1, v[2:3], off
	s_movk_i32 s46, 0x7f
	s_mov_b64 s[48:49], 0
	s_waitcnt vmcnt(0)
	v_cmp_lt_i16_e32 vcc, s46, v1
	s_and_saveexec_b64 s[46:47], vcc
	s_xor_b64 s[46:47], exec, s[46:47]
	s_cbranch_execz .LBB238_1194
; %bb.1178:
	s_movk_i32 s48, 0x80
	v_cmp_ne_u16_e32 vcc, s48, v1
	s_and_b64 s[48:49], vcc, exec
	s_andn2_saveexec_b64 s[46:47], s[46:47]
	s_cbranch_execnz .LBB238_1195
.LBB238_1179:
	s_or_b64 exec, exec, s[46:47]
	v_mov_b32_e32 v0, 0
	s_and_saveexec_b64 s[46:47], s[48:49]
	s_cbranch_execz .LBB238_1181
.LBB238_1180:
	v_lshlrev_b32_e32 v0, 24, v1
	v_and_b32_e32 v1, 0xffff, v1
	v_and_b32_e32 v4, 7, v1
	v_ffbh_u32_e32 v6, v4
	v_min_u32_e32 v6, 32, v6
	v_subrev_u32_e32 v7, 28, v6
	v_bfe_u32 v5, v1, 3, 4
	v_lshlrev_b32_e32 v1, v7, v1
	v_sub_u32_e32 v6, 29, v6
	v_and_b32_e32 v1, 7, v1
	v_cmp_eq_u32_e32 vcc, 0, v5
	v_cndmask_b32_e32 v5, v5, v6, vcc
	v_cndmask_b32_e32 v1, v4, v1, vcc
	v_mov_b32_e32 v4, 0x3b800000
	v_lshlrev_b32_e32 v1, 20, v1
	v_and_b32_e32 v0, 0x80000000, v0
	v_lshl_add_u32 v4, v5, 23, v4
	v_or3_b32 v0, v0, v4, v1
	v_cvt_i32_f32_e32 v0, v0
.LBB238_1181:
	s_or_b64 exec, exec, s[46:47]
.LBB238_1182:
	s_mov_b64 s[46:47], -1
.LBB238_1183:
	s_mov_b64 s[48:49], 0
.LBB238_1184:
	s_and_b64 vcc, exec, s[48:49]
	s_cbranch_vccz .LBB238_1215
; %bb.1185:
	s_cmp_gt_i32 s50, 22
	s_cbranch_scc0 .LBB238_1193
; %bb.1186:
	s_cmp_lt_i32 s50, 24
	s_cbranch_scc1 .LBB238_1196
; %bb.1187:
	s_cmp_gt_i32 s50, 24
	s_cbranch_scc0 .LBB238_1197
; %bb.1188:
	global_load_ubyte v1, v[2:3], off
	s_movk_i32 s44, 0x7f
	s_mov_b64 s[46:47], 0
	s_waitcnt vmcnt(0)
	v_cmp_lt_i16_e32 vcc, s44, v1
	s_and_saveexec_b64 s[44:45], vcc
	s_xor_b64 s[44:45], exec, s[44:45]
	s_cbranch_execz .LBB238_1209
; %bb.1189:
	s_movk_i32 s46, 0x80
	v_cmp_ne_u16_e32 vcc, s46, v1
	s_and_b64 s[46:47], vcc, exec
	s_andn2_saveexec_b64 s[44:45], s[44:45]
	s_cbranch_execnz .LBB238_1210
.LBB238_1190:
	s_or_b64 exec, exec, s[44:45]
	v_mov_b32_e32 v0, 0
	s_and_saveexec_b64 s[44:45], s[46:47]
	s_cbranch_execz .LBB238_1192
.LBB238_1191:
	v_lshlrev_b32_e32 v0, 24, v1
	v_and_b32_e32 v1, 0xffff, v1
	v_and_b32_e32 v4, 3, v1
	v_ffbh_u32_e32 v6, v4
	v_min_u32_e32 v6, 32, v6
	v_subrev_u32_e32 v7, 29, v6
	v_bfe_u32 v5, v1, 2, 5
	v_lshlrev_b32_e32 v1, v7, v1
	v_sub_u32_e32 v6, 30, v6
	v_and_b32_e32 v1, 3, v1
	v_cmp_eq_u32_e32 vcc, 0, v5
	v_cndmask_b32_e32 v5, v5, v6, vcc
	v_cndmask_b32_e32 v1, v4, v1, vcc
	v_mov_b32_e32 v4, 0x37800000
	v_lshlrev_b32_e32 v1, 21, v1
	v_and_b32_e32 v0, 0x80000000, v0
	v_lshl_add_u32 v4, v5, 23, v4
	v_or3_b32 v0, v0, v4, v1
	v_cvt_i32_f32_e32 v0, v0
.LBB238_1192:
	s_or_b64 exec, exec, s[44:45]
	s_mov_b64 s[44:45], 0
	s_branch .LBB238_1198
.LBB238_1193:
	s_mov_b64 s[44:45], -1
                                        ; implicit-def: $vgpr0
	s_branch .LBB238_1204
.LBB238_1194:
	s_andn2_saveexec_b64 s[46:47], s[46:47]
	s_cbranch_execz .LBB238_1179
.LBB238_1195:
	v_cmp_ne_u16_e32 vcc, 0, v1
	s_andn2_b64 s[48:49], s[48:49], exec
	s_and_b64 s[52:53], vcc, exec
	s_or_b64 s[48:49], s[48:49], s[52:53]
	s_or_b64 exec, exec, s[46:47]
	v_mov_b32_e32 v0, 0
	s_and_saveexec_b64 s[46:47], s[48:49]
	s_cbranch_execnz .LBB238_1180
	s_branch .LBB238_1181
.LBB238_1196:
	s_mov_b64 s[44:45], -1
                                        ; implicit-def: $vgpr0
	s_branch .LBB238_1201
.LBB238_1197:
	s_mov_b64 s[44:45], -1
                                        ; implicit-def: $vgpr0
.LBB238_1198:
	s_and_b64 vcc, exec, s[44:45]
	s_cbranch_vccz .LBB238_1200
; %bb.1199:
	global_load_ubyte v0, v[2:3], off
	s_mov_b32 s44, 0x7f800000
	s_waitcnt vmcnt(0)
	v_lshlrev_b32_e32 v0, 24, v0
	v_and_b32_e32 v1, 0x7f000000, v0
	v_ffbh_u32_e32 v4, v1
	v_min_u32_e32 v4, 32, v4
	v_sub_u32_e64 v4, v4, 4 clamp
	v_lshlrev_b32_e32 v6, v4, v1
	v_lshlrev_b32_e32 v4, 23, v4
	v_lshrrev_b32_e32 v6, 4, v6
	v_add_u32_e32 v5, 0x1000000, v1
	v_sub_u32_e32 v4, v6, v4
	v_ashrrev_i32_e32 v5, 8, v5
	v_add_u32_e32 v4, 0x3c000000, v4
	v_and_or_b32 v4, v5, s44, v4
	v_cmp_ne_u32_e32 vcc, 0, v1
	v_cndmask_b32_e32 v1, 0, v4, vcc
	s_brev_b32 s44, 1
	v_and_or_b32 v0, v0, s44, v1
	v_cvt_i32_f32_e32 v0, v0
.LBB238_1200:
	s_mov_b64 s[44:45], 0
.LBB238_1201:
	s_andn2_b64 vcc, exec, s[44:45]
	s_cbranch_vccnz .LBB238_1203
; %bb.1202:
	global_load_ubyte v0, v[2:3], off
	s_movk_i32 s44, 0x7f00
	s_brev_b32 s45, 16
	s_waitcnt vmcnt(0)
	v_lshlrev_b16_e32 v1, 8, v0
	v_lshlrev_b32_e32 v0, 25, v0
	v_lshrrev_b32_e32 v4, 4, v0
	v_and_or_b32 v5, v1, s44, 0.5
	v_or_b32_e32 v4, 0x70000000, v4
	v_add_f32_e32 v5, -0.5, v5
	v_mul_f32_e32 v4, 0x7800000, v4
	v_cmp_gt_u32_e32 vcc, s45, v0
	v_bfe_i32 v1, v1, 0, 16
	v_cndmask_b32_e32 v0, v4, v5, vcc
	s_brev_b32 s44, 1
	v_and_or_b32 v0, v1, s44, v0
	v_cvt_i32_f32_e32 v0, v0
.LBB238_1203:
	s_mov_b64 s[44:45], 0
	s_mov_b64 s[46:47], -1
.LBB238_1204:
	s_andn2_b64 vcc, exec, s[44:45]
	s_mov_b64 s[44:45], 0
	s_cbranch_vccnz .LBB238_1215
; %bb.1205:
	s_cmp_gt_i32 s50, 14
	s_cbranch_scc0 .LBB238_1208
; %bb.1206:
	s_cmp_eq_u32 s50, 15
	s_cbranch_scc0 .LBB238_1211
; %bb.1207:
	global_load_ushort v0, v[2:3], off
	s_mov_b64 s[42:43], 0
	s_mov_b64 s[46:47], -1
	s_waitcnt vmcnt(0)
	v_lshlrev_b32_e32 v0, 16, v0
	v_cvt_i32_f32_e32 v0, v0
	s_branch .LBB238_1212
.LBB238_1208:
	s_mov_b64 s[48:49], -1
                                        ; implicit-def: $vgpr0
	s_branch .LBB238_1213
.LBB238_1209:
	s_andn2_saveexec_b64 s[44:45], s[44:45]
	s_cbranch_execz .LBB238_1190
.LBB238_1210:
	v_cmp_ne_u16_e32 vcc, 0, v1
	s_andn2_b64 s[46:47], s[46:47], exec
	s_and_b64 s[48:49], vcc, exec
	s_or_b64 s[46:47], s[46:47], s[48:49]
	s_or_b64 exec, exec, s[44:45]
	v_mov_b32_e32 v0, 0
	s_and_saveexec_b64 s[44:45], s[46:47]
	s_cbranch_execnz .LBB238_1191
	s_branch .LBB238_1192
.LBB238_1211:
	s_mov_b64 s[42:43], -1
                                        ; implicit-def: $vgpr0
.LBB238_1212:
	s_mov_b64 s[48:49], 0
.LBB238_1213:
	s_and_b64 vcc, exec, s[48:49]
	s_cbranch_vccz .LBB238_1215
; %bb.1214:
	s_cmp_lg_u32 s50, 11
	s_cselect_b64 s[48:49], -1, 0
	s_andn2_b64 s[42:43], s[42:43], exec
	s_and_b64 s[48:49], s[48:49], exec
	s_mov_b64 s[44:45], -1
	s_or_b64 s[42:43], s[42:43], s[48:49]
.LBB238_1215:
	s_mov_b64 s[48:49], 0
.LBB238_1216:
	s_and_b64 s[52:53], s[46:47], exec
	s_and_b64 s[46:47], s[44:45], exec
	s_andn2_b64 s[44:45], s[0:1], exec
	s_and_b64 s[42:43], s[42:43], exec
	s_and_b64 s[50:51], s[48:49], exec
	s_or_b64 s[48:49], s[44:45], s[42:43]
.LBB238_1217:
	s_or_b64 exec, exec, s[36:37]
	s_and_b64 s[42:43], s[46:47], exec
	s_andn2_b64 s[0:1], s[0:1], exec
	s_and_b64 s[46:47], s[48:49], exec
	s_and_b64 s[44:45], s[52:53], exec
	;; [unrolled: 1-line block ×3, first 2 shown]
	s_or_b64 s[0:1], s[0:1], s[46:47]
.LBB238_1218:
	s_or_b64 exec, exec, s[34:35]
	s_andn2_b64 s[28:29], s[28:29], exec
	s_and_b64 s[34:35], s[40:41], exec
	s_or_b64 s[28:29], s[28:29], s[34:35]
	s_andn2_b64 s[26:27], s[26:27], exec
	s_and_b64 s[34:35], s[38:39], exec
	s_andn2_b64 s[24:25], s[24:25], exec
	s_and_b64 s[0:1], s[0:1], exec
	s_or_b64 s[26:27], s[26:27], s[34:35]
	s_and_b64 s[38:39], s[44:45], exec
	s_and_b64 s[36:37], s[36:37], exec
	;; [unrolled: 1-line block ×3, first 2 shown]
	s_or_b64 s[24:25], s[24:25], s[0:1]
.LBB238_1219:
	s_or_b64 exec, exec, s[30:31]
	s_andn2_b64 s[0:1], s[6:7], exec
	s_and_b64 s[6:7], s[28:29], exec
	s_or_b64 s[6:7], s[0:1], s[6:7]
	s_andn2_b64 s[0:1], s[18:19], exec
	s_and_b64 s[18:19], s[26:27], exec
	s_or_b64 s[18:19], s[0:1], s[18:19]
	s_andn2_b64 s[0:1], s[20:21], exec
	s_and_b64 s[20:21], s[24:25], exec
	s_and_b64 s[28:29], s[38:39], exec
	;; [unrolled: 1-line block ×4, first 2 shown]
	s_or_b64 s[20:21], s[0:1], s[20:21]
	s_or_b64 exec, exec, s[22:23]
	s_mov_b64 s[22:23], 0
	s_and_saveexec_b64 s[0:1], s[20:21]
	s_cbranch_execz .LBB238_385
.LBB238_1220:
	s_mov_b64 s[22:23], exec
	s_andn2_b64 s[26:27], s[26:27], exec
	s_trap 2
	s_or_b64 exec, exec, s[0:1]
	s_and_saveexec_b64 s[0:1], s[26:27]
	s_xor_b64 s[0:1], exec, s[0:1]
	s_cbranch_execnz .LBB238_386
.LBB238_1221:
	s_or_b64 exec, exec, s[0:1]
	s_and_saveexec_b64 s[0:1], s[30:31]
	s_cbranch_execz .LBB238_1267
.LBB238_1222:
	s_sext_i32_i16 s20, s55
	s_cmp_lt_i32 s20, 5
	s_cbranch_scc1 .LBB238_1227
; %bb.1223:
	s_cmp_lt_i32 s20, 8
	s_cbranch_scc1 .LBB238_1228
; %bb.1224:
	;; [unrolled: 3-line block ×3, first 2 shown]
	s_cmp_gt_i32 s20, 9
	s_cbranch_scc0 .LBB238_1230
; %bb.1226:
	s_waitcnt vmcnt(0)
	global_load_dwordx2 v[0:1], v[2:3], off
	s_mov_b64 s[20:21], 0
	s_waitcnt vmcnt(0)
	v_cvt_i32_f64_e32 v0, v[0:1]
	s_branch .LBB238_1231
.LBB238_1227:
                                        ; implicit-def: $vgpr0
	s_branch .LBB238_1248
.LBB238_1228:
                                        ; implicit-def: $vgpr0
	s_branch .LBB238_1237
.LBB238_1229:
	s_mov_b64 s[20:21], -1
                                        ; implicit-def: $vgpr0
	s_branch .LBB238_1234
.LBB238_1230:
	s_mov_b64 s[20:21], -1
                                        ; implicit-def: $vgpr0
.LBB238_1231:
	s_andn2_b64 vcc, exec, s[20:21]
	s_cbranch_vccnz .LBB238_1233
; %bb.1232:
	s_waitcnt vmcnt(0)
	global_load_dword v0, v[2:3], off
	s_waitcnt vmcnt(0)
	v_cvt_i32_f32_e32 v0, v0
.LBB238_1233:
	s_mov_b64 s[20:21], 0
.LBB238_1234:
	s_andn2_b64 vcc, exec, s[20:21]
	s_cbranch_vccnz .LBB238_1236
; %bb.1235:
	s_waitcnt vmcnt(0)
	global_load_dword v0, v[2:3], off
	s_waitcnt vmcnt(0)
	v_cvt_i16_f16_e32 v0, v0
.LBB238_1236:
	s_cbranch_execnz .LBB238_1247
.LBB238_1237:
	s_sext_i32_i16 s20, s55
	s_cmp_lt_i32 s20, 6
	s_cbranch_scc1 .LBB238_1240
; %bb.1238:
	s_cmp_gt_i32 s20, 6
	s_cbranch_scc0 .LBB238_1241
; %bb.1239:
	s_waitcnt vmcnt(0)
	global_load_dwordx2 v[0:1], v[2:3], off
	s_mov_b64 s[20:21], 0
	s_waitcnt vmcnt(0)
	v_cvt_i32_f64_e32 v0, v[0:1]
	s_branch .LBB238_1242
.LBB238_1240:
	s_mov_b64 s[20:21], -1
                                        ; implicit-def: $vgpr0
	s_branch .LBB238_1245
.LBB238_1241:
	s_mov_b64 s[20:21], -1
                                        ; implicit-def: $vgpr0
.LBB238_1242:
	s_andn2_b64 vcc, exec, s[20:21]
	s_cbranch_vccnz .LBB238_1244
; %bb.1243:
	s_waitcnt vmcnt(0)
	global_load_dword v0, v[2:3], off
	s_waitcnt vmcnt(0)
	v_cvt_i32_f32_e32 v0, v0
.LBB238_1244:
	s_mov_b64 s[20:21], 0
.LBB238_1245:
	s_andn2_b64 vcc, exec, s[20:21]
	s_cbranch_vccnz .LBB238_1247
; %bb.1246:
	s_waitcnt vmcnt(0)
	global_load_ushort v0, v[2:3], off
	s_waitcnt vmcnt(0)
	v_cvt_i16_f16_e32 v0, v0
.LBB238_1247:
	s_cbranch_execnz .LBB238_1266
.LBB238_1248:
	s_sext_i32_i16 s20, s55
	s_cmp_lt_i32 s20, 2
	s_cbranch_scc1 .LBB238_1252
; %bb.1249:
	s_cmp_lt_i32 s20, 3
	s_cbranch_scc1 .LBB238_1253
; %bb.1250:
	s_cmp_gt_i32 s20, 3
	s_cbranch_scc0 .LBB238_1254
; %bb.1251:
	s_waitcnt vmcnt(0)
	global_load_dwordx2 v[0:1], v[2:3], off
	s_mov_b64 s[20:21], 0
	s_branch .LBB238_1255
.LBB238_1252:
                                        ; implicit-def: $vgpr0
	s_branch .LBB238_1261
.LBB238_1253:
	s_mov_b64 s[20:21], -1
                                        ; implicit-def: $vgpr0
	s_branch .LBB238_1258
.LBB238_1254:
	s_mov_b64 s[20:21], -1
                                        ; implicit-def: $vgpr0
.LBB238_1255:
	s_andn2_b64 vcc, exec, s[20:21]
	s_cbranch_vccnz .LBB238_1257
; %bb.1256:
	s_waitcnt vmcnt(0)
	global_load_dword v0, v[2:3], off
.LBB238_1257:
	s_mov_b64 s[20:21], 0
.LBB238_1258:
	s_andn2_b64 vcc, exec, s[20:21]
	s_cbranch_vccnz .LBB238_1260
; %bb.1259:
	s_waitcnt vmcnt(0)
	global_load_ushort v0, v[2:3], off
.LBB238_1260:
	s_cbranch_execnz .LBB238_1266
.LBB238_1261:
	s_sext_i32_i16 s20, s55
	s_cmp_gt_i32 s20, 0
	s_cbranch_scc0 .LBB238_1263
; %bb.1262:
	s_waitcnt vmcnt(0)
	global_load_sbyte v0, v[2:3], off
	s_mov_b64 s[20:21], 0
	s_branch .LBB238_1264
.LBB238_1263:
	s_mov_b64 s[20:21], -1
                                        ; implicit-def: $vgpr0
.LBB238_1264:
	s_andn2_b64 vcc, exec, s[20:21]
	s_cbranch_vccnz .LBB238_1266
; %bb.1265:
	s_waitcnt vmcnt(0)
	global_load_ubyte v0, v[2:3], off
.LBB238_1266:
	s_or_b64 s[28:29], s[28:29], exec
.LBB238_1267:
	s_or_b64 exec, exec, s[0:1]
	s_mov_b64 s[26:27], 0
	s_mov_b64 s[30:31], 0
	;; [unrolled: 1-line block ×3, first 2 shown]
                                        ; implicit-def: $sgpr34
                                        ; implicit-def: $vgpr1_vgpr2
                                        ; implicit-def: $vgpr3
	s_and_saveexec_b64 s[0:1], s[28:29]
	s_cbranch_execz .LBB238_1275
; %bb.1268:
	s_waitcnt vmcnt(0)
	v_mul_lo_u32 v1, v14, s14
	v_mov_b32_e32 v2, s3
	s_and_b32 s34, s15, 0xff
	s_cmp_lt_i32 s34, 11
	v_ashrrev_i32_e32 v3, 31, v1
	v_add_co_u32_e32 v1, vcc, s2, v1
	v_addc_co_u32_e32 v2, vcc, v2, v3, vcc
	s_cbranch_scc1 .LBB238_1278
; %bb.1269:
	s_and_b32 s30, 0xffff, s34
	s_cmp_gt_i32 s30, 25
	s_cbranch_scc0 .LBB238_1279
; %bb.1270:
	s_cmp_gt_i32 s30, 28
	s_cbranch_scc0 .LBB238_1280
; %bb.1271:
	;; [unrolled: 3-line block ×4, first 2 shown]
	s_cmp_eq_u32 s30, 46
	s_mov_b64 s[28:29], 0
	s_cbranch_scc0 .LBB238_1283
; %bb.1274:
	global_load_dword v3, v[1:2], off
	s_mov_b64 s[20:21], 0
	s_mov_b64 s[24:25], -1
	s_waitcnt vmcnt(0)
	v_lshlrev_b32_e32 v3, 16, v3
	v_cvt_i32_f32_e32 v3, v3
	s_branch .LBB238_1285
.LBB238_1275:
	s_or_b64 exec, exec, s[0:1]
	s_and_saveexec_b64 s[0:1], s[18:19]
	s_cbranch_execnz .LBB238_1344
.LBB238_1276:
	s_or_b64 exec, exec, s[0:1]
	s_and_saveexec_b64 s[0:1], s[26:27]
	s_xor_b64 s[0:1], exec, s[0:1]
	s_cbranch_execz .LBB238_1345
.LBB238_1277:
	s_waitcnt vmcnt(0)
	global_load_ubyte v3, v[1:2], off
	s_or_b64 s[24:25], s[24:25], exec
	s_waitcnt vmcnt(0)
	v_cmp_ne_u16_e32 vcc, 0, v3
	v_cndmask_b32_e64 v3, 0, 1, vcc
	s_or_b64 exec, exec, s[0:1]
	s_and_saveexec_b64 s[0:1], s[30:31]
	s_cbranch_execz .LBB238_1391
	s_branch .LBB238_1346
.LBB238_1278:
	s_mov_b64 s[28:29], -1
                                        ; implicit-def: $vgpr3
	s_mov_b64 s[20:21], s[18:19]
	s_branch .LBB238_1343
.LBB238_1279:
	s_mov_b64 s[20:21], s[18:19]
                                        ; implicit-def: $vgpr3
	s_cbranch_execnz .LBB238_1312
	s_branch .LBB238_1342
.LBB238_1280:
	s_mov_b64 s[28:29], -1
	s_mov_b64 s[20:21], s[18:19]
                                        ; implicit-def: $vgpr3
	s_branch .LBB238_1295
.LBB238_1281:
	s_mov_b64 s[28:29], -1
	s_mov_b64 s[20:21], s[18:19]
                                        ; implicit-def: $vgpr3
	s_branch .LBB238_1290
.LBB238_1282:
	s_mov_b64 s[28:29], -1
	s_mov_b64 s[20:21], s[18:19]
	s_branch .LBB238_1284
.LBB238_1283:
	s_mov_b64 s[20:21], -1
.LBB238_1284:
                                        ; implicit-def: $vgpr3
.LBB238_1285:
	s_and_b64 vcc, exec, s[28:29]
	s_cbranch_vccz .LBB238_1289
; %bb.1286:
	s_cmp_eq_u32 s30, 44
	s_cbranch_scc0 .LBB238_1288
; %bb.1287:
	global_load_ubyte v3, v[1:2], off
	s_mov_b64 s[20:21], 0
	s_mov_b64 s[24:25], -1
	s_waitcnt vmcnt(0)
	v_lshlrev_b32_e32 v4, 23, v3
	v_cvt_i32_f32_e32 v4, v4
	v_cmp_ne_u32_e32 vcc, 0, v3
	v_cndmask_b32_e32 v3, 0, v4, vcc
	s_branch .LBB238_1289
.LBB238_1288:
	s_mov_b64 s[20:21], -1
                                        ; implicit-def: $vgpr3
.LBB238_1289:
	s_mov_b64 s[28:29], 0
.LBB238_1290:
	s_and_b64 vcc, exec, s[28:29]
	s_cbranch_vccz .LBB238_1294
; %bb.1291:
	s_cmp_eq_u32 s30, 29
	s_cbranch_scc0 .LBB238_1293
; %bb.1292:
	global_load_dwordx2 v[3:4], v[1:2], off
	s_mov_b64 s[20:21], 0
	s_mov_b64 s[24:25], -1
	s_branch .LBB238_1294
.LBB238_1293:
	s_mov_b64 s[20:21], -1
                                        ; implicit-def: $vgpr3
.LBB238_1294:
	s_mov_b64 s[28:29], 0
.LBB238_1295:
	s_and_b64 vcc, exec, s[28:29]
	s_cbranch_vccz .LBB238_1311
; %bb.1296:
	s_cmp_lt_i32 s30, 27
	s_cbranch_scc1 .LBB238_1299
; %bb.1297:
	s_cmp_gt_i32 s30, 27
	s_cbranch_scc0 .LBB238_1300
; %bb.1298:
	global_load_dword v3, v[1:2], off
	s_mov_b64 s[24:25], 0
	s_branch .LBB238_1301
.LBB238_1299:
	s_mov_b64 s[24:25], -1
                                        ; implicit-def: $vgpr3
	s_branch .LBB238_1304
.LBB238_1300:
	s_mov_b64 s[24:25], -1
                                        ; implicit-def: $vgpr3
.LBB238_1301:
	s_andn2_b64 vcc, exec, s[24:25]
	s_cbranch_vccnz .LBB238_1303
; %bb.1302:
	global_load_ushort v3, v[1:2], off
.LBB238_1303:
	s_mov_b64 s[24:25], 0
.LBB238_1304:
	s_andn2_b64 vcc, exec, s[24:25]
	s_cbranch_vccnz .LBB238_1310
; %bb.1305:
	global_load_ubyte v4, v[1:2], off
	s_movk_i32 s24, 0x7f
	s_mov_b64 s[28:29], 0
	s_waitcnt vmcnt(0)
	v_cmp_lt_i16_e32 vcc, s24, v4
	s_and_saveexec_b64 s[24:25], vcc
	s_xor_b64 s[24:25], exec, s[24:25]
	s_cbranch_execz .LBB238_1321
; %bb.1306:
	s_movk_i32 s28, 0x80
	v_cmp_ne_u16_e32 vcc, s28, v4
	s_and_b64 s[28:29], vcc, exec
	s_andn2_saveexec_b64 s[24:25], s[24:25]
	s_cbranch_execnz .LBB238_1322
.LBB238_1307:
	s_or_b64 exec, exec, s[24:25]
	v_mov_b32_e32 v3, 0
	s_and_saveexec_b64 s[24:25], s[28:29]
	s_cbranch_execz .LBB238_1309
.LBB238_1308:
	v_lshlrev_b32_e32 v3, 24, v4
	v_and_b32_e32 v4, 0xffff, v4
	v_and_b32_e32 v5, 7, v4
	v_ffbh_u32_e32 v7, v5
	v_min_u32_e32 v7, 32, v7
	v_subrev_u32_e32 v8, 28, v7
	v_bfe_u32 v6, v4, 3, 4
	v_lshlrev_b32_e32 v4, v8, v4
	v_sub_u32_e32 v7, 29, v7
	v_and_b32_e32 v4, 7, v4
	v_cmp_eq_u32_e32 vcc, 0, v6
	v_cndmask_b32_e32 v6, v6, v7, vcc
	v_cndmask_b32_e32 v4, v5, v4, vcc
	v_mov_b32_e32 v5, 0x3b800000
	v_lshlrev_b32_e32 v4, 20, v4
	v_and_b32_e32 v3, 0x80000000, v3
	v_lshl_add_u32 v5, v6, 23, v5
	v_or3_b32 v3, v3, v5, v4
	v_cvt_i32_f32_e32 v3, v3
.LBB238_1309:
	s_or_b64 exec, exec, s[24:25]
.LBB238_1310:
	s_mov_b64 s[24:25], -1
.LBB238_1311:
	s_branch .LBB238_1342
.LBB238_1312:
	s_cmp_gt_i32 s30, 22
	s_cbranch_scc0 .LBB238_1320
; %bb.1313:
	s_cmp_lt_i32 s30, 24
	s_cbranch_scc1 .LBB238_1323
; %bb.1314:
	s_cmp_gt_i32 s30, 24
	s_cbranch_scc0 .LBB238_1324
; %bb.1315:
	global_load_ubyte v4, v[1:2], off
	s_movk_i32 s24, 0x7f
	s_waitcnt vmcnt(0)
	v_cmp_lt_i16_e32 vcc, s24, v4
	s_and_saveexec_b64 s[24:25], vcc
	s_xor_b64 s[24:25], exec, s[24:25]
	s_cbranch_execz .LBB238_1336
; %bb.1316:
	s_movk_i32 s26, 0x80
	v_cmp_ne_u16_e32 vcc, s26, v4
	s_and_b64 s[26:27], vcc, exec
	s_andn2_saveexec_b64 s[24:25], s[24:25]
	s_cbranch_execnz .LBB238_1337
.LBB238_1317:
	s_or_b64 exec, exec, s[24:25]
	v_mov_b32_e32 v3, 0
	s_and_saveexec_b64 s[24:25], s[26:27]
	s_cbranch_execz .LBB238_1319
.LBB238_1318:
	v_lshlrev_b32_e32 v3, 24, v4
	v_and_b32_e32 v4, 0xffff, v4
	v_and_b32_e32 v5, 3, v4
	v_ffbh_u32_e32 v7, v5
	v_min_u32_e32 v7, 32, v7
	v_subrev_u32_e32 v8, 29, v7
	v_bfe_u32 v6, v4, 2, 5
	v_lshlrev_b32_e32 v4, v8, v4
	v_sub_u32_e32 v7, 30, v7
	v_and_b32_e32 v4, 3, v4
	v_cmp_eq_u32_e32 vcc, 0, v6
	v_cndmask_b32_e32 v6, v6, v7, vcc
	v_cndmask_b32_e32 v4, v5, v4, vcc
	v_mov_b32_e32 v5, 0x37800000
	v_lshlrev_b32_e32 v4, 21, v4
	v_and_b32_e32 v3, 0x80000000, v3
	v_lshl_add_u32 v5, v6, 23, v5
	v_or3_b32 v3, v3, v5, v4
	v_cvt_i32_f32_e32 v3, v3
.LBB238_1319:
	s_or_b64 exec, exec, s[24:25]
	s_mov_b64 s[24:25], 0
	s_branch .LBB238_1325
.LBB238_1320:
	s_mov_b64 s[26:27], -1
                                        ; implicit-def: $vgpr3
	s_branch .LBB238_1331
.LBB238_1321:
	s_andn2_saveexec_b64 s[24:25], s[24:25]
	s_cbranch_execz .LBB238_1307
.LBB238_1322:
	v_cmp_ne_u16_e32 vcc, 0, v4
	s_andn2_b64 s[28:29], s[28:29], exec
	s_and_b64 s[36:37], vcc, exec
	s_or_b64 s[28:29], s[28:29], s[36:37]
	s_or_b64 exec, exec, s[24:25]
	v_mov_b32_e32 v3, 0
	s_and_saveexec_b64 s[24:25], s[28:29]
	s_cbranch_execnz .LBB238_1308
	s_branch .LBB238_1309
.LBB238_1323:
	s_mov_b64 s[24:25], -1
                                        ; implicit-def: $vgpr3
	s_branch .LBB238_1328
.LBB238_1324:
	s_mov_b64 s[24:25], -1
                                        ; implicit-def: $vgpr3
.LBB238_1325:
	s_and_b64 vcc, exec, s[24:25]
	s_cbranch_vccz .LBB238_1327
; %bb.1326:
	global_load_ubyte v3, v[1:2], off
	s_mov_b32 s24, 0x7f800000
	s_waitcnt vmcnt(0)
	v_lshlrev_b32_e32 v3, 24, v3
	v_and_b32_e32 v4, 0x7f000000, v3
	v_ffbh_u32_e32 v5, v4
	v_min_u32_e32 v5, 32, v5
	v_sub_u32_e64 v5, v5, 4 clamp
	v_lshlrev_b32_e32 v7, v5, v4
	v_lshlrev_b32_e32 v5, 23, v5
	v_lshrrev_b32_e32 v7, 4, v7
	v_add_u32_e32 v6, 0x1000000, v4
	v_sub_u32_e32 v5, v7, v5
	v_ashrrev_i32_e32 v6, 8, v6
	v_add_u32_e32 v5, 0x3c000000, v5
	v_and_or_b32 v5, v6, s24, v5
	v_cmp_ne_u32_e32 vcc, 0, v4
	v_cndmask_b32_e32 v4, 0, v5, vcc
	s_brev_b32 s24, 1
	v_and_or_b32 v3, v3, s24, v4
	v_cvt_i32_f32_e32 v3, v3
.LBB238_1327:
	s_mov_b64 s[24:25], 0
.LBB238_1328:
	s_andn2_b64 vcc, exec, s[24:25]
	s_cbranch_vccnz .LBB238_1330
; %bb.1329:
	global_load_ubyte v3, v[1:2], off
	s_movk_i32 s24, 0x7f00
	s_brev_b32 s25, 16
	s_waitcnt vmcnt(0)
	v_lshlrev_b16_e32 v4, 8, v3
	v_lshlrev_b32_e32 v3, 25, v3
	v_lshrrev_b32_e32 v5, 4, v3
	v_and_or_b32 v6, v4, s24, 0.5
	v_or_b32_e32 v5, 0x70000000, v5
	v_add_f32_e32 v6, -0.5, v6
	v_mul_f32_e32 v5, 0x7800000, v5
	v_cmp_gt_u32_e32 vcc, s25, v3
	v_bfe_i32 v4, v4, 0, 16
	v_cndmask_b32_e32 v3, v5, v6, vcc
	s_brev_b32 s24, 1
	v_and_or_b32 v3, v4, s24, v3
	v_cvt_i32_f32_e32 v3, v3
.LBB238_1330:
	s_mov_b64 s[26:27], 0
	s_mov_b64 s[24:25], -1
.LBB238_1331:
	s_andn2_b64 vcc, exec, s[26:27]
	s_mov_b64 s[26:27], 0
	s_cbranch_vccnz .LBB238_1342
; %bb.1332:
	s_cmp_gt_i32 s30, 14
	s_cbranch_scc0 .LBB238_1335
; %bb.1333:
	s_cmp_eq_u32 s30, 15
	s_cbranch_scc0 .LBB238_1338
; %bb.1334:
	global_load_ushort v3, v[1:2], off
	s_mov_b64 s[20:21], 0
	s_mov_b64 s[24:25], -1
	s_waitcnt vmcnt(0)
	v_lshlrev_b32_e32 v3, 16, v3
	v_cvt_i32_f32_e32 v3, v3
	s_branch .LBB238_1339
.LBB238_1335:
	s_mov_b64 s[28:29], -1
                                        ; implicit-def: $vgpr3
	s_branch .LBB238_1340
.LBB238_1336:
	s_andn2_saveexec_b64 s[24:25], s[24:25]
	s_cbranch_execz .LBB238_1317
.LBB238_1337:
	v_cmp_ne_u16_e32 vcc, 0, v4
	s_andn2_b64 s[26:27], s[26:27], exec
	s_and_b64 s[28:29], vcc, exec
	s_or_b64 s[26:27], s[26:27], s[28:29]
	s_or_b64 exec, exec, s[24:25]
	v_mov_b32_e32 v3, 0
	s_and_saveexec_b64 s[24:25], s[26:27]
	s_cbranch_execnz .LBB238_1318
	s_branch .LBB238_1319
.LBB238_1338:
	s_mov_b64 s[20:21], -1
                                        ; implicit-def: $vgpr3
.LBB238_1339:
	s_mov_b64 s[28:29], 0
.LBB238_1340:
	s_and_b64 vcc, exec, s[28:29]
	s_cbranch_vccz .LBB238_1342
; %bb.1341:
	s_cmp_lg_u32 s30, 11
	s_cselect_b64 s[28:29], -1, 0
	s_andn2_b64 s[20:21], s[20:21], exec
	s_and_b64 s[28:29], s[28:29], exec
	s_mov_b64 s[26:27], -1
	s_or_b64 s[20:21], s[20:21], s[28:29]
.LBB238_1342:
	s_mov_b64 s[28:29], 0
.LBB238_1343:
	s_andn2_b64 s[18:19], s[18:19], exec
	s_and_b64 s[20:21], s[20:21], exec
	s_and_b64 s[24:25], s[24:25], exec
	;; [unrolled: 1-line block ×4, first 2 shown]
	s_or_b64 s[18:19], s[18:19], s[20:21]
	s_or_b64 exec, exec, s[0:1]
	s_and_saveexec_b64 s[0:1], s[18:19]
	s_cbranch_execz .LBB238_1276
.LBB238_1344:
	s_or_b64 s[22:23], s[22:23], exec
	s_andn2_b64 s[26:27], s[26:27], exec
	s_trap 2
	s_or_b64 exec, exec, s[0:1]
	s_and_saveexec_b64 s[0:1], s[26:27]
	s_xor_b64 s[0:1], exec, s[0:1]
	s_cbranch_execnz .LBB238_1277
.LBB238_1345:
	s_or_b64 exec, exec, s[0:1]
	s_and_saveexec_b64 s[0:1], s[30:31]
	s_cbranch_execz .LBB238_1391
.LBB238_1346:
	s_sext_i32_i16 s18, s34
	s_cmp_lt_i32 s18, 5
	s_cbranch_scc1 .LBB238_1351
; %bb.1347:
	s_cmp_lt_i32 s18, 8
	s_cbranch_scc1 .LBB238_1352
; %bb.1348:
	;; [unrolled: 3-line block ×3, first 2 shown]
	s_cmp_gt_i32 s18, 9
	s_cbranch_scc0 .LBB238_1354
; %bb.1350:
	s_waitcnt vmcnt(0)
	global_load_dwordx2 v[3:4], v[1:2], off
	s_mov_b64 s[18:19], 0
	s_waitcnt vmcnt(0)
	v_cvt_i32_f64_e32 v3, v[3:4]
	s_branch .LBB238_1355
.LBB238_1351:
                                        ; implicit-def: $vgpr3
	s_branch .LBB238_1372
.LBB238_1352:
                                        ; implicit-def: $vgpr3
	s_branch .LBB238_1361
.LBB238_1353:
	s_mov_b64 s[18:19], -1
                                        ; implicit-def: $vgpr3
	s_branch .LBB238_1358
.LBB238_1354:
	s_mov_b64 s[18:19], -1
                                        ; implicit-def: $vgpr3
.LBB238_1355:
	s_andn2_b64 vcc, exec, s[18:19]
	s_cbranch_vccnz .LBB238_1357
; %bb.1356:
	s_waitcnt vmcnt(0)
	global_load_dword v3, v[1:2], off
	s_waitcnt vmcnt(0)
	v_cvt_i32_f32_e32 v3, v3
.LBB238_1357:
	s_mov_b64 s[18:19], 0
.LBB238_1358:
	s_andn2_b64 vcc, exec, s[18:19]
	s_cbranch_vccnz .LBB238_1360
; %bb.1359:
	s_waitcnt vmcnt(0)
	global_load_dword v3, v[1:2], off
	s_waitcnt vmcnt(0)
	v_cvt_i16_f16_e32 v3, v3
.LBB238_1360:
	s_cbranch_execnz .LBB238_1371
.LBB238_1361:
	s_sext_i32_i16 s18, s34
	s_cmp_lt_i32 s18, 6
	s_cbranch_scc1 .LBB238_1364
; %bb.1362:
	s_cmp_gt_i32 s18, 6
	s_cbranch_scc0 .LBB238_1365
; %bb.1363:
	s_waitcnt vmcnt(0)
	global_load_dwordx2 v[3:4], v[1:2], off
	s_mov_b64 s[18:19], 0
	s_waitcnt vmcnt(0)
	v_cvt_i32_f64_e32 v3, v[3:4]
	s_branch .LBB238_1366
.LBB238_1364:
	s_mov_b64 s[18:19], -1
                                        ; implicit-def: $vgpr3
	s_branch .LBB238_1369
.LBB238_1365:
	s_mov_b64 s[18:19], -1
                                        ; implicit-def: $vgpr3
.LBB238_1366:
	s_andn2_b64 vcc, exec, s[18:19]
	s_cbranch_vccnz .LBB238_1368
; %bb.1367:
	s_waitcnt vmcnt(0)
	global_load_dword v3, v[1:2], off
	s_waitcnt vmcnt(0)
	v_cvt_i32_f32_e32 v3, v3
.LBB238_1368:
	s_mov_b64 s[18:19], 0
.LBB238_1369:
	s_andn2_b64 vcc, exec, s[18:19]
	s_cbranch_vccnz .LBB238_1371
; %bb.1370:
	s_waitcnt vmcnt(0)
	global_load_ushort v3, v[1:2], off
	s_waitcnt vmcnt(0)
	v_cvt_i16_f16_e32 v3, v3
.LBB238_1371:
	s_cbranch_execnz .LBB238_1390
.LBB238_1372:
	s_sext_i32_i16 s18, s34
	s_cmp_lt_i32 s18, 2
	s_cbranch_scc1 .LBB238_1376
; %bb.1373:
	s_cmp_lt_i32 s18, 3
	s_cbranch_scc1 .LBB238_1377
; %bb.1374:
	s_cmp_gt_i32 s18, 3
	s_cbranch_scc0 .LBB238_1378
; %bb.1375:
	s_waitcnt vmcnt(0)
	global_load_dwordx2 v[3:4], v[1:2], off
	s_mov_b64 s[18:19], 0
	s_branch .LBB238_1379
.LBB238_1376:
                                        ; implicit-def: $vgpr3
	s_branch .LBB238_1385
.LBB238_1377:
	s_mov_b64 s[18:19], -1
                                        ; implicit-def: $vgpr3
	s_branch .LBB238_1382
.LBB238_1378:
	s_mov_b64 s[18:19], -1
                                        ; implicit-def: $vgpr3
.LBB238_1379:
	s_andn2_b64 vcc, exec, s[18:19]
	s_cbranch_vccnz .LBB238_1381
; %bb.1380:
	s_waitcnt vmcnt(0)
	global_load_dword v3, v[1:2], off
.LBB238_1381:
	s_mov_b64 s[18:19], 0
.LBB238_1382:
	s_andn2_b64 vcc, exec, s[18:19]
	s_cbranch_vccnz .LBB238_1384
; %bb.1383:
	s_waitcnt vmcnt(0)
	global_load_ushort v3, v[1:2], off
.LBB238_1384:
	s_cbranch_execnz .LBB238_1390
.LBB238_1385:
	s_sext_i32_i16 s18, s34
	s_cmp_gt_i32 s18, 0
	s_cbranch_scc0 .LBB238_1387
; %bb.1386:
	s_waitcnt vmcnt(0)
	global_load_sbyte v3, v[1:2], off
	s_mov_b64 s[18:19], 0
	s_branch .LBB238_1388
.LBB238_1387:
	s_mov_b64 s[18:19], -1
                                        ; implicit-def: $vgpr3
.LBB238_1388:
	s_andn2_b64 vcc, exec, s[18:19]
	s_cbranch_vccnz .LBB238_1390
; %bb.1389:
	s_waitcnt vmcnt(0)
	global_load_ubyte v3, v[1:2], off
.LBB238_1390:
	s_or_b64 s[24:25], s[24:25], exec
.LBB238_1391:
	s_or_b64 exec, exec, s[0:1]
	s_mov_b64 s[26:27], 0
	s_mov_b64 s[20:21], 0
                                        ; implicit-def: $sgpr30
                                        ; implicit-def: $vgpr1_vgpr2
                                        ; implicit-def: $vgpr5
	s_and_saveexec_b64 s[18:19], s[24:25]
	s_cbranch_execz .LBB238_1399
; %bb.1392:
	v_mul_lo_u32 v2, v14, s12
	s_waitcnt vmcnt(0)
	v_ashrrev_i16_e32 v1, 15, v0
	v_ashrrev_i32_sdwa v0, v3, sext(v0) dst_sel:DWORD dst_unused:UNUSED_PAD src0_sel:WORD_0 src1_sel:WORD_0
	v_cmp_lt_u16_e32 vcc, 14, v3
	v_cndmask_b32_e32 v5, v0, v1, vcc
	v_ashrrev_i32_e32 v0, 31, v2
	v_mov_b32_e32 v3, s9
	s_and_b32 s30, s33, 0xff
	v_add_co_u32_e32 v1, vcc, s8, v2
	s_cmp_lt_i32 s30, 11
	v_addc_co_u32_e32 v2, vcc, v3, v0, vcc
	s_cbranch_scc1 .LBB238_1402
; %bb.1393:
	s_and_b32 s31, 0xffff, s30
	s_mov_b64 s[24:25], -1
	s_cmp_gt_i32 s31, 25
	s_mov_b64 s[0:1], s[6:7]
	s_cbranch_scc0 .LBB238_1430
; %bb.1394:
	s_mov_b64 s[20:21], -1
	s_cmp_gt_i32 s31, 28
	s_mov_b64 s[0:1], s[6:7]
	s_cbranch_scc0 .LBB238_1414
; %bb.1395:
	s_cmp_gt_i32 s31, 43
	s_mov_b64 s[0:1], s[6:7]
	s_cbranch_scc0 .LBB238_1410
; %bb.1396:
	;; [unrolled: 4-line block ×3, first 2 shown]
	s_cmp_eq_u32 s31, 46
	s_mov_b64 s[0:1], -1
	s_cbranch_scc0 .LBB238_1403
; %bb.1398:
	v_cvt_f32_i32_sdwa v0, sext(v5) dst_sel:DWORD dst_unused:UNUSED_PAD src0_sel:WORD_0
	s_movk_i32 s0, 0x7fff
	s_mov_b64 s[20:21], 0
	v_bfe_u32 v3, v0, 16, 1
	v_add3_u32 v0, v0, v3, s0
	v_lshrrev_b32_e32 v0, 16, v0
	global_store_dword v[1:2], v0, off
	s_mov_b64 s[0:1], 0
	s_branch .LBB238_1404
.LBB238_1399:
	s_or_b64 exec, exec, s[18:19]
	s_and_saveexec_b64 s[0:1], s[6:7]
	s_cbranch_execnz .LBB238_1472
.LBB238_1400:
	s_or_b64 exec, exec, s[0:1]
	s_and_saveexec_b64 s[0:1], s[26:27]
	s_xor_b64 s[0:1], exec, s[0:1]
	s_cbranch_execz .LBB238_1473
.LBB238_1401:
	v_cmp_ne_u16_e32 vcc, 0, v5
	s_waitcnt vmcnt(0)
	v_cndmask_b32_e64 v0, 0, 1, vcc
	global_store_byte v[1:2], v0, off
	s_or_b64 exec, exec, s[0:1]
	s_and_saveexec_b64 s[0:1], s[20:21]
	s_xor_b64 s[0:1], exec, s[0:1]
	s_cbranch_execz .LBB238_1511
	s_branch .LBB238_1474
.LBB238_1402:
	s_mov_b64 s[24:25], 0
	s_mov_b64 s[20:21], -1
	s_mov_b64 s[0:1], s[6:7]
	s_branch .LBB238_1471
.LBB238_1403:
	s_mov_b64 s[20:21], 0
.LBB238_1404:
	s_and_b64 vcc, exec, s[20:21]
	s_cbranch_vccz .LBB238_1409
; %bb.1405:
	s_cmp_eq_u32 s31, 44
	s_mov_b64 s[0:1], -1
	s_cbranch_scc0 .LBB238_1409
; %bb.1406:
	v_cvt_f32_i32_sdwa v0, sext(v5) dst_sel:DWORD dst_unused:UNUSED_PAD src0_sel:WORD_0
	s_movk_i32 s0, 0xff
	v_mov_b32_e32 v4, 0xff
	v_bfe_u32 v3, v0, 23, 8
	v_cmp_ne_u32_e32 vcc, s0, v3
	s_and_saveexec_b64 s[20:21], vcc
; %bb.1407:
	s_mov_b32 s0, 0x3fffff
	v_lshrrev_b32_e32 v4, 23, v0
	v_and_b32_e32 v6, 0x400000, v0
	v_and_or_b32 v0, v0, s0, v3
	v_cmp_ne_u32_e32 vcc, 0, v6
	v_cmp_ne_u32_e64 s[0:1], 0, v0
	s_and_b64 s[0:1], vcc, s[0:1]
	v_cndmask_b32_e64 v0, 0, 1, s[0:1]
	v_add_u32_e32 v4, v4, v0
; %bb.1408:
	s_or_b64 exec, exec, s[20:21]
	s_mov_b64 s[0:1], 0
	global_store_byte v[1:2], v4, off
.LBB238_1409:
	s_mov_b64 s[20:21], 0
.LBB238_1410:
	s_and_b64 vcc, exec, s[20:21]
	s_cbranch_vccz .LBB238_1413
; %bb.1411:
	s_cmp_eq_u32 s31, 29
	s_mov_b64 s[0:1], -1
	s_cbranch_scc0 .LBB238_1413
; %bb.1412:
	v_bfe_i32 v3, v5, 0, 16
	v_ashrrev_i32_e32 v4, 31, v3
	global_store_dwordx2 v[1:2], v[3:4], off
	s_mov_b64 s[0:1], 0
.LBB238_1413:
	s_mov_b64 s[20:21], 0
.LBB238_1414:
	s_and_b64 vcc, exec, s[20:21]
	s_cbranch_vccz .LBB238_1429
; %bb.1415:
	s_cmp_lt_i32 s31, 27
	s_mov_b64 s[20:21], -1
	s_cbranch_scc1 .LBB238_1421
; %bb.1416:
	s_cmp_gt_i32 s31, 27
	s_cbranch_scc0 .LBB238_1418
; %bb.1417:
	v_bfe_i32 v0, v5, 0, 16
	s_mov_b64 s[20:21], 0
	global_store_dword v[1:2], v0, off
.LBB238_1418:
	s_andn2_b64 vcc, exec, s[20:21]
	s_cbranch_vccnz .LBB238_1420
; %bb.1419:
	global_store_short v[1:2], v5, off
.LBB238_1420:
	s_mov_b64 s[20:21], 0
.LBB238_1421:
	s_andn2_b64 vcc, exec, s[20:21]
	s_cbranch_vccnz .LBB238_1429
; %bb.1422:
	v_cvt_f32_i32_sdwa v0, sext(v5) dst_sel:DWORD dst_unused:UNUSED_PAD src0_sel:WORD_0
	s_mov_b32 s20, 0x43800000
	v_mov_b32_e32 v4, 0x80
	v_and_b32_e32 v3, 0x7fffffff, v0
	v_cmp_gt_u32_e32 vcc, s20, v3
	s_and_saveexec_b64 s[20:21], vcc
	s_cbranch_execz .LBB238_1428
; %bb.1423:
	s_mov_b32 s24, 0x3bffffff
	v_cmp_lt_u32_e32 vcc, s24, v3
	s_mov_b64 s[24:25], 0
                                        ; implicit-def: $vgpr3
	s_and_saveexec_b64 s[26:27], vcc
	s_xor_b64 s[26:27], exec, s[26:27]
	s_cbranch_execz .LBB238_1526
; %bb.1424:
	v_bfe_u32 v3, v0, 20, 1
	s_mov_b32 s28, 0x487ffff
	v_add3_u32 v3, v0, v3, s28
	s_mov_b64 s[24:25], exec
	v_lshrrev_b32_e32 v3, 20, v3
	s_andn2_saveexec_b64 s[26:27], s[26:27]
	s_cbranch_execnz .LBB238_1527
.LBB238_1425:
	s_or_b64 exec, exec, s[26:27]
	v_mov_b32_e32 v4, 0
	s_and_saveexec_b64 s[26:27], s[24:25]
.LBB238_1426:
	v_lshrrev_b32_e32 v0, 24, v0
	s_movk_i32 s24, 0x80
	v_and_or_b32 v4, v0, s24, v3
.LBB238_1427:
	s_or_b64 exec, exec, s[26:27]
.LBB238_1428:
	s_or_b64 exec, exec, s[20:21]
	global_store_byte v[1:2], v4, off
.LBB238_1429:
	s_mov_b64 s[24:25], 0
.LBB238_1430:
	s_mov_b64 s[20:21], 0
	s_and_b64 vcc, exec, s[24:25]
	s_cbranch_vccz .LBB238_1470
; %bb.1431:
	s_cmp_gt_i32 s31, 22
	s_mov_b64 s[24:25], -1
	s_cbranch_scc0 .LBB238_1463
; %bb.1432:
	s_cmp_lt_i32 s31, 24
	s_cbranch_scc1 .LBB238_1452
; %bb.1433:
	s_cmp_gt_i32 s31, 24
	s_cbranch_scc0 .LBB238_1441
; %bb.1434:
	v_cvt_f32_i32_sdwa v0, sext(v5) dst_sel:DWORD dst_unused:UNUSED_PAD src0_sel:WORD_0
	s_mov_b32 s24, 0x47800000
	v_mov_b32_e32 v4, 0x80
	v_and_b32_e32 v3, 0x7fffffff, v0
	v_cmp_gt_u32_e32 vcc, s24, v3
	s_and_saveexec_b64 s[24:25], vcc
	s_cbranch_execz .LBB238_1440
; %bb.1435:
	s_mov_b32 s26, 0x37ffffff
	v_cmp_lt_u32_e32 vcc, s26, v3
	s_mov_b64 s[26:27], 0
                                        ; implicit-def: $vgpr3
	s_and_saveexec_b64 s[28:29], vcc
	s_xor_b64 s[28:29], exec, s[28:29]
	s_cbranch_execz .LBB238_1646
; %bb.1436:
	v_bfe_u32 v3, v0, 21, 1
	s_mov_b32 s34, 0x88fffff
	v_add3_u32 v3, v0, v3, s34
	s_mov_b64 s[26:27], exec
	v_lshrrev_b32_e32 v3, 21, v3
	s_andn2_saveexec_b64 s[28:29], s[28:29]
	s_cbranch_execnz .LBB238_1647
.LBB238_1437:
	s_or_b64 exec, exec, s[28:29]
	v_mov_b32_e32 v4, 0
	s_and_saveexec_b64 s[28:29], s[26:27]
.LBB238_1438:
	v_lshrrev_b32_e32 v0, 24, v0
	s_movk_i32 s26, 0x80
	v_and_or_b32 v4, v0, s26, v3
.LBB238_1439:
	s_or_b64 exec, exec, s[28:29]
.LBB238_1440:
	s_or_b64 exec, exec, s[24:25]
	s_mov_b64 s[24:25], 0
	global_store_byte v[1:2], v4, off
.LBB238_1441:
	s_and_b64 vcc, exec, s[24:25]
	s_cbranch_vccz .LBB238_1451
; %bb.1442:
	v_cvt_f32_i32_sdwa v0, sext(v5) dst_sel:DWORD dst_unused:UNUSED_PAD src0_sel:WORD_0
	s_mov_b32 s24, 0x43f00000
                                        ; implicit-def: $vgpr3
	v_and_b32_e32 v4, 0x7fffffff, v0
	v_cmp_gt_u32_e32 vcc, s24, v4
	s_and_saveexec_b64 s[24:25], vcc
	s_xor_b64 s[24:25], exec, s[24:25]
	s_cbranch_execz .LBB238_1448
; %bb.1443:
	s_mov_b32 s26, 0x3c7fffff
	v_cmp_lt_u32_e32 vcc, s26, v4
                                        ; implicit-def: $vgpr3
	s_and_saveexec_b64 s[26:27], vcc
	s_xor_b64 s[26:27], exec, s[26:27]
; %bb.1444:
	v_bfe_u32 v3, v0, 20, 1
	s_mov_b32 s28, 0x407ffff
	v_add3_u32 v3, v0, v3, s28
	v_lshrrev_b32_e32 v4, 20, v3
	v_and_b32_e32 v3, 0xff00000, v3
	s_mov_b32 s28, 0x7f00000
	v_mov_b32_e32 v6, 0x7e
	v_cmp_ne_u32_e32 vcc, s28, v3
	v_cndmask_b32_e32 v3, v6, v4, vcc
; %bb.1445:
	s_andn2_saveexec_b64 s[26:27], s[26:27]
; %bb.1446:
	s_mov_b32 s28, 0x46800000
	v_add_f32_e64 v3, |v0|, s28
; %bb.1447:
	s_or_b64 exec, exec, s[26:27]
                                        ; implicit-def: $vgpr4
.LBB238_1448:
	s_andn2_saveexec_b64 s[24:25], s[24:25]
; %bb.1449:
	s_mov_b32 s26, 0x7f800000
	v_mov_b32_e32 v3, 0x7e
	v_mov_b32_e32 v6, 0x7f
	v_cmp_lt_u32_e32 vcc, s26, v4
	v_cndmask_b32_e32 v3, v3, v6, vcc
; %bb.1450:
	s_or_b64 exec, exec, s[24:25]
	v_lshrrev_b32_e32 v0, 24, v0
	s_movk_i32 s24, 0x80
	v_and_or_b32 v0, v0, s24, v3
	global_store_byte v[1:2], v0, off
.LBB238_1451:
	s_mov_b64 s[24:25], 0
.LBB238_1452:
	s_andn2_b64 vcc, exec, s[24:25]
	s_cbranch_vccnz .LBB238_1462
; %bb.1453:
	v_cvt_f32_i32_sdwa v0, sext(v5) dst_sel:DWORD dst_unused:UNUSED_PAD src0_sel:WORD_0
	s_mov_b32 s24, 0x47800000
                                        ; implicit-def: $vgpr3
	v_and_b32_e32 v4, 0x7fffffff, v0
	v_cmp_gt_u32_e32 vcc, s24, v4
	s_and_saveexec_b64 s[24:25], vcc
	s_xor_b64 s[24:25], exec, s[24:25]
	s_cbranch_execz .LBB238_1459
; %bb.1454:
	s_mov_b32 s26, 0x387fffff
	v_cmp_lt_u32_e32 vcc, s26, v4
                                        ; implicit-def: $vgpr3
	s_and_saveexec_b64 s[26:27], vcc
	s_xor_b64 s[26:27], exec, s[26:27]
; %bb.1455:
	v_bfe_u32 v3, v0, 21, 1
	s_mov_b32 s28, 0x80fffff
	v_add3_u32 v3, v0, v3, s28
	v_lshrrev_b32_e32 v3, 21, v3
; %bb.1456:
	s_andn2_saveexec_b64 s[26:27], s[26:27]
; %bb.1457:
	s_mov_b32 s28, 0x43000000
	v_add_f32_e64 v3, |v0|, s28
; %bb.1458:
	s_or_b64 exec, exec, s[26:27]
                                        ; implicit-def: $vgpr4
.LBB238_1459:
	s_andn2_saveexec_b64 s[24:25], s[24:25]
; %bb.1460:
	s_mov_b32 s26, 0x7f800000
	v_mov_b32_e32 v3, 0x7c
	v_mov_b32_e32 v6, 0x7f
	v_cmp_lt_u32_e32 vcc, s26, v4
	v_cndmask_b32_e32 v3, v3, v6, vcc
; %bb.1461:
	s_or_b64 exec, exec, s[24:25]
	v_lshrrev_b32_e32 v0, 24, v0
	s_movk_i32 s24, 0x80
	v_and_or_b32 v0, v0, s24, v3
	global_store_byte v[1:2], v0, off
.LBB238_1462:
	s_mov_b64 s[24:25], 0
.LBB238_1463:
	s_andn2_b64 vcc, exec, s[24:25]
	s_mov_b64 s[24:25], 0
	s_cbranch_vccnz .LBB238_1471
; %bb.1464:
	s_cmp_gt_i32 s31, 14
	s_mov_b64 s[26:27], -1
	s_cbranch_scc0 .LBB238_1468
; %bb.1465:
	s_cmp_eq_u32 s31, 15
	s_mov_b64 s[0:1], -1
	s_cbranch_scc0 .LBB238_1467
; %bb.1466:
	v_cvt_f32_i32_sdwa v0, sext(v5) dst_sel:DWORD dst_unused:UNUSED_PAD src0_sel:WORD_0
	s_movk_i32 s0, 0x7fff
	v_bfe_u32 v3, v0, 16, 1
	v_add3_u32 v0, v0, v3, s0
	global_store_short_d16_hi v[1:2], v0, off
	s_mov_b64 s[0:1], 0
.LBB238_1467:
	s_mov_b64 s[26:27], 0
.LBB238_1468:
	s_and_b64 vcc, exec, s[26:27]
	s_cbranch_vccz .LBB238_1471
; %bb.1469:
	s_cmp_lg_u32 s31, 11
	s_cselect_b64 s[26:27], -1, 0
	s_andn2_b64 s[0:1], s[0:1], exec
	s_and_b64 s[26:27], s[26:27], exec
	s_mov_b64 s[24:25], -1
	s_or_b64 s[0:1], s[0:1], s[26:27]
	s_branch .LBB238_1471
.LBB238_1470:
	s_mov_b64 s[24:25], 0
.LBB238_1471:
	s_andn2_b64 s[6:7], s[6:7], exec
	s_and_b64 s[0:1], s[0:1], exec
	s_and_b64 s[20:21], s[20:21], exec
	;; [unrolled: 1-line block ×3, first 2 shown]
	s_or_b64 s[6:7], s[6:7], s[0:1]
	s_or_b64 exec, exec, s[18:19]
	s_and_saveexec_b64 s[0:1], s[6:7]
	s_cbranch_execz .LBB238_1400
.LBB238_1472:
	s_or_b64 s[22:23], s[22:23], exec
	s_andn2_b64 s[26:27], s[26:27], exec
	s_trap 2
	s_or_b64 exec, exec, s[0:1]
	s_and_saveexec_b64 s[0:1], s[26:27]
	s_xor_b64 s[0:1], exec, s[0:1]
	s_cbranch_execnz .LBB238_1401
.LBB238_1473:
	s_or_b64 exec, exec, s[0:1]
	s_and_saveexec_b64 s[0:1], s[20:21]
	s_xor_b64 s[0:1], exec, s[0:1]
	s_cbranch_execz .LBB238_1511
.LBB238_1474:
	s_sext_i32_i16 s18, s30
	s_cmp_lt_i32 s18, 5
	s_mov_b64 s[6:7], -1
	s_cbranch_scc1 .LBB238_1495
; %bb.1475:
	s_cmp_lt_i32 s18, 8
	s_cbranch_scc1 .LBB238_1485
; %bb.1476:
	s_cmp_lt_i32 s18, 9
	s_cbranch_scc1 .LBB238_1482
; %bb.1477:
	s_cmp_gt_i32 s18, 9
	s_cbranch_scc0 .LBB238_1479
; %bb.1478:
	s_waitcnt vmcnt(0)
	v_bfe_i32 v0, v5, 0, 16
	v_cvt_f64_i32_e32 v[6:7], v0
	v_mov_b32_e32 v8, 0
	v_mov_b32_e32 v9, v8
	s_mov_b64 s[6:7], 0
	global_store_dwordx4 v[1:2], v[6:9], off
.LBB238_1479:
	s_andn2_b64 vcc, exec, s[6:7]
	s_cbranch_vccnz .LBB238_1481
; %bb.1480:
	s_waitcnt vmcnt(0)
	v_cvt_f32_i32_sdwa v3, sext(v5) dst_sel:DWORD dst_unused:UNUSED_PAD src0_sel:WORD_0
	v_mov_b32_e32 v4, 0
	global_store_dwordx2 v[1:2], v[3:4], off
.LBB238_1481:
	s_mov_b64 s[6:7], 0
.LBB238_1482:
	s_andn2_b64 vcc, exec, s[6:7]
	s_cbranch_vccnz .LBB238_1484
; %bb.1483:
	s_waitcnt vmcnt(0)
	v_cvt_f16_i16_e32 v0, v5
	global_store_dword v[1:2], v0, off
.LBB238_1484:
	s_mov_b64 s[6:7], 0
.LBB238_1485:
	s_andn2_b64 vcc, exec, s[6:7]
	s_cbranch_vccnz .LBB238_1494
; %bb.1486:
	s_sext_i32_i16 s18, s30
	s_cmp_lt_i32 s18, 6
	s_mov_b64 s[6:7], -1
	s_cbranch_scc1 .LBB238_1492
; %bb.1487:
	s_cmp_gt_i32 s18, 6
	s_cbranch_scc0 .LBB238_1489
; %bb.1488:
	s_waitcnt vmcnt(0)
	v_bfe_i32 v0, v5, 0, 16
	v_cvt_f64_i32_e32 v[3:4], v0
	s_mov_b64 s[6:7], 0
	global_store_dwordx2 v[1:2], v[3:4], off
.LBB238_1489:
	s_andn2_b64 vcc, exec, s[6:7]
	s_cbranch_vccnz .LBB238_1491
; %bb.1490:
	s_waitcnt vmcnt(0)
	v_cvt_f32_i32_sdwa v0, sext(v5) dst_sel:DWORD dst_unused:UNUSED_PAD src0_sel:WORD_0
	global_store_dword v[1:2], v0, off
.LBB238_1491:
	s_mov_b64 s[6:7], 0
.LBB238_1492:
	s_andn2_b64 vcc, exec, s[6:7]
	s_cbranch_vccnz .LBB238_1494
; %bb.1493:
	s_waitcnt vmcnt(0)
	v_cvt_f16_i16_e32 v0, v5
	global_store_short v[1:2], v0, off
.LBB238_1494:
	s_mov_b64 s[6:7], 0
.LBB238_1495:
	s_andn2_b64 vcc, exec, s[6:7]
	s_cbranch_vccnz .LBB238_1511
; %bb.1496:
	s_sext_i32_i16 s18, s30
	s_cmp_lt_i32 s18, 2
	s_mov_b64 s[6:7], -1
	s_cbranch_scc1 .LBB238_1506
; %bb.1497:
	s_cmp_lt_i32 s18, 3
	s_cbranch_scc1 .LBB238_1503
; %bb.1498:
	s_cmp_gt_i32 s18, 3
	s_waitcnt vmcnt(0)
	v_bfe_i32 v3, v5, 0, 16
	s_cbranch_scc0 .LBB238_1500
; %bb.1499:
	v_ashrrev_i32_e32 v4, 31, v3
	s_mov_b64 s[6:7], 0
	global_store_dwordx2 v[1:2], v[3:4], off
.LBB238_1500:
	s_andn2_b64 vcc, exec, s[6:7]
	s_cbranch_vccnz .LBB238_1502
; %bb.1501:
	global_store_dword v[1:2], v3, off
.LBB238_1502:
	s_mov_b64 s[6:7], 0
.LBB238_1503:
	s_andn2_b64 vcc, exec, s[6:7]
	s_cbranch_vccnz .LBB238_1505
; %bb.1504:
	s_waitcnt vmcnt(0)
	global_store_short v[1:2], v5, off
.LBB238_1505:
	s_mov_b64 s[6:7], 0
.LBB238_1506:
	s_andn2_b64 vcc, exec, s[6:7]
	s_cbranch_vccnz .LBB238_1511
; %bb.1507:
	s_sext_i32_i16 s6, s30
	s_cmp_gt_i32 s6, 0
	s_mov_b64 s[6:7], -1
	s_cbranch_scc0 .LBB238_1509
; %bb.1508:
	s_mov_b64 s[6:7], 0
	s_waitcnt vmcnt(0)
	global_store_byte v[1:2], v5, off
.LBB238_1509:
	s_andn2_b64 vcc, exec, s[6:7]
	s_cbranch_vccnz .LBB238_1511
; %bb.1510:
	s_waitcnt vmcnt(0)
	global_store_byte v[1:2], v5, off
.LBB238_1511:
	s_or_b64 exec, exec, s[0:1]
	s_and_b64 s[6:7], s[22:23], exec
                                        ; implicit-def: $vgpr14
.LBB238_1512:
	s_or_saveexec_b64 s[4:5], s[4:5]
	s_mov_b64 s[0:1], 0
                                        ; implicit-def: $sgpr20
                                        ; implicit-def: $vgpr0_vgpr1
                                        ; implicit-def: $vgpr4
	s_xor_b64 exec, exec, s[4:5]
	s_cbranch_execz .LBB238_2949
; %bb.1513:
	v_mul_lo_u32 v5, s13, v14
	s_waitcnt vmcnt(0)
	v_mov_b32_e32 v0, s11
	s_and_b32 s24, s54, 0xff
	s_cmp_lt_i32 s24, 11
	v_ashrrev_i32_e32 v1, 31, v5
	v_add_co_u32_e32 v2, vcc, s10, v5
	v_addc_co_u32_e32 v3, vcc, v0, v1, vcc
	s_cbranch_scc1 .LBB238_1520
; %bb.1514:
	s_and_b32 s22, 0xffff, s24
	s_cmp_gt_i32 s22, 25
	s_cbranch_scc0 .LBB238_1522
; %bb.1515:
	s_cmp_gt_i32 s22, 28
	s_cbranch_scc0 .LBB238_1523
; %bb.1516:
	;; [unrolled: 3-line block ×4, first 2 shown]
	s_cmp_eq_u32 s22, 46
	s_mov_b64 s[18:19], 0
	s_cbranch_scc0 .LBB238_1528
; %bb.1519:
	global_load_dword v0, v[2:3], off
	s_mov_b64 s[20:21], -1
	s_waitcnt vmcnt(0)
	v_lshlrev_b32_e32 v0, 16, v0
	v_cvt_i32_f32_e32 v0, v0
	s_branch .LBB238_1529
.LBB238_1520:
	s_mov_b64 s[20:21], 0
                                        ; implicit-def: $vgpr0
	s_mov_b64 s[18:19], s[6:7]
	s_cbranch_execnz .LBB238_1587
.LBB238_1521:
	s_andn2_b64 vcc, exec, s[20:21]
	s_cbranch_vccz .LBB238_1632
	s_branch .LBB238_2947
.LBB238_1522:
	s_mov_b64 s[20:21], 0
                                        ; implicit-def: $vgpr0
	s_cbranch_execnz .LBB238_1554
	s_branch .LBB238_1583
.LBB238_1523:
	s_mov_b64 s[20:21], 0
                                        ; implicit-def: $vgpr0
	s_cbranch_execz .LBB238_1553
	s_branch .LBB238_1538
.LBB238_1524:
	s_mov_b64 s[20:21], 0
                                        ; implicit-def: $vgpr0
	s_cbranch_execnz .LBB238_1534
	s_branch .LBB238_1537
.LBB238_1525:
	s_mov_b64 s[18:19], -1
	s_mov_b64 s[20:21], 0
                                        ; implicit-def: $vgpr0
	s_branch .LBB238_1529
.LBB238_1526:
	s_andn2_saveexec_b64 s[26:27], s[26:27]
	s_cbranch_execz .LBB238_1425
.LBB238_1527:
	s_mov_b32 s28, 0x46000000
	v_add_f32_e64 v3, |v0|, s28
	v_and_b32_e32 v3, 0xff, v3
	v_cmp_ne_u32_e32 vcc, 0, v3
	s_andn2_b64 s[24:25], s[24:25], exec
	s_and_b64 s[28:29], vcc, exec
	s_or_b64 s[24:25], s[24:25], s[28:29]
	s_or_b64 exec, exec, s[26:27]
	v_mov_b32_e32 v4, 0
	s_and_saveexec_b64 s[26:27], s[24:25]
	s_cbranch_execnz .LBB238_1426
	s_branch .LBB238_1427
.LBB238_1528:
	s_mov_b64 s[0:1], -1
                                        ; implicit-def: $vgpr0
	s_mov_b64 s[20:21], 0
.LBB238_1529:
	s_and_b64 vcc, exec, s[18:19]
	s_cbranch_vccz .LBB238_1532
; %bb.1530:
	s_cmp_eq_u32 s22, 44
	s_cbranch_scc0 .LBB238_1533
; %bb.1531:
	global_load_ubyte v0, v[2:3], off
	s_mov_b64 s[0:1], 0
	s_mov_b64 s[20:21], -1
	s_waitcnt vmcnt(0)
	v_lshlrev_b32_e32 v1, 23, v0
	v_cvt_i32_f32_e32 v1, v1
	v_cmp_ne_u32_e32 vcc, 0, v0
	v_cndmask_b32_e32 v0, 0, v1, vcc
.LBB238_1532:
	s_branch .LBB238_1537
.LBB238_1533:
	s_mov_b64 s[0:1], -1
                                        ; implicit-def: $vgpr0
	s_branch .LBB238_1537
.LBB238_1534:
	s_cmp_eq_u32 s22, 29
	s_cbranch_scc0 .LBB238_1536
; %bb.1535:
	global_load_dwordx2 v[0:1], v[2:3], off
	s_mov_b64 s[0:1], 0
	s_mov_b64 s[20:21], -1
	s_branch .LBB238_1537
.LBB238_1536:
	s_mov_b64 s[0:1], -1
                                        ; implicit-def: $vgpr0
.LBB238_1537:
	s_branch .LBB238_1553
.LBB238_1538:
	s_cmp_lt_i32 s22, 27
	s_cbranch_scc1 .LBB238_1541
; %bb.1539:
	s_cmp_gt_i32 s22, 27
	s_cbranch_scc0 .LBB238_1542
; %bb.1540:
	global_load_dword v0, v[2:3], off
	s_mov_b64 s[18:19], 0
	s_branch .LBB238_1543
.LBB238_1541:
	s_mov_b64 s[18:19], -1
                                        ; implicit-def: $vgpr0
	s_branch .LBB238_1546
.LBB238_1542:
	s_mov_b64 s[18:19], -1
                                        ; implicit-def: $vgpr0
.LBB238_1543:
	s_andn2_b64 vcc, exec, s[18:19]
	s_cbranch_vccnz .LBB238_1545
; %bb.1544:
	global_load_ushort v0, v[2:3], off
.LBB238_1545:
	s_mov_b64 s[18:19], 0
.LBB238_1546:
	s_andn2_b64 vcc, exec, s[18:19]
	s_cbranch_vccnz .LBB238_1552
; %bb.1547:
	global_load_ubyte v1, v[2:3], off
	s_movk_i32 s18, 0x7f
	s_mov_b64 s[20:21], 0
	s_waitcnt vmcnt(0)
	v_cmp_lt_i16_e32 vcc, s18, v1
	s_and_saveexec_b64 s[18:19], vcc
	s_xor_b64 s[18:19], exec, s[18:19]
	s_cbranch_execz .LBB238_1563
; %bb.1548:
	s_movk_i32 s20, 0x80
	v_cmp_ne_u16_e32 vcc, s20, v1
	s_and_b64 s[20:21], vcc, exec
	s_andn2_saveexec_b64 s[18:19], s[18:19]
	s_cbranch_execnz .LBB238_1564
.LBB238_1549:
	s_or_b64 exec, exec, s[18:19]
	v_mov_b32_e32 v0, 0
	s_and_saveexec_b64 s[18:19], s[20:21]
	s_cbranch_execz .LBB238_1551
.LBB238_1550:
	v_lshlrev_b32_e32 v0, 24, v1
	v_and_b32_e32 v1, 0xffff, v1
	v_and_b32_e32 v4, 7, v1
	v_ffbh_u32_e32 v7, v4
	v_min_u32_e32 v7, 32, v7
	v_subrev_u32_e32 v8, 28, v7
	v_bfe_u32 v6, v1, 3, 4
	v_lshlrev_b32_e32 v1, v8, v1
	v_sub_u32_e32 v7, 29, v7
	v_and_b32_e32 v1, 7, v1
	v_cmp_eq_u32_e32 vcc, 0, v6
	v_cndmask_b32_e32 v6, v6, v7, vcc
	v_cndmask_b32_e32 v1, v4, v1, vcc
	v_mov_b32_e32 v4, 0x3b800000
	v_lshlrev_b32_e32 v1, 20, v1
	v_and_b32_e32 v0, 0x80000000, v0
	v_lshl_add_u32 v4, v6, 23, v4
	v_or3_b32 v0, v0, v4, v1
	v_cvt_i32_f32_e32 v0, v0
.LBB238_1551:
	s_or_b64 exec, exec, s[18:19]
.LBB238_1552:
	s_mov_b64 s[20:21], -1
.LBB238_1553:
	s_branch .LBB238_1583
.LBB238_1554:
	s_cmp_gt_i32 s22, 22
	s_cbranch_scc0 .LBB238_1562
; %bb.1555:
	s_cmp_lt_i32 s22, 24
	s_cbranch_scc1 .LBB238_1565
; %bb.1556:
	s_cmp_gt_i32 s22, 24
	s_cbranch_scc0 .LBB238_1566
; %bb.1557:
	global_load_ubyte v1, v[2:3], off
	s_movk_i32 s16, 0x7f
	s_mov_b64 s[18:19], 0
	s_waitcnt vmcnt(0)
	v_cmp_lt_i16_e32 vcc, s16, v1
	s_and_saveexec_b64 s[16:17], vcc
	s_xor_b64 s[16:17], exec, s[16:17]
	s_cbranch_execz .LBB238_1577
; %bb.1558:
	s_movk_i32 s18, 0x80
	v_cmp_ne_u16_e32 vcc, s18, v1
	s_and_b64 s[18:19], vcc, exec
	s_andn2_saveexec_b64 s[16:17], s[16:17]
	s_cbranch_execnz .LBB238_1578
.LBB238_1559:
	s_or_b64 exec, exec, s[16:17]
	v_mov_b32_e32 v0, 0
	s_and_saveexec_b64 s[16:17], s[18:19]
	s_cbranch_execz .LBB238_1561
.LBB238_1560:
	v_lshlrev_b32_e32 v0, 24, v1
	v_and_b32_e32 v1, 0xffff, v1
	v_and_b32_e32 v4, 3, v1
	v_ffbh_u32_e32 v7, v4
	v_min_u32_e32 v7, 32, v7
	v_subrev_u32_e32 v8, 29, v7
	v_bfe_u32 v6, v1, 2, 5
	v_lshlrev_b32_e32 v1, v8, v1
	v_sub_u32_e32 v7, 30, v7
	v_and_b32_e32 v1, 3, v1
	v_cmp_eq_u32_e32 vcc, 0, v6
	v_cndmask_b32_e32 v6, v6, v7, vcc
	v_cndmask_b32_e32 v1, v4, v1, vcc
	v_mov_b32_e32 v4, 0x37800000
	v_lshlrev_b32_e32 v1, 21, v1
	v_and_b32_e32 v0, 0x80000000, v0
	v_lshl_add_u32 v4, v6, 23, v4
	v_or3_b32 v0, v0, v4, v1
	v_cvt_i32_f32_e32 v0, v0
.LBB238_1561:
	s_or_b64 exec, exec, s[16:17]
	s_mov_b64 s[16:17], 0
	s_branch .LBB238_1567
.LBB238_1562:
                                        ; implicit-def: $vgpr0
	s_mov_b64 s[16:17], 0
	s_branch .LBB238_1573
.LBB238_1563:
	s_andn2_saveexec_b64 s[18:19], s[18:19]
	s_cbranch_execz .LBB238_1549
.LBB238_1564:
	v_cmp_ne_u16_e32 vcc, 0, v1
	s_andn2_b64 s[20:21], s[20:21], exec
	s_and_b64 s[26:27], vcc, exec
	s_or_b64 s[20:21], s[20:21], s[26:27]
	s_or_b64 exec, exec, s[18:19]
	v_mov_b32_e32 v0, 0
	s_and_saveexec_b64 s[18:19], s[20:21]
	s_cbranch_execnz .LBB238_1550
	s_branch .LBB238_1551
.LBB238_1565:
	s_mov_b64 s[16:17], -1
                                        ; implicit-def: $vgpr0
	s_branch .LBB238_1570
.LBB238_1566:
	s_mov_b64 s[16:17], -1
                                        ; implicit-def: $vgpr0
.LBB238_1567:
	s_and_b64 vcc, exec, s[16:17]
	s_cbranch_vccz .LBB238_1569
; %bb.1568:
	global_load_ubyte v0, v[2:3], off
	s_mov_b32 s16, 0x7f800000
	s_waitcnt vmcnt(0)
	v_lshlrev_b32_e32 v0, 24, v0
	v_and_b32_e32 v1, 0x7f000000, v0
	v_ffbh_u32_e32 v4, v1
	v_min_u32_e32 v4, 32, v4
	v_sub_u32_e64 v4, v4, 4 clamp
	v_lshlrev_b32_e32 v7, v4, v1
	v_lshlrev_b32_e32 v4, 23, v4
	v_lshrrev_b32_e32 v7, 4, v7
	v_add_u32_e32 v6, 0x1000000, v1
	v_sub_u32_e32 v4, v7, v4
	v_ashrrev_i32_e32 v6, 8, v6
	v_add_u32_e32 v4, 0x3c000000, v4
	v_and_or_b32 v4, v6, s16, v4
	v_cmp_ne_u32_e32 vcc, 0, v1
	v_cndmask_b32_e32 v1, 0, v4, vcc
	s_brev_b32 s16, 1
	v_and_or_b32 v0, v0, s16, v1
	v_cvt_i32_f32_e32 v0, v0
.LBB238_1569:
	s_mov_b64 s[16:17], 0
.LBB238_1570:
	s_andn2_b64 vcc, exec, s[16:17]
	s_cbranch_vccnz .LBB238_1572
; %bb.1571:
	global_load_ubyte v0, v[2:3], off
	s_movk_i32 s16, 0x7f00
	s_brev_b32 s17, 16
	s_waitcnt vmcnt(0)
	v_lshlrev_b16_e32 v1, 8, v0
	v_lshlrev_b32_e32 v0, 25, v0
	v_lshrrev_b32_e32 v4, 4, v0
	v_and_or_b32 v6, v1, s16, 0.5
	v_or_b32_e32 v4, 0x70000000, v4
	v_add_f32_e32 v6, -0.5, v6
	v_mul_f32_e32 v4, 0x7800000, v4
	v_cmp_gt_u32_e32 vcc, s17, v0
	v_bfe_i32 v1, v1, 0, 16
	v_cndmask_b32_e32 v0, v4, v6, vcc
	s_brev_b32 s16, 1
	v_and_or_b32 v0, v1, s16, v0
	v_cvt_i32_f32_e32 v0, v0
.LBB238_1572:
	s_mov_b64 s[20:21], -1
	s_mov_b64 s[16:17], 0
	s_cbranch_execnz .LBB238_1583
.LBB238_1573:
	s_cmp_gt_i32 s22, 14
	s_cbranch_scc0 .LBB238_1576
; %bb.1574:
	s_cmp_eq_u32 s22, 15
	s_cbranch_scc0 .LBB238_1579
; %bb.1575:
	global_load_ushort v0, v[2:3], off
	s_mov_b64 s[0:1], 0
	s_mov_b64 s[20:21], -1
	s_waitcnt vmcnt(0)
	v_lshlrev_b32_e32 v0, 16, v0
	v_cvt_i32_f32_e32 v0, v0
	s_branch .LBB238_1580
.LBB238_1576:
	s_mov_b64 s[18:19], -1
                                        ; implicit-def: $vgpr0
	s_branch .LBB238_1581
.LBB238_1577:
	s_andn2_saveexec_b64 s[16:17], s[16:17]
	s_cbranch_execz .LBB238_1559
.LBB238_1578:
	v_cmp_ne_u16_e32 vcc, 0, v1
	s_andn2_b64 s[18:19], s[18:19], exec
	s_and_b64 s[20:21], vcc, exec
	s_or_b64 s[18:19], s[18:19], s[20:21]
	s_or_b64 exec, exec, s[16:17]
	v_mov_b32_e32 v0, 0
	s_and_saveexec_b64 s[16:17], s[18:19]
	s_cbranch_execnz .LBB238_1560
	s_branch .LBB238_1561
.LBB238_1579:
	s_mov_b64 s[0:1], -1
                                        ; implicit-def: $vgpr0
.LBB238_1580:
	s_mov_b64 s[18:19], 0
.LBB238_1581:
	s_and_b64 vcc, exec, s[18:19]
	s_cbranch_vccz .LBB238_1583
; %bb.1582:
	s_cmp_lg_u32 s22, 11
	s_mov_b64 s[16:17], -1
	s_cselect_b64 s[0:1], -1, 0
.LBB238_1583:
	s_and_b64 vcc, exec, s[0:1]
	s_mov_b64 s[18:19], s[6:7]
	s_cbranch_vccnz .LBB238_1644
; %bb.1584:
	s_andn2_b64 vcc, exec, s[16:17]
	s_cbranch_vccnz .LBB238_1586
.LBB238_1585:
	global_load_ubyte v0, v[2:3], off
	s_mov_b64 s[20:21], -1
	s_waitcnt vmcnt(0)
	v_cmp_ne_u16_e32 vcc, 0, v0
	v_cndmask_b32_e64 v0, 0, 1, vcc
.LBB238_1586:
	s_branch .LBB238_1521
.LBB238_1587:
	s_and_b32 s16, 0xffff, s24
	s_cmp_lt_i32 s16, 5
	s_cbranch_scc1 .LBB238_1592
; %bb.1588:
	s_cmp_lt_i32 s16, 8
	s_cbranch_scc1 .LBB238_1593
; %bb.1589:
	;; [unrolled: 3-line block ×3, first 2 shown]
	s_cmp_gt_i32 s16, 9
	s_cbranch_scc0 .LBB238_1595
; %bb.1591:
	global_load_dwordx2 v[0:1], v[2:3], off
	s_mov_b64 s[0:1], 0
	s_waitcnt vmcnt(0)
	v_cvt_i32_f64_e32 v0, v[0:1]
	s_branch .LBB238_1596
.LBB238_1592:
                                        ; implicit-def: $vgpr0
	s_branch .LBB238_1613
.LBB238_1593:
                                        ; implicit-def: $vgpr0
	s_branch .LBB238_1602
.LBB238_1594:
	s_mov_b64 s[0:1], -1
                                        ; implicit-def: $vgpr0
	s_branch .LBB238_1599
.LBB238_1595:
	s_mov_b64 s[0:1], -1
                                        ; implicit-def: $vgpr0
.LBB238_1596:
	s_andn2_b64 vcc, exec, s[0:1]
	s_cbranch_vccnz .LBB238_1598
; %bb.1597:
	global_load_dword v0, v[2:3], off
	s_waitcnt vmcnt(0)
	v_cvt_i32_f32_e32 v0, v0
.LBB238_1598:
	s_mov_b64 s[0:1], 0
.LBB238_1599:
	s_andn2_b64 vcc, exec, s[0:1]
	s_cbranch_vccnz .LBB238_1601
; %bb.1600:
	global_load_dword v0, v[2:3], off
	s_waitcnt vmcnt(0)
	v_cvt_i16_f16_e32 v0, v0
.LBB238_1601:
	s_cbranch_execnz .LBB238_1612
.LBB238_1602:
	s_cmp_lt_i32 s16, 6
	s_cbranch_scc1 .LBB238_1605
; %bb.1603:
	s_cmp_gt_i32 s16, 6
	s_cbranch_scc0 .LBB238_1606
; %bb.1604:
	global_load_dwordx2 v[0:1], v[2:3], off
	s_mov_b64 s[0:1], 0
	s_waitcnt vmcnt(0)
	v_cvt_i32_f64_e32 v0, v[0:1]
	s_branch .LBB238_1607
.LBB238_1605:
	s_mov_b64 s[0:1], -1
                                        ; implicit-def: $vgpr0
	s_branch .LBB238_1610
.LBB238_1606:
	s_mov_b64 s[0:1], -1
                                        ; implicit-def: $vgpr0
.LBB238_1607:
	s_andn2_b64 vcc, exec, s[0:1]
	s_cbranch_vccnz .LBB238_1609
; %bb.1608:
	global_load_dword v0, v[2:3], off
	s_waitcnt vmcnt(0)
	v_cvt_i32_f32_e32 v0, v0
.LBB238_1609:
	s_mov_b64 s[0:1], 0
.LBB238_1610:
	s_andn2_b64 vcc, exec, s[0:1]
	s_cbranch_vccnz .LBB238_1612
; %bb.1611:
	global_load_ushort v0, v[2:3], off
	s_waitcnt vmcnt(0)
	v_cvt_i16_f16_e32 v0, v0
.LBB238_1612:
	s_cbranch_execnz .LBB238_1631
.LBB238_1613:
	s_cmp_lt_i32 s16, 2
	s_cbranch_scc1 .LBB238_1617
; %bb.1614:
	s_cmp_lt_i32 s16, 3
	s_cbranch_scc1 .LBB238_1618
; %bb.1615:
	s_cmp_gt_i32 s16, 3
	s_cbranch_scc0 .LBB238_1619
; %bb.1616:
	global_load_dwordx2 v[0:1], v[2:3], off
	s_mov_b64 s[0:1], 0
	s_branch .LBB238_1620
.LBB238_1617:
                                        ; implicit-def: $vgpr0
	s_branch .LBB238_1626
.LBB238_1618:
	s_mov_b64 s[0:1], -1
                                        ; implicit-def: $vgpr0
	s_branch .LBB238_1623
.LBB238_1619:
	s_mov_b64 s[0:1], -1
                                        ; implicit-def: $vgpr0
.LBB238_1620:
	s_andn2_b64 vcc, exec, s[0:1]
	s_cbranch_vccnz .LBB238_1622
; %bb.1621:
	global_load_dword v0, v[2:3], off
.LBB238_1622:
	s_mov_b64 s[0:1], 0
.LBB238_1623:
	s_andn2_b64 vcc, exec, s[0:1]
	s_cbranch_vccnz .LBB238_1625
; %bb.1624:
	global_load_ushort v0, v[2:3], off
.LBB238_1625:
	s_cbranch_execnz .LBB238_1631
.LBB238_1626:
	s_cmp_gt_i32 s16, 0
	s_cbranch_scc0 .LBB238_1628
; %bb.1627:
	global_load_sbyte v0, v[2:3], off
	s_mov_b64 s[0:1], 0
	s_branch .LBB238_1629
.LBB238_1628:
	s_mov_b64 s[0:1], -1
                                        ; implicit-def: $vgpr0
.LBB238_1629:
	s_andn2_b64 vcc, exec, s[0:1]
	s_cbranch_vccnz .LBB238_1631
; %bb.1630:
	global_load_ubyte v0, v[2:3], off
.LBB238_1631:
.LBB238_1632:
	v_mul_lo_u32 v6, s14, v14
	v_mov_b32_e32 v2, s3
	s_and_b32 s25, s15, 0xff
	s_cmp_lt_i32 s25, 11
	v_ashrrev_i32_e32 v3, 31, v6
	s_waitcnt vmcnt(0)
	v_add_co_u32_e32 v1, vcc, s2, v6
	v_addc_co_u32_e32 v2, vcc, v2, v3, vcc
	s_cbranch_scc1 .LBB238_1639
; %bb.1633:
	s_and_b32 s15, 0xffff, s25
	s_cmp_gt_i32 s15, 25
	s_mov_b64 s[16:17], 0
	s_cbranch_scc0 .LBB238_1641
; %bb.1634:
	s_cmp_gt_i32 s15, 28
	s_cbranch_scc0 .LBB238_1642
; %bb.1635:
	s_cmp_gt_i32 s15, 43
	;; [unrolled: 3-line block ×3, first 2 shown]
	s_cbranch_scc0 .LBB238_1645
; %bb.1637:
	s_cmp_eq_u32 s15, 46
	s_mov_b64 s[22:23], 0
	s_cbranch_scc0 .LBB238_1648
; %bb.1638:
	global_load_dword v3, v[1:2], off
	s_mov_b64 s[0:1], 0
	s_mov_b64 s[20:21], -1
	s_waitcnt vmcnt(0)
	v_lshlrev_b32_e32 v3, 16, v3
	v_cvt_i32_f32_e32 v3, v3
	s_branch .LBB238_1649
.LBB238_1639:
	s_mov_b64 s[20:21], 0
                                        ; implicit-def: $vgpr3
	s_cbranch_execnz .LBB238_1710
.LBB238_1640:
	s_andn2_b64 vcc, exec, s[20:21]
	s_cbranch_vccnz .LBB238_2947
	s_branch .LBB238_1757
.LBB238_1641:
	s_mov_b64 s[20:21], 0
	s_mov_b64 s[0:1], 0
                                        ; implicit-def: $vgpr3
	s_cbranch_execnz .LBB238_1676
	s_branch .LBB238_1706
.LBB238_1642:
	s_mov_b64 s[22:23], -1
	s_mov_b64 s[20:21], 0
	s_mov_b64 s[0:1], 0
                                        ; implicit-def: $vgpr3
	s_branch .LBB238_1659
.LBB238_1643:
	s_mov_b64 s[22:23], -1
	s_mov_b64 s[20:21], 0
	s_mov_b64 s[0:1], 0
                                        ; implicit-def: $vgpr3
	s_branch .LBB238_1654
.LBB238_1644:
	s_or_b64 s[18:19], s[6:7], exec
	s_trap 2
	s_cbranch_execz .LBB238_1585
	s_branch .LBB238_1586
.LBB238_1645:
	s_mov_b64 s[22:23], -1
	s_mov_b64 s[20:21], 0
	s_mov_b64 s[0:1], 0
                                        ; implicit-def: $vgpr3
	s_branch .LBB238_1649
.LBB238_1646:
	s_andn2_saveexec_b64 s[28:29], s[28:29]
	s_cbranch_execz .LBB238_1437
.LBB238_1647:
	s_mov_b32 s34, 0x42800000
	v_add_f32_e64 v3, |v0|, s34
	v_and_b32_e32 v3, 0xff, v3
	v_cmp_ne_u32_e32 vcc, 0, v3
	s_andn2_b64 s[26:27], s[26:27], exec
	s_and_b64 s[34:35], vcc, exec
	s_or_b64 s[26:27], s[26:27], s[34:35]
	s_or_b64 exec, exec, s[28:29]
	v_mov_b32_e32 v4, 0
	s_and_saveexec_b64 s[28:29], s[26:27]
	s_cbranch_execnz .LBB238_1438
	s_branch .LBB238_1439
.LBB238_1648:
	s_mov_b64 s[0:1], -1
                                        ; implicit-def: $vgpr3
	s_mov_b64 s[20:21], 0
.LBB238_1649:
	s_and_b64 vcc, exec, s[22:23]
	s_cbranch_vccz .LBB238_1653
; %bb.1650:
	s_cmp_eq_u32 s15, 44
	s_cbranch_scc0 .LBB238_1652
; %bb.1651:
	global_load_ubyte v3, v[1:2], off
	s_mov_b64 s[0:1], 0
	s_mov_b64 s[20:21], -1
	s_waitcnt vmcnt(0)
	v_lshlrev_b32_e32 v4, 23, v3
	v_cvt_i32_f32_e32 v4, v4
	v_cmp_ne_u32_e32 vcc, 0, v3
	v_cndmask_b32_e32 v3, 0, v4, vcc
	s_branch .LBB238_1653
.LBB238_1652:
	s_mov_b64 s[0:1], -1
                                        ; implicit-def: $vgpr3
.LBB238_1653:
	s_mov_b64 s[22:23], 0
.LBB238_1654:
	s_and_b64 vcc, exec, s[22:23]
	s_cbranch_vccz .LBB238_1658
; %bb.1655:
	s_cmp_eq_u32 s15, 29
	s_cbranch_scc0 .LBB238_1657
; %bb.1656:
	global_load_dwordx2 v[3:4], v[1:2], off
	s_mov_b64 s[0:1], 0
	s_mov_b64 s[20:21], -1
	s_branch .LBB238_1658
.LBB238_1657:
	s_mov_b64 s[0:1], -1
                                        ; implicit-def: $vgpr3
.LBB238_1658:
	s_mov_b64 s[22:23], 0
.LBB238_1659:
	s_and_b64 vcc, exec, s[22:23]
	s_cbranch_vccz .LBB238_1675
; %bb.1660:
	s_cmp_lt_i32 s15, 27
	s_cbranch_scc1 .LBB238_1663
; %bb.1661:
	s_cmp_gt_i32 s15, 27
	s_cbranch_scc0 .LBB238_1664
; %bb.1662:
	global_load_dword v3, v[1:2], off
	s_mov_b64 s[20:21], 0
	s_branch .LBB238_1665
.LBB238_1663:
	s_mov_b64 s[20:21], -1
                                        ; implicit-def: $vgpr3
	s_branch .LBB238_1668
.LBB238_1664:
	s_mov_b64 s[20:21], -1
                                        ; implicit-def: $vgpr3
.LBB238_1665:
	s_andn2_b64 vcc, exec, s[20:21]
	s_cbranch_vccnz .LBB238_1667
; %bb.1666:
	global_load_ushort v3, v[1:2], off
.LBB238_1667:
	s_mov_b64 s[20:21], 0
.LBB238_1668:
	s_andn2_b64 vcc, exec, s[20:21]
	s_cbranch_vccnz .LBB238_1674
; %bb.1669:
	global_load_ubyte v4, v[1:2], off
	s_movk_i32 s20, 0x7f
	s_mov_b64 s[22:23], 0
	s_waitcnt vmcnt(0)
	v_cmp_lt_i16_e32 vcc, s20, v4
	s_and_saveexec_b64 s[20:21], vcc
	s_xor_b64 s[20:21], exec, s[20:21]
	s_cbranch_execz .LBB238_1685
; %bb.1670:
	s_movk_i32 s22, 0x80
	v_cmp_ne_u16_e32 vcc, s22, v4
	s_and_b64 s[22:23], vcc, exec
	s_andn2_saveexec_b64 s[20:21], s[20:21]
	s_cbranch_execnz .LBB238_1686
.LBB238_1671:
	s_or_b64 exec, exec, s[20:21]
	v_mov_b32_e32 v3, 0
	s_and_saveexec_b64 s[20:21], s[22:23]
	s_cbranch_execz .LBB238_1673
.LBB238_1672:
	v_lshlrev_b32_e32 v3, 24, v4
	v_and_b32_e32 v4, 0xffff, v4
	v_and_b32_e32 v7, 7, v4
	v_ffbh_u32_e32 v9, v7
	v_min_u32_e32 v9, 32, v9
	v_subrev_u32_e32 v10, 28, v9
	v_bfe_u32 v8, v4, 3, 4
	v_lshlrev_b32_e32 v4, v10, v4
	v_sub_u32_e32 v9, 29, v9
	v_and_b32_e32 v4, 7, v4
	v_cmp_eq_u32_e32 vcc, 0, v8
	v_cndmask_b32_e32 v8, v8, v9, vcc
	v_cndmask_b32_e32 v4, v7, v4, vcc
	v_mov_b32_e32 v7, 0x3b800000
	v_lshlrev_b32_e32 v4, 20, v4
	v_and_b32_e32 v3, 0x80000000, v3
	v_lshl_add_u32 v7, v8, 23, v7
	v_or3_b32 v3, v3, v7, v4
	v_cvt_i32_f32_e32 v3, v3
.LBB238_1673:
	s_or_b64 exec, exec, s[20:21]
.LBB238_1674:
	s_mov_b64 s[20:21], -1
.LBB238_1675:
	s_branch .LBB238_1706
.LBB238_1676:
	s_cmp_gt_i32 s15, 22
	s_cbranch_scc0 .LBB238_1684
; %bb.1677:
	s_cmp_lt_i32 s15, 24
	s_cbranch_scc1 .LBB238_1687
; %bb.1678:
	s_cmp_gt_i32 s15, 24
	s_cbranch_scc0 .LBB238_1688
; %bb.1679:
	global_load_ubyte v4, v[1:2], off
	s_movk_i32 s16, 0x7f
	s_mov_b64 s[20:21], 0
	s_waitcnt vmcnt(0)
	v_cmp_lt_i16_e32 vcc, s16, v4
	s_and_saveexec_b64 s[16:17], vcc
	s_xor_b64 s[16:17], exec, s[16:17]
	s_cbranch_execz .LBB238_1700
; %bb.1680:
	s_movk_i32 s20, 0x80
	v_cmp_ne_u16_e32 vcc, s20, v4
	s_and_b64 s[20:21], vcc, exec
	s_andn2_saveexec_b64 s[16:17], s[16:17]
	s_cbranch_execnz .LBB238_1701
.LBB238_1681:
	s_or_b64 exec, exec, s[16:17]
	v_mov_b32_e32 v3, 0
	s_and_saveexec_b64 s[16:17], s[20:21]
	s_cbranch_execz .LBB238_1683
.LBB238_1682:
	v_lshlrev_b32_e32 v3, 24, v4
	v_and_b32_e32 v4, 0xffff, v4
	v_and_b32_e32 v7, 3, v4
	v_ffbh_u32_e32 v9, v7
	v_min_u32_e32 v9, 32, v9
	v_subrev_u32_e32 v10, 29, v9
	v_bfe_u32 v8, v4, 2, 5
	v_lshlrev_b32_e32 v4, v10, v4
	v_sub_u32_e32 v9, 30, v9
	v_and_b32_e32 v4, 3, v4
	v_cmp_eq_u32_e32 vcc, 0, v8
	v_cndmask_b32_e32 v8, v8, v9, vcc
	v_cndmask_b32_e32 v4, v7, v4, vcc
	v_mov_b32_e32 v7, 0x37800000
	v_lshlrev_b32_e32 v4, 21, v4
	v_and_b32_e32 v3, 0x80000000, v3
	v_lshl_add_u32 v7, v8, 23, v7
	v_or3_b32 v3, v3, v7, v4
	v_cvt_i32_f32_e32 v3, v3
.LBB238_1683:
	s_or_b64 exec, exec, s[16:17]
	s_mov_b64 s[16:17], 0
	s_branch .LBB238_1689
.LBB238_1684:
	s_mov_b64 s[16:17], -1
                                        ; implicit-def: $vgpr3
	s_branch .LBB238_1695
.LBB238_1685:
	s_andn2_saveexec_b64 s[20:21], s[20:21]
	s_cbranch_execz .LBB238_1671
.LBB238_1686:
	v_cmp_ne_u16_e32 vcc, 0, v4
	s_andn2_b64 s[22:23], s[22:23], exec
	s_and_b64 s[26:27], vcc, exec
	s_or_b64 s[22:23], s[22:23], s[26:27]
	s_or_b64 exec, exec, s[20:21]
	v_mov_b32_e32 v3, 0
	s_and_saveexec_b64 s[20:21], s[22:23]
	s_cbranch_execnz .LBB238_1672
	s_branch .LBB238_1673
.LBB238_1687:
	s_mov_b64 s[16:17], -1
                                        ; implicit-def: $vgpr3
	s_branch .LBB238_1692
.LBB238_1688:
	s_mov_b64 s[16:17], -1
                                        ; implicit-def: $vgpr3
.LBB238_1689:
	s_and_b64 vcc, exec, s[16:17]
	s_cbranch_vccz .LBB238_1691
; %bb.1690:
	global_load_ubyte v3, v[1:2], off
	s_mov_b32 s16, 0x7f800000
	s_waitcnt vmcnt(0)
	v_lshlrev_b32_e32 v3, 24, v3
	v_and_b32_e32 v4, 0x7f000000, v3
	v_ffbh_u32_e32 v7, v4
	v_min_u32_e32 v7, 32, v7
	v_sub_u32_e64 v7, v7, 4 clamp
	v_lshlrev_b32_e32 v9, v7, v4
	v_lshlrev_b32_e32 v7, 23, v7
	v_lshrrev_b32_e32 v9, 4, v9
	v_add_u32_e32 v8, 0x1000000, v4
	v_sub_u32_e32 v7, v9, v7
	v_ashrrev_i32_e32 v8, 8, v8
	v_add_u32_e32 v7, 0x3c000000, v7
	v_and_or_b32 v7, v8, s16, v7
	v_cmp_ne_u32_e32 vcc, 0, v4
	v_cndmask_b32_e32 v4, 0, v7, vcc
	s_brev_b32 s16, 1
	v_and_or_b32 v3, v3, s16, v4
	v_cvt_i32_f32_e32 v3, v3
.LBB238_1691:
	s_mov_b64 s[16:17], 0
.LBB238_1692:
	s_andn2_b64 vcc, exec, s[16:17]
	s_cbranch_vccnz .LBB238_1694
; %bb.1693:
	global_load_ubyte v3, v[1:2], off
	s_movk_i32 s16, 0x7f00
	s_brev_b32 s17, 16
	s_waitcnt vmcnt(0)
	v_lshlrev_b16_e32 v4, 8, v3
	v_lshlrev_b32_e32 v3, 25, v3
	v_lshrrev_b32_e32 v7, 4, v3
	v_and_or_b32 v8, v4, s16, 0.5
	v_or_b32_e32 v7, 0x70000000, v7
	v_add_f32_e32 v8, -0.5, v8
	v_mul_f32_e32 v7, 0x7800000, v7
	v_cmp_gt_u32_e32 vcc, s17, v3
	v_bfe_i32 v4, v4, 0, 16
	v_cndmask_b32_e32 v3, v7, v8, vcc
	s_brev_b32 s16, 1
	v_and_or_b32 v3, v4, s16, v3
	v_cvt_i32_f32_e32 v3, v3
.LBB238_1694:
	s_mov_b64 s[16:17], 0
	s_mov_b64 s[20:21], -1
.LBB238_1695:
	s_andn2_b64 vcc, exec, s[16:17]
	s_mov_b64 s[16:17], 0
	s_cbranch_vccnz .LBB238_1706
; %bb.1696:
	s_cmp_gt_i32 s15, 14
	s_cbranch_scc0 .LBB238_1699
; %bb.1697:
	s_cmp_eq_u32 s15, 15
	s_cbranch_scc0 .LBB238_1702
; %bb.1698:
	global_load_ushort v3, v[1:2], off
	s_mov_b64 s[0:1], 0
	s_mov_b64 s[20:21], -1
	s_waitcnt vmcnt(0)
	v_lshlrev_b32_e32 v3, 16, v3
	v_cvt_i32_f32_e32 v3, v3
	s_branch .LBB238_1703
.LBB238_1699:
	s_mov_b64 s[22:23], -1
                                        ; implicit-def: $vgpr3
	s_branch .LBB238_1704
.LBB238_1700:
	s_andn2_saveexec_b64 s[16:17], s[16:17]
	s_cbranch_execz .LBB238_1681
.LBB238_1701:
	v_cmp_ne_u16_e32 vcc, 0, v4
	s_andn2_b64 s[20:21], s[20:21], exec
	s_and_b64 s[22:23], vcc, exec
	s_or_b64 s[20:21], s[20:21], s[22:23]
	s_or_b64 exec, exec, s[16:17]
	v_mov_b32_e32 v3, 0
	s_and_saveexec_b64 s[16:17], s[20:21]
	s_cbranch_execnz .LBB238_1682
	s_branch .LBB238_1683
.LBB238_1702:
	s_mov_b64 s[0:1], -1
                                        ; implicit-def: $vgpr3
.LBB238_1703:
	s_mov_b64 s[22:23], 0
.LBB238_1704:
	s_and_b64 vcc, exec, s[22:23]
	s_cbranch_vccz .LBB238_1706
; %bb.1705:
	s_cmp_lg_u32 s15, 11
	s_mov_b64 s[16:17], -1
	s_cselect_b64 s[0:1], -1, 0
.LBB238_1706:
	s_and_b64 vcc, exec, s[0:1]
	s_cbranch_vccnz .LBB238_1769
; %bb.1707:
	s_andn2_b64 vcc, exec, s[16:17]
	s_cbranch_vccnz .LBB238_1709
.LBB238_1708:
	global_load_ubyte v3, v[1:2], off
	s_mov_b64 s[20:21], -1
	s_waitcnt vmcnt(0)
	v_cmp_ne_u16_e32 vcc, 0, v3
	v_cndmask_b32_e64 v3, 0, 1, vcc
.LBB238_1709:
	s_branch .LBB238_1640
.LBB238_1710:
	s_and_b32 s15, 0xffff, s25
	s_cmp_lt_i32 s15, 5
	s_cbranch_scc1 .LBB238_1715
; %bb.1711:
	s_cmp_lt_i32 s15, 8
	s_cbranch_scc1 .LBB238_1716
; %bb.1712:
	;; [unrolled: 3-line block ×3, first 2 shown]
	s_cmp_gt_i32 s15, 9
	s_cbranch_scc0 .LBB238_1718
; %bb.1714:
	global_load_dwordx2 v[3:4], v[1:2], off
	s_mov_b64 s[0:1], 0
	s_waitcnt vmcnt(0)
	v_cvt_i32_f64_e32 v3, v[3:4]
	s_branch .LBB238_1719
.LBB238_1715:
                                        ; implicit-def: $vgpr3
	s_branch .LBB238_1737
.LBB238_1716:
	s_mov_b64 s[0:1], -1
                                        ; implicit-def: $vgpr3
	s_branch .LBB238_1725
.LBB238_1717:
	s_mov_b64 s[0:1], -1
                                        ; implicit-def: $vgpr3
	s_branch .LBB238_1722
.LBB238_1718:
	s_mov_b64 s[0:1], -1
                                        ; implicit-def: $vgpr3
.LBB238_1719:
	s_andn2_b64 vcc, exec, s[0:1]
	s_cbranch_vccnz .LBB238_1721
; %bb.1720:
	global_load_dword v3, v[1:2], off
	s_waitcnt vmcnt(0)
	v_cvt_i32_f32_e32 v3, v3
.LBB238_1721:
	s_mov_b64 s[0:1], 0
.LBB238_1722:
	s_andn2_b64 vcc, exec, s[0:1]
	s_cbranch_vccnz .LBB238_1724
; %bb.1723:
	global_load_dword v3, v[1:2], off
	s_waitcnt vmcnt(0)
	v_cvt_i16_f16_e32 v3, v3
.LBB238_1724:
	s_mov_b64 s[0:1], 0
.LBB238_1725:
	s_andn2_b64 vcc, exec, s[0:1]
	s_cbranch_vccnz .LBB238_1736
; %bb.1726:
	s_cmp_lt_i32 s15, 6
	s_cbranch_scc1 .LBB238_1729
; %bb.1727:
	s_cmp_gt_i32 s15, 6
	s_cbranch_scc0 .LBB238_1730
; %bb.1728:
	global_load_dwordx2 v[3:4], v[1:2], off
	s_mov_b64 s[0:1], 0
	s_waitcnt vmcnt(0)
	v_cvt_i32_f64_e32 v3, v[3:4]
	s_branch .LBB238_1731
.LBB238_1729:
	s_mov_b64 s[0:1], -1
                                        ; implicit-def: $vgpr3
	s_branch .LBB238_1734
.LBB238_1730:
	s_mov_b64 s[0:1], -1
                                        ; implicit-def: $vgpr3
.LBB238_1731:
	s_andn2_b64 vcc, exec, s[0:1]
	s_cbranch_vccnz .LBB238_1733
; %bb.1732:
	global_load_dword v3, v[1:2], off
	s_waitcnt vmcnt(0)
	v_cvt_i32_f32_e32 v3, v3
.LBB238_1733:
	s_mov_b64 s[0:1], 0
.LBB238_1734:
	s_andn2_b64 vcc, exec, s[0:1]
	s_cbranch_vccnz .LBB238_1736
; %bb.1735:
	global_load_ushort v3, v[1:2], off
	s_waitcnt vmcnt(0)
	v_cvt_i16_f16_e32 v3, v3
.LBB238_1736:
	s_cbranch_execnz .LBB238_1756
.LBB238_1737:
	s_cmp_lt_i32 s15, 2
	s_cbranch_scc1 .LBB238_1741
; %bb.1738:
	s_cmp_lt_i32 s15, 3
	s_cbranch_scc1 .LBB238_1742
; %bb.1739:
	s_cmp_gt_i32 s15, 3
	s_cbranch_scc0 .LBB238_1743
; %bb.1740:
	global_load_dwordx2 v[3:4], v[1:2], off
	s_mov_b64 s[0:1], 0
	s_branch .LBB238_1744
.LBB238_1741:
	s_mov_b64 s[0:1], -1
                                        ; implicit-def: $vgpr3
	s_branch .LBB238_1750
.LBB238_1742:
	s_mov_b64 s[0:1], -1
                                        ; implicit-def: $vgpr3
	s_branch .LBB238_1747
.LBB238_1743:
	s_mov_b64 s[0:1], -1
                                        ; implicit-def: $vgpr3
.LBB238_1744:
	s_andn2_b64 vcc, exec, s[0:1]
	s_cbranch_vccnz .LBB238_1746
; %bb.1745:
	global_load_dword v3, v[1:2], off
.LBB238_1746:
	s_mov_b64 s[0:1], 0
.LBB238_1747:
	s_andn2_b64 vcc, exec, s[0:1]
	s_cbranch_vccnz .LBB238_1749
; %bb.1748:
	global_load_ushort v3, v[1:2], off
.LBB238_1749:
	s_mov_b64 s[0:1], 0
.LBB238_1750:
	s_andn2_b64 vcc, exec, s[0:1]
	s_cbranch_vccnz .LBB238_1756
; %bb.1751:
	s_cmp_gt_i32 s15, 0
	s_cbranch_scc0 .LBB238_1753
; %bb.1752:
	global_load_sbyte v3, v[1:2], off
	s_mov_b64 s[0:1], 0
	s_branch .LBB238_1754
.LBB238_1753:
	s_mov_b64 s[0:1], -1
                                        ; implicit-def: $vgpr3
.LBB238_1754:
	s_andn2_b64 vcc, exec, s[0:1]
	s_cbranch_vccnz .LBB238_1756
; %bb.1755:
	global_load_ubyte v3, v[1:2], off
.LBB238_1756:
.LBB238_1757:
	s_lshl_b32 s13, s13, 7
	v_add_u32_e32 v8, s13, v5
	v_ashrrev_i32_e32 v1, 31, v8
	v_mov_b32_e32 v2, s11
	s_waitcnt vmcnt(0)
	v_add_co_u32_e32 v4, vcc, s10, v8
	s_cmp_lt_i32 s24, 11
	v_addc_co_u32_e32 v5, vcc, v2, v1, vcc
	s_cbranch_scc1 .LBB238_1764
; %bb.1758:
	s_and_b32 s15, 0xffff, s24
	s_cmp_gt_i32 s15, 25
	s_mov_b64 s[16:17], 0
	s_cbranch_scc0 .LBB238_1766
; %bb.1759:
	s_cmp_gt_i32 s15, 28
	s_cbranch_scc0 .LBB238_1767
; %bb.1760:
	s_cmp_gt_i32 s15, 43
	;; [unrolled: 3-line block ×3, first 2 shown]
	s_cbranch_scc0 .LBB238_1770
; %bb.1762:
	s_cmp_eq_u32 s15, 46
	s_mov_b64 s[22:23], 0
	s_cbranch_scc0 .LBB238_1771
; %bb.1763:
	global_load_dword v1, v[4:5], off
	s_mov_b64 s[0:1], 0
	s_mov_b64 s[20:21], -1
	s_waitcnt vmcnt(0)
	v_lshlrev_b32_e32 v1, 16, v1
	v_cvt_i32_f32_e32 v1, v1
	s_branch .LBB238_1772
.LBB238_1764:
	s_mov_b64 s[20:21], 0
                                        ; implicit-def: $vgpr1
	s_cbranch_execnz .LBB238_1834
.LBB238_1765:
	s_andn2_b64 vcc, exec, s[20:21]
	s_cbranch_vccnz .LBB238_2947
	s_branch .LBB238_1882
.LBB238_1766:
	s_mov_b64 s[22:23], -1
	s_mov_b64 s[20:21], 0
	s_mov_b64 s[0:1], 0
                                        ; implicit-def: $vgpr1
	s_branch .LBB238_1799
.LBB238_1767:
	s_mov_b64 s[22:23], -1
	s_mov_b64 s[20:21], 0
	s_mov_b64 s[0:1], 0
                                        ; implicit-def: $vgpr1
	s_branch .LBB238_1782
.LBB238_1768:
	s_mov_b64 s[22:23], -1
	s_mov_b64 s[20:21], 0
	s_mov_b64 s[0:1], 0
                                        ; implicit-def: $vgpr1
	s_branch .LBB238_1777
.LBB238_1769:
	s_trap 2
	s_or_b64 s[18:19], s[18:19], exec
	s_cbranch_execz .LBB238_1708
	s_branch .LBB238_1709
.LBB238_1770:
	s_mov_b64 s[22:23], -1
	s_mov_b64 s[20:21], 0
	s_mov_b64 s[0:1], 0
                                        ; implicit-def: $vgpr1
	s_branch .LBB238_1772
.LBB238_1771:
	s_mov_b64 s[0:1], -1
                                        ; implicit-def: $vgpr1
	s_mov_b64 s[20:21], 0
.LBB238_1772:
	s_and_b64 vcc, exec, s[22:23]
	s_cbranch_vccz .LBB238_1776
; %bb.1773:
	s_cmp_eq_u32 s15, 44
	s_cbranch_scc0 .LBB238_1775
; %bb.1774:
	global_load_ubyte v1, v[4:5], off
	s_mov_b64 s[0:1], 0
	s_mov_b64 s[20:21], -1
	s_waitcnt vmcnt(0)
	v_lshlrev_b32_e32 v2, 23, v1
	v_cvt_i32_f32_e32 v2, v2
	v_cmp_ne_u32_e32 vcc, 0, v1
	v_cndmask_b32_e32 v1, 0, v2, vcc
	s_branch .LBB238_1776
.LBB238_1775:
	s_mov_b64 s[0:1], -1
                                        ; implicit-def: $vgpr1
.LBB238_1776:
	s_mov_b64 s[22:23], 0
.LBB238_1777:
	s_and_b64 vcc, exec, s[22:23]
	s_cbranch_vccz .LBB238_1781
; %bb.1778:
	s_cmp_eq_u32 s15, 29
	s_cbranch_scc0 .LBB238_1780
; %bb.1779:
	global_load_dwordx2 v[1:2], v[4:5], off
	s_mov_b64 s[0:1], 0
	s_mov_b64 s[20:21], -1
	s_branch .LBB238_1781
.LBB238_1780:
	s_mov_b64 s[0:1], -1
                                        ; implicit-def: $vgpr1
.LBB238_1781:
	s_mov_b64 s[22:23], 0
.LBB238_1782:
	s_and_b64 vcc, exec, s[22:23]
	s_cbranch_vccz .LBB238_1798
; %bb.1783:
	s_cmp_lt_i32 s15, 27
	s_cbranch_scc1 .LBB238_1786
; %bb.1784:
	s_cmp_gt_i32 s15, 27
	s_cbranch_scc0 .LBB238_1787
; %bb.1785:
	global_load_dword v1, v[4:5], off
	s_mov_b64 s[20:21], 0
	s_branch .LBB238_1788
.LBB238_1786:
	s_mov_b64 s[20:21], -1
                                        ; implicit-def: $vgpr1
	s_branch .LBB238_1791
.LBB238_1787:
	s_mov_b64 s[20:21], -1
                                        ; implicit-def: $vgpr1
.LBB238_1788:
	s_andn2_b64 vcc, exec, s[20:21]
	s_cbranch_vccnz .LBB238_1790
; %bb.1789:
	global_load_ushort v1, v[4:5], off
.LBB238_1790:
	s_mov_b64 s[20:21], 0
.LBB238_1791:
	s_andn2_b64 vcc, exec, s[20:21]
	s_cbranch_vccnz .LBB238_1797
; %bb.1792:
	global_load_ubyte v2, v[4:5], off
	s_movk_i32 s20, 0x7f
	s_mov_b64 s[22:23], 0
	s_waitcnt vmcnt(0)
	v_cmp_lt_i16_e32 vcc, s20, v2
	s_and_saveexec_b64 s[20:21], vcc
	s_xor_b64 s[20:21], exec, s[20:21]
	s_cbranch_execz .LBB238_1809
; %bb.1793:
	s_movk_i32 s22, 0x80
	v_cmp_ne_u16_e32 vcc, s22, v2
	s_and_b64 s[22:23], vcc, exec
	s_andn2_saveexec_b64 s[20:21], s[20:21]
	s_cbranch_execnz .LBB238_1810
.LBB238_1794:
	s_or_b64 exec, exec, s[20:21]
	v_mov_b32_e32 v1, 0
	s_and_saveexec_b64 s[20:21], s[22:23]
	s_cbranch_execz .LBB238_1796
.LBB238_1795:
	v_lshlrev_b32_e32 v1, 24, v2
	v_and_b32_e32 v2, 0xffff, v2
	v_and_b32_e32 v7, 7, v2
	v_ffbh_u32_e32 v10, v7
	v_min_u32_e32 v10, 32, v10
	v_subrev_u32_e32 v11, 28, v10
	v_bfe_u32 v9, v2, 3, 4
	v_lshlrev_b32_e32 v2, v11, v2
	v_sub_u32_e32 v10, 29, v10
	v_and_b32_e32 v2, 7, v2
	v_cmp_eq_u32_e32 vcc, 0, v9
	v_cndmask_b32_e32 v9, v9, v10, vcc
	v_cndmask_b32_e32 v2, v7, v2, vcc
	v_mov_b32_e32 v7, 0x3b800000
	v_lshlrev_b32_e32 v2, 20, v2
	v_and_b32_e32 v1, 0x80000000, v1
	v_lshl_add_u32 v7, v9, 23, v7
	v_or3_b32 v1, v1, v7, v2
	v_cvt_i32_f32_e32 v1, v1
.LBB238_1796:
	s_or_b64 exec, exec, s[20:21]
.LBB238_1797:
	s_mov_b64 s[20:21], -1
.LBB238_1798:
	s_mov_b64 s[22:23], 0
.LBB238_1799:
	s_and_b64 vcc, exec, s[22:23]
	s_cbranch_vccz .LBB238_1830
; %bb.1800:
	s_cmp_gt_i32 s15, 22
	s_cbranch_scc0 .LBB238_1808
; %bb.1801:
	s_cmp_lt_i32 s15, 24
	s_cbranch_scc1 .LBB238_1811
; %bb.1802:
	s_cmp_gt_i32 s15, 24
	s_cbranch_scc0 .LBB238_1812
; %bb.1803:
	global_load_ubyte v2, v[4:5], off
	s_movk_i32 s16, 0x7f
	s_mov_b64 s[20:21], 0
	s_waitcnt vmcnt(0)
	v_cmp_lt_i16_e32 vcc, s16, v2
	s_and_saveexec_b64 s[16:17], vcc
	s_xor_b64 s[16:17], exec, s[16:17]
	s_cbranch_execz .LBB238_1824
; %bb.1804:
	s_movk_i32 s20, 0x80
	v_cmp_ne_u16_e32 vcc, s20, v2
	s_and_b64 s[20:21], vcc, exec
	s_andn2_saveexec_b64 s[16:17], s[16:17]
	s_cbranch_execnz .LBB238_1825
.LBB238_1805:
	s_or_b64 exec, exec, s[16:17]
	v_mov_b32_e32 v1, 0
	s_and_saveexec_b64 s[16:17], s[20:21]
	s_cbranch_execz .LBB238_1807
.LBB238_1806:
	v_lshlrev_b32_e32 v1, 24, v2
	v_and_b32_e32 v2, 0xffff, v2
	v_and_b32_e32 v7, 3, v2
	v_ffbh_u32_e32 v10, v7
	v_min_u32_e32 v10, 32, v10
	v_subrev_u32_e32 v11, 29, v10
	v_bfe_u32 v9, v2, 2, 5
	v_lshlrev_b32_e32 v2, v11, v2
	v_sub_u32_e32 v10, 30, v10
	v_and_b32_e32 v2, 3, v2
	v_cmp_eq_u32_e32 vcc, 0, v9
	v_cndmask_b32_e32 v9, v9, v10, vcc
	v_cndmask_b32_e32 v2, v7, v2, vcc
	v_mov_b32_e32 v7, 0x37800000
	v_lshlrev_b32_e32 v2, 21, v2
	v_and_b32_e32 v1, 0x80000000, v1
	v_lshl_add_u32 v7, v9, 23, v7
	v_or3_b32 v1, v1, v7, v2
	v_cvt_i32_f32_e32 v1, v1
.LBB238_1807:
	s_or_b64 exec, exec, s[16:17]
	s_mov_b64 s[16:17], 0
	s_branch .LBB238_1813
.LBB238_1808:
	s_mov_b64 s[16:17], -1
                                        ; implicit-def: $vgpr1
	s_branch .LBB238_1819
.LBB238_1809:
	s_andn2_saveexec_b64 s[20:21], s[20:21]
	s_cbranch_execz .LBB238_1794
.LBB238_1810:
	v_cmp_ne_u16_e32 vcc, 0, v2
	s_andn2_b64 s[22:23], s[22:23], exec
	s_and_b64 s[26:27], vcc, exec
	s_or_b64 s[22:23], s[22:23], s[26:27]
	s_or_b64 exec, exec, s[20:21]
	v_mov_b32_e32 v1, 0
	s_and_saveexec_b64 s[20:21], s[22:23]
	s_cbranch_execnz .LBB238_1795
	s_branch .LBB238_1796
.LBB238_1811:
	s_mov_b64 s[16:17], -1
                                        ; implicit-def: $vgpr1
	s_branch .LBB238_1816
.LBB238_1812:
	s_mov_b64 s[16:17], -1
                                        ; implicit-def: $vgpr1
.LBB238_1813:
	s_and_b64 vcc, exec, s[16:17]
	s_cbranch_vccz .LBB238_1815
; %bb.1814:
	global_load_ubyte v1, v[4:5], off
	s_mov_b32 s16, 0x7f800000
	s_waitcnt vmcnt(0)
	v_lshlrev_b32_e32 v1, 24, v1
	v_and_b32_e32 v2, 0x7f000000, v1
	v_ffbh_u32_e32 v7, v2
	v_min_u32_e32 v7, 32, v7
	v_sub_u32_e64 v7, v7, 4 clamp
	v_lshlrev_b32_e32 v10, v7, v2
	v_lshlrev_b32_e32 v7, 23, v7
	v_lshrrev_b32_e32 v10, 4, v10
	v_add_u32_e32 v9, 0x1000000, v2
	v_sub_u32_e32 v7, v10, v7
	v_ashrrev_i32_e32 v9, 8, v9
	v_add_u32_e32 v7, 0x3c000000, v7
	v_and_or_b32 v7, v9, s16, v7
	v_cmp_ne_u32_e32 vcc, 0, v2
	v_cndmask_b32_e32 v2, 0, v7, vcc
	s_brev_b32 s16, 1
	v_and_or_b32 v1, v1, s16, v2
	v_cvt_i32_f32_e32 v1, v1
.LBB238_1815:
	s_mov_b64 s[16:17], 0
.LBB238_1816:
	s_andn2_b64 vcc, exec, s[16:17]
	s_cbranch_vccnz .LBB238_1818
; %bb.1817:
	global_load_ubyte v1, v[4:5], off
	s_movk_i32 s16, 0x7f00
	s_brev_b32 s17, 16
	s_waitcnt vmcnt(0)
	v_lshlrev_b16_e32 v2, 8, v1
	v_lshlrev_b32_e32 v1, 25, v1
	v_lshrrev_b32_e32 v7, 4, v1
	v_and_or_b32 v9, v2, s16, 0.5
	v_or_b32_e32 v7, 0x70000000, v7
	v_add_f32_e32 v9, -0.5, v9
	v_mul_f32_e32 v7, 0x7800000, v7
	v_cmp_gt_u32_e32 vcc, s17, v1
	v_bfe_i32 v2, v2, 0, 16
	v_cndmask_b32_e32 v1, v7, v9, vcc
	s_brev_b32 s16, 1
	v_and_or_b32 v1, v2, s16, v1
	v_cvt_i32_f32_e32 v1, v1
.LBB238_1818:
	s_mov_b64 s[16:17], 0
	s_mov_b64 s[20:21], -1
.LBB238_1819:
	s_andn2_b64 vcc, exec, s[16:17]
	s_mov_b64 s[16:17], 0
	s_cbranch_vccnz .LBB238_1830
; %bb.1820:
	s_cmp_gt_i32 s15, 14
	s_cbranch_scc0 .LBB238_1823
; %bb.1821:
	s_cmp_eq_u32 s15, 15
	s_cbranch_scc0 .LBB238_1826
; %bb.1822:
	global_load_ushort v1, v[4:5], off
	s_mov_b64 s[0:1], 0
	s_mov_b64 s[20:21], -1
	s_waitcnt vmcnt(0)
	v_lshlrev_b32_e32 v1, 16, v1
	v_cvt_i32_f32_e32 v1, v1
	s_branch .LBB238_1827
.LBB238_1823:
	s_mov_b64 s[22:23], -1
                                        ; implicit-def: $vgpr1
	s_branch .LBB238_1828
.LBB238_1824:
	s_andn2_saveexec_b64 s[16:17], s[16:17]
	s_cbranch_execz .LBB238_1805
.LBB238_1825:
	v_cmp_ne_u16_e32 vcc, 0, v2
	s_andn2_b64 s[20:21], s[20:21], exec
	s_and_b64 s[22:23], vcc, exec
	s_or_b64 s[20:21], s[20:21], s[22:23]
	s_or_b64 exec, exec, s[16:17]
	v_mov_b32_e32 v1, 0
	s_and_saveexec_b64 s[16:17], s[20:21]
	s_cbranch_execnz .LBB238_1806
	s_branch .LBB238_1807
.LBB238_1826:
	s_mov_b64 s[0:1], -1
                                        ; implicit-def: $vgpr1
.LBB238_1827:
	s_mov_b64 s[22:23], 0
.LBB238_1828:
	s_and_b64 vcc, exec, s[22:23]
	s_cbranch_vccz .LBB238_1830
; %bb.1829:
	s_cmp_lg_u32 s15, 11
	s_mov_b64 s[16:17], -1
	s_cselect_b64 s[0:1], -1, 0
.LBB238_1830:
	s_and_b64 vcc, exec, s[0:1]
	s_cbranch_vccnz .LBB238_1893
; %bb.1831:
	s_andn2_b64 vcc, exec, s[16:17]
	s_cbranch_vccnz .LBB238_1833
.LBB238_1832:
	global_load_ubyte v1, v[4:5], off
	s_mov_b64 s[20:21], -1
	s_waitcnt vmcnt(0)
	v_cmp_ne_u16_e32 vcc, 0, v1
	v_cndmask_b32_e64 v1, 0, 1, vcc
.LBB238_1833:
	s_branch .LBB238_1765
.LBB238_1834:
	s_and_b32 s15, 0xffff, s24
	s_cmp_lt_i32 s15, 5
	s_cbranch_scc1 .LBB238_1839
; %bb.1835:
	s_cmp_lt_i32 s15, 8
	s_cbranch_scc1 .LBB238_1840
; %bb.1836:
	;; [unrolled: 3-line block ×3, first 2 shown]
	s_cmp_gt_i32 s15, 9
	s_cbranch_scc0 .LBB238_1842
; %bb.1838:
	global_load_dwordx2 v[1:2], v[4:5], off
	s_mov_b64 s[0:1], 0
	s_waitcnt vmcnt(0)
	v_cvt_i32_f64_e32 v1, v[1:2]
	s_branch .LBB238_1843
.LBB238_1839:
	s_mov_b64 s[0:1], -1
                                        ; implicit-def: $vgpr1
	s_branch .LBB238_1861
.LBB238_1840:
	s_mov_b64 s[0:1], -1
                                        ; implicit-def: $vgpr1
	s_branch .LBB238_1849
.LBB238_1841:
	s_mov_b64 s[0:1], -1
                                        ; implicit-def: $vgpr1
	s_branch .LBB238_1846
.LBB238_1842:
	s_mov_b64 s[0:1], -1
                                        ; implicit-def: $vgpr1
.LBB238_1843:
	s_andn2_b64 vcc, exec, s[0:1]
	s_cbranch_vccnz .LBB238_1845
; %bb.1844:
	global_load_dword v1, v[4:5], off
	s_waitcnt vmcnt(0)
	v_cvt_i32_f32_e32 v1, v1
.LBB238_1845:
	s_mov_b64 s[0:1], 0
.LBB238_1846:
	s_andn2_b64 vcc, exec, s[0:1]
	s_cbranch_vccnz .LBB238_1848
; %bb.1847:
	global_load_dword v1, v[4:5], off
	s_waitcnt vmcnt(0)
	v_cvt_i16_f16_e32 v1, v1
.LBB238_1848:
	s_mov_b64 s[0:1], 0
.LBB238_1849:
	s_andn2_b64 vcc, exec, s[0:1]
	s_cbranch_vccnz .LBB238_1860
; %bb.1850:
	s_cmp_lt_i32 s15, 6
	s_cbranch_scc1 .LBB238_1853
; %bb.1851:
	s_cmp_gt_i32 s15, 6
	s_cbranch_scc0 .LBB238_1854
; %bb.1852:
	global_load_dwordx2 v[1:2], v[4:5], off
	s_mov_b64 s[0:1], 0
	s_waitcnt vmcnt(0)
	v_cvt_i32_f64_e32 v1, v[1:2]
	s_branch .LBB238_1855
.LBB238_1853:
	s_mov_b64 s[0:1], -1
                                        ; implicit-def: $vgpr1
	s_branch .LBB238_1858
.LBB238_1854:
	s_mov_b64 s[0:1], -1
                                        ; implicit-def: $vgpr1
.LBB238_1855:
	s_andn2_b64 vcc, exec, s[0:1]
	s_cbranch_vccnz .LBB238_1857
; %bb.1856:
	global_load_dword v1, v[4:5], off
	s_waitcnt vmcnt(0)
	v_cvt_i32_f32_e32 v1, v1
.LBB238_1857:
	s_mov_b64 s[0:1], 0
.LBB238_1858:
	s_andn2_b64 vcc, exec, s[0:1]
	s_cbranch_vccnz .LBB238_1860
; %bb.1859:
	global_load_ushort v1, v[4:5], off
	s_waitcnt vmcnt(0)
	v_cvt_i16_f16_e32 v1, v1
.LBB238_1860:
	s_mov_b64 s[0:1], 0
.LBB238_1861:
	s_andn2_b64 vcc, exec, s[0:1]
	s_cbranch_vccnz .LBB238_1881
; %bb.1862:
	s_cmp_lt_i32 s15, 2
	s_cbranch_scc1 .LBB238_1866
; %bb.1863:
	s_cmp_lt_i32 s15, 3
	s_cbranch_scc1 .LBB238_1867
; %bb.1864:
	s_cmp_gt_i32 s15, 3
	s_cbranch_scc0 .LBB238_1868
; %bb.1865:
	global_load_dwordx2 v[1:2], v[4:5], off
	s_mov_b64 s[0:1], 0
	s_branch .LBB238_1869
.LBB238_1866:
	s_mov_b64 s[0:1], -1
                                        ; implicit-def: $vgpr1
	s_branch .LBB238_1875
.LBB238_1867:
	s_mov_b64 s[0:1], -1
                                        ; implicit-def: $vgpr1
	s_branch .LBB238_1872
.LBB238_1868:
	s_mov_b64 s[0:1], -1
                                        ; implicit-def: $vgpr1
.LBB238_1869:
	s_andn2_b64 vcc, exec, s[0:1]
	s_cbranch_vccnz .LBB238_1871
; %bb.1870:
	global_load_dword v1, v[4:5], off
.LBB238_1871:
	s_mov_b64 s[0:1], 0
.LBB238_1872:
	s_andn2_b64 vcc, exec, s[0:1]
	s_cbranch_vccnz .LBB238_1874
; %bb.1873:
	global_load_ushort v1, v[4:5], off
.LBB238_1874:
	s_mov_b64 s[0:1], 0
.LBB238_1875:
	s_andn2_b64 vcc, exec, s[0:1]
	s_cbranch_vccnz .LBB238_1881
; %bb.1876:
	s_cmp_gt_i32 s15, 0
	s_cbranch_scc0 .LBB238_1878
; %bb.1877:
	global_load_sbyte v1, v[4:5], off
	s_mov_b64 s[0:1], 0
	s_branch .LBB238_1879
.LBB238_1878:
	s_mov_b64 s[0:1], -1
                                        ; implicit-def: $vgpr1
.LBB238_1879:
	s_andn2_b64 vcc, exec, s[0:1]
	s_cbranch_vccnz .LBB238_1881
; %bb.1880:
	global_load_ubyte v1, v[4:5], off
.LBB238_1881:
.LBB238_1882:
	s_lshl_b32 s22, s14, 7
	s_waitcnt vmcnt(0)
	v_add_u32_e32 v2, s22, v6
	v_ashrrev_i32_e32 v5, 31, v2
	v_mov_b32_e32 v6, s3
	v_add_co_u32_e32 v4, vcc, s2, v2
	s_cmp_lt_i32 s25, 11
	v_addc_co_u32_e32 v5, vcc, v6, v5, vcc
	s_cbranch_scc1 .LBB238_1889
; %bb.1883:
	s_and_b32 s23, 0xffff, s25
	s_cmp_gt_i32 s23, 25
	s_mov_b64 s[14:15], 0
	s_cbranch_scc0 .LBB238_1890
; %bb.1884:
	s_cmp_gt_i32 s23, 28
	s_cbranch_scc0 .LBB238_1891
; %bb.1885:
	s_cmp_gt_i32 s23, 43
	;; [unrolled: 3-line block ×3, first 2 shown]
	s_cbranch_scc0 .LBB238_1894
; %bb.1887:
	s_cmp_eq_u32 s23, 46
	s_mov_b64 s[20:21], 0
	s_cbranch_scc0 .LBB238_1895
; %bb.1888:
	global_load_dword v6, v[4:5], off
	s_mov_b64 s[0:1], 0
	s_mov_b64 s[16:17], -1
	s_waitcnt vmcnt(0)
	v_lshlrev_b32_e32 v6, 16, v6
	v_cvt_i32_f32_e32 v6, v6
	s_branch .LBB238_1896
.LBB238_1889:
	s_mov_b64 s[0:1], -1
	s_mov_b64 s[16:17], 0
                                        ; implicit-def: $vgpr6
	s_branch .LBB238_1958
.LBB238_1890:
	s_mov_b64 s[20:21], -1
	s_mov_b64 s[16:17], 0
	s_mov_b64 s[0:1], 0
                                        ; implicit-def: $vgpr6
	s_branch .LBB238_1923
.LBB238_1891:
	s_mov_b64 s[20:21], -1
	s_mov_b64 s[16:17], 0
	s_mov_b64 s[0:1], 0
                                        ; implicit-def: $vgpr6
	s_branch .LBB238_1906
.LBB238_1892:
	s_mov_b64 s[20:21], -1
	s_mov_b64 s[16:17], 0
	s_mov_b64 s[0:1], 0
                                        ; implicit-def: $vgpr6
	s_branch .LBB238_1901
.LBB238_1893:
	s_trap 2
	s_or_b64 s[18:19], s[18:19], exec
	s_cbranch_execz .LBB238_1832
	s_branch .LBB238_1833
.LBB238_1894:
	s_mov_b64 s[20:21], -1
	s_mov_b64 s[16:17], 0
	s_mov_b64 s[0:1], 0
                                        ; implicit-def: $vgpr6
	s_branch .LBB238_1896
.LBB238_1895:
	s_mov_b64 s[0:1], -1
                                        ; implicit-def: $vgpr6
	s_mov_b64 s[16:17], 0
.LBB238_1896:
	s_and_b64 vcc, exec, s[20:21]
	s_cbranch_vccz .LBB238_1900
; %bb.1897:
	s_cmp_eq_u32 s23, 44
	s_cbranch_scc0 .LBB238_1899
; %bb.1898:
	global_load_ubyte v6, v[4:5], off
	s_mov_b64 s[0:1], 0
	s_mov_b64 s[16:17], -1
	s_waitcnt vmcnt(0)
	v_lshlrev_b32_e32 v7, 23, v6
	v_cvt_i32_f32_e32 v7, v7
	v_cmp_ne_u32_e32 vcc, 0, v6
	v_cndmask_b32_e32 v6, 0, v7, vcc
	s_branch .LBB238_1900
.LBB238_1899:
	s_mov_b64 s[0:1], -1
                                        ; implicit-def: $vgpr6
.LBB238_1900:
	s_mov_b64 s[20:21], 0
.LBB238_1901:
	s_and_b64 vcc, exec, s[20:21]
	s_cbranch_vccz .LBB238_1905
; %bb.1902:
	s_cmp_eq_u32 s23, 29
	s_cbranch_scc0 .LBB238_1904
; %bb.1903:
	global_load_dwordx2 v[6:7], v[4:5], off
	s_mov_b64 s[0:1], 0
	s_mov_b64 s[16:17], -1
	s_branch .LBB238_1905
.LBB238_1904:
	s_mov_b64 s[0:1], -1
                                        ; implicit-def: $vgpr6
.LBB238_1905:
	s_mov_b64 s[20:21], 0
.LBB238_1906:
	s_and_b64 vcc, exec, s[20:21]
	s_cbranch_vccz .LBB238_1922
; %bb.1907:
	s_cmp_lt_i32 s23, 27
	s_cbranch_scc1 .LBB238_1910
; %bb.1908:
	s_cmp_gt_i32 s23, 27
	s_cbranch_scc0 .LBB238_1911
; %bb.1909:
	global_load_dword v6, v[4:5], off
	s_mov_b64 s[16:17], 0
	s_branch .LBB238_1912
.LBB238_1910:
	s_mov_b64 s[16:17], -1
                                        ; implicit-def: $vgpr6
	s_branch .LBB238_1915
.LBB238_1911:
	s_mov_b64 s[16:17], -1
                                        ; implicit-def: $vgpr6
.LBB238_1912:
	s_andn2_b64 vcc, exec, s[16:17]
	s_cbranch_vccnz .LBB238_1914
; %bb.1913:
	global_load_ushort v6, v[4:5], off
.LBB238_1914:
	s_mov_b64 s[16:17], 0
.LBB238_1915:
	s_andn2_b64 vcc, exec, s[16:17]
	s_cbranch_vccnz .LBB238_1921
; %bb.1916:
	global_load_ubyte v7, v[4:5], off
	s_movk_i32 s16, 0x7f
	s_mov_b64 s[20:21], 0
	s_waitcnt vmcnt(0)
	v_cmp_lt_i16_e32 vcc, s16, v7
	s_and_saveexec_b64 s[16:17], vcc
	s_xor_b64 s[16:17], exec, s[16:17]
	s_cbranch_execz .LBB238_1933
; %bb.1917:
	s_movk_i32 s20, 0x80
	v_cmp_ne_u16_e32 vcc, s20, v7
	s_and_b64 s[20:21], vcc, exec
	s_andn2_saveexec_b64 s[16:17], s[16:17]
	s_cbranch_execnz .LBB238_1934
.LBB238_1918:
	s_or_b64 exec, exec, s[16:17]
	v_mov_b32_e32 v6, 0
	s_and_saveexec_b64 s[16:17], s[20:21]
	s_cbranch_execz .LBB238_1920
.LBB238_1919:
	v_lshlrev_b32_e32 v6, 24, v7
	v_and_b32_e32 v7, 0xffff, v7
	v_and_b32_e32 v9, 7, v7
	v_ffbh_u32_e32 v11, v9
	v_min_u32_e32 v11, 32, v11
	v_subrev_u32_e32 v12, 28, v11
	v_bfe_u32 v10, v7, 3, 4
	v_lshlrev_b32_e32 v7, v12, v7
	v_sub_u32_e32 v11, 29, v11
	v_and_b32_e32 v7, 7, v7
	v_cmp_eq_u32_e32 vcc, 0, v10
	v_cndmask_b32_e32 v10, v10, v11, vcc
	v_cndmask_b32_e32 v7, v9, v7, vcc
	v_mov_b32_e32 v9, 0x3b800000
	v_lshlrev_b32_e32 v7, 20, v7
	v_and_b32_e32 v6, 0x80000000, v6
	v_lshl_add_u32 v9, v10, 23, v9
	v_or3_b32 v6, v6, v9, v7
	v_cvt_i32_f32_e32 v6, v6
.LBB238_1920:
	s_or_b64 exec, exec, s[16:17]
.LBB238_1921:
	s_mov_b64 s[16:17], -1
.LBB238_1922:
	s_mov_b64 s[20:21], 0
.LBB238_1923:
	s_and_b64 vcc, exec, s[20:21]
	s_cbranch_vccz .LBB238_1954
; %bb.1924:
	s_cmp_gt_i32 s23, 22
	s_cbranch_scc0 .LBB238_1932
; %bb.1925:
	s_cmp_lt_i32 s23, 24
	s_cbranch_scc1 .LBB238_1935
; %bb.1926:
	s_cmp_gt_i32 s23, 24
	s_cbranch_scc0 .LBB238_1936
; %bb.1927:
	global_load_ubyte v7, v[4:5], off
	s_movk_i32 s14, 0x7f
	s_mov_b64 s[16:17], 0
	s_waitcnt vmcnt(0)
	v_cmp_lt_i16_e32 vcc, s14, v7
	s_and_saveexec_b64 s[14:15], vcc
	s_xor_b64 s[14:15], exec, s[14:15]
	s_cbranch_execz .LBB238_1948
; %bb.1928:
	s_movk_i32 s16, 0x80
	v_cmp_ne_u16_e32 vcc, s16, v7
	s_and_b64 s[16:17], vcc, exec
	s_andn2_saveexec_b64 s[14:15], s[14:15]
	s_cbranch_execnz .LBB238_1949
.LBB238_1929:
	s_or_b64 exec, exec, s[14:15]
	v_mov_b32_e32 v6, 0
	s_and_saveexec_b64 s[14:15], s[16:17]
	s_cbranch_execz .LBB238_1931
.LBB238_1930:
	v_lshlrev_b32_e32 v6, 24, v7
	v_and_b32_e32 v7, 0xffff, v7
	v_and_b32_e32 v9, 3, v7
	v_ffbh_u32_e32 v11, v9
	v_min_u32_e32 v11, 32, v11
	v_subrev_u32_e32 v12, 29, v11
	v_bfe_u32 v10, v7, 2, 5
	v_lshlrev_b32_e32 v7, v12, v7
	v_sub_u32_e32 v11, 30, v11
	v_and_b32_e32 v7, 3, v7
	v_cmp_eq_u32_e32 vcc, 0, v10
	v_cndmask_b32_e32 v10, v10, v11, vcc
	v_cndmask_b32_e32 v7, v9, v7, vcc
	v_mov_b32_e32 v9, 0x37800000
	v_lshlrev_b32_e32 v7, 21, v7
	v_and_b32_e32 v6, 0x80000000, v6
	v_lshl_add_u32 v9, v10, 23, v9
	v_or3_b32 v6, v6, v9, v7
	v_cvt_i32_f32_e32 v6, v6
.LBB238_1931:
	s_or_b64 exec, exec, s[14:15]
	s_mov_b64 s[14:15], 0
	s_branch .LBB238_1937
.LBB238_1932:
	s_mov_b64 s[14:15], -1
                                        ; implicit-def: $vgpr6
	s_branch .LBB238_1943
.LBB238_1933:
	s_andn2_saveexec_b64 s[16:17], s[16:17]
	s_cbranch_execz .LBB238_1918
.LBB238_1934:
	v_cmp_ne_u16_e32 vcc, 0, v7
	s_andn2_b64 s[20:21], s[20:21], exec
	s_and_b64 s[26:27], vcc, exec
	s_or_b64 s[20:21], s[20:21], s[26:27]
	s_or_b64 exec, exec, s[16:17]
	v_mov_b32_e32 v6, 0
	s_and_saveexec_b64 s[16:17], s[20:21]
	s_cbranch_execnz .LBB238_1919
	s_branch .LBB238_1920
.LBB238_1935:
	s_mov_b64 s[14:15], -1
                                        ; implicit-def: $vgpr6
	s_branch .LBB238_1940
.LBB238_1936:
	s_mov_b64 s[14:15], -1
                                        ; implicit-def: $vgpr6
.LBB238_1937:
	s_and_b64 vcc, exec, s[14:15]
	s_cbranch_vccz .LBB238_1939
; %bb.1938:
	global_load_ubyte v6, v[4:5], off
	s_mov_b32 s14, 0x7f800000
	s_waitcnt vmcnt(0)
	v_lshlrev_b32_e32 v6, 24, v6
	v_and_b32_e32 v7, 0x7f000000, v6
	v_ffbh_u32_e32 v9, v7
	v_min_u32_e32 v9, 32, v9
	v_sub_u32_e64 v9, v9, 4 clamp
	v_lshlrev_b32_e32 v11, v9, v7
	v_lshlrev_b32_e32 v9, 23, v9
	v_lshrrev_b32_e32 v11, 4, v11
	v_add_u32_e32 v10, 0x1000000, v7
	v_sub_u32_e32 v9, v11, v9
	v_ashrrev_i32_e32 v10, 8, v10
	v_add_u32_e32 v9, 0x3c000000, v9
	v_and_or_b32 v9, v10, s14, v9
	v_cmp_ne_u32_e32 vcc, 0, v7
	v_cndmask_b32_e32 v7, 0, v9, vcc
	s_brev_b32 s14, 1
	v_and_or_b32 v6, v6, s14, v7
	v_cvt_i32_f32_e32 v6, v6
.LBB238_1939:
	s_mov_b64 s[14:15], 0
.LBB238_1940:
	s_andn2_b64 vcc, exec, s[14:15]
	s_cbranch_vccnz .LBB238_1942
; %bb.1941:
	global_load_ubyte v6, v[4:5], off
	s_movk_i32 s14, 0x7f00
	s_brev_b32 s15, 16
	s_waitcnt vmcnt(0)
	v_lshlrev_b16_e32 v7, 8, v6
	v_lshlrev_b32_e32 v6, 25, v6
	v_lshrrev_b32_e32 v9, 4, v6
	v_and_or_b32 v10, v7, s14, 0.5
	v_or_b32_e32 v9, 0x70000000, v9
	v_add_f32_e32 v10, -0.5, v10
	v_mul_f32_e32 v9, 0x7800000, v9
	v_cmp_gt_u32_e32 vcc, s15, v6
	v_bfe_i32 v7, v7, 0, 16
	v_cndmask_b32_e32 v6, v9, v10, vcc
	s_brev_b32 s14, 1
	v_and_or_b32 v6, v7, s14, v6
	v_cvt_i32_f32_e32 v6, v6
.LBB238_1942:
	s_mov_b64 s[14:15], 0
	s_mov_b64 s[16:17], -1
.LBB238_1943:
	s_andn2_b64 vcc, exec, s[14:15]
	s_mov_b64 s[14:15], 0
	s_cbranch_vccnz .LBB238_1954
; %bb.1944:
	s_cmp_gt_i32 s23, 14
	s_cbranch_scc0 .LBB238_1947
; %bb.1945:
	s_cmp_eq_u32 s23, 15
	s_cbranch_scc0 .LBB238_1950
; %bb.1946:
	global_load_ushort v6, v[4:5], off
	s_mov_b64 s[0:1], 0
	s_mov_b64 s[16:17], -1
	s_waitcnt vmcnt(0)
	v_lshlrev_b32_e32 v6, 16, v6
	v_cvt_i32_f32_e32 v6, v6
	s_branch .LBB238_1951
.LBB238_1947:
	s_mov_b64 s[20:21], -1
                                        ; implicit-def: $vgpr6
	s_branch .LBB238_1952
.LBB238_1948:
	s_andn2_saveexec_b64 s[14:15], s[14:15]
	s_cbranch_execz .LBB238_1929
.LBB238_1949:
	v_cmp_ne_u16_e32 vcc, 0, v7
	s_andn2_b64 s[16:17], s[16:17], exec
	s_and_b64 s[20:21], vcc, exec
	s_or_b64 s[16:17], s[16:17], s[20:21]
	s_or_b64 exec, exec, s[14:15]
	v_mov_b32_e32 v6, 0
	s_and_saveexec_b64 s[14:15], s[16:17]
	s_cbranch_execnz .LBB238_1930
	s_branch .LBB238_1931
.LBB238_1950:
	s_mov_b64 s[0:1], -1
                                        ; implicit-def: $vgpr6
.LBB238_1951:
	s_mov_b64 s[20:21], 0
.LBB238_1952:
	s_and_b64 vcc, exec, s[20:21]
	s_cbranch_vccz .LBB238_1954
; %bb.1953:
	s_cmp_lg_u32 s23, 11
	s_mov_b64 s[14:15], -1
	s_cselect_b64 s[0:1], -1, 0
.LBB238_1954:
	s_and_b64 vcc, exec, s[0:1]
	s_cbranch_vccnz .LBB238_2019
; %bb.1955:
	s_andn2_b64 vcc, exec, s[14:15]
	s_cbranch_vccnz .LBB238_1957
.LBB238_1956:
	global_load_ubyte v6, v[4:5], off
	s_mov_b64 s[16:17], -1
	s_waitcnt vmcnt(0)
	v_cmp_ne_u16_e32 vcc, 0, v6
	v_cndmask_b32_e64 v6, 0, 1, vcc
.LBB238_1957:
	s_mov_b64 s[0:1], 0
.LBB238_1958:
	s_and_b64 vcc, exec, s[0:1]
	s_cbranch_vccz .LBB238_2007
; %bb.1959:
	s_and_b32 s14, 0xffff, s25
	s_cmp_lt_i32 s14, 5
	s_cbranch_scc1 .LBB238_1964
; %bb.1960:
	s_cmp_lt_i32 s14, 8
	s_cbranch_scc1 .LBB238_1965
; %bb.1961:
	;; [unrolled: 3-line block ×3, first 2 shown]
	s_cmp_gt_i32 s14, 9
	s_cbranch_scc0 .LBB238_1967
; %bb.1963:
	global_load_dwordx2 v[6:7], v[4:5], off
	s_mov_b64 s[0:1], 0
	s_waitcnt vmcnt(0)
	v_cvt_i32_f64_e32 v6, v[6:7]
	s_branch .LBB238_1968
.LBB238_1964:
	s_mov_b64 s[0:1], -1
                                        ; implicit-def: $vgpr6
	s_branch .LBB238_1986
.LBB238_1965:
	s_mov_b64 s[0:1], -1
                                        ; implicit-def: $vgpr6
	s_branch .LBB238_1974
.LBB238_1966:
	s_mov_b64 s[0:1], -1
                                        ; implicit-def: $vgpr6
	s_branch .LBB238_1971
.LBB238_1967:
	s_mov_b64 s[0:1], -1
                                        ; implicit-def: $vgpr6
.LBB238_1968:
	s_andn2_b64 vcc, exec, s[0:1]
	s_cbranch_vccnz .LBB238_1970
; %bb.1969:
	global_load_dword v6, v[4:5], off
	s_waitcnt vmcnt(0)
	v_cvt_i32_f32_e32 v6, v6
.LBB238_1970:
	s_mov_b64 s[0:1], 0
.LBB238_1971:
	s_andn2_b64 vcc, exec, s[0:1]
	s_cbranch_vccnz .LBB238_1973
; %bb.1972:
	global_load_dword v6, v[4:5], off
	s_waitcnt vmcnt(0)
	v_cvt_i16_f16_e32 v6, v6
.LBB238_1973:
	s_mov_b64 s[0:1], 0
.LBB238_1974:
	s_andn2_b64 vcc, exec, s[0:1]
	s_cbranch_vccnz .LBB238_1985
; %bb.1975:
	s_cmp_lt_i32 s14, 6
	s_cbranch_scc1 .LBB238_1978
; %bb.1976:
	s_cmp_gt_i32 s14, 6
	s_cbranch_scc0 .LBB238_1979
; %bb.1977:
	global_load_dwordx2 v[6:7], v[4:5], off
	s_mov_b64 s[0:1], 0
	s_waitcnt vmcnt(0)
	v_cvt_i32_f64_e32 v6, v[6:7]
	s_branch .LBB238_1980
.LBB238_1978:
	s_mov_b64 s[0:1], -1
                                        ; implicit-def: $vgpr6
	s_branch .LBB238_1983
.LBB238_1979:
	s_mov_b64 s[0:1], -1
                                        ; implicit-def: $vgpr6
.LBB238_1980:
	s_andn2_b64 vcc, exec, s[0:1]
	s_cbranch_vccnz .LBB238_1982
; %bb.1981:
	global_load_dword v6, v[4:5], off
	s_waitcnt vmcnt(0)
	v_cvt_i32_f32_e32 v6, v6
.LBB238_1982:
	s_mov_b64 s[0:1], 0
.LBB238_1983:
	s_andn2_b64 vcc, exec, s[0:1]
	s_cbranch_vccnz .LBB238_1985
; %bb.1984:
	global_load_ushort v6, v[4:5], off
	s_waitcnt vmcnt(0)
	v_cvt_i16_f16_e32 v6, v6
.LBB238_1985:
	s_mov_b64 s[0:1], 0
.LBB238_1986:
	s_andn2_b64 vcc, exec, s[0:1]
	s_cbranch_vccnz .LBB238_2006
; %bb.1987:
	s_cmp_lt_i32 s14, 2
	s_cbranch_scc1 .LBB238_1991
; %bb.1988:
	s_cmp_lt_i32 s14, 3
	s_cbranch_scc1 .LBB238_1992
; %bb.1989:
	s_cmp_gt_i32 s14, 3
	s_cbranch_scc0 .LBB238_1993
; %bb.1990:
	global_load_dwordx2 v[6:7], v[4:5], off
	s_mov_b64 s[0:1], 0
	s_branch .LBB238_1994
.LBB238_1991:
	s_mov_b64 s[0:1], -1
                                        ; implicit-def: $vgpr6
	s_branch .LBB238_2000
.LBB238_1992:
	s_mov_b64 s[0:1], -1
                                        ; implicit-def: $vgpr6
	s_branch .LBB238_1997
.LBB238_1993:
	s_mov_b64 s[0:1], -1
                                        ; implicit-def: $vgpr6
.LBB238_1994:
	s_andn2_b64 vcc, exec, s[0:1]
	s_cbranch_vccnz .LBB238_1996
; %bb.1995:
	global_load_dword v6, v[4:5], off
.LBB238_1996:
	s_mov_b64 s[0:1], 0
.LBB238_1997:
	s_andn2_b64 vcc, exec, s[0:1]
	s_cbranch_vccnz .LBB238_1999
; %bb.1998:
	global_load_ushort v6, v[4:5], off
.LBB238_1999:
	s_mov_b64 s[0:1], 0
.LBB238_2000:
	s_andn2_b64 vcc, exec, s[0:1]
	s_cbranch_vccnz .LBB238_2006
; %bb.2001:
	s_cmp_gt_i32 s14, 0
	s_cbranch_scc0 .LBB238_2003
; %bb.2002:
	global_load_sbyte v6, v[4:5], off
	s_mov_b64 s[0:1], 0
	s_branch .LBB238_2004
.LBB238_2003:
	s_mov_b64 s[0:1], -1
                                        ; implicit-def: $vgpr6
.LBB238_2004:
	s_andn2_b64 vcc, exec, s[0:1]
	s_cbranch_vccnz .LBB238_2006
; %bb.2005:
	global_load_ubyte v6, v[4:5], off
.LBB238_2006:
	s_mov_b64 s[16:17], -1
.LBB238_2007:
	s_andn2_b64 vcc, exec, s[16:17]
	s_cbranch_vccnz .LBB238_2947
; %bb.2008:
	v_add_u32_e32 v11, s13, v8
	v_ashrrev_i32_e32 v4, 31, v11
	v_mov_b32_e32 v5, s11
	s_waitcnt vmcnt(0)
	v_add_co_u32_e32 v7, vcc, s10, v11
	s_cmp_lt_i32 s24, 11
	v_addc_co_u32_e32 v8, vcc, v5, v4, vcc
	s_cbranch_scc1 .LBB238_2015
; %bb.2009:
	s_and_b32 s23, 0xffff, s24
	s_cmp_gt_i32 s23, 25
	s_mov_b64 s[14:15], 0
	s_cbranch_scc0 .LBB238_2016
; %bb.2010:
	s_cmp_gt_i32 s23, 28
	s_cbranch_scc0 .LBB238_2017
; %bb.2011:
	s_cmp_gt_i32 s23, 43
	;; [unrolled: 3-line block ×3, first 2 shown]
	s_cbranch_scc0 .LBB238_2020
; %bb.2013:
	s_cmp_eq_u32 s23, 46
	s_mov_b64 s[20:21], 0
	s_cbranch_scc0 .LBB238_2021
; %bb.2014:
	global_load_dword v4, v[7:8], off
	s_mov_b64 s[0:1], 0
	s_mov_b64 s[16:17], -1
	s_waitcnt vmcnt(0)
	v_lshlrev_b32_e32 v4, 16, v4
	v_cvt_i32_f32_e32 v4, v4
	s_branch .LBB238_2022
.LBB238_2015:
	s_mov_b64 s[0:1], -1
	s_mov_b64 s[16:17], 0
                                        ; implicit-def: $vgpr4
	s_branch .LBB238_2084
.LBB238_2016:
	s_mov_b64 s[20:21], -1
	s_mov_b64 s[16:17], 0
	s_mov_b64 s[0:1], 0
                                        ; implicit-def: $vgpr4
	s_branch .LBB238_2049
.LBB238_2017:
	s_mov_b64 s[20:21], -1
	s_mov_b64 s[16:17], 0
	s_mov_b64 s[0:1], 0
                                        ; implicit-def: $vgpr4
	s_branch .LBB238_2032
.LBB238_2018:
	s_mov_b64 s[20:21], -1
	s_mov_b64 s[16:17], 0
	s_mov_b64 s[0:1], 0
                                        ; implicit-def: $vgpr4
	s_branch .LBB238_2027
.LBB238_2019:
	s_trap 2
	s_or_b64 s[18:19], s[18:19], exec
	s_cbranch_execz .LBB238_1956
	s_branch .LBB238_1957
.LBB238_2020:
	s_mov_b64 s[20:21], -1
	s_mov_b64 s[16:17], 0
	s_mov_b64 s[0:1], 0
                                        ; implicit-def: $vgpr4
	s_branch .LBB238_2022
.LBB238_2021:
	s_mov_b64 s[0:1], -1
                                        ; implicit-def: $vgpr4
	s_mov_b64 s[16:17], 0
.LBB238_2022:
	s_and_b64 vcc, exec, s[20:21]
	s_cbranch_vccz .LBB238_2026
; %bb.2023:
	s_cmp_eq_u32 s23, 44
	s_cbranch_scc0 .LBB238_2025
; %bb.2024:
	global_load_ubyte v4, v[7:8], off
	s_mov_b64 s[0:1], 0
	s_mov_b64 s[16:17], -1
	s_waitcnt vmcnt(0)
	v_lshlrev_b32_e32 v5, 23, v4
	v_cvt_i32_f32_e32 v5, v5
	v_cmp_ne_u32_e32 vcc, 0, v4
	v_cndmask_b32_e32 v4, 0, v5, vcc
	s_branch .LBB238_2026
.LBB238_2025:
	s_mov_b64 s[0:1], -1
                                        ; implicit-def: $vgpr4
.LBB238_2026:
	s_mov_b64 s[20:21], 0
.LBB238_2027:
	s_and_b64 vcc, exec, s[20:21]
	s_cbranch_vccz .LBB238_2031
; %bb.2028:
	s_cmp_eq_u32 s23, 29
	s_cbranch_scc0 .LBB238_2030
; %bb.2029:
	global_load_dwordx2 v[4:5], v[7:8], off
	s_mov_b64 s[0:1], 0
	s_mov_b64 s[16:17], -1
	s_branch .LBB238_2031
.LBB238_2030:
	s_mov_b64 s[0:1], -1
                                        ; implicit-def: $vgpr4
.LBB238_2031:
	s_mov_b64 s[20:21], 0
.LBB238_2032:
	s_and_b64 vcc, exec, s[20:21]
	s_cbranch_vccz .LBB238_2048
; %bb.2033:
	s_cmp_lt_i32 s23, 27
	s_cbranch_scc1 .LBB238_2036
; %bb.2034:
	s_cmp_gt_i32 s23, 27
	s_cbranch_scc0 .LBB238_2037
; %bb.2035:
	global_load_dword v4, v[7:8], off
	s_mov_b64 s[16:17], 0
	s_branch .LBB238_2038
.LBB238_2036:
	s_mov_b64 s[16:17], -1
                                        ; implicit-def: $vgpr4
	s_branch .LBB238_2041
.LBB238_2037:
	s_mov_b64 s[16:17], -1
                                        ; implicit-def: $vgpr4
.LBB238_2038:
	s_andn2_b64 vcc, exec, s[16:17]
	s_cbranch_vccnz .LBB238_2040
; %bb.2039:
	global_load_ushort v4, v[7:8], off
.LBB238_2040:
	s_mov_b64 s[16:17], 0
.LBB238_2041:
	s_andn2_b64 vcc, exec, s[16:17]
	s_cbranch_vccnz .LBB238_2047
; %bb.2042:
	global_load_ubyte v5, v[7:8], off
	s_movk_i32 s16, 0x7f
	s_mov_b64 s[20:21], 0
	s_waitcnt vmcnt(0)
	v_cmp_lt_i16_e32 vcc, s16, v5
	s_and_saveexec_b64 s[16:17], vcc
	s_xor_b64 s[16:17], exec, s[16:17]
	s_cbranch_execz .LBB238_2059
; %bb.2043:
	s_movk_i32 s20, 0x80
	v_cmp_ne_u16_e32 vcc, s20, v5
	s_and_b64 s[20:21], vcc, exec
	s_andn2_saveexec_b64 s[16:17], s[16:17]
	s_cbranch_execnz .LBB238_2060
.LBB238_2044:
	s_or_b64 exec, exec, s[16:17]
	v_mov_b32_e32 v4, 0
	s_and_saveexec_b64 s[16:17], s[20:21]
	s_cbranch_execz .LBB238_2046
.LBB238_2045:
	v_lshlrev_b32_e32 v4, 24, v5
	v_and_b32_e32 v5, 0xffff, v5
	v_and_b32_e32 v9, 7, v5
	v_ffbh_u32_e32 v12, v9
	v_min_u32_e32 v12, 32, v12
	v_subrev_u32_e32 v13, 28, v12
	v_bfe_u32 v10, v5, 3, 4
	v_lshlrev_b32_e32 v5, v13, v5
	v_sub_u32_e32 v12, 29, v12
	v_and_b32_e32 v5, 7, v5
	v_cmp_eq_u32_e32 vcc, 0, v10
	v_cndmask_b32_e32 v10, v10, v12, vcc
	v_cndmask_b32_e32 v5, v9, v5, vcc
	v_mov_b32_e32 v9, 0x3b800000
	v_lshlrev_b32_e32 v5, 20, v5
	v_and_b32_e32 v4, 0x80000000, v4
	v_lshl_add_u32 v9, v10, 23, v9
	v_or3_b32 v4, v4, v9, v5
	v_cvt_i32_f32_e32 v4, v4
.LBB238_2046:
	s_or_b64 exec, exec, s[16:17]
.LBB238_2047:
	s_mov_b64 s[16:17], -1
.LBB238_2048:
	s_mov_b64 s[20:21], 0
.LBB238_2049:
	s_and_b64 vcc, exec, s[20:21]
	s_cbranch_vccz .LBB238_2080
; %bb.2050:
	s_cmp_gt_i32 s23, 22
	s_cbranch_scc0 .LBB238_2058
; %bb.2051:
	s_cmp_lt_i32 s23, 24
	s_cbranch_scc1 .LBB238_2061
; %bb.2052:
	s_cmp_gt_i32 s23, 24
	s_cbranch_scc0 .LBB238_2062
; %bb.2053:
	global_load_ubyte v5, v[7:8], off
	s_movk_i32 s14, 0x7f
	s_mov_b64 s[16:17], 0
	s_waitcnt vmcnt(0)
	v_cmp_lt_i16_e32 vcc, s14, v5
	s_and_saveexec_b64 s[14:15], vcc
	s_xor_b64 s[14:15], exec, s[14:15]
	s_cbranch_execz .LBB238_2074
; %bb.2054:
	s_movk_i32 s16, 0x80
	v_cmp_ne_u16_e32 vcc, s16, v5
	s_and_b64 s[16:17], vcc, exec
	s_andn2_saveexec_b64 s[14:15], s[14:15]
	s_cbranch_execnz .LBB238_2075
.LBB238_2055:
	s_or_b64 exec, exec, s[14:15]
	v_mov_b32_e32 v4, 0
	s_and_saveexec_b64 s[14:15], s[16:17]
	s_cbranch_execz .LBB238_2057
.LBB238_2056:
	v_lshlrev_b32_e32 v4, 24, v5
	v_and_b32_e32 v5, 0xffff, v5
	v_and_b32_e32 v9, 3, v5
	v_ffbh_u32_e32 v12, v9
	v_min_u32_e32 v12, 32, v12
	v_subrev_u32_e32 v13, 29, v12
	v_bfe_u32 v10, v5, 2, 5
	v_lshlrev_b32_e32 v5, v13, v5
	v_sub_u32_e32 v12, 30, v12
	v_and_b32_e32 v5, 3, v5
	v_cmp_eq_u32_e32 vcc, 0, v10
	v_cndmask_b32_e32 v10, v10, v12, vcc
	v_cndmask_b32_e32 v5, v9, v5, vcc
	v_mov_b32_e32 v9, 0x37800000
	v_lshlrev_b32_e32 v5, 21, v5
	v_and_b32_e32 v4, 0x80000000, v4
	v_lshl_add_u32 v9, v10, 23, v9
	v_or3_b32 v4, v4, v9, v5
	v_cvt_i32_f32_e32 v4, v4
.LBB238_2057:
	s_or_b64 exec, exec, s[14:15]
	s_mov_b64 s[14:15], 0
	s_branch .LBB238_2063
.LBB238_2058:
	s_mov_b64 s[14:15], -1
                                        ; implicit-def: $vgpr4
	s_branch .LBB238_2069
.LBB238_2059:
	s_andn2_saveexec_b64 s[16:17], s[16:17]
	s_cbranch_execz .LBB238_2044
.LBB238_2060:
	v_cmp_ne_u16_e32 vcc, 0, v5
	s_andn2_b64 s[20:21], s[20:21], exec
	s_and_b64 s[26:27], vcc, exec
	s_or_b64 s[20:21], s[20:21], s[26:27]
	s_or_b64 exec, exec, s[16:17]
	v_mov_b32_e32 v4, 0
	s_and_saveexec_b64 s[16:17], s[20:21]
	s_cbranch_execnz .LBB238_2045
	s_branch .LBB238_2046
.LBB238_2061:
	s_mov_b64 s[14:15], -1
                                        ; implicit-def: $vgpr4
	s_branch .LBB238_2066
.LBB238_2062:
	s_mov_b64 s[14:15], -1
                                        ; implicit-def: $vgpr4
.LBB238_2063:
	s_and_b64 vcc, exec, s[14:15]
	s_cbranch_vccz .LBB238_2065
; %bb.2064:
	global_load_ubyte v4, v[7:8], off
	s_mov_b32 s14, 0x7f800000
	s_waitcnt vmcnt(0)
	v_lshlrev_b32_e32 v4, 24, v4
	v_and_b32_e32 v5, 0x7f000000, v4
	v_ffbh_u32_e32 v9, v5
	v_min_u32_e32 v9, 32, v9
	v_sub_u32_e64 v9, v9, 4 clamp
	v_lshlrev_b32_e32 v12, v9, v5
	v_lshlrev_b32_e32 v9, 23, v9
	v_lshrrev_b32_e32 v12, 4, v12
	v_add_u32_e32 v10, 0x1000000, v5
	v_sub_u32_e32 v9, v12, v9
	v_ashrrev_i32_e32 v10, 8, v10
	v_add_u32_e32 v9, 0x3c000000, v9
	v_and_or_b32 v9, v10, s14, v9
	v_cmp_ne_u32_e32 vcc, 0, v5
	v_cndmask_b32_e32 v5, 0, v9, vcc
	s_brev_b32 s14, 1
	v_and_or_b32 v4, v4, s14, v5
	v_cvt_i32_f32_e32 v4, v4
.LBB238_2065:
	s_mov_b64 s[14:15], 0
.LBB238_2066:
	s_andn2_b64 vcc, exec, s[14:15]
	s_cbranch_vccnz .LBB238_2068
; %bb.2067:
	global_load_ubyte v4, v[7:8], off
	s_movk_i32 s14, 0x7f00
	s_brev_b32 s15, 16
	s_waitcnt vmcnt(0)
	v_lshlrev_b16_e32 v5, 8, v4
	v_lshlrev_b32_e32 v4, 25, v4
	v_lshrrev_b32_e32 v9, 4, v4
	v_and_or_b32 v10, v5, s14, 0.5
	v_or_b32_e32 v9, 0x70000000, v9
	v_add_f32_e32 v10, -0.5, v10
	v_mul_f32_e32 v9, 0x7800000, v9
	v_cmp_gt_u32_e32 vcc, s15, v4
	v_bfe_i32 v5, v5, 0, 16
	v_cndmask_b32_e32 v4, v9, v10, vcc
	s_brev_b32 s14, 1
	v_and_or_b32 v4, v5, s14, v4
	v_cvt_i32_f32_e32 v4, v4
.LBB238_2068:
	s_mov_b64 s[14:15], 0
	s_mov_b64 s[16:17], -1
.LBB238_2069:
	s_andn2_b64 vcc, exec, s[14:15]
	s_mov_b64 s[14:15], 0
	s_cbranch_vccnz .LBB238_2080
; %bb.2070:
	s_cmp_gt_i32 s23, 14
	s_cbranch_scc0 .LBB238_2073
; %bb.2071:
	s_cmp_eq_u32 s23, 15
	s_cbranch_scc0 .LBB238_2076
; %bb.2072:
	global_load_ushort v4, v[7:8], off
	s_mov_b64 s[0:1], 0
	s_mov_b64 s[16:17], -1
	s_waitcnt vmcnt(0)
	v_lshlrev_b32_e32 v4, 16, v4
	v_cvt_i32_f32_e32 v4, v4
	s_branch .LBB238_2077
.LBB238_2073:
	s_mov_b64 s[20:21], -1
                                        ; implicit-def: $vgpr4
	s_branch .LBB238_2078
.LBB238_2074:
	s_andn2_saveexec_b64 s[14:15], s[14:15]
	s_cbranch_execz .LBB238_2055
.LBB238_2075:
	v_cmp_ne_u16_e32 vcc, 0, v5
	s_andn2_b64 s[16:17], s[16:17], exec
	s_and_b64 s[20:21], vcc, exec
	s_or_b64 s[16:17], s[16:17], s[20:21]
	s_or_b64 exec, exec, s[14:15]
	v_mov_b32_e32 v4, 0
	s_and_saveexec_b64 s[14:15], s[16:17]
	s_cbranch_execnz .LBB238_2056
	s_branch .LBB238_2057
.LBB238_2076:
	s_mov_b64 s[0:1], -1
                                        ; implicit-def: $vgpr4
.LBB238_2077:
	s_mov_b64 s[20:21], 0
.LBB238_2078:
	s_and_b64 vcc, exec, s[20:21]
	s_cbranch_vccz .LBB238_2080
; %bb.2079:
	s_cmp_lg_u32 s23, 11
	s_mov_b64 s[14:15], -1
	s_cselect_b64 s[0:1], -1, 0
.LBB238_2080:
	s_and_b64 vcc, exec, s[0:1]
	s_cbranch_vccnz .LBB238_2145
; %bb.2081:
	s_andn2_b64 vcc, exec, s[14:15]
	s_cbranch_vccnz .LBB238_2083
.LBB238_2082:
	global_load_ubyte v4, v[7:8], off
	s_mov_b64 s[16:17], -1
	s_waitcnt vmcnt(0)
	v_cmp_ne_u16_e32 vcc, 0, v4
	v_cndmask_b32_e64 v4, 0, 1, vcc
.LBB238_2083:
	s_mov_b64 s[0:1], 0
.LBB238_2084:
	s_and_b64 vcc, exec, s[0:1]
	s_cbranch_vccz .LBB238_2133
; %bb.2085:
	s_and_b32 s14, 0xffff, s24
	s_cmp_lt_i32 s14, 5
	s_cbranch_scc1 .LBB238_2090
; %bb.2086:
	s_cmp_lt_i32 s14, 8
	s_cbranch_scc1 .LBB238_2091
; %bb.2087:
	;; [unrolled: 3-line block ×3, first 2 shown]
	s_cmp_gt_i32 s14, 9
	s_cbranch_scc0 .LBB238_2093
; %bb.2089:
	global_load_dwordx2 v[4:5], v[7:8], off
	s_mov_b64 s[0:1], 0
	s_waitcnt vmcnt(0)
	v_cvt_i32_f64_e32 v4, v[4:5]
	s_branch .LBB238_2094
.LBB238_2090:
	s_mov_b64 s[0:1], -1
                                        ; implicit-def: $vgpr4
	s_branch .LBB238_2112
.LBB238_2091:
	s_mov_b64 s[0:1], -1
                                        ; implicit-def: $vgpr4
	s_branch .LBB238_2100
.LBB238_2092:
	s_mov_b64 s[0:1], -1
                                        ; implicit-def: $vgpr4
	s_branch .LBB238_2097
.LBB238_2093:
	s_mov_b64 s[0:1], -1
                                        ; implicit-def: $vgpr4
.LBB238_2094:
	s_andn2_b64 vcc, exec, s[0:1]
	s_cbranch_vccnz .LBB238_2096
; %bb.2095:
	global_load_dword v4, v[7:8], off
	s_waitcnt vmcnt(0)
	v_cvt_i32_f32_e32 v4, v4
.LBB238_2096:
	s_mov_b64 s[0:1], 0
.LBB238_2097:
	s_andn2_b64 vcc, exec, s[0:1]
	s_cbranch_vccnz .LBB238_2099
; %bb.2098:
	global_load_dword v4, v[7:8], off
	s_waitcnt vmcnt(0)
	v_cvt_i16_f16_e32 v4, v4
.LBB238_2099:
	s_mov_b64 s[0:1], 0
.LBB238_2100:
	s_andn2_b64 vcc, exec, s[0:1]
	s_cbranch_vccnz .LBB238_2111
; %bb.2101:
	s_cmp_lt_i32 s14, 6
	s_cbranch_scc1 .LBB238_2104
; %bb.2102:
	s_cmp_gt_i32 s14, 6
	s_cbranch_scc0 .LBB238_2105
; %bb.2103:
	global_load_dwordx2 v[4:5], v[7:8], off
	s_mov_b64 s[0:1], 0
	s_waitcnt vmcnt(0)
	v_cvt_i32_f64_e32 v4, v[4:5]
	s_branch .LBB238_2106
.LBB238_2104:
	s_mov_b64 s[0:1], -1
                                        ; implicit-def: $vgpr4
	s_branch .LBB238_2109
.LBB238_2105:
	s_mov_b64 s[0:1], -1
                                        ; implicit-def: $vgpr4
.LBB238_2106:
	s_andn2_b64 vcc, exec, s[0:1]
	s_cbranch_vccnz .LBB238_2108
; %bb.2107:
	global_load_dword v4, v[7:8], off
	s_waitcnt vmcnt(0)
	v_cvt_i32_f32_e32 v4, v4
.LBB238_2108:
	s_mov_b64 s[0:1], 0
.LBB238_2109:
	s_andn2_b64 vcc, exec, s[0:1]
	s_cbranch_vccnz .LBB238_2111
; %bb.2110:
	global_load_ushort v4, v[7:8], off
	s_waitcnt vmcnt(0)
	v_cvt_i16_f16_e32 v4, v4
.LBB238_2111:
	s_mov_b64 s[0:1], 0
.LBB238_2112:
	s_andn2_b64 vcc, exec, s[0:1]
	s_cbranch_vccnz .LBB238_2132
; %bb.2113:
	s_cmp_lt_i32 s14, 2
	s_cbranch_scc1 .LBB238_2117
; %bb.2114:
	s_cmp_lt_i32 s14, 3
	s_cbranch_scc1 .LBB238_2118
; %bb.2115:
	s_cmp_gt_i32 s14, 3
	s_cbranch_scc0 .LBB238_2119
; %bb.2116:
	global_load_dwordx2 v[4:5], v[7:8], off
	s_mov_b64 s[0:1], 0
	s_branch .LBB238_2120
.LBB238_2117:
	s_mov_b64 s[0:1], -1
                                        ; implicit-def: $vgpr4
	s_branch .LBB238_2126
.LBB238_2118:
	s_mov_b64 s[0:1], -1
                                        ; implicit-def: $vgpr4
	s_branch .LBB238_2123
.LBB238_2119:
	s_mov_b64 s[0:1], -1
                                        ; implicit-def: $vgpr4
.LBB238_2120:
	s_andn2_b64 vcc, exec, s[0:1]
	s_cbranch_vccnz .LBB238_2122
; %bb.2121:
	global_load_dword v4, v[7:8], off
.LBB238_2122:
	s_mov_b64 s[0:1], 0
.LBB238_2123:
	s_andn2_b64 vcc, exec, s[0:1]
	s_cbranch_vccnz .LBB238_2125
; %bb.2124:
	global_load_ushort v4, v[7:8], off
.LBB238_2125:
	s_mov_b64 s[0:1], 0
.LBB238_2126:
	s_andn2_b64 vcc, exec, s[0:1]
	s_cbranch_vccnz .LBB238_2132
; %bb.2127:
	s_cmp_gt_i32 s14, 0
	s_cbranch_scc0 .LBB238_2129
; %bb.2128:
	global_load_sbyte v4, v[7:8], off
	s_mov_b64 s[0:1], 0
	s_branch .LBB238_2130
.LBB238_2129:
	s_mov_b64 s[0:1], -1
                                        ; implicit-def: $vgpr4
.LBB238_2130:
	s_andn2_b64 vcc, exec, s[0:1]
	s_cbranch_vccnz .LBB238_2132
; %bb.2131:
	global_load_ubyte v4, v[7:8], off
.LBB238_2132:
	s_mov_b64 s[16:17], -1
.LBB238_2133:
	s_andn2_b64 vcc, exec, s[16:17]
	s_cbranch_vccnz .LBB238_2947
; %bb.2134:
	v_add_u32_e32 v2, s22, v2
	s_waitcnt vmcnt(0)
	v_ashrrev_i32_e32 v5, 31, v2
	v_mov_b32_e32 v8, s3
	v_add_co_u32_e32 v7, vcc, s2, v2
	s_cmp_lt_i32 s25, 11
	v_addc_co_u32_e32 v8, vcc, v8, v5, vcc
	s_cbranch_scc1 .LBB238_2141
; %bb.2135:
	s_and_b32 s23, 0xffff, s25
	s_cmp_gt_i32 s23, 25
	s_mov_b64 s[14:15], 0
	s_cbranch_scc0 .LBB238_2142
; %bb.2136:
	s_cmp_gt_i32 s23, 28
	s_cbranch_scc0 .LBB238_2143
; %bb.2137:
	s_cmp_gt_i32 s23, 43
	;; [unrolled: 3-line block ×3, first 2 shown]
	s_cbranch_scc0 .LBB238_2146
; %bb.2139:
	s_cmp_eq_u32 s23, 46
	s_mov_b64 s[20:21], 0
	s_cbranch_scc0 .LBB238_2149
; %bb.2140:
	global_load_dword v5, v[7:8], off
	s_mov_b64 s[0:1], 0
	s_mov_b64 s[16:17], -1
	s_waitcnt vmcnt(0)
	v_lshlrev_b32_e32 v5, 16, v5
	v_cvt_i32_f32_e32 v9, v5
	s_branch .LBB238_2150
.LBB238_2141:
	s_mov_b64 s[0:1], -1
	s_mov_b64 s[16:17], 0
                                        ; implicit-def: $vgpr9
	s_branch .LBB238_2212
.LBB238_2142:
	s_mov_b64 s[20:21], -1
	s_mov_b64 s[16:17], 0
	s_mov_b64 s[0:1], 0
                                        ; implicit-def: $vgpr9
	s_branch .LBB238_2177
.LBB238_2143:
	s_mov_b64 s[20:21], -1
	s_mov_b64 s[16:17], 0
	s_mov_b64 s[0:1], 0
                                        ; implicit-def: $vgpr9
	s_branch .LBB238_2160
.LBB238_2144:
	s_mov_b64 s[20:21], -1
	s_mov_b64 s[16:17], 0
	s_mov_b64 s[0:1], 0
                                        ; implicit-def: $vgpr9
	s_branch .LBB238_2155
.LBB238_2145:
	s_trap 2
	s_or_b64 s[18:19], s[18:19], exec
	s_cbranch_execz .LBB238_2082
	s_branch .LBB238_2083
.LBB238_2146:
	s_mov_b64 s[20:21], -1
	s_mov_b64 s[16:17], 0
	s_mov_b64 s[0:1], 0
                                        ; implicit-def: $vgpr9
	s_branch .LBB238_2150
.LBB238_2147:
	s_andn2_saveexec_b64 s[44:45], s[44:45]
	s_cbranch_execz .LBB238_1061
.LBB238_2148:
	s_mov_b32 s49, 0x42800000
	v_add_f32_e64 v3, |v2|, s49
	v_and_b32_e32 v3, 0xff, v3
	v_cmp_ne_u32_e32 vcc, 0, v3
	s_andn2_b64 s[42:43], s[42:43], exec
	s_and_b64 s[50:51], vcc, exec
	s_or_b64 s[42:43], s[42:43], s[50:51]
	s_or_b64 exec, exec, s[44:45]
	v_mov_b32_e32 v5, 0
	s_and_saveexec_b64 s[44:45], s[42:43]
	s_cbranch_execnz .LBB238_1062
	s_branch .LBB238_1063
.LBB238_2149:
	s_mov_b64 s[0:1], -1
                                        ; implicit-def: $vgpr9
	s_mov_b64 s[16:17], 0
.LBB238_2150:
	s_and_b64 vcc, exec, s[20:21]
	s_cbranch_vccz .LBB238_2154
; %bb.2151:
	s_cmp_eq_u32 s23, 44
	s_cbranch_scc0 .LBB238_2153
; %bb.2152:
	global_load_ubyte v5, v[7:8], off
	s_mov_b64 s[0:1], 0
	s_mov_b64 s[16:17], -1
	s_waitcnt vmcnt(0)
	v_lshlrev_b32_e32 v9, 23, v5
	v_cvt_i32_f32_e32 v9, v9
	v_cmp_ne_u32_e32 vcc, 0, v5
	v_cndmask_b32_e32 v9, 0, v9, vcc
	s_branch .LBB238_2154
.LBB238_2153:
	s_mov_b64 s[0:1], -1
                                        ; implicit-def: $vgpr9
.LBB238_2154:
	s_mov_b64 s[20:21], 0
.LBB238_2155:
	s_and_b64 vcc, exec, s[20:21]
	s_cbranch_vccz .LBB238_2159
; %bb.2156:
	s_cmp_eq_u32 s23, 29
	s_cbranch_scc0 .LBB238_2158
; %bb.2157:
	global_load_dwordx2 v[9:10], v[7:8], off
	s_mov_b64 s[0:1], 0
	s_mov_b64 s[16:17], -1
	s_branch .LBB238_2159
.LBB238_2158:
	s_mov_b64 s[0:1], -1
                                        ; implicit-def: $vgpr9
.LBB238_2159:
	s_mov_b64 s[20:21], 0
.LBB238_2160:
	s_and_b64 vcc, exec, s[20:21]
	s_cbranch_vccz .LBB238_2176
; %bb.2161:
	s_cmp_lt_i32 s23, 27
	s_cbranch_scc1 .LBB238_2164
; %bb.2162:
	s_cmp_gt_i32 s23, 27
	s_cbranch_scc0 .LBB238_2165
; %bb.2163:
	global_load_dword v9, v[7:8], off
	s_mov_b64 s[16:17], 0
	s_branch .LBB238_2166
.LBB238_2164:
	s_mov_b64 s[16:17], -1
                                        ; implicit-def: $vgpr9
	s_branch .LBB238_2169
.LBB238_2165:
	s_mov_b64 s[16:17], -1
                                        ; implicit-def: $vgpr9
.LBB238_2166:
	s_andn2_b64 vcc, exec, s[16:17]
	s_cbranch_vccnz .LBB238_2168
; %bb.2167:
	global_load_ushort v9, v[7:8], off
.LBB238_2168:
	s_mov_b64 s[16:17], 0
.LBB238_2169:
	s_andn2_b64 vcc, exec, s[16:17]
	s_cbranch_vccnz .LBB238_2175
; %bb.2170:
	global_load_ubyte v5, v[7:8], off
	s_movk_i32 s16, 0x7f
	s_mov_b64 s[20:21], 0
	s_waitcnt vmcnt(0)
	v_cmp_lt_i16_e32 vcc, s16, v5
	s_and_saveexec_b64 s[16:17], vcc
	s_xor_b64 s[16:17], exec, s[16:17]
	s_cbranch_execz .LBB238_2187
; %bb.2171:
	s_movk_i32 s20, 0x80
	v_cmp_ne_u16_e32 vcc, s20, v5
	s_and_b64 s[20:21], vcc, exec
	s_andn2_saveexec_b64 s[16:17], s[16:17]
	s_cbranch_execnz .LBB238_2188
.LBB238_2172:
	s_or_b64 exec, exec, s[16:17]
	v_mov_b32_e32 v9, 0
	s_and_saveexec_b64 s[16:17], s[20:21]
	s_cbranch_execz .LBB238_2174
.LBB238_2173:
	v_lshlrev_b32_e32 v9, 24, v5
	v_and_b32_e32 v5, 0xffff, v5
	v_and_b32_e32 v10, 7, v5
	v_ffbh_u32_e32 v13, v10
	v_min_u32_e32 v13, 32, v13
	v_subrev_u32_e32 v15, 28, v13
	v_bfe_u32 v12, v5, 3, 4
	v_lshlrev_b32_e32 v5, v15, v5
	v_sub_u32_e32 v13, 29, v13
	v_and_b32_e32 v5, 7, v5
	v_cmp_eq_u32_e32 vcc, 0, v12
	v_cndmask_b32_e32 v12, v12, v13, vcc
	v_cndmask_b32_e32 v5, v10, v5, vcc
	v_mov_b32_e32 v10, 0x3b800000
	v_lshlrev_b32_e32 v5, 20, v5
	v_and_b32_e32 v9, 0x80000000, v9
	v_lshl_add_u32 v10, v12, 23, v10
	v_or3_b32 v5, v9, v10, v5
	v_cvt_i32_f32_e32 v9, v5
.LBB238_2174:
	s_or_b64 exec, exec, s[16:17]
.LBB238_2175:
	s_mov_b64 s[16:17], -1
.LBB238_2176:
	s_mov_b64 s[20:21], 0
.LBB238_2177:
	s_and_b64 vcc, exec, s[20:21]
	s_cbranch_vccz .LBB238_2208
; %bb.2178:
	s_cmp_gt_i32 s23, 22
	s_cbranch_scc0 .LBB238_2186
; %bb.2179:
	s_cmp_lt_i32 s23, 24
	s_cbranch_scc1 .LBB238_2189
; %bb.2180:
	s_cmp_gt_i32 s23, 24
	s_cbranch_scc0 .LBB238_2190
; %bb.2181:
	global_load_ubyte v5, v[7:8], off
	s_movk_i32 s14, 0x7f
	s_mov_b64 s[16:17], 0
	s_waitcnt vmcnt(0)
	v_cmp_lt_i16_e32 vcc, s14, v5
	s_and_saveexec_b64 s[14:15], vcc
	s_xor_b64 s[14:15], exec, s[14:15]
	s_cbranch_execz .LBB238_2202
; %bb.2182:
	s_movk_i32 s16, 0x80
	v_cmp_ne_u16_e32 vcc, s16, v5
	s_and_b64 s[16:17], vcc, exec
	s_andn2_saveexec_b64 s[14:15], s[14:15]
	s_cbranch_execnz .LBB238_2203
.LBB238_2183:
	s_or_b64 exec, exec, s[14:15]
	v_mov_b32_e32 v9, 0
	s_and_saveexec_b64 s[14:15], s[16:17]
	s_cbranch_execz .LBB238_2185
.LBB238_2184:
	v_lshlrev_b32_e32 v9, 24, v5
	v_and_b32_e32 v5, 0xffff, v5
	v_and_b32_e32 v10, 3, v5
	v_ffbh_u32_e32 v13, v10
	v_min_u32_e32 v13, 32, v13
	v_subrev_u32_e32 v15, 29, v13
	v_bfe_u32 v12, v5, 2, 5
	v_lshlrev_b32_e32 v5, v15, v5
	v_sub_u32_e32 v13, 30, v13
	v_and_b32_e32 v5, 3, v5
	v_cmp_eq_u32_e32 vcc, 0, v12
	v_cndmask_b32_e32 v12, v12, v13, vcc
	v_cndmask_b32_e32 v5, v10, v5, vcc
	v_mov_b32_e32 v10, 0x37800000
	v_lshlrev_b32_e32 v5, 21, v5
	v_and_b32_e32 v9, 0x80000000, v9
	v_lshl_add_u32 v10, v12, 23, v10
	v_or3_b32 v5, v9, v10, v5
	v_cvt_i32_f32_e32 v9, v5
.LBB238_2185:
	s_or_b64 exec, exec, s[14:15]
	s_mov_b64 s[14:15], 0
	s_branch .LBB238_2191
.LBB238_2186:
	s_mov_b64 s[14:15], -1
                                        ; implicit-def: $vgpr9
	s_branch .LBB238_2197
.LBB238_2187:
	s_andn2_saveexec_b64 s[16:17], s[16:17]
	s_cbranch_execz .LBB238_2172
.LBB238_2188:
	v_cmp_ne_u16_e32 vcc, 0, v5
	s_andn2_b64 s[20:21], s[20:21], exec
	s_and_b64 s[26:27], vcc, exec
	s_or_b64 s[20:21], s[20:21], s[26:27]
	s_or_b64 exec, exec, s[16:17]
	v_mov_b32_e32 v9, 0
	s_and_saveexec_b64 s[16:17], s[20:21]
	s_cbranch_execnz .LBB238_2173
	s_branch .LBB238_2174
.LBB238_2189:
	s_mov_b64 s[14:15], -1
                                        ; implicit-def: $vgpr9
	s_branch .LBB238_2194
.LBB238_2190:
	s_mov_b64 s[14:15], -1
                                        ; implicit-def: $vgpr9
.LBB238_2191:
	s_and_b64 vcc, exec, s[14:15]
	s_cbranch_vccz .LBB238_2193
; %bb.2192:
	global_load_ubyte v5, v[7:8], off
	s_mov_b32 s14, 0x7f800000
	s_waitcnt vmcnt(0)
	v_lshlrev_b32_e32 v5, 24, v5
	v_and_b32_e32 v9, 0x7f000000, v5
	v_ffbh_u32_e32 v10, v9
	v_min_u32_e32 v10, 32, v10
	v_sub_u32_e64 v10, v10, 4 clamp
	v_lshlrev_b32_e32 v13, v10, v9
	v_lshlrev_b32_e32 v10, 23, v10
	v_lshrrev_b32_e32 v13, 4, v13
	v_add_u32_e32 v12, 0x1000000, v9
	v_sub_u32_e32 v10, v13, v10
	v_ashrrev_i32_e32 v12, 8, v12
	v_add_u32_e32 v10, 0x3c000000, v10
	v_and_or_b32 v10, v12, s14, v10
	v_cmp_ne_u32_e32 vcc, 0, v9
	v_cndmask_b32_e32 v9, 0, v10, vcc
	s_brev_b32 s14, 1
	v_and_or_b32 v5, v5, s14, v9
	v_cvt_i32_f32_e32 v9, v5
.LBB238_2193:
	s_mov_b64 s[14:15], 0
.LBB238_2194:
	s_andn2_b64 vcc, exec, s[14:15]
	s_cbranch_vccnz .LBB238_2196
; %bb.2195:
	global_load_ubyte v5, v[7:8], off
	s_movk_i32 s14, 0x7f00
	s_brev_b32 s15, 16
	s_waitcnt vmcnt(0)
	v_lshlrev_b16_e32 v9, 8, v5
	v_lshlrev_b32_e32 v5, 25, v5
	v_lshrrev_b32_e32 v10, 4, v5
	v_and_or_b32 v12, v9, s14, 0.5
	v_or_b32_e32 v10, 0x70000000, v10
	v_add_f32_e32 v12, -0.5, v12
	v_mul_f32_e32 v10, 0x7800000, v10
	v_cmp_gt_u32_e32 vcc, s15, v5
	v_bfe_i32 v9, v9, 0, 16
	v_cndmask_b32_e32 v5, v10, v12, vcc
	s_brev_b32 s14, 1
	v_and_or_b32 v5, v9, s14, v5
	v_cvt_i32_f32_e32 v9, v5
.LBB238_2196:
	s_mov_b64 s[14:15], 0
	s_mov_b64 s[16:17], -1
.LBB238_2197:
	s_andn2_b64 vcc, exec, s[14:15]
	s_mov_b64 s[14:15], 0
	s_cbranch_vccnz .LBB238_2208
; %bb.2198:
	s_cmp_gt_i32 s23, 14
	s_cbranch_scc0 .LBB238_2201
; %bb.2199:
	s_cmp_eq_u32 s23, 15
	s_cbranch_scc0 .LBB238_2204
; %bb.2200:
	global_load_ushort v5, v[7:8], off
	s_mov_b64 s[0:1], 0
	s_mov_b64 s[16:17], -1
	s_waitcnt vmcnt(0)
	v_lshlrev_b32_e32 v5, 16, v5
	v_cvt_i32_f32_e32 v9, v5
	s_branch .LBB238_2205
.LBB238_2201:
	s_mov_b64 s[20:21], -1
                                        ; implicit-def: $vgpr9
	s_branch .LBB238_2206
.LBB238_2202:
	s_andn2_saveexec_b64 s[14:15], s[14:15]
	s_cbranch_execz .LBB238_2183
.LBB238_2203:
	v_cmp_ne_u16_e32 vcc, 0, v5
	s_andn2_b64 s[16:17], s[16:17], exec
	s_and_b64 s[20:21], vcc, exec
	s_or_b64 s[16:17], s[16:17], s[20:21]
	s_or_b64 exec, exec, s[14:15]
	v_mov_b32_e32 v9, 0
	s_and_saveexec_b64 s[14:15], s[16:17]
	s_cbranch_execnz .LBB238_2184
	s_branch .LBB238_2185
.LBB238_2204:
	s_mov_b64 s[0:1], -1
                                        ; implicit-def: $vgpr9
.LBB238_2205:
	s_mov_b64 s[20:21], 0
.LBB238_2206:
	s_and_b64 vcc, exec, s[20:21]
	s_cbranch_vccz .LBB238_2208
; %bb.2207:
	s_cmp_lg_u32 s23, 11
	s_mov_b64 s[14:15], -1
	s_cselect_b64 s[0:1], -1, 0
.LBB238_2208:
	s_and_b64 vcc, exec, s[0:1]
	s_cbranch_vccnz .LBB238_2273
; %bb.2209:
	s_andn2_b64 vcc, exec, s[14:15]
	s_cbranch_vccnz .LBB238_2211
.LBB238_2210:
	global_load_ubyte v5, v[7:8], off
	s_mov_b64 s[16:17], -1
	s_waitcnt vmcnt(0)
	v_cmp_ne_u16_e32 vcc, 0, v5
	v_cndmask_b32_e64 v9, 0, 1, vcc
.LBB238_2211:
	s_mov_b64 s[0:1], 0
.LBB238_2212:
	s_and_b64 vcc, exec, s[0:1]
	s_cbranch_vccz .LBB238_2261
; %bb.2213:
	s_and_b32 s14, 0xffff, s25
	s_cmp_lt_i32 s14, 5
	s_cbranch_scc1 .LBB238_2218
; %bb.2214:
	s_cmp_lt_i32 s14, 8
	s_cbranch_scc1 .LBB238_2219
; %bb.2215:
	s_cmp_lt_i32 s14, 9
	s_cbranch_scc1 .LBB238_2220
; %bb.2216:
	s_cmp_gt_i32 s14, 9
	s_cbranch_scc0 .LBB238_2221
; %bb.2217:
	global_load_dwordx2 v[9:10], v[7:8], off
	s_mov_b64 s[0:1], 0
	s_waitcnt vmcnt(0)
	v_cvt_i32_f64_e32 v9, v[9:10]
	s_branch .LBB238_2222
.LBB238_2218:
	s_mov_b64 s[0:1], -1
                                        ; implicit-def: $vgpr9
	s_branch .LBB238_2240
.LBB238_2219:
	s_mov_b64 s[0:1], -1
                                        ; implicit-def: $vgpr9
	s_branch .LBB238_2228
.LBB238_2220:
	s_mov_b64 s[0:1], -1
                                        ; implicit-def: $vgpr9
	s_branch .LBB238_2225
.LBB238_2221:
	s_mov_b64 s[0:1], -1
                                        ; implicit-def: $vgpr9
.LBB238_2222:
	s_andn2_b64 vcc, exec, s[0:1]
	s_cbranch_vccnz .LBB238_2224
; %bb.2223:
	global_load_dword v5, v[7:8], off
	s_waitcnt vmcnt(0)
	v_cvt_i32_f32_e32 v9, v5
.LBB238_2224:
	s_mov_b64 s[0:1], 0
.LBB238_2225:
	s_andn2_b64 vcc, exec, s[0:1]
	s_cbranch_vccnz .LBB238_2227
; %bb.2226:
	global_load_dword v5, v[7:8], off
	s_waitcnt vmcnt(0)
	v_cvt_i16_f16_e32 v9, v5
.LBB238_2227:
	s_mov_b64 s[0:1], 0
.LBB238_2228:
	s_andn2_b64 vcc, exec, s[0:1]
	s_cbranch_vccnz .LBB238_2239
; %bb.2229:
	s_cmp_lt_i32 s14, 6
	s_cbranch_scc1 .LBB238_2232
; %bb.2230:
	s_cmp_gt_i32 s14, 6
	s_cbranch_scc0 .LBB238_2233
; %bb.2231:
	global_load_dwordx2 v[9:10], v[7:8], off
	s_mov_b64 s[0:1], 0
	s_waitcnt vmcnt(0)
	v_cvt_i32_f64_e32 v9, v[9:10]
	s_branch .LBB238_2234
.LBB238_2232:
	s_mov_b64 s[0:1], -1
                                        ; implicit-def: $vgpr9
	s_branch .LBB238_2237
.LBB238_2233:
	s_mov_b64 s[0:1], -1
                                        ; implicit-def: $vgpr9
.LBB238_2234:
	s_andn2_b64 vcc, exec, s[0:1]
	s_cbranch_vccnz .LBB238_2236
; %bb.2235:
	global_load_dword v5, v[7:8], off
	s_waitcnt vmcnt(0)
	v_cvt_i32_f32_e32 v9, v5
.LBB238_2236:
	s_mov_b64 s[0:1], 0
.LBB238_2237:
	s_andn2_b64 vcc, exec, s[0:1]
	s_cbranch_vccnz .LBB238_2239
; %bb.2238:
	global_load_ushort v5, v[7:8], off
	s_waitcnt vmcnt(0)
	v_cvt_i16_f16_e32 v9, v5
.LBB238_2239:
	s_mov_b64 s[0:1], 0
.LBB238_2240:
	s_andn2_b64 vcc, exec, s[0:1]
	s_cbranch_vccnz .LBB238_2260
; %bb.2241:
	s_cmp_lt_i32 s14, 2
	s_cbranch_scc1 .LBB238_2245
; %bb.2242:
	s_cmp_lt_i32 s14, 3
	s_cbranch_scc1 .LBB238_2246
; %bb.2243:
	s_cmp_gt_i32 s14, 3
	s_cbranch_scc0 .LBB238_2247
; %bb.2244:
	global_load_dwordx2 v[9:10], v[7:8], off
	s_mov_b64 s[0:1], 0
	s_branch .LBB238_2248
.LBB238_2245:
	s_mov_b64 s[0:1], -1
                                        ; implicit-def: $vgpr9
	s_branch .LBB238_2254
.LBB238_2246:
	s_mov_b64 s[0:1], -1
                                        ; implicit-def: $vgpr9
	s_branch .LBB238_2251
.LBB238_2247:
	s_mov_b64 s[0:1], -1
                                        ; implicit-def: $vgpr9
.LBB238_2248:
	s_andn2_b64 vcc, exec, s[0:1]
	s_cbranch_vccnz .LBB238_2250
; %bb.2249:
	global_load_dword v9, v[7:8], off
.LBB238_2250:
	s_mov_b64 s[0:1], 0
.LBB238_2251:
	s_andn2_b64 vcc, exec, s[0:1]
	s_cbranch_vccnz .LBB238_2253
; %bb.2252:
	global_load_ushort v9, v[7:8], off
.LBB238_2253:
	s_mov_b64 s[0:1], 0
.LBB238_2254:
	s_andn2_b64 vcc, exec, s[0:1]
	s_cbranch_vccnz .LBB238_2260
; %bb.2255:
	s_cmp_gt_i32 s14, 0
	s_cbranch_scc0 .LBB238_2257
; %bb.2256:
	global_load_sbyte v9, v[7:8], off
	s_mov_b64 s[0:1], 0
	s_branch .LBB238_2258
.LBB238_2257:
	s_mov_b64 s[0:1], -1
                                        ; implicit-def: $vgpr9
.LBB238_2258:
	s_andn2_b64 vcc, exec, s[0:1]
	s_cbranch_vccnz .LBB238_2260
; %bb.2259:
	global_load_ubyte v9, v[7:8], off
.LBB238_2260:
	s_mov_b64 s[16:17], -1
.LBB238_2261:
	s_andn2_b64 vcc, exec, s[16:17]
	s_cbranch_vccnz .LBB238_2947
; %bb.2262:
	v_add_u32_e32 v5, s13, v11
	v_ashrrev_i32_e32 v7, 31, v5
	v_mov_b32_e32 v8, s11
	s_waitcnt vmcnt(0)
	v_add_co_u32_e32 v10, vcc, s10, v5
	s_cmp_lt_i32 s24, 11
	v_addc_co_u32_e32 v11, vcc, v8, v7, vcc
	s_cbranch_scc1 .LBB238_2269
; %bb.2263:
	s_and_b32 s13, 0xffff, s24
	s_cmp_gt_i32 s13, 25
	s_mov_b64 s[10:11], 0
	s_cbranch_scc0 .LBB238_2270
; %bb.2264:
	s_cmp_gt_i32 s13, 28
	s_cbranch_scc0 .LBB238_2271
; %bb.2265:
	s_cmp_gt_i32 s13, 43
	;; [unrolled: 3-line block ×3, first 2 shown]
	s_cbranch_scc0 .LBB238_2274
; %bb.2267:
	s_cmp_eq_u32 s13, 46
	s_mov_b64 s[16:17], 0
	s_cbranch_scc0 .LBB238_2275
; %bb.2268:
	global_load_dword v5, v[10:11], off
	s_mov_b64 s[0:1], 0
	s_mov_b64 s[14:15], -1
	s_waitcnt vmcnt(0)
	v_lshlrev_b32_e32 v5, 16, v5
	v_cvt_i32_f32_e32 v7, v5
	s_branch .LBB238_2276
.LBB238_2269:
	s_mov_b64 s[0:1], -1
	s_mov_b64 s[14:15], 0
                                        ; implicit-def: $vgpr7
	s_branch .LBB238_2338
.LBB238_2270:
	s_mov_b64 s[16:17], -1
	s_mov_b64 s[14:15], 0
	s_mov_b64 s[0:1], 0
                                        ; implicit-def: $vgpr7
	s_branch .LBB238_2303
.LBB238_2271:
	s_mov_b64 s[16:17], -1
	s_mov_b64 s[14:15], 0
	s_mov_b64 s[0:1], 0
                                        ; implicit-def: $vgpr7
	s_branch .LBB238_2286
.LBB238_2272:
	s_mov_b64 s[16:17], -1
	s_mov_b64 s[14:15], 0
	s_mov_b64 s[0:1], 0
                                        ; implicit-def: $vgpr7
	s_branch .LBB238_2281
.LBB238_2273:
	s_trap 2
	s_or_b64 s[18:19], s[18:19], exec
	s_cbranch_execz .LBB238_2210
	s_branch .LBB238_2211
.LBB238_2274:
	s_mov_b64 s[16:17], -1
	s_mov_b64 s[14:15], 0
	s_mov_b64 s[0:1], 0
                                        ; implicit-def: $vgpr7
	s_branch .LBB238_2276
.LBB238_2275:
	s_mov_b64 s[0:1], -1
                                        ; implicit-def: $vgpr7
	s_mov_b64 s[14:15], 0
.LBB238_2276:
	s_and_b64 vcc, exec, s[16:17]
	s_cbranch_vccz .LBB238_2280
; %bb.2277:
	s_cmp_eq_u32 s13, 44
	s_cbranch_scc0 .LBB238_2279
; %bb.2278:
	global_load_ubyte v5, v[10:11], off
	s_mov_b64 s[0:1], 0
	s_mov_b64 s[14:15], -1
	s_waitcnt vmcnt(0)
	v_lshlrev_b32_e32 v7, 23, v5
	v_cvt_i32_f32_e32 v7, v7
	v_cmp_ne_u32_e32 vcc, 0, v5
	v_cndmask_b32_e32 v7, 0, v7, vcc
	s_branch .LBB238_2280
.LBB238_2279:
	s_mov_b64 s[0:1], -1
                                        ; implicit-def: $vgpr7
.LBB238_2280:
	s_mov_b64 s[16:17], 0
.LBB238_2281:
	s_and_b64 vcc, exec, s[16:17]
	s_cbranch_vccz .LBB238_2285
; %bb.2282:
	s_cmp_eq_u32 s13, 29
	s_cbranch_scc0 .LBB238_2284
; %bb.2283:
	global_load_dwordx2 v[7:8], v[10:11], off
	s_mov_b64 s[0:1], 0
	s_mov_b64 s[14:15], -1
	s_branch .LBB238_2285
.LBB238_2284:
	s_mov_b64 s[0:1], -1
                                        ; implicit-def: $vgpr7
.LBB238_2285:
	s_mov_b64 s[16:17], 0
.LBB238_2286:
	s_and_b64 vcc, exec, s[16:17]
	s_cbranch_vccz .LBB238_2302
; %bb.2287:
	s_cmp_lt_i32 s13, 27
	s_cbranch_scc1 .LBB238_2290
; %bb.2288:
	s_cmp_gt_i32 s13, 27
	s_cbranch_scc0 .LBB238_2291
; %bb.2289:
	global_load_dword v7, v[10:11], off
	s_mov_b64 s[14:15], 0
	s_branch .LBB238_2292
.LBB238_2290:
	s_mov_b64 s[14:15], -1
                                        ; implicit-def: $vgpr7
	s_branch .LBB238_2295
.LBB238_2291:
	s_mov_b64 s[14:15], -1
                                        ; implicit-def: $vgpr7
.LBB238_2292:
	s_andn2_b64 vcc, exec, s[14:15]
	s_cbranch_vccnz .LBB238_2294
; %bb.2293:
	global_load_ushort v7, v[10:11], off
.LBB238_2294:
	s_mov_b64 s[14:15], 0
.LBB238_2295:
	s_andn2_b64 vcc, exec, s[14:15]
	s_cbranch_vccnz .LBB238_2301
; %bb.2296:
	global_load_ubyte v5, v[10:11], off
	s_movk_i32 s14, 0x7f
	s_mov_b64 s[16:17], 0
	s_waitcnt vmcnt(0)
	v_cmp_lt_i16_e32 vcc, s14, v5
	s_and_saveexec_b64 s[14:15], vcc
	s_xor_b64 s[14:15], exec, s[14:15]
	s_cbranch_execz .LBB238_2313
; %bb.2297:
	s_movk_i32 s16, 0x80
	v_cmp_ne_u16_e32 vcc, s16, v5
	s_and_b64 s[16:17], vcc, exec
	s_andn2_saveexec_b64 s[14:15], s[14:15]
	s_cbranch_execnz .LBB238_2314
.LBB238_2298:
	s_or_b64 exec, exec, s[14:15]
	v_mov_b32_e32 v7, 0
	s_and_saveexec_b64 s[14:15], s[16:17]
	s_cbranch_execz .LBB238_2300
.LBB238_2299:
	v_lshlrev_b32_e32 v7, 24, v5
	v_and_b32_e32 v5, 0xffff, v5
	v_and_b32_e32 v8, 7, v5
	v_ffbh_u32_e32 v13, v8
	v_min_u32_e32 v13, 32, v13
	v_subrev_u32_e32 v15, 28, v13
	v_bfe_u32 v12, v5, 3, 4
	v_lshlrev_b32_e32 v5, v15, v5
	v_sub_u32_e32 v13, 29, v13
	v_and_b32_e32 v5, 7, v5
	v_cmp_eq_u32_e32 vcc, 0, v12
	v_cndmask_b32_e32 v12, v12, v13, vcc
	v_cndmask_b32_e32 v5, v8, v5, vcc
	v_mov_b32_e32 v8, 0x3b800000
	v_lshlrev_b32_e32 v5, 20, v5
	v_and_b32_e32 v7, 0x80000000, v7
	v_lshl_add_u32 v8, v12, 23, v8
	v_or3_b32 v5, v7, v8, v5
	v_cvt_i32_f32_e32 v7, v5
.LBB238_2300:
	s_or_b64 exec, exec, s[14:15]
.LBB238_2301:
	s_mov_b64 s[14:15], -1
.LBB238_2302:
	s_mov_b64 s[16:17], 0
.LBB238_2303:
	s_and_b64 vcc, exec, s[16:17]
	s_cbranch_vccz .LBB238_2334
; %bb.2304:
	s_cmp_gt_i32 s13, 22
	s_cbranch_scc0 .LBB238_2312
; %bb.2305:
	s_cmp_lt_i32 s13, 24
	s_cbranch_scc1 .LBB238_2315
; %bb.2306:
	s_cmp_gt_i32 s13, 24
	s_cbranch_scc0 .LBB238_2316
; %bb.2307:
	global_load_ubyte v5, v[10:11], off
	s_movk_i32 s10, 0x7f
	s_mov_b64 s[14:15], 0
	s_waitcnt vmcnt(0)
	v_cmp_lt_i16_e32 vcc, s10, v5
	s_and_saveexec_b64 s[10:11], vcc
	s_xor_b64 s[10:11], exec, s[10:11]
	s_cbranch_execz .LBB238_2328
; %bb.2308:
	s_movk_i32 s14, 0x80
	v_cmp_ne_u16_e32 vcc, s14, v5
	s_and_b64 s[14:15], vcc, exec
	s_andn2_saveexec_b64 s[10:11], s[10:11]
	s_cbranch_execnz .LBB238_2329
.LBB238_2309:
	s_or_b64 exec, exec, s[10:11]
	v_mov_b32_e32 v7, 0
	s_and_saveexec_b64 s[10:11], s[14:15]
	s_cbranch_execz .LBB238_2311
.LBB238_2310:
	v_lshlrev_b32_e32 v7, 24, v5
	v_and_b32_e32 v5, 0xffff, v5
	v_and_b32_e32 v8, 3, v5
	v_ffbh_u32_e32 v13, v8
	v_min_u32_e32 v13, 32, v13
	v_subrev_u32_e32 v15, 29, v13
	v_bfe_u32 v12, v5, 2, 5
	v_lshlrev_b32_e32 v5, v15, v5
	v_sub_u32_e32 v13, 30, v13
	v_and_b32_e32 v5, 3, v5
	v_cmp_eq_u32_e32 vcc, 0, v12
	v_cndmask_b32_e32 v12, v12, v13, vcc
	v_cndmask_b32_e32 v5, v8, v5, vcc
	v_mov_b32_e32 v8, 0x37800000
	v_lshlrev_b32_e32 v5, 21, v5
	v_and_b32_e32 v7, 0x80000000, v7
	v_lshl_add_u32 v8, v12, 23, v8
	v_or3_b32 v5, v7, v8, v5
	v_cvt_i32_f32_e32 v7, v5
.LBB238_2311:
	s_or_b64 exec, exec, s[10:11]
	s_mov_b64 s[10:11], 0
	s_branch .LBB238_2317
.LBB238_2312:
	s_mov_b64 s[10:11], -1
                                        ; implicit-def: $vgpr7
	s_branch .LBB238_2323
.LBB238_2313:
	s_andn2_saveexec_b64 s[14:15], s[14:15]
	s_cbranch_execz .LBB238_2298
.LBB238_2314:
	v_cmp_ne_u16_e32 vcc, 0, v5
	s_andn2_b64 s[16:17], s[16:17], exec
	s_and_b64 s[20:21], vcc, exec
	s_or_b64 s[16:17], s[16:17], s[20:21]
	s_or_b64 exec, exec, s[14:15]
	v_mov_b32_e32 v7, 0
	s_and_saveexec_b64 s[14:15], s[16:17]
	s_cbranch_execnz .LBB238_2299
	s_branch .LBB238_2300
.LBB238_2315:
	s_mov_b64 s[10:11], -1
                                        ; implicit-def: $vgpr7
	s_branch .LBB238_2320
.LBB238_2316:
	s_mov_b64 s[10:11], -1
                                        ; implicit-def: $vgpr7
.LBB238_2317:
	s_and_b64 vcc, exec, s[10:11]
	s_cbranch_vccz .LBB238_2319
; %bb.2318:
	global_load_ubyte v5, v[10:11], off
	s_mov_b32 s10, 0x7f800000
	s_waitcnt vmcnt(0)
	v_lshlrev_b32_e32 v5, 24, v5
	v_and_b32_e32 v7, 0x7f000000, v5
	v_ffbh_u32_e32 v8, v7
	v_min_u32_e32 v8, 32, v8
	v_sub_u32_e64 v8, v8, 4 clamp
	v_lshlrev_b32_e32 v13, v8, v7
	v_lshlrev_b32_e32 v8, 23, v8
	v_lshrrev_b32_e32 v13, 4, v13
	v_add_u32_e32 v12, 0x1000000, v7
	v_sub_u32_e32 v8, v13, v8
	v_ashrrev_i32_e32 v12, 8, v12
	v_add_u32_e32 v8, 0x3c000000, v8
	v_and_or_b32 v8, v12, s10, v8
	v_cmp_ne_u32_e32 vcc, 0, v7
	v_cndmask_b32_e32 v7, 0, v8, vcc
	s_brev_b32 s10, 1
	v_and_or_b32 v5, v5, s10, v7
	v_cvt_i32_f32_e32 v7, v5
.LBB238_2319:
	s_mov_b64 s[10:11], 0
.LBB238_2320:
	s_andn2_b64 vcc, exec, s[10:11]
	s_cbranch_vccnz .LBB238_2322
; %bb.2321:
	global_load_ubyte v5, v[10:11], off
	s_movk_i32 s10, 0x7f00
	s_brev_b32 s11, 16
	s_waitcnt vmcnt(0)
	v_lshlrev_b16_e32 v7, 8, v5
	v_lshlrev_b32_e32 v5, 25, v5
	v_lshrrev_b32_e32 v8, 4, v5
	v_and_or_b32 v12, v7, s10, 0.5
	v_or_b32_e32 v8, 0x70000000, v8
	v_add_f32_e32 v12, -0.5, v12
	v_mul_f32_e32 v8, 0x7800000, v8
	v_cmp_gt_u32_e32 vcc, s11, v5
	v_bfe_i32 v7, v7, 0, 16
	v_cndmask_b32_e32 v5, v8, v12, vcc
	s_brev_b32 s10, 1
	v_and_or_b32 v5, v7, s10, v5
	v_cvt_i32_f32_e32 v7, v5
.LBB238_2322:
	s_mov_b64 s[10:11], 0
	s_mov_b64 s[14:15], -1
.LBB238_2323:
	s_andn2_b64 vcc, exec, s[10:11]
	s_mov_b64 s[10:11], 0
	s_cbranch_vccnz .LBB238_2334
; %bb.2324:
	s_cmp_gt_i32 s13, 14
	s_cbranch_scc0 .LBB238_2327
; %bb.2325:
	s_cmp_eq_u32 s13, 15
	s_cbranch_scc0 .LBB238_2330
; %bb.2326:
	global_load_ushort v5, v[10:11], off
	s_mov_b64 s[0:1], 0
	s_mov_b64 s[14:15], -1
	s_waitcnt vmcnt(0)
	v_lshlrev_b32_e32 v5, 16, v5
	v_cvt_i32_f32_e32 v7, v5
	s_branch .LBB238_2331
.LBB238_2327:
	s_mov_b64 s[16:17], -1
                                        ; implicit-def: $vgpr7
	s_branch .LBB238_2332
.LBB238_2328:
	s_andn2_saveexec_b64 s[10:11], s[10:11]
	s_cbranch_execz .LBB238_2309
.LBB238_2329:
	v_cmp_ne_u16_e32 vcc, 0, v5
	s_andn2_b64 s[14:15], s[14:15], exec
	s_and_b64 s[16:17], vcc, exec
	s_or_b64 s[14:15], s[14:15], s[16:17]
	s_or_b64 exec, exec, s[10:11]
	v_mov_b32_e32 v7, 0
	s_and_saveexec_b64 s[10:11], s[14:15]
	s_cbranch_execnz .LBB238_2310
	s_branch .LBB238_2311
.LBB238_2330:
	s_mov_b64 s[0:1], -1
                                        ; implicit-def: $vgpr7
.LBB238_2331:
	s_mov_b64 s[16:17], 0
.LBB238_2332:
	s_and_b64 vcc, exec, s[16:17]
	s_cbranch_vccz .LBB238_2334
; %bb.2333:
	s_cmp_lg_u32 s13, 11
	s_mov_b64 s[10:11], -1
	s_cselect_b64 s[0:1], -1, 0
.LBB238_2334:
	s_and_b64 vcc, exec, s[0:1]
	s_cbranch_vccnz .LBB238_2399
; %bb.2335:
	s_andn2_b64 vcc, exec, s[10:11]
	s_cbranch_vccnz .LBB238_2337
.LBB238_2336:
	global_load_ubyte v5, v[10:11], off
	s_mov_b64 s[14:15], -1
	s_waitcnt vmcnt(0)
	v_cmp_ne_u16_e32 vcc, 0, v5
	v_cndmask_b32_e64 v7, 0, 1, vcc
.LBB238_2337:
	s_mov_b64 s[0:1], 0
.LBB238_2338:
	s_and_b64 vcc, exec, s[0:1]
	s_cbranch_vccz .LBB238_2387
; %bb.2339:
	s_and_b32 s10, 0xffff, s24
	s_cmp_lt_i32 s10, 5
	s_cbranch_scc1 .LBB238_2344
; %bb.2340:
	s_cmp_lt_i32 s10, 8
	s_cbranch_scc1 .LBB238_2345
; %bb.2341:
	;; [unrolled: 3-line block ×3, first 2 shown]
	s_cmp_gt_i32 s10, 9
	s_cbranch_scc0 .LBB238_2347
; %bb.2343:
	global_load_dwordx2 v[7:8], v[10:11], off
	s_mov_b64 s[0:1], 0
	s_waitcnt vmcnt(0)
	v_cvt_i32_f64_e32 v7, v[7:8]
	s_branch .LBB238_2348
.LBB238_2344:
	s_mov_b64 s[0:1], -1
                                        ; implicit-def: $vgpr7
	s_branch .LBB238_2366
.LBB238_2345:
	s_mov_b64 s[0:1], -1
                                        ; implicit-def: $vgpr7
	s_branch .LBB238_2354
.LBB238_2346:
	s_mov_b64 s[0:1], -1
                                        ; implicit-def: $vgpr7
	s_branch .LBB238_2351
.LBB238_2347:
	s_mov_b64 s[0:1], -1
                                        ; implicit-def: $vgpr7
.LBB238_2348:
	s_andn2_b64 vcc, exec, s[0:1]
	s_cbranch_vccnz .LBB238_2350
; %bb.2349:
	global_load_dword v5, v[10:11], off
	s_waitcnt vmcnt(0)
	v_cvt_i32_f32_e32 v7, v5
.LBB238_2350:
	s_mov_b64 s[0:1], 0
.LBB238_2351:
	s_andn2_b64 vcc, exec, s[0:1]
	s_cbranch_vccnz .LBB238_2353
; %bb.2352:
	global_load_dword v5, v[10:11], off
	s_waitcnt vmcnt(0)
	v_cvt_i16_f16_e32 v7, v5
.LBB238_2353:
	s_mov_b64 s[0:1], 0
.LBB238_2354:
	s_andn2_b64 vcc, exec, s[0:1]
	s_cbranch_vccnz .LBB238_2365
; %bb.2355:
	s_cmp_lt_i32 s10, 6
	s_cbranch_scc1 .LBB238_2358
; %bb.2356:
	s_cmp_gt_i32 s10, 6
	s_cbranch_scc0 .LBB238_2359
; %bb.2357:
	global_load_dwordx2 v[7:8], v[10:11], off
	s_mov_b64 s[0:1], 0
	s_waitcnt vmcnt(0)
	v_cvt_i32_f64_e32 v7, v[7:8]
	s_branch .LBB238_2360
.LBB238_2358:
	s_mov_b64 s[0:1], -1
                                        ; implicit-def: $vgpr7
	s_branch .LBB238_2363
.LBB238_2359:
	s_mov_b64 s[0:1], -1
                                        ; implicit-def: $vgpr7
.LBB238_2360:
	s_andn2_b64 vcc, exec, s[0:1]
	s_cbranch_vccnz .LBB238_2362
; %bb.2361:
	global_load_dword v5, v[10:11], off
	s_waitcnt vmcnt(0)
	v_cvt_i32_f32_e32 v7, v5
.LBB238_2362:
	s_mov_b64 s[0:1], 0
.LBB238_2363:
	s_andn2_b64 vcc, exec, s[0:1]
	s_cbranch_vccnz .LBB238_2365
; %bb.2364:
	global_load_ushort v5, v[10:11], off
	s_waitcnt vmcnt(0)
	v_cvt_i16_f16_e32 v7, v5
.LBB238_2365:
	s_mov_b64 s[0:1], 0
.LBB238_2366:
	s_andn2_b64 vcc, exec, s[0:1]
	s_cbranch_vccnz .LBB238_2386
; %bb.2367:
	s_cmp_lt_i32 s10, 2
	s_cbranch_scc1 .LBB238_2371
; %bb.2368:
	s_cmp_lt_i32 s10, 3
	s_cbranch_scc1 .LBB238_2372
; %bb.2369:
	s_cmp_gt_i32 s10, 3
	s_cbranch_scc0 .LBB238_2373
; %bb.2370:
	global_load_dwordx2 v[7:8], v[10:11], off
	s_mov_b64 s[0:1], 0
	s_branch .LBB238_2374
.LBB238_2371:
	s_mov_b64 s[0:1], -1
                                        ; implicit-def: $vgpr7
	s_branch .LBB238_2380
.LBB238_2372:
	s_mov_b64 s[0:1], -1
                                        ; implicit-def: $vgpr7
	s_branch .LBB238_2377
.LBB238_2373:
	s_mov_b64 s[0:1], -1
                                        ; implicit-def: $vgpr7
.LBB238_2374:
	s_andn2_b64 vcc, exec, s[0:1]
	s_cbranch_vccnz .LBB238_2376
; %bb.2375:
	global_load_dword v7, v[10:11], off
.LBB238_2376:
	s_mov_b64 s[0:1], 0
.LBB238_2377:
	s_andn2_b64 vcc, exec, s[0:1]
	s_cbranch_vccnz .LBB238_2379
; %bb.2378:
	global_load_ushort v7, v[10:11], off
.LBB238_2379:
	s_mov_b64 s[0:1], 0
.LBB238_2380:
	s_andn2_b64 vcc, exec, s[0:1]
	s_cbranch_vccnz .LBB238_2386
; %bb.2381:
	s_cmp_gt_i32 s10, 0
	s_cbranch_scc0 .LBB238_2383
; %bb.2382:
	global_load_sbyte v7, v[10:11], off
	s_mov_b64 s[0:1], 0
	s_branch .LBB238_2384
.LBB238_2383:
	s_mov_b64 s[0:1], -1
                                        ; implicit-def: $vgpr7
.LBB238_2384:
	s_andn2_b64 vcc, exec, s[0:1]
	s_cbranch_vccnz .LBB238_2386
; %bb.2385:
	global_load_ubyte v7, v[10:11], off
.LBB238_2386:
	s_mov_b64 s[14:15], -1
.LBB238_2387:
	s_andn2_b64 vcc, exec, s[14:15]
	s_cbranch_vccnz .LBB238_2947
; %bb.2388:
	v_add_u32_e32 v2, s22, v2
	v_ashrrev_i32_e32 v5, 31, v2
	s_waitcnt vmcnt(0)
	v_mov_b32_e32 v8, s3
	v_add_co_u32_e32 v12, vcc, s2, v2
	s_cmp_lt_i32 s25, 11
	v_addc_co_u32_e32 v13, vcc, v8, v5, vcc
	s_cbranch_scc1 .LBB238_2395
; %bb.2389:
	s_and_b32 s13, 0xffff, s25
	s_cmp_gt_i32 s13, 25
	s_mov_b64 s[2:3], 0
	s_cbranch_scc0 .LBB238_2396
; %bb.2390:
	s_cmp_gt_i32 s13, 28
	s_cbranch_scc0 .LBB238_2397
; %bb.2391:
	s_cmp_gt_i32 s13, 43
	s_cbranch_scc0 .LBB238_2398
; %bb.2392:
	s_cmp_gt_i32 s13, 45
	s_cbranch_scc0 .LBB238_2400
; %bb.2393:
	s_cmp_eq_u32 s13, 46
	s_mov_b64 s[14:15], 0
	s_cbranch_scc0 .LBB238_2401
; %bb.2394:
	global_load_dword v2, v[12:13], off
	s_mov_b64 s[0:1], 0
	s_mov_b64 s[10:11], -1
	s_waitcnt vmcnt(0)
	v_lshlrev_b32_e32 v2, 16, v2
	v_cvt_i32_f32_e32 v10, v2
	s_branch .LBB238_2402
.LBB238_2395:
	s_mov_b64 s[0:1], -1
	s_mov_b64 s[10:11], 0
                                        ; implicit-def: $vgpr10
	s_branch .LBB238_2464
.LBB238_2396:
	s_mov_b64 s[14:15], -1
	s_mov_b64 s[10:11], 0
	s_mov_b64 s[0:1], 0
                                        ; implicit-def: $vgpr10
	s_branch .LBB238_2429
.LBB238_2397:
	s_mov_b64 s[14:15], -1
	s_mov_b64 s[10:11], 0
	s_mov_b64 s[0:1], 0
                                        ; implicit-def: $vgpr10
	s_branch .LBB238_2412
.LBB238_2398:
	s_mov_b64 s[14:15], -1
	s_mov_b64 s[10:11], 0
	s_mov_b64 s[0:1], 0
                                        ; implicit-def: $vgpr10
	s_branch .LBB238_2407
.LBB238_2399:
	s_trap 2
	s_or_b64 s[18:19], s[18:19], exec
	s_cbranch_execz .LBB238_2336
	s_branch .LBB238_2337
.LBB238_2400:
	s_mov_b64 s[14:15], -1
	s_mov_b64 s[10:11], 0
	s_mov_b64 s[0:1], 0
                                        ; implicit-def: $vgpr10
	s_branch .LBB238_2402
.LBB238_2401:
	s_mov_b64 s[0:1], -1
                                        ; implicit-def: $vgpr10
	s_mov_b64 s[10:11], 0
.LBB238_2402:
	s_and_b64 vcc, exec, s[14:15]
	s_cbranch_vccz .LBB238_2406
; %bb.2403:
	s_cmp_eq_u32 s13, 44
	s_cbranch_scc0 .LBB238_2405
; %bb.2404:
	global_load_ubyte v2, v[12:13], off
	s_mov_b64 s[0:1], 0
	s_mov_b64 s[10:11], -1
	s_waitcnt vmcnt(0)
	v_lshlrev_b32_e32 v5, 23, v2
	v_cvt_i32_f32_e32 v5, v5
	v_cmp_ne_u32_e32 vcc, 0, v2
	v_cndmask_b32_e32 v10, 0, v5, vcc
	s_branch .LBB238_2406
.LBB238_2405:
	s_mov_b64 s[0:1], -1
                                        ; implicit-def: $vgpr10
.LBB238_2406:
	s_mov_b64 s[14:15], 0
.LBB238_2407:
	s_and_b64 vcc, exec, s[14:15]
	s_cbranch_vccz .LBB238_2411
; %bb.2408:
	s_cmp_eq_u32 s13, 29
	s_cbranch_scc0 .LBB238_2410
; %bb.2409:
	global_load_dwordx2 v[10:11], v[12:13], off
	s_mov_b64 s[0:1], 0
	s_mov_b64 s[10:11], -1
	s_branch .LBB238_2411
.LBB238_2410:
	s_mov_b64 s[0:1], -1
                                        ; implicit-def: $vgpr10
.LBB238_2411:
	s_mov_b64 s[14:15], 0
.LBB238_2412:
	s_and_b64 vcc, exec, s[14:15]
	s_cbranch_vccz .LBB238_2428
; %bb.2413:
	s_cmp_lt_i32 s13, 27
	s_cbranch_scc1 .LBB238_2416
; %bb.2414:
	s_cmp_gt_i32 s13, 27
	s_cbranch_scc0 .LBB238_2417
; %bb.2415:
	global_load_dword v10, v[12:13], off
	s_mov_b64 s[10:11], 0
	s_branch .LBB238_2418
.LBB238_2416:
	s_mov_b64 s[10:11], -1
                                        ; implicit-def: $vgpr10
	s_branch .LBB238_2421
.LBB238_2417:
	s_mov_b64 s[10:11], -1
                                        ; implicit-def: $vgpr10
.LBB238_2418:
	s_andn2_b64 vcc, exec, s[10:11]
	s_cbranch_vccnz .LBB238_2420
; %bb.2419:
	global_load_ushort v10, v[12:13], off
.LBB238_2420:
	s_mov_b64 s[10:11], 0
.LBB238_2421:
	s_andn2_b64 vcc, exec, s[10:11]
	s_cbranch_vccnz .LBB238_2427
; %bb.2422:
	global_load_ubyte v2, v[12:13], off
	s_movk_i32 s10, 0x7f
	s_mov_b64 s[14:15], 0
	s_waitcnt vmcnt(0)
	v_cmp_lt_i16_e32 vcc, s10, v2
	s_and_saveexec_b64 s[10:11], vcc
	s_xor_b64 s[10:11], exec, s[10:11]
	s_cbranch_execz .LBB238_2439
; %bb.2423:
	s_movk_i32 s14, 0x80
	v_cmp_ne_u16_e32 vcc, s14, v2
	s_and_b64 s[14:15], vcc, exec
	s_andn2_saveexec_b64 s[10:11], s[10:11]
	s_cbranch_execnz .LBB238_2440
.LBB238_2424:
	s_or_b64 exec, exec, s[10:11]
	v_mov_b32_e32 v10, 0
	s_and_saveexec_b64 s[10:11], s[14:15]
	s_cbranch_execz .LBB238_2426
.LBB238_2425:
	v_lshlrev_b32_e32 v5, 24, v2
	v_and_b32_e32 v2, 0xffff, v2
	v_and_b32_e32 v8, 7, v2
	v_ffbh_u32_e32 v11, v8
	v_min_u32_e32 v11, 32, v11
	v_subrev_u32_e32 v15, 28, v11
	v_bfe_u32 v10, v2, 3, 4
	v_lshlrev_b32_e32 v2, v15, v2
	v_sub_u32_e32 v11, 29, v11
	v_and_b32_e32 v2, 7, v2
	v_cmp_eq_u32_e32 vcc, 0, v10
	v_cndmask_b32_e32 v10, v10, v11, vcc
	v_cndmask_b32_e32 v2, v8, v2, vcc
	v_mov_b32_e32 v8, 0x3b800000
	v_lshlrev_b32_e32 v2, 20, v2
	v_and_b32_e32 v5, 0x80000000, v5
	v_lshl_add_u32 v8, v10, 23, v8
	v_or3_b32 v2, v5, v8, v2
	v_cvt_i32_f32_e32 v10, v2
.LBB238_2426:
	s_or_b64 exec, exec, s[10:11]
.LBB238_2427:
	s_mov_b64 s[10:11], -1
.LBB238_2428:
	s_mov_b64 s[14:15], 0
.LBB238_2429:
	s_and_b64 vcc, exec, s[14:15]
	s_cbranch_vccz .LBB238_2460
; %bb.2430:
	s_cmp_gt_i32 s13, 22
	s_cbranch_scc0 .LBB238_2438
; %bb.2431:
	s_cmp_lt_i32 s13, 24
	s_cbranch_scc1 .LBB238_2441
; %bb.2432:
	s_cmp_gt_i32 s13, 24
	s_cbranch_scc0 .LBB238_2442
; %bb.2433:
	global_load_ubyte v2, v[12:13], off
	s_movk_i32 s2, 0x7f
	s_mov_b64 s[10:11], 0
	s_waitcnt vmcnt(0)
	v_cmp_lt_i16_e32 vcc, s2, v2
	s_and_saveexec_b64 s[2:3], vcc
	s_xor_b64 s[2:3], exec, s[2:3]
	s_cbranch_execz .LBB238_2454
; %bb.2434:
	s_movk_i32 s10, 0x80
	v_cmp_ne_u16_e32 vcc, s10, v2
	s_and_b64 s[10:11], vcc, exec
	s_andn2_saveexec_b64 s[2:3], s[2:3]
	s_cbranch_execnz .LBB238_2455
.LBB238_2435:
	s_or_b64 exec, exec, s[2:3]
	v_mov_b32_e32 v10, 0
	s_and_saveexec_b64 s[2:3], s[10:11]
	s_cbranch_execz .LBB238_2437
.LBB238_2436:
	v_lshlrev_b32_e32 v5, 24, v2
	v_and_b32_e32 v2, 0xffff, v2
	v_and_b32_e32 v8, 3, v2
	v_ffbh_u32_e32 v11, v8
	v_min_u32_e32 v11, 32, v11
	v_subrev_u32_e32 v15, 29, v11
	v_bfe_u32 v10, v2, 2, 5
	v_lshlrev_b32_e32 v2, v15, v2
	v_sub_u32_e32 v11, 30, v11
	v_and_b32_e32 v2, 3, v2
	v_cmp_eq_u32_e32 vcc, 0, v10
	v_cndmask_b32_e32 v10, v10, v11, vcc
	v_cndmask_b32_e32 v2, v8, v2, vcc
	v_mov_b32_e32 v8, 0x37800000
	v_lshlrev_b32_e32 v2, 21, v2
	v_and_b32_e32 v5, 0x80000000, v5
	v_lshl_add_u32 v8, v10, 23, v8
	v_or3_b32 v2, v5, v8, v2
	v_cvt_i32_f32_e32 v10, v2
.LBB238_2437:
	s_or_b64 exec, exec, s[2:3]
	s_mov_b64 s[2:3], 0
	s_branch .LBB238_2443
.LBB238_2438:
	s_mov_b64 s[2:3], -1
                                        ; implicit-def: $vgpr10
	s_branch .LBB238_2449
.LBB238_2439:
	s_andn2_saveexec_b64 s[10:11], s[10:11]
	s_cbranch_execz .LBB238_2424
.LBB238_2440:
	v_cmp_ne_u16_e32 vcc, 0, v2
	s_andn2_b64 s[14:15], s[14:15], exec
	s_and_b64 s[16:17], vcc, exec
	s_or_b64 s[14:15], s[14:15], s[16:17]
	s_or_b64 exec, exec, s[10:11]
	v_mov_b32_e32 v10, 0
	s_and_saveexec_b64 s[10:11], s[14:15]
	s_cbranch_execnz .LBB238_2425
	s_branch .LBB238_2426
.LBB238_2441:
	s_mov_b64 s[2:3], -1
                                        ; implicit-def: $vgpr10
	s_branch .LBB238_2446
.LBB238_2442:
	s_mov_b64 s[2:3], -1
                                        ; implicit-def: $vgpr10
.LBB238_2443:
	s_and_b64 vcc, exec, s[2:3]
	s_cbranch_vccz .LBB238_2445
; %bb.2444:
	global_load_ubyte v2, v[12:13], off
	s_mov_b32 s2, 0x7f800000
	s_waitcnt vmcnt(0)
	v_lshlrev_b32_e32 v2, 24, v2
	v_and_b32_e32 v5, 0x7f000000, v2
	v_ffbh_u32_e32 v8, v5
	v_min_u32_e32 v8, 32, v8
	v_sub_u32_e64 v8, v8, 4 clamp
	v_lshlrev_b32_e32 v11, v8, v5
	v_lshlrev_b32_e32 v8, 23, v8
	v_lshrrev_b32_e32 v11, 4, v11
	v_add_u32_e32 v10, 0x1000000, v5
	v_sub_u32_e32 v8, v11, v8
	v_ashrrev_i32_e32 v10, 8, v10
	v_add_u32_e32 v8, 0x3c000000, v8
	v_and_or_b32 v8, v10, s2, v8
	v_cmp_ne_u32_e32 vcc, 0, v5
	v_cndmask_b32_e32 v5, 0, v8, vcc
	s_brev_b32 s2, 1
	v_and_or_b32 v2, v2, s2, v5
	v_cvt_i32_f32_e32 v10, v2
.LBB238_2445:
	s_mov_b64 s[2:3], 0
.LBB238_2446:
	s_andn2_b64 vcc, exec, s[2:3]
	s_cbranch_vccnz .LBB238_2448
; %bb.2447:
	global_load_ubyte v2, v[12:13], off
	s_movk_i32 s2, 0x7f00
	s_brev_b32 s3, 16
	s_waitcnt vmcnt(0)
	v_lshlrev_b16_e32 v5, 8, v2
	v_lshlrev_b32_e32 v2, 25, v2
	v_lshrrev_b32_e32 v8, 4, v2
	v_and_or_b32 v10, v5, s2, 0.5
	v_or_b32_e32 v8, 0x70000000, v8
	v_add_f32_e32 v10, -0.5, v10
	v_mul_f32_e32 v8, 0x7800000, v8
	v_cmp_gt_u32_e32 vcc, s3, v2
	v_bfe_i32 v5, v5, 0, 16
	v_cndmask_b32_e32 v2, v8, v10, vcc
	s_brev_b32 s2, 1
	v_and_or_b32 v2, v5, s2, v2
	v_cvt_i32_f32_e32 v10, v2
.LBB238_2448:
	s_mov_b64 s[2:3], 0
	s_mov_b64 s[10:11], -1
.LBB238_2449:
	s_andn2_b64 vcc, exec, s[2:3]
	s_mov_b64 s[2:3], 0
	s_cbranch_vccnz .LBB238_2460
; %bb.2450:
	s_cmp_gt_i32 s13, 14
	s_cbranch_scc0 .LBB238_2453
; %bb.2451:
	s_cmp_eq_u32 s13, 15
	s_cbranch_scc0 .LBB238_2456
; %bb.2452:
	global_load_ushort v2, v[12:13], off
	s_mov_b64 s[0:1], 0
	s_mov_b64 s[10:11], -1
	s_waitcnt vmcnt(0)
	v_lshlrev_b32_e32 v2, 16, v2
	v_cvt_i32_f32_e32 v10, v2
	s_branch .LBB238_2457
.LBB238_2453:
	s_mov_b64 s[14:15], -1
                                        ; implicit-def: $vgpr10
	s_branch .LBB238_2458
.LBB238_2454:
	s_andn2_saveexec_b64 s[2:3], s[2:3]
	s_cbranch_execz .LBB238_2435
.LBB238_2455:
	v_cmp_ne_u16_e32 vcc, 0, v2
	s_andn2_b64 s[10:11], s[10:11], exec
	s_and_b64 s[14:15], vcc, exec
	s_or_b64 s[10:11], s[10:11], s[14:15]
	s_or_b64 exec, exec, s[2:3]
	v_mov_b32_e32 v10, 0
	s_and_saveexec_b64 s[2:3], s[10:11]
	s_cbranch_execnz .LBB238_2436
	s_branch .LBB238_2437
.LBB238_2456:
	s_mov_b64 s[0:1], -1
                                        ; implicit-def: $vgpr10
.LBB238_2457:
	s_mov_b64 s[14:15], 0
.LBB238_2458:
	s_and_b64 vcc, exec, s[14:15]
	s_cbranch_vccz .LBB238_2460
; %bb.2459:
	s_cmp_lg_u32 s13, 11
	s_mov_b64 s[2:3], -1
	s_cselect_b64 s[0:1], -1, 0
.LBB238_2460:
	s_and_b64 vcc, exec, s[0:1]
	s_cbranch_vccnz .LBB238_2993
; %bb.2461:
	s_andn2_b64 vcc, exec, s[2:3]
	s_cbranch_vccnz .LBB238_2463
.LBB238_2462:
	global_load_ubyte v2, v[12:13], off
	s_mov_b64 s[10:11], -1
	s_waitcnt vmcnt(0)
	v_cmp_ne_u16_e32 vcc, 0, v2
	v_cndmask_b32_e64 v10, 0, 1, vcc
.LBB238_2463:
	s_mov_b64 s[0:1], 0
.LBB238_2464:
	s_and_b64 vcc, exec, s[0:1]
	s_cbranch_vccz .LBB238_2513
; %bb.2465:
	s_and_b32 s2, 0xffff, s25
	s_cmp_lt_i32 s2, 5
	s_cbranch_scc1 .LBB238_2470
; %bb.2466:
	s_cmp_lt_i32 s2, 8
	s_cbranch_scc1 .LBB238_2471
; %bb.2467:
	;; [unrolled: 3-line block ×3, first 2 shown]
	s_cmp_gt_i32 s2, 9
	s_cbranch_scc0 .LBB238_2473
; %bb.2469:
	global_load_dwordx2 v[10:11], v[12:13], off
	s_mov_b64 s[0:1], 0
	s_waitcnt vmcnt(0)
	v_cvt_i32_f64_e32 v10, v[10:11]
	s_branch .LBB238_2474
.LBB238_2470:
	s_mov_b64 s[0:1], -1
                                        ; implicit-def: $vgpr10
	s_branch .LBB238_2492
.LBB238_2471:
	s_mov_b64 s[0:1], -1
                                        ; implicit-def: $vgpr10
	s_branch .LBB238_2480
.LBB238_2472:
	s_mov_b64 s[0:1], -1
                                        ; implicit-def: $vgpr10
	s_branch .LBB238_2477
.LBB238_2473:
	s_mov_b64 s[0:1], -1
                                        ; implicit-def: $vgpr10
.LBB238_2474:
	s_andn2_b64 vcc, exec, s[0:1]
	s_cbranch_vccnz .LBB238_2476
; %bb.2475:
	global_load_dword v2, v[12:13], off
	s_waitcnt vmcnt(0)
	v_cvt_i32_f32_e32 v10, v2
.LBB238_2476:
	s_mov_b64 s[0:1], 0
.LBB238_2477:
	s_andn2_b64 vcc, exec, s[0:1]
	s_cbranch_vccnz .LBB238_2479
; %bb.2478:
	global_load_dword v2, v[12:13], off
	s_waitcnt vmcnt(0)
	v_cvt_i16_f16_e32 v10, v2
.LBB238_2479:
	s_mov_b64 s[0:1], 0
.LBB238_2480:
	s_andn2_b64 vcc, exec, s[0:1]
	s_cbranch_vccnz .LBB238_2491
; %bb.2481:
	s_cmp_lt_i32 s2, 6
	s_cbranch_scc1 .LBB238_2484
; %bb.2482:
	s_cmp_gt_i32 s2, 6
	s_cbranch_scc0 .LBB238_2485
; %bb.2483:
	global_load_dwordx2 v[10:11], v[12:13], off
	s_mov_b64 s[0:1], 0
	s_waitcnt vmcnt(0)
	v_cvt_i32_f64_e32 v10, v[10:11]
	s_branch .LBB238_2486
.LBB238_2484:
	s_mov_b64 s[0:1], -1
                                        ; implicit-def: $vgpr10
	s_branch .LBB238_2489
.LBB238_2485:
	s_mov_b64 s[0:1], -1
                                        ; implicit-def: $vgpr10
.LBB238_2486:
	s_andn2_b64 vcc, exec, s[0:1]
	s_cbranch_vccnz .LBB238_2488
; %bb.2487:
	global_load_dword v2, v[12:13], off
	s_waitcnt vmcnt(0)
	v_cvt_i32_f32_e32 v10, v2
.LBB238_2488:
	s_mov_b64 s[0:1], 0
.LBB238_2489:
	s_andn2_b64 vcc, exec, s[0:1]
	s_cbranch_vccnz .LBB238_2491
; %bb.2490:
	global_load_ushort v2, v[12:13], off
	s_waitcnt vmcnt(0)
	v_cvt_i16_f16_e32 v10, v2
.LBB238_2491:
	s_mov_b64 s[0:1], 0
.LBB238_2492:
	s_andn2_b64 vcc, exec, s[0:1]
	s_cbranch_vccnz .LBB238_2512
; %bb.2493:
	s_cmp_lt_i32 s2, 2
	s_cbranch_scc1 .LBB238_2497
; %bb.2494:
	s_cmp_lt_i32 s2, 3
	s_cbranch_scc1 .LBB238_2498
; %bb.2495:
	s_cmp_gt_i32 s2, 3
	s_cbranch_scc0 .LBB238_2499
; %bb.2496:
	global_load_dwordx2 v[10:11], v[12:13], off
	s_mov_b64 s[0:1], 0
	s_branch .LBB238_2500
.LBB238_2497:
	s_mov_b64 s[0:1], -1
                                        ; implicit-def: $vgpr10
	s_branch .LBB238_2506
.LBB238_2498:
	s_mov_b64 s[0:1], -1
                                        ; implicit-def: $vgpr10
	s_branch .LBB238_2503
.LBB238_2499:
	s_mov_b64 s[0:1], -1
                                        ; implicit-def: $vgpr10
.LBB238_2500:
	s_andn2_b64 vcc, exec, s[0:1]
	s_cbranch_vccnz .LBB238_2502
; %bb.2501:
	global_load_dword v10, v[12:13], off
.LBB238_2502:
	s_mov_b64 s[0:1], 0
.LBB238_2503:
	s_andn2_b64 vcc, exec, s[0:1]
	s_cbranch_vccnz .LBB238_2505
; %bb.2504:
	global_load_ushort v10, v[12:13], off
.LBB238_2505:
	s_mov_b64 s[0:1], 0
.LBB238_2506:
	s_andn2_b64 vcc, exec, s[0:1]
	s_cbranch_vccnz .LBB238_2512
; %bb.2507:
	s_cmp_gt_i32 s2, 0
	s_cbranch_scc0 .LBB238_2509
; %bb.2508:
	global_load_sbyte v10, v[12:13], off
	s_mov_b64 s[0:1], 0
	s_branch .LBB238_2510
.LBB238_2509:
	s_mov_b64 s[0:1], -1
                                        ; implicit-def: $vgpr10
.LBB238_2510:
	s_andn2_b64 vcc, exec, s[0:1]
	s_cbranch_vccnz .LBB238_2512
; %bb.2511:
	global_load_ubyte v10, v[12:13], off
.LBB238_2512:
	s_mov_b64 s[10:11], -1
.LBB238_2513:
	s_andn2_b64 vcc, exec, s[10:11]
	s_cbranch_vccnz .LBB238_2947
; %bb.2514:
	v_mul_lo_u32 v5, s12, v14
	v_ashrrev_i16_e32 v2, 15, v0
	v_ashrrev_i32_sdwa v0, v3, sext(v0) dst_sel:DWORD dst_unused:UNUSED_PAD src0_sel:WORD_0 src1_sel:WORD_0
	v_cmp_lt_u16_e32 vcc, 14, v3
	v_cndmask_b32_e32 v0, v0, v2, vcc
	v_ashrrev_i32_e32 v3, 31, v5
	v_mov_b32_e32 v8, s9
	s_and_b32 s20, s33, 0xff
	v_add_co_u32_e32 v2, vcc, s8, v5
	s_cmp_lt_i32 s20, 11
	v_addc_co_u32_e32 v3, vcc, v8, v3, vcc
	s_cbranch_scc1 .LBB238_2592
; %bb.2515:
	s_and_b32 s13, 0xffff, s20
	s_mov_b64 s[14:15], -1
	s_mov_b64 s[2:3], 0
	s_cmp_gt_i32 s13, 25
	s_mov_b64 s[10:11], 0
	s_mov_b64 s[0:1], 0
	s_cbranch_scc0 .LBB238_2548
; %bb.2516:
	s_cmp_gt_i32 s13, 28
	s_cbranch_scc0 .LBB238_2531
; %bb.2517:
	s_cmp_gt_i32 s13, 43
	;; [unrolled: 3-line block ×3, first 2 shown]
	s_cbranch_scc0 .LBB238_2521
; %bb.2519:
	s_mov_b64 s[0:1], -1
	s_mov_b64 s[14:15], 0
	s_cmp_eq_u32 s13, 46
	s_cbranch_scc0 .LBB238_2521
; %bb.2520:
	v_cvt_f32_i32_sdwa v8, sext(v0) dst_sel:DWORD dst_unused:UNUSED_PAD src0_sel:WORD_0
	s_movk_i32 s10, 0x7fff
	s_mov_b64 s[0:1], 0
	s_waitcnt vmcnt(0)
	v_bfe_u32 v11, v8, 16, 1
	v_add3_u32 v8, v8, v11, s10
	v_lshrrev_b32_e32 v8, 16, v8
	global_store_dword v[2:3], v8, off
	s_mov_b64 s[10:11], -1
.LBB238_2521:
	s_and_b64 vcc, exec, s[14:15]
	s_cbranch_vccz .LBB238_2526
; %bb.2522:
	s_cmp_eq_u32 s13, 44
	s_mov_b64 s[0:1], -1
	s_cbranch_scc0 .LBB238_2526
; %bb.2523:
	v_cvt_f32_i32_sdwa v8, sext(v0) dst_sel:DWORD dst_unused:UNUSED_PAD src0_sel:WORD_0
	s_movk_i32 s0, 0xff
	v_mov_b32_e32 v12, 0xff
	s_waitcnt vmcnt(0)
	v_bfe_u32 v11, v8, 23, 8
	v_cmp_ne_u32_e32 vcc, s0, v11
	s_and_saveexec_b64 s[10:11], vcc
; %bb.2524:
	s_mov_b32 s0, 0x3fffff
	v_lshrrev_b32_e32 v12, 23, v8
	v_and_b32_e32 v13, 0x400000, v8
	v_and_or_b32 v8, v8, s0, v11
	v_cmp_ne_u32_e32 vcc, 0, v13
	v_cmp_ne_u32_e64 s[0:1], 0, v8
	s_and_b64 s[0:1], vcc, s[0:1]
	v_cndmask_b32_e64 v8, 0, 1, s[0:1]
	v_add_u32_e32 v12, v12, v8
; %bb.2525:
	s_or_b64 exec, exec, s[10:11]
	s_mov_b64 s[0:1], 0
	s_mov_b64 s[10:11], -1
	global_store_byte v[2:3], v12, off
.LBB238_2526:
	s_mov_b64 s[14:15], 0
.LBB238_2527:
	s_and_b64 vcc, exec, s[14:15]
	s_cbranch_vccz .LBB238_2530
; %bb.2528:
	s_cmp_eq_u32 s13, 29
	s_mov_b64 s[0:1], -1
	s_cbranch_scc0 .LBB238_2530
; %bb.2529:
	s_waitcnt vmcnt(0)
	v_bfe_i32 v11, v0, 0, 16
	v_ashrrev_i32_e32 v12, 31, v11
	global_store_dwordx2 v[2:3], v[11:12], off
	s_mov_b64 s[0:1], 0
	s_mov_b64 s[10:11], -1
.LBB238_2530:
	s_mov_b64 s[14:15], 0
.LBB238_2531:
	s_and_b64 vcc, exec, s[14:15]
	s_cbranch_vccz .LBB238_2547
; %bb.2532:
	s_cmp_lt_i32 s13, 27
	s_mov_b64 s[10:11], -1
	s_cbranch_scc1 .LBB238_2538
; %bb.2533:
	s_cmp_gt_i32 s13, 27
	s_cbranch_scc0 .LBB238_2535
; %bb.2534:
	v_bfe_i32 v8, v0, 0, 16
	s_mov_b64 s[10:11], 0
	global_store_dword v[2:3], v8, off
.LBB238_2535:
	s_andn2_b64 vcc, exec, s[10:11]
	s_cbranch_vccnz .LBB238_2537
; %bb.2536:
	global_store_short v[2:3], v0, off
.LBB238_2537:
	s_mov_b64 s[10:11], 0
.LBB238_2538:
	s_andn2_b64 vcc, exec, s[10:11]
	s_cbranch_vccnz .LBB238_2546
; %bb.2539:
	v_cvt_f32_i32_sdwa v8, sext(v0) dst_sel:DWORD dst_unused:UNUSED_PAD src0_sel:WORD_0
	s_mov_b32 s10, 0x43800000
	v_mov_b32_e32 v12, 0x80
	s_waitcnt vmcnt(0)
	v_and_b32_e32 v11, 0x7fffffff, v8
	v_cmp_gt_u32_e32 vcc, s10, v11
	s_and_saveexec_b64 s[10:11], vcc
	s_cbranch_execz .LBB238_2545
; %bb.2540:
	s_mov_b32 s14, 0x3bffffff
	v_cmp_lt_u32_e32 vcc, s14, v11
	s_mov_b64 s[14:15], 0
                                        ; implicit-def: $vgpr11
	s_and_saveexec_b64 s[16:17], vcc
	s_xor_b64 s[16:17], exec, s[16:17]
	s_cbranch_execz .LBB238_2994
; %bb.2541:
	v_bfe_u32 v11, v8, 20, 1
	s_mov_b32 s21, 0x487ffff
	v_add3_u32 v11, v8, v11, s21
	s_mov_b64 s[14:15], exec
	v_lshrrev_b32_e32 v11, 20, v11
	s_andn2_saveexec_b64 s[16:17], s[16:17]
	s_cbranch_execnz .LBB238_2995
.LBB238_2542:
	s_or_b64 exec, exec, s[16:17]
	v_mov_b32_e32 v12, 0
	s_and_saveexec_b64 s[16:17], s[14:15]
.LBB238_2543:
	v_lshrrev_b32_e32 v8, 24, v8
	s_movk_i32 s14, 0x80
	v_and_or_b32 v12, v8, s14, v11
.LBB238_2544:
	s_or_b64 exec, exec, s[16:17]
.LBB238_2545:
	s_or_b64 exec, exec, s[10:11]
	global_store_byte v[2:3], v12, off
.LBB238_2546:
	s_mov_b64 s[10:11], -1
.LBB238_2547:
	s_mov_b64 s[14:15], 0
.LBB238_2548:
	s_and_b64 vcc, exec, s[14:15]
	s_cbranch_vccz .LBB238_2588
; %bb.2549:
	s_cmp_gt_i32 s13, 22
	s_mov_b64 s[2:3], -1
	s_cbranch_scc0 .LBB238_2581
; %bb.2550:
	s_cmp_lt_i32 s13, 24
	s_cbranch_scc1 .LBB238_2570
; %bb.2551:
	s_cmp_gt_i32 s13, 24
	s_cbranch_scc0 .LBB238_2559
; %bb.2552:
	v_cvt_f32_i32_sdwa v8, sext(v0) dst_sel:DWORD dst_unused:UNUSED_PAD src0_sel:WORD_0
	s_mov_b32 s2, 0x47800000
	v_mov_b32_e32 v12, 0x80
	s_waitcnt vmcnt(0)
	v_and_b32_e32 v11, 0x7fffffff, v8
	v_cmp_gt_u32_e32 vcc, s2, v11
	s_and_saveexec_b64 s[2:3], vcc
	s_cbranch_execz .LBB238_2558
; %bb.2553:
	s_mov_b32 s10, 0x37ffffff
	v_cmp_lt_u32_e32 vcc, s10, v11
	s_mov_b64 s[10:11], 0
                                        ; implicit-def: $vgpr11
	s_and_saveexec_b64 s[14:15], vcc
	s_xor_b64 s[14:15], exec, s[14:15]
	s_cbranch_execz .LBB238_2997
; %bb.2554:
	v_bfe_u32 v11, v8, 21, 1
	s_mov_b32 s16, 0x88fffff
	v_add3_u32 v11, v8, v11, s16
	s_mov_b64 s[10:11], exec
	v_lshrrev_b32_e32 v11, 21, v11
	s_andn2_saveexec_b64 s[14:15], s[14:15]
	s_cbranch_execnz .LBB238_2998
.LBB238_2555:
	s_or_b64 exec, exec, s[14:15]
	v_mov_b32_e32 v12, 0
	s_and_saveexec_b64 s[14:15], s[10:11]
.LBB238_2556:
	v_lshrrev_b32_e32 v8, 24, v8
	s_movk_i32 s10, 0x80
	v_and_or_b32 v12, v8, s10, v11
.LBB238_2557:
	s_or_b64 exec, exec, s[14:15]
.LBB238_2558:
	s_or_b64 exec, exec, s[2:3]
	s_mov_b64 s[2:3], 0
	global_store_byte v[2:3], v12, off
.LBB238_2559:
	s_and_b64 vcc, exec, s[2:3]
	s_cbranch_vccz .LBB238_2569
; %bb.2560:
	v_cvt_f32_i32_sdwa v8, sext(v0) dst_sel:DWORD dst_unused:UNUSED_PAD src0_sel:WORD_0
	s_mov_b32 s2, 0x43f00000
                                        ; implicit-def: $vgpr11
	v_and_b32_e32 v12, 0x7fffffff, v8
	v_cmp_gt_u32_e32 vcc, s2, v12
	s_and_saveexec_b64 s[2:3], vcc
	s_xor_b64 s[2:3], exec, s[2:3]
	s_cbranch_execz .LBB238_2566
; %bb.2561:
	s_mov_b32 s10, 0x3c7fffff
	v_cmp_lt_u32_e32 vcc, s10, v12
                                        ; implicit-def: $vgpr11
	s_and_saveexec_b64 s[10:11], vcc
	s_xor_b64 s[10:11], exec, s[10:11]
	s_cbranch_execz .LBB238_2563
; %bb.2562:
	s_waitcnt vmcnt(0)
	v_bfe_u32 v11, v8, 20, 1
	s_mov_b32 s14, 0x407ffff
	v_add3_u32 v11, v8, v11, s14
	v_lshrrev_b32_e32 v12, 20, v11
	v_and_b32_e32 v11, 0xff00000, v11
	s_mov_b32 s14, 0x7f00000
	v_mov_b32_e32 v13, 0x7e
	v_cmp_ne_u32_e32 vcc, s14, v11
	v_cndmask_b32_e32 v11, v13, v12, vcc
.LBB238_2563:
	s_andn2_saveexec_b64 s[10:11], s[10:11]
	s_cbranch_execz .LBB238_2565
; %bb.2564:
	s_mov_b32 s14, 0x46800000
	s_waitcnt vmcnt(0)
	v_add_f32_e64 v11, |v8|, s14
.LBB238_2565:
	s_or_b64 exec, exec, s[10:11]
                                        ; implicit-def: $vgpr12
.LBB238_2566:
	s_andn2_saveexec_b64 s[2:3], s[2:3]
	s_cbranch_execz .LBB238_2568
; %bb.2567:
	s_mov_b32 s10, 0x7f800000
	s_waitcnt vmcnt(0)
	v_mov_b32_e32 v11, 0x7e
	v_mov_b32_e32 v13, 0x7f
	v_cmp_lt_u32_e32 vcc, s10, v12
	v_cndmask_b32_e32 v11, v11, v13, vcc
.LBB238_2568:
	s_or_b64 exec, exec, s[2:3]
	v_lshrrev_b32_e32 v8, 24, v8
	s_movk_i32 s2, 0x80
	s_waitcnt vmcnt(0)
	v_and_or_b32 v8, v8, s2, v11
	global_store_byte v[2:3], v8, off
.LBB238_2569:
	s_mov_b64 s[2:3], 0
.LBB238_2570:
	s_andn2_b64 vcc, exec, s[2:3]
	s_cbranch_vccnz .LBB238_2580
; %bb.2571:
	v_cvt_f32_i32_sdwa v8, sext(v0) dst_sel:DWORD dst_unused:UNUSED_PAD src0_sel:WORD_0
	s_mov_b32 s2, 0x47800000
                                        ; implicit-def: $vgpr11
	v_and_b32_e32 v12, 0x7fffffff, v8
	v_cmp_gt_u32_e32 vcc, s2, v12
	s_and_saveexec_b64 s[2:3], vcc
	s_xor_b64 s[2:3], exec, s[2:3]
	s_cbranch_execz .LBB238_2577
; %bb.2572:
	s_mov_b32 s10, 0x387fffff
	v_cmp_lt_u32_e32 vcc, s10, v12
                                        ; implicit-def: $vgpr11
	s_and_saveexec_b64 s[10:11], vcc
	s_xor_b64 s[10:11], exec, s[10:11]
	s_cbranch_execz .LBB238_2574
; %bb.2573:
	s_waitcnt vmcnt(0)
	v_bfe_u32 v11, v8, 21, 1
	s_mov_b32 s14, 0x80fffff
	v_add3_u32 v11, v8, v11, s14
	v_lshrrev_b32_e32 v11, 21, v11
.LBB238_2574:
	s_andn2_saveexec_b64 s[10:11], s[10:11]
	s_cbranch_execz .LBB238_2576
; %bb.2575:
	s_mov_b32 s14, 0x43000000
	s_waitcnt vmcnt(0)
	v_add_f32_e64 v11, |v8|, s14
.LBB238_2576:
	s_or_b64 exec, exec, s[10:11]
                                        ; implicit-def: $vgpr12
.LBB238_2577:
	s_andn2_saveexec_b64 s[2:3], s[2:3]
	s_cbranch_execz .LBB238_2579
; %bb.2578:
	s_mov_b32 s10, 0x7f800000
	s_waitcnt vmcnt(0)
	v_mov_b32_e32 v11, 0x7c
	v_mov_b32_e32 v13, 0x7f
	v_cmp_lt_u32_e32 vcc, s10, v12
	v_cndmask_b32_e32 v11, v11, v13, vcc
.LBB238_2579:
	s_or_b64 exec, exec, s[2:3]
	v_lshrrev_b32_e32 v8, 24, v8
	s_movk_i32 s2, 0x80
	s_waitcnt vmcnt(0)
	v_and_or_b32 v8, v8, s2, v11
	global_store_byte v[2:3], v8, off
.LBB238_2580:
	s_mov_b64 s[2:3], 0
	s_mov_b64 s[10:11], -1
.LBB238_2581:
	s_andn2_b64 vcc, exec, s[2:3]
	s_mov_b64 s[2:3], 0
	s_cbranch_vccnz .LBB238_2588
; %bb.2582:
	s_cmp_gt_i32 s13, 14
	s_mov_b64 s[14:15], -1
	s_cbranch_scc0 .LBB238_2586
; %bb.2583:
	s_cmp_eq_u32 s13, 15
	s_mov_b64 s[0:1], -1
	s_cbranch_scc0 .LBB238_2585
; %bb.2584:
	v_cvt_f32_i32_sdwa v8, sext(v0) dst_sel:DWORD dst_unused:UNUSED_PAD src0_sel:WORD_0
	s_movk_i32 s2, 0x7fff
	s_mov_b64 s[0:1], 0
	s_mov_b64 s[10:11], -1
	s_waitcnt vmcnt(0)
	v_bfe_u32 v11, v8, 16, 1
	v_add3_u32 v8, v8, v11, s2
	global_store_short_d16_hi v[2:3], v8, off
.LBB238_2585:
	s_mov_b64 s[14:15], 0
.LBB238_2586:
	s_mov_b64 s[2:3], 0
	s_and_b64 vcc, exec, s[14:15]
	s_cbranch_vccz .LBB238_2588
; %bb.2587:
	s_cmp_lg_u32 s13, 11
	s_mov_b64 s[2:3], -1
	s_cselect_b64 s[0:1], -1, 0
.LBB238_2588:
	s_and_b64 vcc, exec, s[0:1]
	s_cbranch_vccnz .LBB238_2996
; %bb.2589:
	s_andn2_b64 vcc, exec, s[2:3]
	s_cbranch_vccnz .LBB238_2591
.LBB238_2590:
	v_cmp_ne_u16_e32 vcc, 0, v0
	v_cndmask_b32_e64 v8, 0, 1, vcc
	s_mov_b64 s[10:11], -1
	global_store_byte v[2:3], v8, off
.LBB238_2591:
	s_mov_b64 s[0:1], 0
	s_branch .LBB238_2593
.LBB238_2592:
	s_mov_b64 s[0:1], -1
	s_mov_b64 s[10:11], 0
.LBB238_2593:
	s_and_b64 vcc, exec, s[0:1]
	s_cbranch_vccz .LBB238_2632
; %bb.2594:
	s_and_b32 s2, 0xffff, s20
	s_cmp_lt_i32 s2, 5
	s_mov_b64 s[0:1], -1
	s_cbranch_scc1 .LBB238_2615
; %bb.2595:
	s_cmp_lt_i32 s2, 8
	s_cbranch_scc1 .LBB238_2605
; %bb.2596:
	s_cmp_lt_i32 s2, 9
	s_cbranch_scc1 .LBB238_2602
; %bb.2597:
	s_cmp_gt_i32 s2, 9
	s_cbranch_scc0 .LBB238_2599
; %bb.2598:
	v_bfe_i32 v8, v0, 0, 16
	s_waitcnt vmcnt(0)
	v_cvt_f64_i32_e32 v[11:12], v8
	v_mov_b32_e32 v13, 0
	v_mov_b32_e32 v14, v13
	s_mov_b64 s[0:1], 0
	global_store_dwordx4 v[2:3], v[11:14], off
.LBB238_2599:
	s_andn2_b64 vcc, exec, s[0:1]
	s_cbranch_vccnz .LBB238_2601
; %bb.2600:
	s_waitcnt vmcnt(0)
	v_cvt_f32_i32_sdwa v11, sext(v0) dst_sel:DWORD dst_unused:UNUSED_PAD src0_sel:WORD_0
	v_mov_b32_e32 v12, 0
	global_store_dwordx2 v[2:3], v[11:12], off
.LBB238_2601:
	s_mov_b64 s[0:1], 0
.LBB238_2602:
	s_andn2_b64 vcc, exec, s[0:1]
	s_cbranch_vccnz .LBB238_2604
; %bb.2603:
	v_cvt_f16_i16_e32 v8, v0
	global_store_dword v[2:3], v8, off
.LBB238_2604:
	s_mov_b64 s[0:1], 0
.LBB238_2605:
	s_andn2_b64 vcc, exec, s[0:1]
	s_cbranch_vccnz .LBB238_2614
; %bb.2606:
	s_cmp_lt_i32 s2, 6
	s_mov_b64 s[0:1], -1
	s_cbranch_scc1 .LBB238_2612
; %bb.2607:
	s_cmp_gt_i32 s2, 6
	s_cbranch_scc0 .LBB238_2609
; %bb.2608:
	v_bfe_i32 v8, v0, 0, 16
	s_waitcnt vmcnt(0)
	v_cvt_f64_i32_e32 v[11:12], v8
	s_mov_b64 s[0:1], 0
	global_store_dwordx2 v[2:3], v[11:12], off
.LBB238_2609:
	s_andn2_b64 vcc, exec, s[0:1]
	s_cbranch_vccnz .LBB238_2611
; %bb.2610:
	v_cvt_f32_i32_sdwa v8, sext(v0) dst_sel:DWORD dst_unused:UNUSED_PAD src0_sel:WORD_0
	global_store_dword v[2:3], v8, off
.LBB238_2611:
	s_mov_b64 s[0:1], 0
.LBB238_2612:
	s_andn2_b64 vcc, exec, s[0:1]
	s_cbranch_vccnz .LBB238_2614
; %bb.2613:
	v_cvt_f16_i16_e32 v8, v0
	global_store_short v[2:3], v8, off
.LBB238_2614:
	s_mov_b64 s[0:1], 0
.LBB238_2615:
	s_andn2_b64 vcc, exec, s[0:1]
	s_cbranch_vccnz .LBB238_2631
; %bb.2616:
	s_cmp_lt_i32 s2, 2
	s_mov_b64 s[0:1], -1
	s_cbranch_scc1 .LBB238_2626
; %bb.2617:
	s_cmp_lt_i32 s2, 3
	s_cbranch_scc1 .LBB238_2623
; %bb.2618:
	s_cmp_gt_i32 s2, 3
	s_waitcnt vmcnt(0)
	v_bfe_i32 v11, v0, 0, 16
	s_cbranch_scc0 .LBB238_2620
; %bb.2619:
	v_ashrrev_i32_e32 v12, 31, v11
	global_store_dwordx2 v[2:3], v[11:12], off
	s_mov_b64 s[0:1], 0
.LBB238_2620:
	s_andn2_b64 vcc, exec, s[0:1]
	s_cbranch_vccnz .LBB238_2622
; %bb.2621:
	global_store_dword v[2:3], v11, off
.LBB238_2622:
	s_mov_b64 s[0:1], 0
.LBB238_2623:
	s_andn2_b64 vcc, exec, s[0:1]
	s_cbranch_vccnz .LBB238_2625
; %bb.2624:
	global_store_short v[2:3], v0, off
.LBB238_2625:
	s_mov_b64 s[0:1], 0
.LBB238_2626:
	s_andn2_b64 vcc, exec, s[0:1]
	s_cbranch_vccnz .LBB238_2631
; %bb.2627:
	s_cmp_gt_i32 s2, 0
	s_mov_b64 s[0:1], -1
	s_cbranch_scc0 .LBB238_2629
; %bb.2628:
	global_store_byte v[2:3], v0, off
	s_mov_b64 s[0:1], 0
.LBB238_2629:
	s_andn2_b64 vcc, exec, s[0:1]
	s_cbranch_vccnz .LBB238_2631
; %bb.2630:
	global_store_byte v[2:3], v0, off
.LBB238_2631:
	s_mov_b64 s[10:11], -1
.LBB238_2632:
	s_andn2_b64 vcc, exec, s[10:11]
	s_cbranch_vccnz .LBB238_2947
; %bb.2633:
	s_lshl_b32 s16, s12, 7
	v_ashrrev_i16_e32 v0, 15, v1
	v_ashrrev_i32_sdwa v1, v6, sext(v1) dst_sel:DWORD dst_unused:UNUSED_PAD src0_sel:WORD_0 src1_sel:WORD_0
	v_cmp_lt_u16_e32 vcc, 14, v6
	v_add_u32_e32 v5, s16, v5
	v_cndmask_b32_e32 v6, v1, v0, vcc
	v_ashrrev_i32_e32 v1, 31, v5
	v_mov_b32_e32 v2, s9
	v_add_co_u32_e32 v0, vcc, s8, v5
	s_cmp_lt_i32 s20, 11
	v_addc_co_u32_e32 v1, vcc, v2, v1, vcc
	s_cbranch_scc1 .LBB238_2711
; %bb.2634:
	s_and_b32 s17, 0xffff, s20
	s_mov_b64 s[12:13], -1
	s_mov_b64 s[2:3], 0
	s_cmp_gt_i32 s17, 25
	s_mov_b64 s[10:11], 0
	s_mov_b64 s[0:1], 0
	s_cbranch_scc0 .LBB238_2667
; %bb.2635:
	s_cmp_gt_i32 s17, 28
	s_cbranch_scc0 .LBB238_2650
; %bb.2636:
	s_cmp_gt_i32 s17, 43
	;; [unrolled: 3-line block ×3, first 2 shown]
	s_cbranch_scc0 .LBB238_2640
; %bb.2638:
	s_mov_b64 s[0:1], -1
	s_mov_b64 s[12:13], 0
	s_cmp_eq_u32 s17, 46
	s_cbranch_scc0 .LBB238_2640
; %bb.2639:
	v_cvt_f32_i32_sdwa v2, sext(v6) dst_sel:DWORD dst_unused:UNUSED_PAD src0_sel:WORD_0
	s_movk_i32 s10, 0x7fff
	s_mov_b64 s[0:1], 0
	v_bfe_u32 v3, v2, 16, 1
	v_add3_u32 v2, v2, v3, s10
	v_lshrrev_b32_e32 v2, 16, v2
	global_store_dword v[0:1], v2, off
	s_mov_b64 s[10:11], -1
.LBB238_2640:
	s_and_b64 vcc, exec, s[12:13]
	s_cbranch_vccz .LBB238_2645
; %bb.2641:
	s_cmp_eq_u32 s17, 44
	s_mov_b64 s[0:1], -1
	s_cbranch_scc0 .LBB238_2645
; %bb.2642:
	v_cvt_f32_i32_sdwa v2, sext(v6) dst_sel:DWORD dst_unused:UNUSED_PAD src0_sel:WORD_0
	s_movk_i32 s0, 0xff
	v_mov_b32_e32 v8, 0xff
	v_bfe_u32 v3, v2, 23, 8
	v_cmp_ne_u32_e32 vcc, s0, v3
	s_and_saveexec_b64 s[10:11], vcc
	s_cbranch_execz .LBB238_2644
; %bb.2643:
	s_mov_b32 s0, 0x3fffff
	v_lshrrev_b32_e32 v8, 23, v2
	s_waitcnt vmcnt(0)
	v_and_b32_e32 v11, 0x400000, v2
	v_and_or_b32 v2, v2, s0, v3
	v_cmp_ne_u32_e32 vcc, 0, v11
	v_cmp_ne_u32_e64 s[0:1], 0, v2
	s_and_b64 s[0:1], vcc, s[0:1]
	v_cndmask_b32_e64 v2, 0, 1, s[0:1]
	v_add_u32_e32 v8, v8, v2
.LBB238_2644:
	s_or_b64 exec, exec, s[10:11]
	s_mov_b64 s[0:1], 0
	s_mov_b64 s[10:11], -1
	global_store_byte v[0:1], v8, off
.LBB238_2645:
	s_mov_b64 s[12:13], 0
.LBB238_2646:
	s_and_b64 vcc, exec, s[12:13]
	s_cbranch_vccz .LBB238_2649
; %bb.2647:
	s_cmp_eq_u32 s17, 29
	s_mov_b64 s[0:1], -1
	s_cbranch_scc0 .LBB238_2649
; %bb.2648:
	v_bfe_i32 v2, v6, 0, 16
	v_ashrrev_i32_e32 v3, 31, v2
	global_store_dwordx2 v[0:1], v[2:3], off
	s_mov_b64 s[0:1], 0
	s_mov_b64 s[10:11], -1
.LBB238_2649:
	s_mov_b64 s[12:13], 0
.LBB238_2650:
	s_and_b64 vcc, exec, s[12:13]
	s_cbranch_vccz .LBB238_2666
; %bb.2651:
	s_cmp_lt_i32 s17, 27
	s_mov_b64 s[10:11], -1
	s_cbranch_scc1 .LBB238_2657
; %bb.2652:
	s_cmp_gt_i32 s17, 27
	s_cbranch_scc0 .LBB238_2654
; %bb.2653:
	v_bfe_i32 v2, v6, 0, 16
	s_mov_b64 s[10:11], 0
	global_store_dword v[0:1], v2, off
.LBB238_2654:
	s_andn2_b64 vcc, exec, s[10:11]
	s_cbranch_vccnz .LBB238_2656
; %bb.2655:
	global_store_short v[0:1], v6, off
.LBB238_2656:
	s_mov_b64 s[10:11], 0
.LBB238_2657:
	s_andn2_b64 vcc, exec, s[10:11]
	s_cbranch_vccnz .LBB238_2665
; %bb.2658:
	v_cvt_f32_i32_sdwa v2, sext(v6) dst_sel:DWORD dst_unused:UNUSED_PAD src0_sel:WORD_0
	s_mov_b32 s10, 0x43800000
	v_mov_b32_e32 v8, 0x80
	v_and_b32_e32 v3, 0x7fffffff, v2
	v_cmp_gt_u32_e32 vcc, s10, v3
	s_and_saveexec_b64 s[10:11], vcc
	s_cbranch_execz .LBB238_2664
; %bb.2659:
	s_mov_b32 s12, 0x3bffffff
	v_cmp_lt_u32_e32 vcc, s12, v3
	s_mov_b64 s[12:13], 0
                                        ; implicit-def: $vgpr3
	s_and_saveexec_b64 s[14:15], vcc
	s_xor_b64 s[14:15], exec, s[14:15]
	s_cbranch_execz .LBB238_2999
; %bb.2660:
	v_bfe_u32 v3, v2, 20, 1
	s_mov_b32 s21, 0x487ffff
	v_add3_u32 v3, v2, v3, s21
	s_mov_b64 s[12:13], exec
	v_lshrrev_b32_e32 v3, 20, v3
	s_andn2_saveexec_b64 s[14:15], s[14:15]
	s_cbranch_execnz .LBB238_3000
.LBB238_2661:
	s_or_b64 exec, exec, s[14:15]
	v_mov_b32_e32 v8, 0
	s_and_saveexec_b64 s[14:15], s[12:13]
.LBB238_2662:
	v_lshrrev_b32_e32 v2, 24, v2
	s_movk_i32 s12, 0x80
	v_and_or_b32 v8, v2, s12, v3
.LBB238_2663:
	s_or_b64 exec, exec, s[14:15]
.LBB238_2664:
	s_or_b64 exec, exec, s[10:11]
	global_store_byte v[0:1], v8, off
.LBB238_2665:
	s_mov_b64 s[10:11], -1
.LBB238_2666:
	s_mov_b64 s[12:13], 0
.LBB238_2667:
	s_and_b64 vcc, exec, s[12:13]
	s_cbranch_vccz .LBB238_2707
; %bb.2668:
	s_cmp_gt_i32 s17, 22
	s_mov_b64 s[2:3], -1
	s_cbranch_scc0 .LBB238_2700
; %bb.2669:
	s_cmp_lt_i32 s17, 24
	s_cbranch_scc1 .LBB238_2689
; %bb.2670:
	s_cmp_gt_i32 s17, 24
	s_cbranch_scc0 .LBB238_2678
; %bb.2671:
	v_cvt_f32_i32_sdwa v2, sext(v6) dst_sel:DWORD dst_unused:UNUSED_PAD src0_sel:WORD_0
	s_mov_b32 s2, 0x47800000
	v_mov_b32_e32 v8, 0x80
	v_and_b32_e32 v3, 0x7fffffff, v2
	v_cmp_gt_u32_e32 vcc, s2, v3
	s_and_saveexec_b64 s[2:3], vcc
	s_cbranch_execz .LBB238_2677
; %bb.2672:
	s_mov_b32 s10, 0x37ffffff
	v_cmp_lt_u32_e32 vcc, s10, v3
	s_mov_b64 s[10:11], 0
                                        ; implicit-def: $vgpr3
	s_and_saveexec_b64 s[12:13], vcc
	s_xor_b64 s[12:13], exec, s[12:13]
	s_cbranch_execz .LBB238_3002
; %bb.2673:
	v_bfe_u32 v3, v2, 21, 1
	s_mov_b32 s14, 0x88fffff
	v_add3_u32 v3, v2, v3, s14
	s_mov_b64 s[10:11], exec
	v_lshrrev_b32_e32 v3, 21, v3
	s_andn2_saveexec_b64 s[12:13], s[12:13]
	s_cbranch_execnz .LBB238_3003
.LBB238_2674:
	s_or_b64 exec, exec, s[12:13]
	v_mov_b32_e32 v8, 0
	s_and_saveexec_b64 s[12:13], s[10:11]
.LBB238_2675:
	v_lshrrev_b32_e32 v2, 24, v2
	s_movk_i32 s10, 0x80
	v_and_or_b32 v8, v2, s10, v3
.LBB238_2676:
	s_or_b64 exec, exec, s[12:13]
.LBB238_2677:
	s_or_b64 exec, exec, s[2:3]
	s_mov_b64 s[2:3], 0
	global_store_byte v[0:1], v8, off
.LBB238_2678:
	s_and_b64 vcc, exec, s[2:3]
	s_cbranch_vccz .LBB238_2688
; %bb.2679:
	v_cvt_f32_i32_sdwa v2, sext(v6) dst_sel:DWORD dst_unused:UNUSED_PAD src0_sel:WORD_0
	s_mov_b32 s2, 0x43f00000
                                        ; implicit-def: $vgpr3
	v_and_b32_e32 v8, 0x7fffffff, v2
	v_cmp_gt_u32_e32 vcc, s2, v8
	s_and_saveexec_b64 s[2:3], vcc
	s_xor_b64 s[2:3], exec, s[2:3]
	s_cbranch_execz .LBB238_2685
; %bb.2680:
	s_mov_b32 s10, 0x3c7fffff
	v_cmp_lt_u32_e32 vcc, s10, v8
                                        ; implicit-def: $vgpr3
	s_and_saveexec_b64 s[10:11], vcc
	s_xor_b64 s[10:11], exec, s[10:11]
	s_cbranch_execz .LBB238_2682
; %bb.2681:
	v_bfe_u32 v3, v2, 20, 1
	s_mov_b32 s12, 0x407ffff
	v_add3_u32 v3, v2, v3, s12
	v_lshrrev_b32_e32 v8, 20, v3
	v_and_b32_e32 v3, 0xff00000, v3
	s_mov_b32 s12, 0x7f00000
	s_waitcnt vmcnt(0)
	v_mov_b32_e32 v11, 0x7e
	v_cmp_ne_u32_e32 vcc, s12, v3
	v_cndmask_b32_e32 v3, v11, v8, vcc
.LBB238_2682:
	s_andn2_saveexec_b64 s[10:11], s[10:11]
; %bb.2683:
	s_mov_b32 s12, 0x46800000
	v_add_f32_e64 v3, |v2|, s12
; %bb.2684:
	s_or_b64 exec, exec, s[10:11]
                                        ; implicit-def: $vgpr8
.LBB238_2685:
	s_andn2_saveexec_b64 s[2:3], s[2:3]
	s_cbranch_execz .LBB238_2687
; %bb.2686:
	s_mov_b32 s10, 0x7f800000
	v_mov_b32_e32 v3, 0x7e
	s_waitcnt vmcnt(0)
	v_mov_b32_e32 v11, 0x7f
	v_cmp_lt_u32_e32 vcc, s10, v8
	v_cndmask_b32_e32 v3, v3, v11, vcc
.LBB238_2687:
	s_or_b64 exec, exec, s[2:3]
	v_lshrrev_b32_e32 v2, 24, v2
	s_movk_i32 s2, 0x80
	v_and_or_b32 v2, v2, s2, v3
	global_store_byte v[0:1], v2, off
.LBB238_2688:
	s_mov_b64 s[2:3], 0
.LBB238_2689:
	s_andn2_b64 vcc, exec, s[2:3]
	s_cbranch_vccnz .LBB238_2699
; %bb.2690:
	v_cvt_f32_i32_sdwa v2, sext(v6) dst_sel:DWORD dst_unused:UNUSED_PAD src0_sel:WORD_0
	s_mov_b32 s2, 0x47800000
                                        ; implicit-def: $vgpr3
	v_and_b32_e32 v8, 0x7fffffff, v2
	v_cmp_gt_u32_e32 vcc, s2, v8
	s_and_saveexec_b64 s[2:3], vcc
	s_xor_b64 s[2:3], exec, s[2:3]
	s_cbranch_execz .LBB238_2696
; %bb.2691:
	s_mov_b32 s10, 0x387fffff
	v_cmp_lt_u32_e32 vcc, s10, v8
                                        ; implicit-def: $vgpr3
	s_and_saveexec_b64 s[10:11], vcc
	s_xor_b64 s[10:11], exec, s[10:11]
; %bb.2692:
	v_bfe_u32 v3, v2, 21, 1
	s_mov_b32 s12, 0x80fffff
	v_add3_u32 v3, v2, v3, s12
	v_lshrrev_b32_e32 v3, 21, v3
; %bb.2693:
	s_andn2_saveexec_b64 s[10:11], s[10:11]
; %bb.2694:
	s_mov_b32 s12, 0x43000000
	v_add_f32_e64 v3, |v2|, s12
; %bb.2695:
	s_or_b64 exec, exec, s[10:11]
                                        ; implicit-def: $vgpr8
.LBB238_2696:
	s_andn2_saveexec_b64 s[2:3], s[2:3]
	s_cbranch_execz .LBB238_2698
; %bb.2697:
	s_mov_b32 s10, 0x7f800000
	v_mov_b32_e32 v3, 0x7c
	s_waitcnt vmcnt(0)
	v_mov_b32_e32 v11, 0x7f
	v_cmp_lt_u32_e32 vcc, s10, v8
	v_cndmask_b32_e32 v3, v3, v11, vcc
.LBB238_2698:
	s_or_b64 exec, exec, s[2:3]
	v_lshrrev_b32_e32 v2, 24, v2
	s_movk_i32 s2, 0x80
	v_and_or_b32 v2, v2, s2, v3
	global_store_byte v[0:1], v2, off
.LBB238_2699:
	s_mov_b64 s[2:3], 0
	s_mov_b64 s[10:11], -1
.LBB238_2700:
	s_andn2_b64 vcc, exec, s[2:3]
	s_mov_b64 s[2:3], 0
	s_cbranch_vccnz .LBB238_2707
; %bb.2701:
	s_cmp_gt_i32 s17, 14
	s_mov_b64 s[12:13], -1
	s_cbranch_scc0 .LBB238_2705
; %bb.2702:
	s_cmp_eq_u32 s17, 15
	s_mov_b64 s[0:1], -1
	s_cbranch_scc0 .LBB238_2704
; %bb.2703:
	v_cvt_f32_i32_sdwa v2, sext(v6) dst_sel:DWORD dst_unused:UNUSED_PAD src0_sel:WORD_0
	s_movk_i32 s2, 0x7fff
	s_mov_b64 s[0:1], 0
	s_mov_b64 s[10:11], -1
	v_bfe_u32 v3, v2, 16, 1
	v_add3_u32 v2, v2, v3, s2
	global_store_short_d16_hi v[0:1], v2, off
.LBB238_2704:
	s_mov_b64 s[12:13], 0
.LBB238_2705:
	s_mov_b64 s[2:3], 0
	s_and_b64 vcc, exec, s[12:13]
	s_cbranch_vccz .LBB238_2707
; %bb.2706:
	s_cmp_lg_u32 s17, 11
	s_mov_b64 s[2:3], -1
	s_cselect_b64 s[0:1], -1, 0
.LBB238_2707:
	s_and_b64 vcc, exec, s[0:1]
	s_cbranch_vccnz .LBB238_3001
; %bb.2708:
	s_andn2_b64 vcc, exec, s[2:3]
	s_cbranch_vccnz .LBB238_2710
.LBB238_2709:
	v_cmp_ne_u16_e32 vcc, 0, v6
	v_cndmask_b32_e64 v2, 0, 1, vcc
	s_mov_b64 s[10:11], -1
	global_store_byte v[0:1], v2, off
.LBB238_2710:
	s_mov_b64 s[0:1], 0
	s_branch .LBB238_2712
.LBB238_2711:
	s_mov_b64 s[0:1], -1
	s_mov_b64 s[10:11], 0
.LBB238_2712:
	s_and_b64 vcc, exec, s[0:1]
	s_cbranch_vccz .LBB238_2751
; %bb.2713:
	s_and_b32 s2, 0xffff, s20
	s_cmp_lt_i32 s2, 5
	s_mov_b64 s[0:1], -1
	s_cbranch_scc1 .LBB238_2734
; %bb.2714:
	s_cmp_lt_i32 s2, 8
	s_cbranch_scc1 .LBB238_2724
; %bb.2715:
	s_cmp_lt_i32 s2, 9
	s_cbranch_scc1 .LBB238_2721
; %bb.2716:
	s_cmp_gt_i32 s2, 9
	s_cbranch_scc0 .LBB238_2718
; %bb.2717:
	v_bfe_i32 v2, v6, 0, 16
	s_waitcnt vmcnt(0)
	v_cvt_f64_i32_e32 v[11:12], v2
	v_mov_b32_e32 v13, 0
	v_mov_b32_e32 v14, v13
	s_mov_b64 s[0:1], 0
	global_store_dwordx4 v[0:1], v[11:14], off
.LBB238_2718:
	s_andn2_b64 vcc, exec, s[0:1]
	s_cbranch_vccnz .LBB238_2720
; %bb.2719:
	v_cvt_f32_i32_sdwa v2, sext(v6) dst_sel:DWORD dst_unused:UNUSED_PAD src0_sel:WORD_0
	v_mov_b32_e32 v3, 0
	global_store_dwordx2 v[0:1], v[2:3], off
.LBB238_2720:
	s_mov_b64 s[0:1], 0
.LBB238_2721:
	s_andn2_b64 vcc, exec, s[0:1]
	s_cbranch_vccnz .LBB238_2723
; %bb.2722:
	v_cvt_f16_i16_e32 v2, v6
	global_store_dword v[0:1], v2, off
.LBB238_2723:
	s_mov_b64 s[0:1], 0
.LBB238_2724:
	s_andn2_b64 vcc, exec, s[0:1]
	s_cbranch_vccnz .LBB238_2733
; %bb.2725:
	s_cmp_lt_i32 s2, 6
	s_mov_b64 s[0:1], -1
	s_cbranch_scc1 .LBB238_2731
; %bb.2726:
	s_cmp_gt_i32 s2, 6
	s_cbranch_scc0 .LBB238_2728
; %bb.2727:
	v_bfe_i32 v2, v6, 0, 16
	v_cvt_f64_i32_e32 v[2:3], v2
	s_mov_b64 s[0:1], 0
	global_store_dwordx2 v[0:1], v[2:3], off
.LBB238_2728:
	s_andn2_b64 vcc, exec, s[0:1]
	s_cbranch_vccnz .LBB238_2730
; %bb.2729:
	v_cvt_f32_i32_sdwa v2, sext(v6) dst_sel:DWORD dst_unused:UNUSED_PAD src0_sel:WORD_0
	global_store_dword v[0:1], v2, off
.LBB238_2730:
	s_mov_b64 s[0:1], 0
.LBB238_2731:
	s_andn2_b64 vcc, exec, s[0:1]
	s_cbranch_vccnz .LBB238_2733
; %bb.2732:
	v_cvt_f16_i16_e32 v2, v6
	global_store_short v[0:1], v2, off
.LBB238_2733:
	s_mov_b64 s[0:1], 0
.LBB238_2734:
	s_andn2_b64 vcc, exec, s[0:1]
	s_cbranch_vccnz .LBB238_2750
; %bb.2735:
	s_cmp_lt_i32 s2, 2
	s_mov_b64 s[0:1], -1
	s_cbranch_scc1 .LBB238_2745
; %bb.2736:
	s_cmp_lt_i32 s2, 3
	s_cbranch_scc1 .LBB238_2742
; %bb.2737:
	s_cmp_gt_i32 s2, 3
	v_bfe_i32 v2, v6, 0, 16
	s_cbranch_scc0 .LBB238_2739
; %bb.2738:
	v_ashrrev_i32_e32 v3, 31, v2
	global_store_dwordx2 v[0:1], v[2:3], off
	s_mov_b64 s[0:1], 0
.LBB238_2739:
	s_andn2_b64 vcc, exec, s[0:1]
	s_cbranch_vccnz .LBB238_2741
; %bb.2740:
	global_store_dword v[0:1], v2, off
.LBB238_2741:
	s_mov_b64 s[0:1], 0
.LBB238_2742:
	s_andn2_b64 vcc, exec, s[0:1]
	s_cbranch_vccnz .LBB238_2744
; %bb.2743:
	global_store_short v[0:1], v6, off
.LBB238_2744:
	s_mov_b64 s[0:1], 0
.LBB238_2745:
	s_andn2_b64 vcc, exec, s[0:1]
	s_cbranch_vccnz .LBB238_2750
; %bb.2746:
	s_cmp_gt_i32 s2, 0
	s_mov_b64 s[0:1], -1
	s_cbranch_scc0 .LBB238_2748
; %bb.2747:
	global_store_byte v[0:1], v6, off
	s_mov_b64 s[0:1], 0
.LBB238_2748:
	s_andn2_b64 vcc, exec, s[0:1]
	s_cbranch_vccnz .LBB238_2750
; %bb.2749:
	global_store_byte v[0:1], v6, off
.LBB238_2750:
	s_mov_b64 s[10:11], -1
.LBB238_2751:
	s_andn2_b64 vcc, exec, s[10:11]
	s_cbranch_vccnz .LBB238_2947
; %bb.2752:
	v_ashrrev_i16_e32 v0, 15, v4
	v_ashrrev_i32_sdwa v1, v9, sext(v4) dst_sel:DWORD dst_unused:UNUSED_PAD src0_sel:WORD_0 src1_sel:WORD_0
	v_cmp_lt_u16_e32 vcc, 14, v9
	v_add_u32_e32 v5, s16, v5
	v_cndmask_b32_e32 v4, v1, v0, vcc
	v_ashrrev_i32_e32 v1, 31, v5
	v_mov_b32_e32 v2, s9
	v_add_co_u32_e32 v0, vcc, s8, v5
	s_cmp_lt_i32 s20, 11
	v_addc_co_u32_e32 v1, vcc, v2, v1, vcc
	s_cbranch_scc1 .LBB238_2830
; %bb.2753:
	s_and_b32 s17, 0xffff, s20
	s_mov_b64 s[12:13], -1
	s_mov_b64 s[2:3], 0
	s_cmp_gt_i32 s17, 25
	s_mov_b64 s[10:11], 0
	s_mov_b64 s[0:1], 0
	s_cbranch_scc0 .LBB238_2786
; %bb.2754:
	s_cmp_gt_i32 s17, 28
	s_cbranch_scc0 .LBB238_2769
; %bb.2755:
	s_cmp_gt_i32 s17, 43
	;; [unrolled: 3-line block ×3, first 2 shown]
	s_cbranch_scc0 .LBB238_2759
; %bb.2757:
	s_mov_b64 s[0:1], -1
	s_mov_b64 s[12:13], 0
	s_cmp_eq_u32 s17, 46
	s_cbranch_scc0 .LBB238_2759
; %bb.2758:
	v_cvt_f32_i32_sdwa v2, sext(v4) dst_sel:DWORD dst_unused:UNUSED_PAD src0_sel:WORD_0
	s_movk_i32 s10, 0x7fff
	s_mov_b64 s[0:1], 0
	v_bfe_u32 v3, v2, 16, 1
	v_add3_u32 v2, v2, v3, s10
	v_lshrrev_b32_e32 v2, 16, v2
	global_store_dword v[0:1], v2, off
	s_mov_b64 s[10:11], -1
.LBB238_2759:
	s_and_b64 vcc, exec, s[12:13]
	s_cbranch_vccz .LBB238_2764
; %bb.2760:
	s_cmp_eq_u32 s17, 44
	s_mov_b64 s[0:1], -1
	s_cbranch_scc0 .LBB238_2764
; %bb.2761:
	v_cvt_f32_i32_sdwa v2, sext(v4) dst_sel:DWORD dst_unused:UNUSED_PAD src0_sel:WORD_0
	s_movk_i32 s0, 0xff
	v_mov_b32_e32 v6, 0xff
	v_bfe_u32 v3, v2, 23, 8
	v_cmp_ne_u32_e32 vcc, s0, v3
	s_and_saveexec_b64 s[10:11], vcc
; %bb.2762:
	s_mov_b32 s0, 0x3fffff
	v_lshrrev_b32_e32 v6, 23, v2
	v_and_b32_e32 v8, 0x400000, v2
	v_and_or_b32 v2, v2, s0, v3
	v_cmp_ne_u32_e32 vcc, 0, v8
	v_cmp_ne_u32_e64 s[0:1], 0, v2
	s_and_b64 s[0:1], vcc, s[0:1]
	v_cndmask_b32_e64 v2, 0, 1, s[0:1]
	v_add_u32_e32 v6, v6, v2
; %bb.2763:
	s_or_b64 exec, exec, s[10:11]
	s_mov_b64 s[0:1], 0
	s_mov_b64 s[10:11], -1
	global_store_byte v[0:1], v6, off
.LBB238_2764:
	s_mov_b64 s[12:13], 0
.LBB238_2765:
	s_and_b64 vcc, exec, s[12:13]
	s_cbranch_vccz .LBB238_2768
; %bb.2766:
	s_cmp_eq_u32 s17, 29
	s_mov_b64 s[0:1], -1
	s_cbranch_scc0 .LBB238_2768
; %bb.2767:
	v_bfe_i32 v2, v4, 0, 16
	v_ashrrev_i32_e32 v3, 31, v2
	global_store_dwordx2 v[0:1], v[2:3], off
	s_mov_b64 s[0:1], 0
	s_mov_b64 s[10:11], -1
.LBB238_2768:
	s_mov_b64 s[12:13], 0
.LBB238_2769:
	s_and_b64 vcc, exec, s[12:13]
	s_cbranch_vccz .LBB238_2785
; %bb.2770:
	s_cmp_lt_i32 s17, 27
	s_mov_b64 s[10:11], -1
	s_cbranch_scc1 .LBB238_2776
; %bb.2771:
	s_cmp_gt_i32 s17, 27
	s_cbranch_scc0 .LBB238_2773
; %bb.2772:
	v_bfe_i32 v2, v4, 0, 16
	s_mov_b64 s[10:11], 0
	global_store_dword v[0:1], v2, off
.LBB238_2773:
	s_andn2_b64 vcc, exec, s[10:11]
	s_cbranch_vccnz .LBB238_2775
; %bb.2774:
	global_store_short v[0:1], v4, off
.LBB238_2775:
	s_mov_b64 s[10:11], 0
.LBB238_2776:
	s_andn2_b64 vcc, exec, s[10:11]
	s_cbranch_vccnz .LBB238_2784
; %bb.2777:
	v_cvt_f32_i32_sdwa v2, sext(v4) dst_sel:DWORD dst_unused:UNUSED_PAD src0_sel:WORD_0
	s_mov_b32 s10, 0x43800000
	v_mov_b32_e32 v6, 0x80
	v_and_b32_e32 v3, 0x7fffffff, v2
	v_cmp_gt_u32_e32 vcc, s10, v3
	s_and_saveexec_b64 s[10:11], vcc
	s_cbranch_execz .LBB238_2783
; %bb.2778:
	s_mov_b32 s12, 0x3bffffff
	v_cmp_lt_u32_e32 vcc, s12, v3
	s_mov_b64 s[12:13], 0
                                        ; implicit-def: $vgpr3
	s_and_saveexec_b64 s[14:15], vcc
	s_xor_b64 s[14:15], exec, s[14:15]
	s_cbranch_execz .LBB238_3004
; %bb.2779:
	v_bfe_u32 v3, v2, 20, 1
	s_mov_b32 s21, 0x487ffff
	v_add3_u32 v3, v2, v3, s21
	s_mov_b64 s[12:13], exec
	v_lshrrev_b32_e32 v3, 20, v3
	s_andn2_saveexec_b64 s[14:15], s[14:15]
	s_cbranch_execnz .LBB238_3005
.LBB238_2780:
	s_or_b64 exec, exec, s[14:15]
	v_mov_b32_e32 v6, 0
	s_and_saveexec_b64 s[14:15], s[12:13]
.LBB238_2781:
	v_lshrrev_b32_e32 v2, 24, v2
	s_movk_i32 s12, 0x80
	v_and_or_b32 v6, v2, s12, v3
.LBB238_2782:
	s_or_b64 exec, exec, s[14:15]
.LBB238_2783:
	s_or_b64 exec, exec, s[10:11]
	global_store_byte v[0:1], v6, off
.LBB238_2784:
	s_mov_b64 s[10:11], -1
.LBB238_2785:
	s_mov_b64 s[12:13], 0
.LBB238_2786:
	s_and_b64 vcc, exec, s[12:13]
	s_cbranch_vccz .LBB238_2826
; %bb.2787:
	s_cmp_gt_i32 s17, 22
	s_mov_b64 s[2:3], -1
	s_cbranch_scc0 .LBB238_2819
; %bb.2788:
	s_cmp_lt_i32 s17, 24
	s_cbranch_scc1 .LBB238_2808
; %bb.2789:
	s_cmp_gt_i32 s17, 24
	s_cbranch_scc0 .LBB238_2797
; %bb.2790:
	v_cvt_f32_i32_sdwa v2, sext(v4) dst_sel:DWORD dst_unused:UNUSED_PAD src0_sel:WORD_0
	s_mov_b32 s2, 0x47800000
	v_mov_b32_e32 v6, 0x80
	v_and_b32_e32 v3, 0x7fffffff, v2
	v_cmp_gt_u32_e32 vcc, s2, v3
	s_and_saveexec_b64 s[2:3], vcc
	s_cbranch_execz .LBB238_2796
; %bb.2791:
	s_mov_b32 s10, 0x37ffffff
	v_cmp_lt_u32_e32 vcc, s10, v3
	s_mov_b64 s[10:11], 0
                                        ; implicit-def: $vgpr3
	s_and_saveexec_b64 s[12:13], vcc
	s_xor_b64 s[12:13], exec, s[12:13]
	s_cbranch_execz .LBB238_3007
; %bb.2792:
	v_bfe_u32 v3, v2, 21, 1
	s_mov_b32 s14, 0x88fffff
	v_add3_u32 v3, v2, v3, s14
	s_mov_b64 s[10:11], exec
	v_lshrrev_b32_e32 v3, 21, v3
	s_andn2_saveexec_b64 s[12:13], s[12:13]
	s_cbranch_execnz .LBB238_3008
.LBB238_2793:
	s_or_b64 exec, exec, s[12:13]
	v_mov_b32_e32 v6, 0
	s_and_saveexec_b64 s[12:13], s[10:11]
.LBB238_2794:
	v_lshrrev_b32_e32 v2, 24, v2
	s_movk_i32 s10, 0x80
	v_and_or_b32 v6, v2, s10, v3
.LBB238_2795:
	s_or_b64 exec, exec, s[12:13]
.LBB238_2796:
	s_or_b64 exec, exec, s[2:3]
	s_mov_b64 s[2:3], 0
	global_store_byte v[0:1], v6, off
.LBB238_2797:
	s_and_b64 vcc, exec, s[2:3]
	s_cbranch_vccz .LBB238_2807
; %bb.2798:
	v_cvt_f32_i32_sdwa v2, sext(v4) dst_sel:DWORD dst_unused:UNUSED_PAD src0_sel:WORD_0
	s_mov_b32 s2, 0x43f00000
                                        ; implicit-def: $vgpr3
	v_and_b32_e32 v6, 0x7fffffff, v2
	v_cmp_gt_u32_e32 vcc, s2, v6
	s_and_saveexec_b64 s[2:3], vcc
	s_xor_b64 s[2:3], exec, s[2:3]
	s_cbranch_execz .LBB238_2804
; %bb.2799:
	s_mov_b32 s10, 0x3c7fffff
	v_cmp_lt_u32_e32 vcc, s10, v6
                                        ; implicit-def: $vgpr3
	s_and_saveexec_b64 s[10:11], vcc
	s_xor_b64 s[10:11], exec, s[10:11]
; %bb.2800:
	v_bfe_u32 v3, v2, 20, 1
	s_mov_b32 s12, 0x407ffff
	v_add3_u32 v3, v2, v3, s12
	v_lshrrev_b32_e32 v6, 20, v3
	v_and_b32_e32 v3, 0xff00000, v3
	s_mov_b32 s12, 0x7f00000
	v_mov_b32_e32 v8, 0x7e
	v_cmp_ne_u32_e32 vcc, s12, v3
	v_cndmask_b32_e32 v3, v8, v6, vcc
; %bb.2801:
	s_andn2_saveexec_b64 s[10:11], s[10:11]
; %bb.2802:
	s_mov_b32 s12, 0x46800000
	v_add_f32_e64 v3, |v2|, s12
; %bb.2803:
	s_or_b64 exec, exec, s[10:11]
                                        ; implicit-def: $vgpr6
.LBB238_2804:
	s_andn2_saveexec_b64 s[2:3], s[2:3]
; %bb.2805:
	s_mov_b32 s10, 0x7f800000
	v_mov_b32_e32 v3, 0x7e
	v_mov_b32_e32 v8, 0x7f
	v_cmp_lt_u32_e32 vcc, s10, v6
	v_cndmask_b32_e32 v3, v3, v8, vcc
; %bb.2806:
	s_or_b64 exec, exec, s[2:3]
	v_lshrrev_b32_e32 v2, 24, v2
	s_movk_i32 s2, 0x80
	v_and_or_b32 v2, v2, s2, v3
	global_store_byte v[0:1], v2, off
.LBB238_2807:
	s_mov_b64 s[2:3], 0
.LBB238_2808:
	s_andn2_b64 vcc, exec, s[2:3]
	s_cbranch_vccnz .LBB238_2818
; %bb.2809:
	v_cvt_f32_i32_sdwa v2, sext(v4) dst_sel:DWORD dst_unused:UNUSED_PAD src0_sel:WORD_0
	s_mov_b32 s2, 0x47800000
                                        ; implicit-def: $vgpr3
	v_and_b32_e32 v6, 0x7fffffff, v2
	v_cmp_gt_u32_e32 vcc, s2, v6
	s_and_saveexec_b64 s[2:3], vcc
	s_xor_b64 s[2:3], exec, s[2:3]
	s_cbranch_execz .LBB238_2815
; %bb.2810:
	s_mov_b32 s10, 0x387fffff
	v_cmp_lt_u32_e32 vcc, s10, v6
                                        ; implicit-def: $vgpr3
	s_and_saveexec_b64 s[10:11], vcc
	s_xor_b64 s[10:11], exec, s[10:11]
; %bb.2811:
	v_bfe_u32 v3, v2, 21, 1
	s_mov_b32 s12, 0x80fffff
	v_add3_u32 v3, v2, v3, s12
	v_lshrrev_b32_e32 v3, 21, v3
; %bb.2812:
	s_andn2_saveexec_b64 s[10:11], s[10:11]
; %bb.2813:
	s_mov_b32 s12, 0x43000000
	v_add_f32_e64 v3, |v2|, s12
; %bb.2814:
	s_or_b64 exec, exec, s[10:11]
                                        ; implicit-def: $vgpr6
.LBB238_2815:
	s_andn2_saveexec_b64 s[2:3], s[2:3]
; %bb.2816:
	s_mov_b32 s10, 0x7f800000
	v_mov_b32_e32 v3, 0x7c
	v_mov_b32_e32 v8, 0x7f
	v_cmp_lt_u32_e32 vcc, s10, v6
	v_cndmask_b32_e32 v3, v3, v8, vcc
; %bb.2817:
	s_or_b64 exec, exec, s[2:3]
	v_lshrrev_b32_e32 v2, 24, v2
	s_movk_i32 s2, 0x80
	v_and_or_b32 v2, v2, s2, v3
	global_store_byte v[0:1], v2, off
.LBB238_2818:
	s_mov_b64 s[2:3], 0
	s_mov_b64 s[10:11], -1
.LBB238_2819:
	s_andn2_b64 vcc, exec, s[2:3]
	s_mov_b64 s[2:3], 0
	s_cbranch_vccnz .LBB238_2826
; %bb.2820:
	s_cmp_gt_i32 s17, 14
	s_mov_b64 s[12:13], -1
	s_cbranch_scc0 .LBB238_2824
; %bb.2821:
	s_cmp_eq_u32 s17, 15
	s_mov_b64 s[0:1], -1
	s_cbranch_scc0 .LBB238_2823
; %bb.2822:
	v_cvt_f32_i32_sdwa v2, sext(v4) dst_sel:DWORD dst_unused:UNUSED_PAD src0_sel:WORD_0
	s_movk_i32 s2, 0x7fff
	s_mov_b64 s[0:1], 0
	s_mov_b64 s[10:11], -1
	v_bfe_u32 v3, v2, 16, 1
	v_add3_u32 v2, v2, v3, s2
	global_store_short_d16_hi v[0:1], v2, off
.LBB238_2823:
	s_mov_b64 s[12:13], 0
.LBB238_2824:
	s_mov_b64 s[2:3], 0
	s_and_b64 vcc, exec, s[12:13]
	s_cbranch_vccz .LBB238_2826
; %bb.2825:
	s_cmp_lg_u32 s17, 11
	s_mov_b64 s[2:3], -1
	s_cselect_b64 s[0:1], -1, 0
.LBB238_2826:
	s_and_b64 vcc, exec, s[0:1]
	s_cbranch_vccnz .LBB238_3006
; %bb.2827:
	s_andn2_b64 vcc, exec, s[2:3]
	s_cbranch_vccnz .LBB238_2829
.LBB238_2828:
	v_cmp_ne_u16_e32 vcc, 0, v4
	v_cndmask_b32_e64 v2, 0, 1, vcc
	s_mov_b64 s[10:11], -1
	global_store_byte v[0:1], v2, off
.LBB238_2829:
	s_mov_b64 s[0:1], 0
	s_branch .LBB238_2831
.LBB238_2830:
	s_mov_b64 s[0:1], -1
	s_mov_b64 s[10:11], 0
.LBB238_2831:
	s_and_b64 vcc, exec, s[0:1]
	s_cbranch_vccz .LBB238_2870
; %bb.2832:
	s_and_b32 s2, 0xffff, s20
	s_cmp_lt_i32 s2, 5
	s_mov_b64 s[0:1], -1
	s_cbranch_scc1 .LBB238_2853
; %bb.2833:
	s_cmp_lt_i32 s2, 8
	s_cbranch_scc1 .LBB238_2843
; %bb.2834:
	s_cmp_lt_i32 s2, 9
	s_cbranch_scc1 .LBB238_2840
; %bb.2835:
	s_cmp_gt_i32 s2, 9
	s_cbranch_scc0 .LBB238_2837
; %bb.2836:
	v_bfe_i32 v2, v4, 0, 16
	s_waitcnt vmcnt(0)
	v_cvt_f64_i32_e32 v[11:12], v2
	v_mov_b32_e32 v13, 0
	v_mov_b32_e32 v14, v13
	s_mov_b64 s[0:1], 0
	global_store_dwordx4 v[0:1], v[11:14], off
.LBB238_2837:
	s_andn2_b64 vcc, exec, s[0:1]
	s_cbranch_vccnz .LBB238_2839
; %bb.2838:
	v_cvt_f32_i32_sdwa v2, sext(v4) dst_sel:DWORD dst_unused:UNUSED_PAD src0_sel:WORD_0
	v_mov_b32_e32 v3, 0
	global_store_dwordx2 v[0:1], v[2:3], off
.LBB238_2839:
	s_mov_b64 s[0:1], 0
.LBB238_2840:
	s_andn2_b64 vcc, exec, s[0:1]
	s_cbranch_vccnz .LBB238_2842
; %bb.2841:
	v_cvt_f16_i16_e32 v2, v4
	global_store_dword v[0:1], v2, off
.LBB238_2842:
	s_mov_b64 s[0:1], 0
.LBB238_2843:
	s_andn2_b64 vcc, exec, s[0:1]
	s_cbranch_vccnz .LBB238_2852
; %bb.2844:
	s_cmp_lt_i32 s2, 6
	s_mov_b64 s[0:1], -1
	s_cbranch_scc1 .LBB238_2850
; %bb.2845:
	s_cmp_gt_i32 s2, 6
	s_cbranch_scc0 .LBB238_2847
; %bb.2846:
	v_bfe_i32 v2, v4, 0, 16
	v_cvt_f64_i32_e32 v[2:3], v2
	s_mov_b64 s[0:1], 0
	global_store_dwordx2 v[0:1], v[2:3], off
.LBB238_2847:
	s_andn2_b64 vcc, exec, s[0:1]
	s_cbranch_vccnz .LBB238_2849
; %bb.2848:
	v_cvt_f32_i32_sdwa v2, sext(v4) dst_sel:DWORD dst_unused:UNUSED_PAD src0_sel:WORD_0
	global_store_dword v[0:1], v2, off
.LBB238_2849:
	s_mov_b64 s[0:1], 0
.LBB238_2850:
	s_andn2_b64 vcc, exec, s[0:1]
	s_cbranch_vccnz .LBB238_2852
; %bb.2851:
	v_cvt_f16_i16_e32 v2, v4
	global_store_short v[0:1], v2, off
.LBB238_2852:
	s_mov_b64 s[0:1], 0
.LBB238_2853:
	s_andn2_b64 vcc, exec, s[0:1]
	s_cbranch_vccnz .LBB238_2869
; %bb.2854:
	s_cmp_lt_i32 s2, 2
	s_mov_b64 s[0:1], -1
	s_cbranch_scc1 .LBB238_2864
; %bb.2855:
	s_cmp_lt_i32 s2, 3
	s_cbranch_scc1 .LBB238_2861
; %bb.2856:
	s_cmp_gt_i32 s2, 3
	v_bfe_i32 v2, v4, 0, 16
	s_cbranch_scc0 .LBB238_2858
; %bb.2857:
	v_ashrrev_i32_e32 v3, 31, v2
	global_store_dwordx2 v[0:1], v[2:3], off
	s_mov_b64 s[0:1], 0
.LBB238_2858:
	s_andn2_b64 vcc, exec, s[0:1]
	s_cbranch_vccnz .LBB238_2860
; %bb.2859:
	global_store_dword v[0:1], v2, off
.LBB238_2860:
	s_mov_b64 s[0:1], 0
.LBB238_2861:
	s_andn2_b64 vcc, exec, s[0:1]
	s_cbranch_vccnz .LBB238_2863
; %bb.2862:
	global_store_short v[0:1], v4, off
.LBB238_2863:
	s_mov_b64 s[0:1], 0
.LBB238_2864:
	s_andn2_b64 vcc, exec, s[0:1]
	s_cbranch_vccnz .LBB238_2869
; %bb.2865:
	s_cmp_gt_i32 s2, 0
	s_mov_b64 s[0:1], -1
	s_cbranch_scc0 .LBB238_2867
; %bb.2866:
	global_store_byte v[0:1], v4, off
	s_mov_b64 s[0:1], 0
.LBB238_2867:
	s_andn2_b64 vcc, exec, s[0:1]
	s_cbranch_vccnz .LBB238_2869
; %bb.2868:
	global_store_byte v[0:1], v4, off
.LBB238_2869:
	s_mov_b64 s[10:11], -1
.LBB238_2870:
	s_andn2_b64 vcc, exec, s[10:11]
	s_cbranch_vccnz .LBB238_2947
; %bb.2871:
	v_ashrrev_i16_e32 v0, 15, v7
	s_waitcnt vmcnt(0)
	v_ashrrev_i32_sdwa v1, v10, sext(v7) dst_sel:DWORD dst_unused:UNUSED_PAD src0_sel:WORD_0 src1_sel:WORD_0
	v_cmp_lt_u16_e32 vcc, 14, v10
	v_cndmask_b32_e32 v4, v1, v0, vcc
	v_add_u32_e32 v0, s16, v5
	v_ashrrev_i32_e32 v1, 31, v0
	v_mov_b32_e32 v2, s9
	v_add_co_u32_e32 v0, vcc, s8, v0
	s_cmp_lt_i32 s20, 11
	v_addc_co_u32_e32 v1, vcc, v2, v1, vcc
	s_cbranch_scc1 .LBB238_2992
; %bb.2872:
	s_and_b32 s14, 0xffff, s20
	s_mov_b64 s[8:9], -1
	s_mov_b64 s[2:3], 0
	s_cmp_gt_i32 s14, 25
	s_mov_b64 s[0:1], 0
	s_cbranch_scc0 .LBB238_2905
; %bb.2873:
	s_cmp_gt_i32 s14, 28
	s_cbranch_scc0 .LBB238_2889
; %bb.2874:
	s_cmp_gt_i32 s14, 43
	;; [unrolled: 3-line block ×3, first 2 shown]
	s_cbranch_scc0 .LBB238_2879
; %bb.2876:
	s_cmp_eq_u32 s14, 46
	s_mov_b64 s[0:1], -1
	s_cbranch_scc0 .LBB238_2878
; %bb.2877:
	v_cvt_f32_i32_sdwa v2, sext(v4) dst_sel:DWORD dst_unused:UNUSED_PAD src0_sel:WORD_0
	s_movk_i32 s0, 0x7fff
	v_bfe_u32 v3, v2, 16, 1
	v_add3_u32 v2, v2, v3, s0
	v_lshrrev_b32_e32 v2, 16, v2
	global_store_dword v[0:1], v2, off
	s_mov_b64 s[0:1], 0
.LBB238_2878:
	s_mov_b64 s[8:9], 0
.LBB238_2879:
	s_and_b64 vcc, exec, s[8:9]
	s_cbranch_vccz .LBB238_2884
; %bb.2880:
	s_cmp_eq_u32 s14, 44
	s_mov_b64 s[0:1], -1
	s_cbranch_scc0 .LBB238_2884
; %bb.2881:
	v_cvt_f32_i32_sdwa v2, sext(v4) dst_sel:DWORD dst_unused:UNUSED_PAD src0_sel:WORD_0
	s_movk_i32 s0, 0xff
	v_mov_b32_e32 v5, 0xff
	v_bfe_u32 v3, v2, 23, 8
	v_cmp_ne_u32_e32 vcc, s0, v3
	s_and_saveexec_b64 s[8:9], vcc
; %bb.2882:
	s_mov_b32 s0, 0x3fffff
	v_lshrrev_b32_e32 v5, 23, v2
	v_and_b32_e32 v6, 0x400000, v2
	v_and_or_b32 v2, v2, s0, v3
	v_cmp_ne_u32_e32 vcc, 0, v6
	v_cmp_ne_u32_e64 s[0:1], 0, v2
	s_and_b64 s[0:1], vcc, s[0:1]
	v_cndmask_b32_e64 v2, 0, 1, s[0:1]
	v_add_u32_e32 v5, v5, v2
; %bb.2883:
	s_or_b64 exec, exec, s[8:9]
	s_mov_b64 s[0:1], 0
	global_store_byte v[0:1], v5, off
.LBB238_2884:
	s_mov_b64 s[8:9], 0
.LBB238_2885:
	s_and_b64 vcc, exec, s[8:9]
	s_cbranch_vccz .LBB238_2888
; %bb.2886:
	s_cmp_eq_u32 s14, 29
	s_mov_b64 s[0:1], -1
	s_cbranch_scc0 .LBB238_2888
; %bb.2887:
	v_bfe_i32 v2, v4, 0, 16
	v_ashrrev_i32_e32 v3, 31, v2
	global_store_dwordx2 v[0:1], v[2:3], off
	s_mov_b64 s[0:1], 0
.LBB238_2888:
	s_mov_b64 s[8:9], 0
.LBB238_2889:
	s_and_b64 vcc, exec, s[8:9]
	s_cbranch_vccz .LBB238_2904
; %bb.2890:
	s_cmp_lt_i32 s14, 27
	s_mov_b64 s[8:9], -1
	s_cbranch_scc1 .LBB238_2896
; %bb.2891:
	s_cmp_gt_i32 s14, 27
	s_cbranch_scc0 .LBB238_2893
; %bb.2892:
	v_bfe_i32 v2, v4, 0, 16
	global_store_dword v[0:1], v2, off
	s_mov_b64 s[8:9], 0
.LBB238_2893:
	s_andn2_b64 vcc, exec, s[8:9]
	s_cbranch_vccnz .LBB238_2895
; %bb.2894:
	global_store_short v[0:1], v4, off
.LBB238_2895:
	s_mov_b64 s[8:9], 0
.LBB238_2896:
	s_andn2_b64 vcc, exec, s[8:9]
	s_cbranch_vccnz .LBB238_2904
; %bb.2897:
	v_cvt_f32_i32_sdwa v2, sext(v4) dst_sel:DWORD dst_unused:UNUSED_PAD src0_sel:WORD_0
	s_mov_b32 s8, 0x43800000
	v_mov_b32_e32 v5, 0x80
	v_and_b32_e32 v3, 0x7fffffff, v2
	v_cmp_gt_u32_e32 vcc, s8, v3
	s_and_saveexec_b64 s[8:9], vcc
	s_cbranch_execz .LBB238_2903
; %bb.2898:
	s_mov_b32 s10, 0x3bffffff
	v_cmp_lt_u32_e32 vcc, s10, v3
	s_mov_b64 s[10:11], 0
                                        ; implicit-def: $vgpr3
	s_and_saveexec_b64 s[12:13], vcc
	s_xor_b64 s[12:13], exec, s[12:13]
	s_cbranch_execz .LBB238_3009
; %bb.2899:
	v_bfe_u32 v3, v2, 20, 1
	s_mov_b32 s15, 0x487ffff
	v_add3_u32 v3, v2, v3, s15
	s_mov_b64 s[10:11], exec
	v_lshrrev_b32_e32 v3, 20, v3
	s_andn2_saveexec_b64 s[12:13], s[12:13]
	s_cbranch_execnz .LBB238_3010
.LBB238_2900:
	s_or_b64 exec, exec, s[12:13]
	v_mov_b32_e32 v5, 0
	s_and_saveexec_b64 s[12:13], s[10:11]
.LBB238_2901:
	v_lshrrev_b32_e32 v2, 24, v2
	s_movk_i32 s10, 0x80
	v_and_or_b32 v5, v2, s10, v3
.LBB238_2902:
	s_or_b64 exec, exec, s[12:13]
.LBB238_2903:
	s_or_b64 exec, exec, s[8:9]
	global_store_byte v[0:1], v5, off
.LBB238_2904:
	s_mov_b64 s[8:9], 0
.LBB238_2905:
	s_and_b64 vcc, exec, s[8:9]
	s_cbranch_vccz .LBB238_2945
; %bb.2906:
	s_cmp_gt_i32 s14, 22
	s_mov_b64 s[2:3], -1
	s_cbranch_scc0 .LBB238_2938
; %bb.2907:
	s_cmp_lt_i32 s14, 24
	s_cbranch_scc1 .LBB238_2927
; %bb.2908:
	s_cmp_gt_i32 s14, 24
	s_cbranch_scc0 .LBB238_2916
; %bb.2909:
	v_cvt_f32_i32_sdwa v2, sext(v4) dst_sel:DWORD dst_unused:UNUSED_PAD src0_sel:WORD_0
	s_mov_b32 s2, 0x47800000
	v_mov_b32_e32 v5, 0x80
	v_and_b32_e32 v3, 0x7fffffff, v2
	v_cmp_gt_u32_e32 vcc, s2, v3
	s_and_saveexec_b64 s[2:3], vcc
	s_cbranch_execz .LBB238_2915
; %bb.2910:
	s_mov_b32 s8, 0x37ffffff
	v_cmp_lt_u32_e32 vcc, s8, v3
	s_mov_b64 s[8:9], 0
                                        ; implicit-def: $vgpr3
	s_and_saveexec_b64 s[10:11], vcc
	s_xor_b64 s[10:11], exec, s[10:11]
	s_cbranch_execz .LBB238_3012
; %bb.2911:
	v_bfe_u32 v3, v2, 21, 1
	s_mov_b32 s12, 0x88fffff
	v_add3_u32 v3, v2, v3, s12
	s_mov_b64 s[8:9], exec
	v_lshrrev_b32_e32 v3, 21, v3
	s_andn2_saveexec_b64 s[10:11], s[10:11]
	s_cbranch_execnz .LBB238_3013
.LBB238_2912:
	s_or_b64 exec, exec, s[10:11]
	v_mov_b32_e32 v5, 0
	s_and_saveexec_b64 s[10:11], s[8:9]
.LBB238_2913:
	v_lshrrev_b32_e32 v2, 24, v2
	s_movk_i32 s8, 0x80
	v_and_or_b32 v5, v2, s8, v3
.LBB238_2914:
	s_or_b64 exec, exec, s[10:11]
.LBB238_2915:
	s_or_b64 exec, exec, s[2:3]
	s_mov_b64 s[2:3], 0
	global_store_byte v[0:1], v5, off
.LBB238_2916:
	s_and_b64 vcc, exec, s[2:3]
	s_cbranch_vccz .LBB238_2926
; %bb.2917:
	v_cvt_f32_i32_sdwa v2, sext(v4) dst_sel:DWORD dst_unused:UNUSED_PAD src0_sel:WORD_0
	s_mov_b32 s2, 0x43f00000
                                        ; implicit-def: $vgpr3
	v_and_b32_e32 v5, 0x7fffffff, v2
	v_cmp_gt_u32_e32 vcc, s2, v5
	s_and_saveexec_b64 s[2:3], vcc
	s_xor_b64 s[2:3], exec, s[2:3]
	s_cbranch_execz .LBB238_2923
; %bb.2918:
	s_mov_b32 s8, 0x3c7fffff
	v_cmp_lt_u32_e32 vcc, s8, v5
                                        ; implicit-def: $vgpr3
	s_and_saveexec_b64 s[8:9], vcc
	s_xor_b64 s[8:9], exec, s[8:9]
; %bb.2919:
	v_bfe_u32 v3, v2, 20, 1
	s_mov_b32 s10, 0x407ffff
	v_add3_u32 v3, v2, v3, s10
	v_lshrrev_b32_e32 v5, 20, v3
	v_and_b32_e32 v3, 0xff00000, v3
	s_mov_b32 s10, 0x7f00000
	v_mov_b32_e32 v6, 0x7e
	v_cmp_ne_u32_e32 vcc, s10, v3
	v_cndmask_b32_e32 v3, v6, v5, vcc
; %bb.2920:
	s_andn2_saveexec_b64 s[8:9], s[8:9]
; %bb.2921:
	s_mov_b32 s10, 0x46800000
	v_add_f32_e64 v3, |v2|, s10
; %bb.2922:
	s_or_b64 exec, exec, s[8:9]
                                        ; implicit-def: $vgpr5
.LBB238_2923:
	s_andn2_saveexec_b64 s[2:3], s[2:3]
; %bb.2924:
	s_mov_b32 s8, 0x7f800000
	v_mov_b32_e32 v3, 0x7e
	v_mov_b32_e32 v6, 0x7f
	v_cmp_lt_u32_e32 vcc, s8, v5
	v_cndmask_b32_e32 v3, v3, v6, vcc
; %bb.2925:
	s_or_b64 exec, exec, s[2:3]
	v_lshrrev_b32_e32 v2, 24, v2
	s_movk_i32 s2, 0x80
	v_and_or_b32 v2, v2, s2, v3
	global_store_byte v[0:1], v2, off
.LBB238_2926:
	s_mov_b64 s[2:3], 0
.LBB238_2927:
	s_andn2_b64 vcc, exec, s[2:3]
	s_cbranch_vccnz .LBB238_2937
; %bb.2928:
	v_cvt_f32_i32_sdwa v2, sext(v4) dst_sel:DWORD dst_unused:UNUSED_PAD src0_sel:WORD_0
	s_mov_b32 s2, 0x47800000
                                        ; implicit-def: $vgpr3
	v_and_b32_e32 v5, 0x7fffffff, v2
	v_cmp_gt_u32_e32 vcc, s2, v5
	s_and_saveexec_b64 s[2:3], vcc
	s_xor_b64 s[2:3], exec, s[2:3]
	s_cbranch_execz .LBB238_2934
; %bb.2929:
	s_mov_b32 s8, 0x387fffff
	v_cmp_lt_u32_e32 vcc, s8, v5
                                        ; implicit-def: $vgpr3
	s_and_saveexec_b64 s[8:9], vcc
	s_xor_b64 s[8:9], exec, s[8:9]
; %bb.2930:
	v_bfe_u32 v3, v2, 21, 1
	s_mov_b32 s10, 0x80fffff
	v_add3_u32 v3, v2, v3, s10
	v_lshrrev_b32_e32 v3, 21, v3
; %bb.2931:
	s_andn2_saveexec_b64 s[8:9], s[8:9]
; %bb.2932:
	s_mov_b32 s10, 0x43000000
	v_add_f32_e64 v3, |v2|, s10
; %bb.2933:
	s_or_b64 exec, exec, s[8:9]
                                        ; implicit-def: $vgpr5
.LBB238_2934:
	s_andn2_saveexec_b64 s[2:3], s[2:3]
; %bb.2935:
	s_mov_b32 s8, 0x7f800000
	v_mov_b32_e32 v3, 0x7c
	v_mov_b32_e32 v6, 0x7f
	v_cmp_lt_u32_e32 vcc, s8, v5
	v_cndmask_b32_e32 v3, v3, v6, vcc
; %bb.2936:
	s_or_b64 exec, exec, s[2:3]
	v_lshrrev_b32_e32 v2, 24, v2
	s_movk_i32 s2, 0x80
	v_and_or_b32 v2, v2, s2, v3
	global_store_byte v[0:1], v2, off
.LBB238_2937:
	s_mov_b64 s[2:3], 0
.LBB238_2938:
	s_andn2_b64 vcc, exec, s[2:3]
	s_mov_b64 s[2:3], 0
	s_cbranch_vccnz .LBB238_2945
; %bb.2939:
	s_cmp_gt_i32 s14, 14
	s_mov_b64 s[8:9], -1
	s_cbranch_scc0 .LBB238_2943
; %bb.2940:
	s_cmp_eq_u32 s14, 15
	s_mov_b64 s[0:1], -1
	s_cbranch_scc0 .LBB238_2942
; %bb.2941:
	v_cvt_f32_i32_sdwa v2, sext(v4) dst_sel:DWORD dst_unused:UNUSED_PAD src0_sel:WORD_0
	s_movk_i32 s0, 0x7fff
	v_bfe_u32 v3, v2, 16, 1
	v_add3_u32 v2, v2, v3, s0
	global_store_short_d16_hi v[0:1], v2, off
	s_mov_b64 s[0:1], 0
.LBB238_2942:
	s_mov_b64 s[8:9], 0
.LBB238_2943:
	s_and_b64 vcc, exec, s[8:9]
	s_cbranch_vccz .LBB238_2945
; %bb.2944:
	s_cmp_lg_u32 s14, 11
	s_mov_b64 s[2:3], -1
	s_cselect_b64 s[0:1], -1, 0
.LBB238_2945:
	s_and_b64 vcc, exec, s[0:1]
	s_cbranch_vccnz .LBB238_3011
.LBB238_2946:
	s_mov_b64 s[0:1], 0
	s_branch .LBB238_2948
.LBB238_2947:
	s_mov_b64 s[0:1], 0
	s_mov_b64 s[2:3], 0
                                        ; implicit-def: $sgpr20
                                        ; implicit-def: $vgpr0_vgpr1
                                        ; implicit-def: $vgpr4
.LBB238_2948:
	s_and_b64 s[16:17], s[2:3], exec
	s_andn2_b64 s[2:3], s[6:7], exec
	s_and_b64 s[6:7], s[18:19], exec
	s_and_b64 s[0:1], s[0:1], exec
	s_or_b64 s[6:7], s[2:3], s[6:7]
.LBB238_2949:
	s_or_b64 exec, exec, s[4:5]
	s_and_saveexec_b64 s[2:3], s[6:7]
	s_cbranch_execz .LBB238_2952
; %bb.2950:
	; divergent unreachable
	s_or_b64 exec, exec, s[2:3]
	s_and_saveexec_b64 s[2:3], s[16:17]
	s_xor_b64 s[2:3], exec, s[2:3]
	s_cbranch_execnz .LBB238_2953
.LBB238_2951:
	s_or_b64 exec, exec, s[2:3]
	s_and_saveexec_b64 s[2:3], s[0:1]
	s_cbranch_execnz .LBB238_2954
	s_branch .LBB238_2991
.LBB238_2952:
	s_or_b64 exec, exec, s[2:3]
	s_and_saveexec_b64 s[2:3], s[16:17]
	s_xor_b64 s[2:3], exec, s[2:3]
	s_cbranch_execz .LBB238_2951
.LBB238_2953:
	s_waitcnt vmcnt(0)
	v_cmp_ne_u16_e32 vcc, 0, v4
	v_cndmask_b32_e64 v2, 0, 1, vcc
	global_store_byte v[0:1], v2, off
	s_or_b64 exec, exec, s[2:3]
	s_and_saveexec_b64 s[2:3], s[0:1]
	s_cbranch_execz .LBB238_2991
.LBB238_2954:
	s_sext_i32_i16 s2, s20
	s_cmp_lt_i32 s2, 5
	s_mov_b64 s[0:1], -1
	s_cbranch_scc1 .LBB238_2975
; %bb.2955:
	s_cmp_lt_i32 s2, 8
	s_cbranch_scc1 .LBB238_2965
; %bb.2956:
	s_cmp_lt_i32 s2, 9
	s_cbranch_scc1 .LBB238_2962
; %bb.2957:
	s_cmp_gt_i32 s2, 9
	s_cbranch_scc0 .LBB238_2959
; %bb.2958:
	s_waitcnt vmcnt(0)
	v_bfe_i32 v2, v4, 0, 16
	v_cvt_f64_i32_e32 v[5:6], v2
	v_mov_b32_e32 v7, 0
	v_mov_b32_e32 v8, v7
	s_mov_b64 s[0:1], 0
	global_store_dwordx4 v[0:1], v[5:8], off
.LBB238_2959:
	s_andn2_b64 vcc, exec, s[0:1]
	s_cbranch_vccnz .LBB238_2961
; %bb.2960:
	s_waitcnt vmcnt(0)
	v_cvt_f32_i32_sdwa v2, sext(v4) dst_sel:DWORD dst_unused:UNUSED_PAD src0_sel:WORD_0
	v_mov_b32_e32 v3, 0
	global_store_dwordx2 v[0:1], v[2:3], off
.LBB238_2961:
	s_mov_b64 s[0:1], 0
.LBB238_2962:
	s_andn2_b64 vcc, exec, s[0:1]
	s_cbranch_vccnz .LBB238_2964
; %bb.2963:
	s_waitcnt vmcnt(0)
	v_cvt_f16_i16_e32 v2, v4
	global_store_dword v[0:1], v2, off
.LBB238_2964:
	s_mov_b64 s[0:1], 0
.LBB238_2965:
	s_andn2_b64 vcc, exec, s[0:1]
	s_cbranch_vccnz .LBB238_2974
; %bb.2966:
	s_sext_i32_i16 s2, s20
	s_cmp_lt_i32 s2, 6
	s_mov_b64 s[0:1], -1
	s_cbranch_scc1 .LBB238_2972
; %bb.2967:
	s_cmp_gt_i32 s2, 6
	s_cbranch_scc0 .LBB238_2969
; %bb.2968:
	s_waitcnt vmcnt(0)
	v_bfe_i32 v2, v4, 0, 16
	v_cvt_f64_i32_e32 v[2:3], v2
	s_mov_b64 s[0:1], 0
	global_store_dwordx2 v[0:1], v[2:3], off
.LBB238_2969:
	s_andn2_b64 vcc, exec, s[0:1]
	s_cbranch_vccnz .LBB238_2971
; %bb.2970:
	s_waitcnt vmcnt(0)
	v_cvt_f32_i32_sdwa v2, sext(v4) dst_sel:DWORD dst_unused:UNUSED_PAD src0_sel:WORD_0
	global_store_dword v[0:1], v2, off
.LBB238_2971:
	s_mov_b64 s[0:1], 0
.LBB238_2972:
	s_andn2_b64 vcc, exec, s[0:1]
	s_cbranch_vccnz .LBB238_2974
; %bb.2973:
	s_waitcnt vmcnt(0)
	v_cvt_f16_i16_e32 v2, v4
	global_store_short v[0:1], v2, off
.LBB238_2974:
	s_mov_b64 s[0:1], 0
.LBB238_2975:
	s_andn2_b64 vcc, exec, s[0:1]
	s_cbranch_vccnz .LBB238_2991
; %bb.2976:
	s_sext_i32_i16 s2, s20
	s_cmp_lt_i32 s2, 2
	s_mov_b64 s[0:1], -1
	s_cbranch_scc1 .LBB238_2986
; %bb.2977:
	s_cmp_lt_i32 s2, 3
	s_cbranch_scc1 .LBB238_2983
; %bb.2978:
	s_cmp_gt_i32 s2, 3
	s_waitcnt vmcnt(0)
	v_bfe_i32 v2, v4, 0, 16
	s_cbranch_scc0 .LBB238_2980
; %bb.2979:
	v_ashrrev_i32_e32 v3, 31, v2
	global_store_dwordx2 v[0:1], v[2:3], off
	s_mov_b64 s[0:1], 0
.LBB238_2980:
	s_andn2_b64 vcc, exec, s[0:1]
	s_cbranch_vccnz .LBB238_2982
; %bb.2981:
	global_store_dword v[0:1], v2, off
.LBB238_2982:
	s_mov_b64 s[0:1], 0
.LBB238_2983:
	s_andn2_b64 vcc, exec, s[0:1]
	s_cbranch_vccnz .LBB238_2985
; %bb.2984:
	s_waitcnt vmcnt(0)
	global_store_short v[0:1], v4, off
.LBB238_2985:
	s_mov_b64 s[0:1], 0
.LBB238_2986:
	s_andn2_b64 vcc, exec, s[0:1]
	s_cbranch_vccnz .LBB238_2991
; %bb.2987:
	s_sext_i32_i16 s0, s20
	s_cmp_gt_i32 s0, 0
	s_mov_b64 s[0:1], -1
	s_cbranch_scc0 .LBB238_2989
; %bb.2988:
	s_waitcnt vmcnt(0)
	global_store_byte v[0:1], v4, off
	s_mov_b64 s[0:1], 0
.LBB238_2989:
	s_andn2_b64 vcc, exec, s[0:1]
	s_cbranch_vccnz .LBB238_2991
; %bb.2990:
	s_waitcnt vmcnt(0)
	global_store_byte v[0:1], v4, off
	s_endpgm
.LBB238_2991:
	s_endpgm
.LBB238_2992:
	s_mov_b64 s[2:3], 0
	s_mov_b64 s[0:1], -1
	s_branch .LBB238_2948
.LBB238_2993:
	s_trap 2
	s_or_b64 s[18:19], s[18:19], exec
	s_cbranch_execz .LBB238_2462
	s_branch .LBB238_2463
.LBB238_2994:
	s_andn2_saveexec_b64 s[16:17], s[16:17]
	s_cbranch_execz .LBB238_2542
.LBB238_2995:
	s_mov_b32 s21, 0x46000000
	v_add_f32_e64 v11, |v8|, s21
	v_and_b32_e32 v11, 0xff, v11
	v_cmp_ne_u32_e32 vcc, 0, v11
	s_andn2_b64 s[14:15], s[14:15], exec
	s_and_b64 s[22:23], vcc, exec
	s_or_b64 s[14:15], s[14:15], s[22:23]
	s_or_b64 exec, exec, s[16:17]
	v_mov_b32_e32 v12, 0
	s_and_saveexec_b64 s[16:17], s[14:15]
	s_cbranch_execnz .LBB238_2543
	s_branch .LBB238_2544
.LBB238_2996:
	s_trap 2
	s_or_b64 s[18:19], s[18:19], exec
	s_cbranch_execz .LBB238_2590
	s_branch .LBB238_2591
.LBB238_2997:
	s_andn2_saveexec_b64 s[14:15], s[14:15]
	s_cbranch_execz .LBB238_2555
.LBB238_2998:
	s_mov_b32 s16, 0x42800000
	v_add_f32_e64 v11, |v8|, s16
	v_and_b32_e32 v11, 0xff, v11
	v_cmp_ne_u32_e32 vcc, 0, v11
	s_andn2_b64 s[10:11], s[10:11], exec
	s_and_b64 s[16:17], vcc, exec
	s_or_b64 s[10:11], s[10:11], s[16:17]
	s_or_b64 exec, exec, s[14:15]
	v_mov_b32_e32 v12, 0
	s_and_saveexec_b64 s[14:15], s[10:11]
	s_cbranch_execnz .LBB238_2556
	s_branch .LBB238_2557
.LBB238_2999:
	s_andn2_saveexec_b64 s[14:15], s[14:15]
	s_cbranch_execz .LBB238_2661
.LBB238_3000:
	s_mov_b32 s21, 0x46000000
	v_add_f32_e64 v3, |v2|, s21
	v_and_b32_e32 v3, 0xff, v3
	v_cmp_ne_u32_e32 vcc, 0, v3
	s_andn2_b64 s[12:13], s[12:13], exec
	s_and_b64 s[22:23], vcc, exec
	s_or_b64 s[12:13], s[12:13], s[22:23]
	s_or_b64 exec, exec, s[14:15]
	v_mov_b32_e32 v8, 0
	s_and_saveexec_b64 s[14:15], s[12:13]
	s_cbranch_execnz .LBB238_2662
	s_branch .LBB238_2663
.LBB238_3001:
	s_trap 2
	s_or_b64 s[18:19], s[18:19], exec
	s_cbranch_execz .LBB238_2709
	s_branch .LBB238_2710
.LBB238_3002:
	s_andn2_saveexec_b64 s[12:13], s[12:13]
	s_cbranch_execz .LBB238_2674
.LBB238_3003:
	s_mov_b32 s14, 0x42800000
	v_add_f32_e64 v3, |v2|, s14
	v_and_b32_e32 v3, 0xff, v3
	v_cmp_ne_u32_e32 vcc, 0, v3
	s_andn2_b64 s[10:11], s[10:11], exec
	s_and_b64 s[14:15], vcc, exec
	s_or_b64 s[10:11], s[10:11], s[14:15]
	s_or_b64 exec, exec, s[12:13]
	v_mov_b32_e32 v8, 0
	s_and_saveexec_b64 s[12:13], s[10:11]
	s_cbranch_execnz .LBB238_2675
	s_branch .LBB238_2676
.LBB238_3004:
	s_andn2_saveexec_b64 s[14:15], s[14:15]
	s_cbranch_execz .LBB238_2780
.LBB238_3005:
	s_mov_b32 s21, 0x46000000
	v_add_f32_e64 v3, |v2|, s21
	v_and_b32_e32 v3, 0xff, v3
	v_cmp_ne_u32_e32 vcc, 0, v3
	s_andn2_b64 s[12:13], s[12:13], exec
	s_and_b64 s[22:23], vcc, exec
	s_or_b64 s[12:13], s[12:13], s[22:23]
	s_or_b64 exec, exec, s[14:15]
	v_mov_b32_e32 v6, 0
	s_and_saveexec_b64 s[14:15], s[12:13]
	s_cbranch_execnz .LBB238_2781
	s_branch .LBB238_2782
.LBB238_3006:
	s_trap 2
	s_or_b64 s[18:19], s[18:19], exec
	s_cbranch_execz .LBB238_2828
	s_branch .LBB238_2829
.LBB238_3007:
	s_andn2_saveexec_b64 s[12:13], s[12:13]
	s_cbranch_execz .LBB238_2793
.LBB238_3008:
	s_mov_b32 s14, 0x42800000
	v_add_f32_e64 v3, |v2|, s14
	v_and_b32_e32 v3, 0xff, v3
	v_cmp_ne_u32_e32 vcc, 0, v3
	s_andn2_b64 s[10:11], s[10:11], exec
	s_and_b64 s[14:15], vcc, exec
	s_or_b64 s[10:11], s[10:11], s[14:15]
	s_or_b64 exec, exec, s[12:13]
	v_mov_b32_e32 v6, 0
	s_and_saveexec_b64 s[12:13], s[10:11]
	s_cbranch_execnz .LBB238_2794
	s_branch .LBB238_2795
.LBB238_3009:
	s_andn2_saveexec_b64 s[12:13], s[12:13]
	s_cbranch_execz .LBB238_2900
.LBB238_3010:
	s_mov_b32 s15, 0x46000000
	v_add_f32_e64 v3, |v2|, s15
	v_and_b32_e32 v3, 0xff, v3
	v_cmp_ne_u32_e32 vcc, 0, v3
	s_andn2_b64 s[10:11], s[10:11], exec
	s_and_b64 s[16:17], vcc, exec
	s_or_b64 s[10:11], s[10:11], s[16:17]
	s_or_b64 exec, exec, s[12:13]
	v_mov_b32_e32 v5, 0
	s_and_saveexec_b64 s[12:13], s[10:11]
	s_cbranch_execnz .LBB238_2901
	s_branch .LBB238_2902
.LBB238_3011:
	s_mov_b64 s[2:3], 0
	s_or_b64 s[18:19], s[18:19], exec
	s_trap 2
	s_branch .LBB238_2946
.LBB238_3012:
	s_andn2_saveexec_b64 s[10:11], s[10:11]
	s_cbranch_execz .LBB238_2912
.LBB238_3013:
	s_mov_b32 s12, 0x42800000
	v_add_f32_e64 v3, |v2|, s12
	v_and_b32_e32 v3, 0xff, v3
	v_cmp_ne_u32_e32 vcc, 0, v3
	s_andn2_b64 s[8:9], s[8:9], exec
	s_and_b64 s[12:13], vcc, exec
	s_or_b64 s[8:9], s[8:9], s[12:13]
	s_or_b64 exec, exec, s[10:11]
	v_mov_b32_e32 v5, 0
	s_and_saveexec_b64 s[10:11], s[8:9]
	s_cbranch_execnz .LBB238_2913
	s_branch .LBB238_2914
	.section	.rodata,"a",@progbits
	.p2align	6, 0x0
	.amdhsa_kernel _ZN2at6native32elementwise_kernel_manual_unrollILi128ELi4EZNS0_15gpu_kernel_implINS0_13BinaryFunctorIsssZZZNS0_18rshift_kernel_cudaERNS_18TensorIteratorBaseEENKUlvE_clEvENKUlvE3_clEvEUlssE_EEEEvS5_RKT_EUlibE_EEviT1_
		.amdhsa_group_segment_fixed_size 0
		.amdhsa_private_segment_fixed_size 0
		.amdhsa_kernarg_size 48
		.amdhsa_user_sgpr_count 6
		.amdhsa_user_sgpr_private_segment_buffer 1
		.amdhsa_user_sgpr_dispatch_ptr 0
		.amdhsa_user_sgpr_queue_ptr 0
		.amdhsa_user_sgpr_kernarg_segment_ptr 1
		.amdhsa_user_sgpr_dispatch_id 0
		.amdhsa_user_sgpr_flat_scratch_init 0
		.amdhsa_user_sgpr_private_segment_size 0
		.amdhsa_uses_dynamic_stack 0
		.amdhsa_system_sgpr_private_segment_wavefront_offset 0
		.amdhsa_system_sgpr_workgroup_id_x 1
		.amdhsa_system_sgpr_workgroup_id_y 0
		.amdhsa_system_sgpr_workgroup_id_z 0
		.amdhsa_system_sgpr_workgroup_info 0
		.amdhsa_system_vgpr_workitem_id 0
		.amdhsa_next_free_vgpr 16
		.amdhsa_next_free_sgpr 56
		.amdhsa_reserve_vcc 1
		.amdhsa_reserve_flat_scratch 0
		.amdhsa_float_round_mode_32 0
		.amdhsa_float_round_mode_16_64 0
		.amdhsa_float_denorm_mode_32 3
		.amdhsa_float_denorm_mode_16_64 3
		.amdhsa_dx10_clamp 1
		.amdhsa_ieee_mode 1
		.amdhsa_fp16_overflow 0
		.amdhsa_exception_fp_ieee_invalid_op 0
		.amdhsa_exception_fp_denorm_src 0
		.amdhsa_exception_fp_ieee_div_zero 0
		.amdhsa_exception_fp_ieee_overflow 0
		.amdhsa_exception_fp_ieee_underflow 0
		.amdhsa_exception_fp_ieee_inexact 0
		.amdhsa_exception_int_div_zero 0
	.end_amdhsa_kernel
	.section	.text._ZN2at6native32elementwise_kernel_manual_unrollILi128ELi4EZNS0_15gpu_kernel_implINS0_13BinaryFunctorIsssZZZNS0_18rshift_kernel_cudaERNS_18TensorIteratorBaseEENKUlvE_clEvENKUlvE3_clEvEUlssE_EEEEvS5_RKT_EUlibE_EEviT1_,"axG",@progbits,_ZN2at6native32elementwise_kernel_manual_unrollILi128ELi4EZNS0_15gpu_kernel_implINS0_13BinaryFunctorIsssZZZNS0_18rshift_kernel_cudaERNS_18TensorIteratorBaseEENKUlvE_clEvENKUlvE3_clEvEUlssE_EEEEvS5_RKT_EUlibE_EEviT1_,comdat
.Lfunc_end238:
	.size	_ZN2at6native32elementwise_kernel_manual_unrollILi128ELi4EZNS0_15gpu_kernel_implINS0_13BinaryFunctorIsssZZZNS0_18rshift_kernel_cudaERNS_18TensorIteratorBaseEENKUlvE_clEvENKUlvE3_clEvEUlssE_EEEEvS5_RKT_EUlibE_EEviT1_, .Lfunc_end238-_ZN2at6native32elementwise_kernel_manual_unrollILi128ELi4EZNS0_15gpu_kernel_implINS0_13BinaryFunctorIsssZZZNS0_18rshift_kernel_cudaERNS_18TensorIteratorBaseEENKUlvE_clEvENKUlvE3_clEvEUlssE_EEEEvS5_RKT_EUlibE_EEviT1_
                                        ; -- End function
	.set _ZN2at6native32elementwise_kernel_manual_unrollILi128ELi4EZNS0_15gpu_kernel_implINS0_13BinaryFunctorIsssZZZNS0_18rshift_kernel_cudaERNS_18TensorIteratorBaseEENKUlvE_clEvENKUlvE3_clEvEUlssE_EEEEvS5_RKT_EUlibE_EEviT1_.num_vgpr, 16
	.set _ZN2at6native32elementwise_kernel_manual_unrollILi128ELi4EZNS0_15gpu_kernel_implINS0_13BinaryFunctorIsssZZZNS0_18rshift_kernel_cudaERNS_18TensorIteratorBaseEENKUlvE_clEvENKUlvE3_clEvEUlssE_EEEEvS5_RKT_EUlibE_EEviT1_.num_agpr, 0
	.set _ZN2at6native32elementwise_kernel_manual_unrollILi128ELi4EZNS0_15gpu_kernel_implINS0_13BinaryFunctorIsssZZZNS0_18rshift_kernel_cudaERNS_18TensorIteratorBaseEENKUlvE_clEvENKUlvE3_clEvEUlssE_EEEEvS5_RKT_EUlibE_EEviT1_.numbered_sgpr, 56
	.set _ZN2at6native32elementwise_kernel_manual_unrollILi128ELi4EZNS0_15gpu_kernel_implINS0_13BinaryFunctorIsssZZZNS0_18rshift_kernel_cudaERNS_18TensorIteratorBaseEENKUlvE_clEvENKUlvE3_clEvEUlssE_EEEEvS5_RKT_EUlibE_EEviT1_.num_named_barrier, 0
	.set _ZN2at6native32elementwise_kernel_manual_unrollILi128ELi4EZNS0_15gpu_kernel_implINS0_13BinaryFunctorIsssZZZNS0_18rshift_kernel_cudaERNS_18TensorIteratorBaseEENKUlvE_clEvENKUlvE3_clEvEUlssE_EEEEvS5_RKT_EUlibE_EEviT1_.private_seg_size, 0
	.set _ZN2at6native32elementwise_kernel_manual_unrollILi128ELi4EZNS0_15gpu_kernel_implINS0_13BinaryFunctorIsssZZZNS0_18rshift_kernel_cudaERNS_18TensorIteratorBaseEENKUlvE_clEvENKUlvE3_clEvEUlssE_EEEEvS5_RKT_EUlibE_EEviT1_.uses_vcc, 1
	.set _ZN2at6native32elementwise_kernel_manual_unrollILi128ELi4EZNS0_15gpu_kernel_implINS0_13BinaryFunctorIsssZZZNS0_18rshift_kernel_cudaERNS_18TensorIteratorBaseEENKUlvE_clEvENKUlvE3_clEvEUlssE_EEEEvS5_RKT_EUlibE_EEviT1_.uses_flat_scratch, 0
	.set _ZN2at6native32elementwise_kernel_manual_unrollILi128ELi4EZNS0_15gpu_kernel_implINS0_13BinaryFunctorIsssZZZNS0_18rshift_kernel_cudaERNS_18TensorIteratorBaseEENKUlvE_clEvENKUlvE3_clEvEUlssE_EEEEvS5_RKT_EUlibE_EEviT1_.has_dyn_sized_stack, 0
	.set _ZN2at6native32elementwise_kernel_manual_unrollILi128ELi4EZNS0_15gpu_kernel_implINS0_13BinaryFunctorIsssZZZNS0_18rshift_kernel_cudaERNS_18TensorIteratorBaseEENKUlvE_clEvENKUlvE3_clEvEUlssE_EEEEvS5_RKT_EUlibE_EEviT1_.has_recursion, 0
	.set _ZN2at6native32elementwise_kernel_manual_unrollILi128ELi4EZNS0_15gpu_kernel_implINS0_13BinaryFunctorIsssZZZNS0_18rshift_kernel_cudaERNS_18TensorIteratorBaseEENKUlvE_clEvENKUlvE3_clEvEUlssE_EEEEvS5_RKT_EUlibE_EEviT1_.has_indirect_call, 0
	.section	.AMDGPU.csdata,"",@progbits
; Kernel info:
; codeLenInByte = 44352
; TotalNumSgprs: 60
; NumVgprs: 16
; ScratchSize: 0
; MemoryBound: 1
; FloatMode: 240
; IeeeMode: 1
; LDSByteSize: 0 bytes/workgroup (compile time only)
; SGPRBlocks: 7
; VGPRBlocks: 3
; NumSGPRsForWavesPerEU: 60
; NumVGPRsForWavesPerEU: 16
; Occupancy: 10
; WaveLimiterHint : 0
; COMPUTE_PGM_RSRC2:SCRATCH_EN: 0
; COMPUTE_PGM_RSRC2:USER_SGPR: 6
; COMPUTE_PGM_RSRC2:TRAP_HANDLER: 0
; COMPUTE_PGM_RSRC2:TGID_X_EN: 1
; COMPUTE_PGM_RSRC2:TGID_Y_EN: 0
; COMPUTE_PGM_RSRC2:TGID_Z_EN: 0
; COMPUTE_PGM_RSRC2:TIDIG_COMP_CNT: 0
	.section	.text._ZN2at6native32elementwise_kernel_manual_unrollILi128ELi4EZNS0_15gpu_kernel_implINS0_13BinaryFunctorIsssZZZNS0_18rshift_kernel_cudaERNS_18TensorIteratorBaseEENKUlvE_clEvENKUlvE3_clEvEUlssE_EEEEvS5_RKT_EUlibE0_EEviT1_,"axG",@progbits,_ZN2at6native32elementwise_kernel_manual_unrollILi128ELi4EZNS0_15gpu_kernel_implINS0_13BinaryFunctorIsssZZZNS0_18rshift_kernel_cudaERNS_18TensorIteratorBaseEENKUlvE_clEvENKUlvE3_clEvEUlssE_EEEEvS5_RKT_EUlibE0_EEviT1_,comdat
	.globl	_ZN2at6native32elementwise_kernel_manual_unrollILi128ELi4EZNS0_15gpu_kernel_implINS0_13BinaryFunctorIsssZZZNS0_18rshift_kernel_cudaERNS_18TensorIteratorBaseEENKUlvE_clEvENKUlvE3_clEvEUlssE_EEEEvS5_RKT_EUlibE0_EEviT1_ ; -- Begin function _ZN2at6native32elementwise_kernel_manual_unrollILi128ELi4EZNS0_15gpu_kernel_implINS0_13BinaryFunctorIsssZZZNS0_18rshift_kernel_cudaERNS_18TensorIteratorBaseEENKUlvE_clEvENKUlvE3_clEvEUlssE_EEEEvS5_RKT_EUlibE0_EEviT1_
	.p2align	8
	.type	_ZN2at6native32elementwise_kernel_manual_unrollILi128ELi4EZNS0_15gpu_kernel_implINS0_13BinaryFunctorIsssZZZNS0_18rshift_kernel_cudaERNS_18TensorIteratorBaseEENKUlvE_clEvENKUlvE3_clEvEUlssE_EEEEvS5_RKT_EUlibE0_EEviT1_,@function
_ZN2at6native32elementwise_kernel_manual_unrollILi128ELi4EZNS0_15gpu_kernel_implINS0_13BinaryFunctorIsssZZZNS0_18rshift_kernel_cudaERNS_18TensorIteratorBaseEENKUlvE_clEvENKUlvE3_clEvEUlssE_EEEEvS5_RKT_EUlibE0_EEviT1_: ; @_ZN2at6native32elementwise_kernel_manual_unrollILi128ELi4EZNS0_15gpu_kernel_implINS0_13BinaryFunctorIsssZZZNS0_18rshift_kernel_cudaERNS_18TensorIteratorBaseEENKUlvE_clEvENKUlvE3_clEvEUlssE_EEEEvS5_RKT_EUlibE0_EEviT1_
; %bb.0:
	s_load_dword s66, s[4:5], 0x0
	s_load_dword s33, s[4:5], 0x8
	s_add_u32 s2, s4, 8
	s_addc_u32 s3, s5, 0
	v_lshl_or_b32 v10, s6, 9, v0
	v_or_b32_e32 v21, 0x180, v10
	s_waitcnt lgkmcnt(0)
	s_add_i32 s68, s33, -1
	s_cmp_gt_u32 s68, 1
	v_cmp_le_i32_e32 vcc, s66, v21
	s_cselect_b64 s[20:21], -1, 0
	s_mov_b64 s[6:7], 0
	s_mov_b64 s[12:13], 0
	s_and_saveexec_b64 s[0:1], vcc
	s_xor_b64 s[22:23], exec, s[0:1]
	s_cbranch_execz .LBB239_1557
; %bb.1:
	v_mov_b32_e32 v0, 0
	global_load_ushort v1, v0, s[2:3] offset:417
	global_load_sbyte v2, v0, s[2:3] offset:419
	s_load_dwordx4 s[16:19], s[2:3], 0x4
	s_load_dwordx2 s[28:29], s[2:3], 0x14
	s_load_dwordx4 s[12:15], s[2:3], 0xc4
	s_load_dwordx2 s[26:27], s[2:3], 0xd4
	s_load_dwordx2 s[24:25], s[2:3], 0x198
	s_load_dwordx4 s[8:11], s[2:3], 0x188
	s_cmp_lg_u32 s33, 0
	s_cselect_b64 s[34:35], -1, 0
	s_min_u32 s72, s68, 15
	s_cmp_gt_u32 s33, 1
	v_cmp_gt_i32_e32 vcc, s66, v10
	s_mov_b64 s[0:1], -1
	s_mov_b64 s[46:47], 0
	s_mov_b64 s[40:41], 0
	;; [unrolled: 1-line block ×3, first 2 shown]
	s_cselect_b64 s[30:31], -1, 0
	s_mov_b64 s[36:37], 0
	s_waitcnt vmcnt(1)
	v_readfirstlane_b32 s69, v1
	s_waitcnt vmcnt(0)
	v_readfirstlane_b32 s70, v2
	s_lshr_b32 s71, s69, 8
	s_and_saveexec_b64 s[42:43], vcc
	s_cbranch_execz .LBB239_386
; %bb.2:
	s_andn2_b64 vcc, exec, s[20:21]
	s_cbranch_vccnz .LBB239_8
; %bb.3:
	s_andn2_b64 vcc, exec, s[34:35]
	s_cbranch_vccnz .LBB239_9
; %bb.4:
	s_add_i32 s0, s72, 1
	s_and_b32 s36, s0, 30
	s_add_u32 s0, s2, 0xffffffe8
	s_addc_u32 s1, s3, -1
	v_mov_b32_e32 v3, 0
	v_mov_b32_e32 v5, 0
	v_mov_b32_e32 v0, 0
	v_mov_b32_e32 v1, v10
.LBB239_5:                              ; =>This Inner Loop Header: Depth=1
	s_load_dwordx4 s[48:51], s[0:1], 0x1c
	s_load_dwordx2 s[38:39], s[0:1], 0x2c
	s_load_dwordx2 s[40:41], s[0:1], 0xec
	s_load_dwordx4 s[52:55], s[0:1], 0xdc
	s_add_u32 s0, s0, 24
	s_waitcnt lgkmcnt(0)
	v_mul_hi_u32 v2, s49, v1
	s_addc_u32 s1, s1, 0
	s_add_i32 s36, s36, -2
	s_cmp_lg_u32 s36, 0
	v_add_u32_e32 v2, v1, v2
	v_lshrrev_b32_e32 v2, s50, v2
	v_mul_lo_u32 v4, v2, s48
	v_mul_hi_u32 v6, s38, v2
	v_sub_u32_e32 v4, v1, v4
	v_add_u32_e32 v1, v2, v6
	v_lshrrev_b32_e32 v1, s39, v1
	v_mul_lo_u32 v8, v1, s51
	v_mul_lo_u32 v6, v4, s52
	;; [unrolled: 1-line block ×4, first 2 shown]
	v_sub_u32_e32 v2, v2, v8
	v_mul_lo_u32 v8, v2, s55
	v_mul_lo_u32 v9, v2, s40
	;; [unrolled: 1-line block ×3, first 2 shown]
	v_add3_u32 v0, v6, v0, v8
	v_add3_u32 v5, v7, v5, v9
	;; [unrolled: 1-line block ×3, first 2 shown]
	s_cbranch_scc1 .LBB239_5
; %bb.6:
	s_bitcmp1_b32 s72, 0
	s_cselect_b64 s[36:37], -1, 0
	s_and_b64 vcc, exec, s[36:37]
	s_cbranch_vccnz .LBB239_10
; %bb.7:
	s_load_dwordx2 s[36:37], s[0:1], 0x1c
	s_load_dword s40, s[0:1], 0x24
	s_load_dwordx2 s[38:39], s[0:1], 0xdc
	s_waitcnt lgkmcnt(0)
	v_mul_hi_u32 v2, s37, v1
	v_add_u32_e32 v2, v1, v2
	v_lshrrev_b32_e32 v2, s40, v2
	v_mul_lo_u32 v2, v2, s36
	s_load_dword s36, s[0:1], 0xe4
	v_sub_u32_e32 v2, v1, v2
	v_mad_u64_u32 v[0:1], s[0:1], v2, s38, v[0:1]
	v_mad_u64_u32 v[5:6], s[0:1], v2, s39, v[5:6]
	s_waitcnt lgkmcnt(0)
	v_mad_u64_u32 v[3:4], s[0:1], v2, s36, v[3:4]
	s_cbranch_execz .LBB239_11
	s_branch .LBB239_13
.LBB239_8:
                                        ; implicit-def: $vgpr0
                                        ; implicit-def: $vgpr5
                                        ; implicit-def: $vgpr3
	s_andn2_b64 vcc, exec, s[0:1]
	s_cbranch_vccz .LBB239_11
	s_branch .LBB239_13
.LBB239_9:
	v_mov_b32_e32 v0, 0
	v_mov_b32_e32 v5, 0
	;; [unrolled: 1-line block ×3, first 2 shown]
.LBB239_10:
	s_cbranch_execnz .LBB239_13
.LBB239_11:
	s_waitcnt lgkmcnt(0)
	v_mul_hi_u32 v0, s17, v10
	s_andn2_b64 vcc, exec, s[30:31]
	v_add_u32_e32 v0, v10, v0
	v_lshrrev_b32_e32 v1, s18, v0
	v_mul_lo_u32 v0, v1, s16
	v_sub_u32_e32 v2, v10, v0
	v_mul_lo_u32 v0, v2, s12
	v_mul_lo_u32 v5, v2, s13
	v_mul_lo_u32 v3, v2, s14
	s_cbranch_vccnz .LBB239_13
; %bb.12:
	v_mul_hi_u32 v2, s28, v1
	v_add_u32_e32 v2, v1, v2
	v_lshrrev_b32_e32 v2, s29, v2
	v_mul_lo_u32 v2, v2, s19
	v_sub_u32_e32 v2, v1, v2
	v_mad_u64_u32 v[0:1], s[0:1], v2, s15, v[0:1]
	v_mad_u64_u32 v[5:6], s[0:1], v2, s26, v[5:6]
	;; [unrolled: 1-line block ×3, first 2 shown]
.LBB239_13:
	s_waitcnt lgkmcnt(0)
	v_mov_b32_e32 v1, s11
	s_and_b32 s38, s71, 0xff
	v_add_co_u32_e32 v4, vcc, s10, v5
	s_cmp_lt_i32 s38, 11
	v_addc_co_u32_e32 v5, vcc, 0, v1, vcc
	s_cbranch_scc1 .LBB239_20
; %bb.14:
	s_and_b32 s39, 0xffff, s38
	s_cmp_gt_i32 s39, 25
	s_cbranch_scc0 .LBB239_29
; %bb.15:
	s_cmp_gt_i32 s39, 28
	s_cbranch_scc0 .LBB239_39
; %bb.16:
	;; [unrolled: 3-line block ×4, first 2 shown]
	s_cmp_eq_u32 s39, 46
	s_mov_b64 s[36:37], 0
	s_cbranch_scc0 .LBB239_48
; %bb.19:
	global_load_dword v1, v[4:5], off
	s_mov_b64 s[0:1], -1
	s_mov_b64 s[40:41], 0
	s_waitcnt vmcnt(0)
	v_lshlrev_b32_e32 v1, 16, v1
	v_cvt_i32_f32_e32 v1, v1
	s_branch .LBB239_50
.LBB239_20:
	s_mov_b64 s[40:41], 0
                                        ; implicit-def: $vgpr1
	s_mov_b64 s[0:1], 0
	s_cbranch_execnz .LBB239_112
.LBB239_21:
	s_andn2_b64 vcc, exec, s[0:1]
	s_cbranch_vccnz .LBB239_159
.LBB239_22:
	v_mov_b32_e32 v4, s25
	s_and_b32 s44, s70, 0xff
	s_waitcnt vmcnt(0)
	v_add_co_u32_e32 v2, vcc, s24, v3
	s_cmp_lt_i32 s44, 11
	v_addc_co_u32_e32 v3, vcc, 0, v4, vcc
	s_cbranch_scc1 .LBB239_30
; %bb.23:
	s_and_b32 s45, 0xffff, s44
	s_cmp_gt_i32 s45, 25
	s_cbranch_scc0 .LBB239_40
; %bb.24:
	s_cmp_gt_i32 s45, 28
	s_cbranch_scc0 .LBB239_43
; %bb.25:
	;; [unrolled: 3-line block ×4, first 2 shown]
	s_cmp_eq_u32 s45, 46
	s_mov_b64 s[36:37], 0
	s_cbranch_scc0 .LBB239_160
; %bb.28:
	global_load_dword v4, v[2:3], off
	s_mov_b64 s[0:1], -1
	s_mov_b64 s[38:39], 0
	s_waitcnt vmcnt(0)
	v_lshlrev_b32_e32 v4, 16, v4
	v_cvt_i32_f32_e32 v4, v4
	s_branch .LBB239_162
.LBB239_29:
	s_mov_b64 s[40:41], 0
	s_mov_b64 s[0:1], 0
                                        ; implicit-def: $vgpr1
	s_cbranch_execnz .LBB239_79
	s_branch .LBB239_111
.LBB239_30:
	s_mov_b64 s[38:39], 0
                                        ; implicit-def: $vgpr4
	s_mov_b64 s[0:1], 0
	s_cbranch_execnz .LBB239_335
.LBB239_31:
	s_andn2_b64 vcc, exec, s[0:1]
	s_cbranch_vccnz .LBB239_383
.LBB239_32:
	v_ashrrev_i16_e32 v2, 15, v1
	s_waitcnt vmcnt(0)
	v_ashrrev_i32_sdwa v1, v4, sext(v1) dst_sel:DWORD dst_unused:UNUSED_PAD src0_sel:WORD_0 src1_sel:WORD_0
	v_cmp_lt_u16_e32 vcc, 14, v4
	v_cndmask_b32_e32 v4, v1, v2, vcc
	v_mov_b32_e32 v1, s9
	s_and_b32 s50, s69, 0xff
	v_add_co_u32_e32 v0, vcc, s8, v0
	s_cmp_lt_i32 s50, 11
	v_addc_co_u32_e32 v1, vcc, 0, v1, vcc
	s_cbranch_scc1 .LBB239_41
; %bb.33:
	s_and_b32 s51, 0xffff, s50
	s_cmp_gt_i32 s51, 25
	s_cbranch_scc0 .LBB239_44
; %bb.34:
	s_cmp_gt_i32 s51, 28
	s_cbranch_scc0 .LBB239_47
; %bb.35:
	;; [unrolled: 3-line block ×4, first 2 shown]
	s_mov_b64 s[44:45], 0
	s_mov_b64 s[0:1], -1
	s_cmp_eq_u32 s51, 46
	s_mov_b64 s[36:37], 0
	s_cbranch_scc0 .LBB239_166
; %bb.38:
	v_cvt_f32_i32_sdwa v2, sext(v4) dst_sel:DWORD dst_unused:UNUSED_PAD src0_sel:WORD_0
	s_movk_i32 s0, 0x7fff
	s_mov_b64 s[36:37], -1
	v_bfe_u32 v3, v2, 16, 1
	v_add3_u32 v2, v2, v3, s0
	v_lshrrev_b32_e32 v2, 16, v2
	global_store_dword v[0:1], v2, off
	s_mov_b64 s[0:1], 0
	s_branch .LBB239_166
.LBB239_39:
	s_mov_b64 s[36:37], -1
	s_mov_b64 s[40:41], 0
	s_mov_b64 s[0:1], 0
                                        ; implicit-def: $vgpr1
	s_branch .LBB239_62
.LBB239_40:
	s_mov_b64 s[36:37], -1
	s_mov_b64 s[38:39], 0
	s_mov_b64 s[0:1], 0
                                        ; implicit-def: $vgpr4
	s_branch .LBB239_301
.LBB239_41:
	s_mov_b64 s[44:45], -1
	s_mov_b64 s[0:1], 0
	s_mov_b64 s[36:37], 0
	s_branch .LBB239_235
.LBB239_42:
	s_mov_b64 s[36:37], -1
	s_mov_b64 s[40:41], 0
	s_mov_b64 s[0:1], 0
                                        ; implicit-def: $vgpr1
	s_branch .LBB239_57
.LBB239_43:
	s_mov_b64 s[36:37], -1
	s_mov_b64 s[38:39], 0
	s_mov_b64 s[0:1], 0
                                        ; implicit-def: $vgpr4
	s_branch .LBB239_284
.LBB239_44:
	s_mov_b64 s[44:45], -1
	s_mov_b64 s[0:1], 0
	s_mov_b64 s[36:37], 0
	s_branch .LBB239_193
.LBB239_45:
	s_mov_b64 s[36:37], -1
	s_mov_b64 s[40:41], 0
	s_branch .LBB239_49
.LBB239_46:
	s_mov_b64 s[36:37], -1
	s_mov_b64 s[38:39], 0
	s_mov_b64 s[0:1], 0
                                        ; implicit-def: $vgpr4
	s_branch .LBB239_279
.LBB239_47:
	s_mov_b64 s[44:45], -1
	s_mov_b64 s[0:1], 0
	s_mov_b64 s[36:37], 0
	s_branch .LBB239_176
.LBB239_48:
	s_mov_b64 s[40:41], -1
.LBB239_49:
	s_mov_b64 s[0:1], 0
                                        ; implicit-def: $vgpr1
.LBB239_50:
	s_and_b64 vcc, exec, s[36:37]
	s_cbranch_vccz .LBB239_56
; %bb.51:
	s_cmp_eq_u32 s39, 44
	s_cbranch_scc0 .LBB239_55
; %bb.52:
	global_load_ubyte v1, v[4:5], off
	s_mov_b64 s[0:1], -1
	s_mov_b64 s[40:41], 0
	s_waitcnt vmcnt(0)
	v_lshlrev_b32_e32 v2, 23, v1
	v_cvt_i32_f32_e32 v2, v2
	v_cmp_ne_u32_e32 vcc, 0, v1
	v_cndmask_b32_e32 v1, 0, v2, vcc
	s_branch .LBB239_56
.LBB239_53:
	s_mov_b64 s[36:37], -1
	s_mov_b64 s[38:39], 0
	s_branch .LBB239_161
.LBB239_54:
	s_mov_b64 s[44:45], -1
	s_mov_b64 s[0:1], 0
	s_mov_b64 s[36:37], 0
	s_branch .LBB239_172
.LBB239_55:
	s_mov_b64 s[40:41], -1
                                        ; implicit-def: $vgpr1
.LBB239_56:
	s_mov_b64 s[36:37], 0
.LBB239_57:
	s_and_b64 vcc, exec, s[36:37]
	s_cbranch_vccz .LBB239_61
; %bb.58:
	s_cmp_eq_u32 s39, 29
	s_cbranch_scc0 .LBB239_60
; %bb.59:
	global_load_dwordx2 v[1:2], v[4:5], off
	s_mov_b64 s[0:1], -1
	s_mov_b64 s[40:41], 0
	s_branch .LBB239_61
.LBB239_60:
	s_mov_b64 s[40:41], -1
                                        ; implicit-def: $vgpr1
.LBB239_61:
	s_mov_b64 s[36:37], 0
.LBB239_62:
	s_and_b64 vcc, exec, s[36:37]
	s_cbranch_vccz .LBB239_78
; %bb.63:
	s_cmp_lt_i32 s39, 27
	s_cbranch_scc1 .LBB239_66
; %bb.64:
	s_cmp_gt_i32 s39, 27
	s_cbranch_scc0 .LBB239_67
; %bb.65:
	global_load_dword v1, v[4:5], off
	s_mov_b64 s[0:1], 0
	s_branch .LBB239_68
.LBB239_66:
	s_mov_b64 s[0:1], -1
                                        ; implicit-def: $vgpr1
	s_branch .LBB239_71
.LBB239_67:
	s_mov_b64 s[0:1], -1
                                        ; implicit-def: $vgpr1
.LBB239_68:
	s_andn2_b64 vcc, exec, s[0:1]
	s_cbranch_vccnz .LBB239_70
; %bb.69:
	global_load_ushort v1, v[4:5], off
.LBB239_70:
	s_mov_b64 s[0:1], 0
.LBB239_71:
	s_andn2_b64 vcc, exec, s[0:1]
	s_cbranch_vccnz .LBB239_77
; %bb.72:
	global_load_ubyte v2, v[4:5], off
	s_movk_i32 s0, 0x7f
	s_mov_b64 s[36:37], 0
	s_waitcnt vmcnt(0)
	v_cmp_lt_i16_e32 vcc, s0, v2
	s_and_saveexec_b64 s[0:1], vcc
	s_xor_b64 s[0:1], exec, s[0:1]
	s_cbranch_execz .LBB239_88
; %bb.73:
	s_movk_i32 s36, 0x80
	v_cmp_ne_u16_e32 vcc, s36, v2
	s_and_b64 s[36:37], vcc, exec
	s_andn2_saveexec_b64 s[0:1], s[0:1]
	s_cbranch_execnz .LBB239_89
.LBB239_74:
	s_or_b64 exec, exec, s[0:1]
	v_mov_b32_e32 v1, 0
	s_and_saveexec_b64 s[0:1], s[36:37]
	s_cbranch_execz .LBB239_76
.LBB239_75:
	v_lshlrev_b32_e32 v1, 24, v2
	v_and_b32_e32 v2, 0xffff, v2
	v_and_b32_e32 v6, 7, v2
	v_ffbh_u32_e32 v8, v6
	v_min_u32_e32 v8, 32, v8
	v_subrev_u32_e32 v9, 28, v8
	v_bfe_u32 v7, v2, 3, 4
	v_lshlrev_b32_e32 v2, v9, v2
	v_sub_u32_e32 v8, 29, v8
	v_and_b32_e32 v2, 7, v2
	v_cmp_eq_u32_e32 vcc, 0, v7
	v_cndmask_b32_e32 v7, v7, v8, vcc
	v_cndmask_b32_e32 v2, v6, v2, vcc
	v_mov_b32_e32 v6, 0x3b800000
	v_lshlrev_b32_e32 v2, 20, v2
	v_and_b32_e32 v1, 0x80000000, v1
	v_lshl_add_u32 v6, v7, 23, v6
	v_or3_b32 v1, v1, v6, v2
	v_cvt_i32_f32_e32 v1, v1
.LBB239_76:
	s_or_b64 exec, exec, s[0:1]
.LBB239_77:
	s_mov_b64 s[0:1], -1
.LBB239_78:
	s_branch .LBB239_111
.LBB239_79:
	s_cmp_gt_i32 s39, 22
	s_cbranch_scc0 .LBB239_87
; %bb.80:
	s_cmp_lt_i32 s39, 24
	s_cbranch_scc1 .LBB239_90
; %bb.81:
	s_cmp_gt_i32 s39, 24
	s_cbranch_scc0 .LBB239_91
; %bb.82:
	global_load_ubyte v2, v[4:5], off
	s_movk_i32 s0, 0x7f
	s_mov_b64 s[36:37], 0
	s_waitcnt vmcnt(0)
	v_cmp_lt_i16_e32 vcc, s0, v2
	s_and_saveexec_b64 s[0:1], vcc
	s_xor_b64 s[0:1], exec, s[0:1]
	s_cbranch_execz .LBB239_103
; %bb.83:
	s_movk_i32 s36, 0x80
	v_cmp_ne_u16_e32 vcc, s36, v2
	s_and_b64 s[36:37], vcc, exec
	s_andn2_saveexec_b64 s[0:1], s[0:1]
	s_cbranch_execnz .LBB239_104
.LBB239_84:
	s_or_b64 exec, exec, s[0:1]
	v_mov_b32_e32 v1, 0
	s_and_saveexec_b64 s[0:1], s[36:37]
	s_cbranch_execz .LBB239_86
.LBB239_85:
	v_lshlrev_b32_e32 v1, 24, v2
	v_and_b32_e32 v2, 0xffff, v2
	v_and_b32_e32 v6, 3, v2
	v_ffbh_u32_e32 v8, v6
	v_min_u32_e32 v8, 32, v8
	v_subrev_u32_e32 v9, 29, v8
	v_bfe_u32 v7, v2, 2, 5
	v_lshlrev_b32_e32 v2, v9, v2
	v_sub_u32_e32 v8, 30, v8
	v_and_b32_e32 v2, 3, v2
	v_cmp_eq_u32_e32 vcc, 0, v7
	v_cndmask_b32_e32 v7, v7, v8, vcc
	v_cndmask_b32_e32 v2, v6, v2, vcc
	v_mov_b32_e32 v6, 0x37800000
	v_lshlrev_b32_e32 v2, 21, v2
	v_and_b32_e32 v1, 0x80000000, v1
	v_lshl_add_u32 v6, v7, 23, v6
	v_or3_b32 v1, v1, v6, v2
	v_cvt_i32_f32_e32 v1, v1
.LBB239_86:
	s_or_b64 exec, exec, s[0:1]
	s_mov_b64 s[0:1], 0
	s_branch .LBB239_92
.LBB239_87:
	s_mov_b64 s[36:37], -1
                                        ; implicit-def: $vgpr1
	s_branch .LBB239_98
.LBB239_88:
	s_andn2_saveexec_b64 s[0:1], s[0:1]
	s_cbranch_execz .LBB239_74
.LBB239_89:
	v_cmp_ne_u16_e32 vcc, 0, v2
	s_andn2_b64 s[36:37], s[36:37], exec
	s_and_b64 s[44:45], vcc, exec
	s_or_b64 s[36:37], s[36:37], s[44:45]
	s_or_b64 exec, exec, s[0:1]
	v_mov_b32_e32 v1, 0
	s_and_saveexec_b64 s[0:1], s[36:37]
	s_cbranch_execnz .LBB239_75
	s_branch .LBB239_76
.LBB239_90:
	s_mov_b64 s[0:1], -1
                                        ; implicit-def: $vgpr1
	s_branch .LBB239_95
.LBB239_91:
	s_mov_b64 s[0:1], -1
                                        ; implicit-def: $vgpr1
.LBB239_92:
	s_and_b64 vcc, exec, s[0:1]
	s_cbranch_vccz .LBB239_94
; %bb.93:
	global_load_ubyte v1, v[4:5], off
	s_mov_b32 s0, 0x7f800000
	s_waitcnt vmcnt(0)
	v_lshlrev_b32_e32 v1, 24, v1
	v_and_b32_e32 v2, 0x7f000000, v1
	v_ffbh_u32_e32 v6, v2
	v_min_u32_e32 v6, 32, v6
	v_sub_u32_e64 v6, v6, 4 clamp
	v_lshlrev_b32_e32 v8, v6, v2
	v_lshlrev_b32_e32 v6, 23, v6
	v_lshrrev_b32_e32 v8, 4, v8
	v_add_u32_e32 v7, 0x1000000, v2
	v_sub_u32_e32 v6, v8, v6
	v_ashrrev_i32_e32 v7, 8, v7
	v_add_u32_e32 v6, 0x3c000000, v6
	v_and_or_b32 v6, v7, s0, v6
	v_cmp_ne_u32_e32 vcc, 0, v2
	v_cndmask_b32_e32 v2, 0, v6, vcc
	s_brev_b32 s0, 1
	v_and_or_b32 v1, v1, s0, v2
	v_cvt_i32_f32_e32 v1, v1
.LBB239_94:
	s_mov_b64 s[0:1], 0
.LBB239_95:
	s_andn2_b64 vcc, exec, s[0:1]
	s_cbranch_vccnz .LBB239_97
; %bb.96:
	global_load_ubyte v1, v[4:5], off
	s_movk_i32 s0, 0x7f00
	s_brev_b32 s1, 16
	s_waitcnt vmcnt(0)
	v_lshlrev_b16_e32 v2, 8, v1
	v_lshlrev_b32_e32 v1, 25, v1
	v_lshrrev_b32_e32 v6, 4, v1
	v_and_or_b32 v7, v2, s0, 0.5
	v_or_b32_e32 v6, 0x70000000, v6
	v_add_f32_e32 v7, -0.5, v7
	v_mul_f32_e32 v6, 0x7800000, v6
	v_cmp_gt_u32_e32 vcc, s1, v1
	v_bfe_i32 v2, v2, 0, 16
	v_cndmask_b32_e32 v1, v6, v7, vcc
	s_brev_b32 s0, 1
	v_and_or_b32 v1, v2, s0, v1
	v_cvt_i32_f32_e32 v1, v1
.LBB239_97:
	s_mov_b64 s[36:37], 0
	s_mov_b64 s[0:1], -1
.LBB239_98:
	s_andn2_b64 vcc, exec, s[36:37]
	s_cbranch_vccnz .LBB239_111
; %bb.99:
	s_cmp_gt_i32 s39, 14
	s_cbranch_scc0 .LBB239_102
; %bb.100:
	s_cmp_eq_u32 s39, 15
	s_cbranch_scc0 .LBB239_105
; %bb.101:
	global_load_ushort v1, v[4:5], off
	s_mov_b64 s[0:1], -1
	s_mov_b64 s[40:41], 0
	s_waitcnt vmcnt(0)
	v_lshlrev_b32_e32 v1, 16, v1
	v_cvt_i32_f32_e32 v1, v1
	s_branch .LBB239_106
.LBB239_102:
	s_mov_b64 s[36:37], -1
                                        ; implicit-def: $vgpr1
	s_branch .LBB239_107
.LBB239_103:
	s_andn2_saveexec_b64 s[0:1], s[0:1]
	s_cbranch_execz .LBB239_84
.LBB239_104:
	v_cmp_ne_u16_e32 vcc, 0, v2
	s_andn2_b64 s[36:37], s[36:37], exec
	s_and_b64 s[44:45], vcc, exec
	s_or_b64 s[36:37], s[36:37], s[44:45]
	s_or_b64 exec, exec, s[0:1]
	v_mov_b32_e32 v1, 0
	s_and_saveexec_b64 s[0:1], s[36:37]
	s_cbranch_execnz .LBB239_85
	s_branch .LBB239_86
.LBB239_105:
	s_mov_b64 s[40:41], -1
                                        ; implicit-def: $vgpr1
.LBB239_106:
	s_mov_b64 s[36:37], 0
.LBB239_107:
	s_and_b64 vcc, exec, s[36:37]
	s_cbranch_vccz .LBB239_111
; %bb.108:
	s_cmp_eq_u32 s39, 11
	s_cbranch_scc0 .LBB239_110
; %bb.109:
	global_load_ubyte v1, v[4:5], off
	s_mov_b64 s[0:1], -1
	s_mov_b64 s[40:41], 0
	s_waitcnt vmcnt(0)
	v_cmp_ne_u16_e32 vcc, 0, v1
	v_cndmask_b32_e64 v1, 0, 1, vcc
	s_branch .LBB239_111
.LBB239_110:
	s_mov_b64 s[40:41], -1
                                        ; implicit-def: $vgpr1
.LBB239_111:
	s_branch .LBB239_21
.LBB239_112:
	s_and_b32 s36, 0xffff, s38
	s_cmp_lt_i32 s36, 5
	s_cbranch_scc1 .LBB239_117
; %bb.113:
	s_cmp_lt_i32 s36, 8
	s_cbranch_scc1 .LBB239_118
; %bb.114:
	s_cmp_lt_i32 s36, 9
	s_cbranch_scc1 .LBB239_119
; %bb.115:
	s_cmp_gt_i32 s36, 9
	s_cbranch_scc0 .LBB239_120
; %bb.116:
	global_load_dwordx2 v[1:2], v[4:5], off
	s_mov_b64 s[0:1], 0
	s_waitcnt vmcnt(0)
	v_cvt_i32_f64_e32 v1, v[1:2]
	s_branch .LBB239_121
.LBB239_117:
                                        ; implicit-def: $vgpr1
	s_branch .LBB239_139
.LBB239_118:
	s_mov_b64 s[0:1], -1
                                        ; implicit-def: $vgpr1
	s_branch .LBB239_127
.LBB239_119:
	s_mov_b64 s[0:1], -1
                                        ; implicit-def: $vgpr1
	s_branch .LBB239_124
.LBB239_120:
	s_mov_b64 s[0:1], -1
                                        ; implicit-def: $vgpr1
.LBB239_121:
	s_andn2_b64 vcc, exec, s[0:1]
	s_cbranch_vccnz .LBB239_123
; %bb.122:
	global_load_dword v1, v[4:5], off
	s_waitcnt vmcnt(0)
	v_cvt_i32_f32_e32 v1, v1
.LBB239_123:
	s_mov_b64 s[0:1], 0
.LBB239_124:
	s_andn2_b64 vcc, exec, s[0:1]
	s_cbranch_vccnz .LBB239_126
; %bb.125:
	global_load_dword v1, v[4:5], off
	s_waitcnt vmcnt(0)
	v_cvt_i16_f16_e32 v1, v1
.LBB239_126:
	s_mov_b64 s[0:1], 0
.LBB239_127:
	s_andn2_b64 vcc, exec, s[0:1]
	s_cbranch_vccnz .LBB239_138
; %bb.128:
	s_cmp_lt_i32 s36, 6
	s_cbranch_scc1 .LBB239_131
; %bb.129:
	s_cmp_gt_i32 s36, 6
	s_cbranch_scc0 .LBB239_132
; %bb.130:
	global_load_dwordx2 v[1:2], v[4:5], off
	s_mov_b64 s[0:1], 0
	s_waitcnt vmcnt(0)
	v_cvt_i32_f64_e32 v1, v[1:2]
	s_branch .LBB239_133
.LBB239_131:
	s_mov_b64 s[0:1], -1
                                        ; implicit-def: $vgpr1
	s_branch .LBB239_136
.LBB239_132:
	s_mov_b64 s[0:1], -1
                                        ; implicit-def: $vgpr1
.LBB239_133:
	s_andn2_b64 vcc, exec, s[0:1]
	s_cbranch_vccnz .LBB239_135
; %bb.134:
	global_load_dword v1, v[4:5], off
	s_waitcnt vmcnt(0)
	v_cvt_i32_f32_e32 v1, v1
.LBB239_135:
	s_mov_b64 s[0:1], 0
.LBB239_136:
	s_andn2_b64 vcc, exec, s[0:1]
	s_cbranch_vccnz .LBB239_138
; %bb.137:
	global_load_ushort v1, v[4:5], off
	s_waitcnt vmcnt(0)
	v_cvt_i16_f16_e32 v1, v1
.LBB239_138:
	s_cbranch_execnz .LBB239_158
.LBB239_139:
	s_cmp_lt_i32 s36, 2
	s_cbranch_scc1 .LBB239_143
; %bb.140:
	s_cmp_lt_i32 s36, 3
	s_cbranch_scc1 .LBB239_144
; %bb.141:
	s_cmp_gt_i32 s36, 3
	s_cbranch_scc0 .LBB239_145
; %bb.142:
	global_load_dwordx2 v[1:2], v[4:5], off
	s_mov_b64 s[0:1], 0
	s_branch .LBB239_146
.LBB239_143:
	s_mov_b64 s[0:1], -1
                                        ; implicit-def: $vgpr1
	s_branch .LBB239_152
.LBB239_144:
	s_mov_b64 s[0:1], -1
                                        ; implicit-def: $vgpr1
	s_branch .LBB239_149
.LBB239_145:
	s_mov_b64 s[0:1], -1
                                        ; implicit-def: $vgpr1
.LBB239_146:
	s_andn2_b64 vcc, exec, s[0:1]
	s_cbranch_vccnz .LBB239_148
; %bb.147:
	global_load_dword v1, v[4:5], off
.LBB239_148:
	s_mov_b64 s[0:1], 0
.LBB239_149:
	s_andn2_b64 vcc, exec, s[0:1]
	s_cbranch_vccnz .LBB239_151
; %bb.150:
	global_load_ushort v1, v[4:5], off
.LBB239_151:
	s_mov_b64 s[0:1], 0
.LBB239_152:
	s_andn2_b64 vcc, exec, s[0:1]
	s_cbranch_vccnz .LBB239_158
; %bb.153:
	s_cmp_gt_i32 s36, 0
	s_cbranch_scc0 .LBB239_155
; %bb.154:
	global_load_sbyte v1, v[4:5], off
	s_mov_b64 s[0:1], 0
	s_branch .LBB239_156
.LBB239_155:
	s_mov_b64 s[0:1], -1
                                        ; implicit-def: $vgpr1
.LBB239_156:
	s_andn2_b64 vcc, exec, s[0:1]
	s_cbranch_vccnz .LBB239_158
; %bb.157:
	global_load_ubyte v1, v[4:5], off
.LBB239_158:
	s_branch .LBB239_22
.LBB239_159:
	s_mov_b64 s[0:1], 0
	s_mov_b64 s[38:39], 0
	s_branch .LBB239_384
.LBB239_160:
	s_mov_b64 s[38:39], -1
.LBB239_161:
	s_mov_b64 s[0:1], 0
                                        ; implicit-def: $vgpr4
.LBB239_162:
	s_and_b64 vcc, exec, s[36:37]
	s_cbranch_vccz .LBB239_278
; %bb.163:
	s_cmp_eq_u32 s45, 44
	s_cbranch_scc0 .LBB239_277
; %bb.164:
	global_load_ubyte v4, v[2:3], off
	s_mov_b64 s[0:1], -1
	s_mov_b64 s[38:39], 0
	s_waitcnt vmcnt(0)
	v_lshlrev_b32_e32 v5, 23, v4
	v_cvt_i32_f32_e32 v5, v5
	v_cmp_ne_u32_e32 vcc, 0, v4
	v_cndmask_b32_e32 v4, 0, v5, vcc
	s_branch .LBB239_278
.LBB239_165:
	s_mov_b64 s[44:45], -1
	s_mov_b64 s[0:1], 0
	s_mov_b64 s[36:37], 0
.LBB239_166:
	s_and_b64 vcc, exec, s[44:45]
	s_cbranch_vccz .LBB239_171
; %bb.167:
	s_cmp_eq_u32 s51, 44
	s_mov_b64 s[0:1], -1
	s_cbranch_scc0 .LBB239_171
; %bb.168:
	v_cvt_f32_i32_sdwa v2, sext(v4) dst_sel:DWORD dst_unused:UNUSED_PAD src0_sel:WORD_0
	s_movk_i32 s0, 0xff
	v_mov_b32_e32 v5, 0xff
	v_bfe_u32 v3, v2, 23, 8
	v_cmp_ne_u32_e32 vcc, s0, v3
	s_and_saveexec_b64 s[36:37], vcc
; %bb.169:
	s_mov_b32 s0, 0x3fffff
	v_lshrrev_b32_e32 v5, 23, v2
	v_and_b32_e32 v6, 0x400000, v2
	v_and_or_b32 v2, v2, s0, v3
	v_cmp_ne_u32_e32 vcc, 0, v6
	v_cmp_ne_u32_e64 s[0:1], 0, v2
	s_and_b64 s[0:1], vcc, s[0:1]
	v_cndmask_b32_e64 v2, 0, 1, s[0:1]
	v_add_u32_e32 v5, v5, v2
; %bb.170:
	s_or_b64 exec, exec, s[36:37]
	s_mov_b64 s[36:37], -1
	s_mov_b64 s[0:1], 0
	global_store_byte v[0:1], v5, off
.LBB239_171:
	s_mov_b64 s[44:45], 0
.LBB239_172:
	s_and_b64 vcc, exec, s[44:45]
	s_cbranch_vccz .LBB239_175
; %bb.173:
	s_cmp_eq_u32 s51, 29
	s_mov_b64 s[0:1], -1
	s_cbranch_scc0 .LBB239_175
; %bb.174:
	v_bfe_i32 v2, v4, 0, 16
	v_ashrrev_i32_e32 v3, 31, v2
	global_store_dwordx2 v[0:1], v[2:3], off
	s_mov_b64 s[36:37], -1
	s_mov_b64 s[0:1], 0
.LBB239_175:
	s_mov_b64 s[44:45], 0
.LBB239_176:
	s_and_b64 vcc, exec, s[44:45]
	s_cbranch_vccz .LBB239_192
; %bb.177:
	s_cmp_lt_i32 s51, 27
	s_mov_b64 s[36:37], -1
	s_cbranch_scc1 .LBB239_183
; %bb.178:
	s_cmp_gt_i32 s51, 27
	s_cbranch_scc0 .LBB239_180
; %bb.179:
	v_bfe_i32 v2, v4, 0, 16
	s_mov_b64 s[36:37], 0
	global_store_dword v[0:1], v2, off
.LBB239_180:
	s_andn2_b64 vcc, exec, s[36:37]
	s_cbranch_vccnz .LBB239_182
; %bb.181:
	global_store_short v[0:1], v4, off
.LBB239_182:
	s_mov_b64 s[36:37], 0
.LBB239_183:
	s_andn2_b64 vcc, exec, s[36:37]
	s_cbranch_vccnz .LBB239_191
; %bb.184:
	v_cvt_f32_i32_sdwa v2, sext(v4) dst_sel:DWORD dst_unused:UNUSED_PAD src0_sel:WORD_0
	s_mov_b32 s36, 0x43800000
	v_mov_b32_e32 v5, 0x80
	v_and_b32_e32 v3, 0x7fffffff, v2
	v_cmp_gt_u32_e32 vcc, s36, v3
	s_and_saveexec_b64 s[36:37], vcc
	s_cbranch_execz .LBB239_190
; %bb.185:
	s_mov_b32 s44, 0x3bffffff
	v_cmp_lt_u32_e32 vcc, s44, v3
	s_mov_b64 s[44:45], 0
                                        ; implicit-def: $vgpr3
	s_and_saveexec_b64 s[48:49], vcc
	s_xor_b64 s[48:49], exec, s[48:49]
	s_cbranch_execz .LBB239_426
; %bb.186:
	v_bfe_u32 v3, v2, 20, 1
	s_mov_b32 s52, 0x487ffff
	v_add3_u32 v3, v2, v3, s52
	s_mov_b64 s[44:45], exec
	v_lshrrev_b32_e32 v3, 20, v3
	s_andn2_saveexec_b64 s[48:49], s[48:49]
	s_cbranch_execnz .LBB239_427
.LBB239_187:
	s_or_b64 exec, exec, s[48:49]
	v_mov_b32_e32 v5, 0
	s_and_saveexec_b64 s[48:49], s[44:45]
.LBB239_188:
	v_lshrrev_b32_e32 v2, 24, v2
	s_movk_i32 s44, 0x80
	v_and_or_b32 v5, v2, s44, v3
.LBB239_189:
	s_or_b64 exec, exec, s[48:49]
.LBB239_190:
	s_or_b64 exec, exec, s[36:37]
	global_store_byte v[0:1], v5, off
.LBB239_191:
	s_mov_b64 s[36:37], -1
.LBB239_192:
	s_mov_b64 s[44:45], 0
.LBB239_193:
	s_and_b64 vcc, exec, s[44:45]
	s_cbranch_vccz .LBB239_234
; %bb.194:
	s_cmp_gt_i32 s51, 22
	s_mov_b64 s[44:45], -1
	s_cbranch_scc0 .LBB239_226
; %bb.195:
	s_cmp_lt_i32 s51, 24
	s_mov_b64 s[36:37], -1
	s_cbranch_scc1 .LBB239_215
; %bb.196:
	s_cmp_gt_i32 s51, 24
	s_cbranch_scc0 .LBB239_204
; %bb.197:
	v_cvt_f32_i32_sdwa v2, sext(v4) dst_sel:DWORD dst_unused:UNUSED_PAD src0_sel:WORD_0
	s_mov_b32 s36, 0x47800000
	v_mov_b32_e32 v5, 0x80
	v_and_b32_e32 v3, 0x7fffffff, v2
	v_cmp_gt_u32_e32 vcc, s36, v3
	s_and_saveexec_b64 s[36:37], vcc
	s_cbranch_execz .LBB239_203
; %bb.198:
	s_mov_b32 s44, 0x37ffffff
	v_cmp_lt_u32_e32 vcc, s44, v3
	s_mov_b64 s[44:45], 0
                                        ; implicit-def: $vgpr3
	s_and_saveexec_b64 s[48:49], vcc
	s_xor_b64 s[48:49], exec, s[48:49]
	s_cbranch_execz .LBB239_541
; %bb.199:
	v_bfe_u32 v3, v2, 21, 1
	s_mov_b32 s52, 0x88fffff
	v_add3_u32 v3, v2, v3, s52
	s_mov_b64 s[44:45], exec
	v_lshrrev_b32_e32 v3, 21, v3
	s_andn2_saveexec_b64 s[48:49], s[48:49]
	s_cbranch_execnz .LBB239_542
.LBB239_200:
	s_or_b64 exec, exec, s[48:49]
	v_mov_b32_e32 v5, 0
	s_and_saveexec_b64 s[48:49], s[44:45]
.LBB239_201:
	v_lshrrev_b32_e32 v2, 24, v2
	s_movk_i32 s44, 0x80
	v_and_or_b32 v5, v2, s44, v3
.LBB239_202:
	s_or_b64 exec, exec, s[48:49]
.LBB239_203:
	s_or_b64 exec, exec, s[36:37]
	s_mov_b64 s[36:37], 0
	global_store_byte v[0:1], v5, off
.LBB239_204:
	s_and_b64 vcc, exec, s[36:37]
	s_cbranch_vccz .LBB239_214
; %bb.205:
	v_cvt_f32_i32_sdwa v2, sext(v4) dst_sel:DWORD dst_unused:UNUSED_PAD src0_sel:WORD_0
	s_mov_b32 s36, 0x43f00000
                                        ; implicit-def: $vgpr3
	v_and_b32_e32 v5, 0x7fffffff, v2
	v_cmp_gt_u32_e32 vcc, s36, v5
	s_and_saveexec_b64 s[36:37], vcc
	s_xor_b64 s[36:37], exec, s[36:37]
	s_cbranch_execz .LBB239_211
; %bb.206:
	s_mov_b32 s44, 0x3c7fffff
	v_cmp_lt_u32_e32 vcc, s44, v5
                                        ; implicit-def: $vgpr3
	s_and_saveexec_b64 s[44:45], vcc
	s_xor_b64 s[44:45], exec, s[44:45]
; %bb.207:
	v_bfe_u32 v3, v2, 20, 1
	s_mov_b32 s48, 0x407ffff
	v_add3_u32 v3, v2, v3, s48
	v_lshrrev_b32_e32 v5, 20, v3
	v_and_b32_e32 v3, 0xff00000, v3
	s_mov_b32 s48, 0x7f00000
	v_mov_b32_e32 v6, 0x7e
	v_cmp_ne_u32_e32 vcc, s48, v3
	v_cndmask_b32_e32 v3, v6, v5, vcc
; %bb.208:
	s_andn2_saveexec_b64 s[44:45], s[44:45]
; %bb.209:
	s_mov_b32 s48, 0x46800000
	v_add_f32_e64 v3, |v2|, s48
; %bb.210:
	s_or_b64 exec, exec, s[44:45]
                                        ; implicit-def: $vgpr5
.LBB239_211:
	s_andn2_saveexec_b64 s[36:37], s[36:37]
; %bb.212:
	s_mov_b32 s44, 0x7f800000
	v_mov_b32_e32 v3, 0x7e
	v_mov_b32_e32 v6, 0x7f
	v_cmp_lt_u32_e32 vcc, s44, v5
	v_cndmask_b32_e32 v3, v3, v6, vcc
; %bb.213:
	s_or_b64 exec, exec, s[36:37]
	v_lshrrev_b32_e32 v2, 24, v2
	s_movk_i32 s36, 0x80
	v_and_or_b32 v2, v2, s36, v3
	global_store_byte v[0:1], v2, off
.LBB239_214:
	s_mov_b64 s[36:37], 0
.LBB239_215:
	s_andn2_b64 vcc, exec, s[36:37]
	s_cbranch_vccnz .LBB239_225
; %bb.216:
	v_cvt_f32_i32_sdwa v2, sext(v4) dst_sel:DWORD dst_unused:UNUSED_PAD src0_sel:WORD_0
	s_mov_b32 s36, 0x47800000
                                        ; implicit-def: $vgpr3
	v_and_b32_e32 v5, 0x7fffffff, v2
	v_cmp_gt_u32_e32 vcc, s36, v5
	s_and_saveexec_b64 s[36:37], vcc
	s_xor_b64 s[36:37], exec, s[36:37]
	s_cbranch_execz .LBB239_222
; %bb.217:
	s_mov_b32 s44, 0x387fffff
	v_cmp_lt_u32_e32 vcc, s44, v5
                                        ; implicit-def: $vgpr3
	s_and_saveexec_b64 s[44:45], vcc
	s_xor_b64 s[44:45], exec, s[44:45]
; %bb.218:
	v_bfe_u32 v3, v2, 21, 1
	s_mov_b32 s48, 0x80fffff
	v_add3_u32 v3, v2, v3, s48
	v_lshrrev_b32_e32 v3, 21, v3
; %bb.219:
	s_andn2_saveexec_b64 s[44:45], s[44:45]
; %bb.220:
	s_mov_b32 s48, 0x43000000
	v_add_f32_e64 v3, |v2|, s48
; %bb.221:
	s_or_b64 exec, exec, s[44:45]
                                        ; implicit-def: $vgpr5
.LBB239_222:
	s_andn2_saveexec_b64 s[36:37], s[36:37]
; %bb.223:
	s_mov_b32 s44, 0x7f800000
	v_mov_b32_e32 v3, 0x7c
	v_mov_b32_e32 v6, 0x7f
	v_cmp_lt_u32_e32 vcc, s44, v5
	v_cndmask_b32_e32 v3, v3, v6, vcc
; %bb.224:
	s_or_b64 exec, exec, s[36:37]
	v_lshrrev_b32_e32 v2, 24, v2
	s_movk_i32 s36, 0x80
	v_and_or_b32 v2, v2, s36, v3
	global_store_byte v[0:1], v2, off
.LBB239_225:
	s_mov_b64 s[44:45], 0
	s_mov_b64 s[36:37], -1
.LBB239_226:
	s_andn2_b64 vcc, exec, s[44:45]
	s_cbranch_vccnz .LBB239_234
; %bb.227:
	s_cmp_gt_i32 s51, 14
	s_mov_b64 s[44:45], -1
	s_cbranch_scc0 .LBB239_231
; %bb.228:
	s_cmp_eq_u32 s51, 15
	s_mov_b64 s[0:1], -1
	s_cbranch_scc0 .LBB239_230
; %bb.229:
	v_cvt_f32_i32_sdwa v2, sext(v4) dst_sel:DWORD dst_unused:UNUSED_PAD src0_sel:WORD_0
	s_movk_i32 s0, 0x7fff
	s_mov_b64 s[36:37], -1
	v_bfe_u32 v3, v2, 16, 1
	v_add3_u32 v2, v2, v3, s0
	global_store_short_d16_hi v[0:1], v2, off
	s_mov_b64 s[0:1], 0
.LBB239_230:
	s_mov_b64 s[44:45], 0
.LBB239_231:
	s_and_b64 vcc, exec, s[44:45]
	s_cbranch_vccz .LBB239_234
; %bb.232:
	s_cmp_eq_u32 s51, 11
	s_mov_b64 s[0:1], -1
	s_cbranch_scc0 .LBB239_234
; %bb.233:
	v_cmp_ne_u16_e32 vcc, 0, v4
	v_cndmask_b32_e64 v2, 0, 1, vcc
	s_mov_b64 s[36:37], -1
	s_mov_b64 s[0:1], 0
	global_store_byte v[0:1], v2, off
.LBB239_234:
	s_mov_b64 s[44:45], 0
.LBB239_235:
	s_and_b64 vcc, exec, s[44:45]
	s_cbranch_vccz .LBB239_274
; %bb.236:
	s_and_b32 s44, 0xffff, s50
	s_cmp_lt_i32 s44, 5
	s_mov_b64 s[36:37], -1
	s_cbranch_scc1 .LBB239_257
; %bb.237:
	s_cmp_lt_i32 s44, 8
	s_cbranch_scc1 .LBB239_247
; %bb.238:
	s_cmp_lt_i32 s44, 9
	s_cbranch_scc1 .LBB239_244
; %bb.239:
	s_cmp_gt_i32 s44, 9
	s_cbranch_scc0 .LBB239_241
; %bb.240:
	v_bfe_i32 v2, v4, 0, 16
	v_cvt_f64_i32_e32 v[5:6], v2
	v_mov_b32_e32 v7, 0
	v_mov_b32_e32 v8, v7
	s_mov_b64 s[36:37], 0
	global_store_dwordx4 v[0:1], v[5:8], off
.LBB239_241:
	s_andn2_b64 vcc, exec, s[36:37]
	s_cbranch_vccnz .LBB239_243
; %bb.242:
	v_cvt_f32_i32_sdwa v2, sext(v4) dst_sel:DWORD dst_unused:UNUSED_PAD src0_sel:WORD_0
	v_mov_b32_e32 v3, 0
	global_store_dwordx2 v[0:1], v[2:3], off
.LBB239_243:
	s_mov_b64 s[36:37], 0
.LBB239_244:
	s_andn2_b64 vcc, exec, s[36:37]
	s_cbranch_vccnz .LBB239_246
; %bb.245:
	v_cvt_f16_i16_e32 v2, v4
	global_store_dword v[0:1], v2, off
.LBB239_246:
	s_mov_b64 s[36:37], 0
.LBB239_247:
	s_andn2_b64 vcc, exec, s[36:37]
	s_cbranch_vccnz .LBB239_256
; %bb.248:
	s_cmp_lt_i32 s44, 6
	s_mov_b64 s[36:37], -1
	s_cbranch_scc1 .LBB239_254
; %bb.249:
	s_cmp_gt_i32 s44, 6
	s_cbranch_scc0 .LBB239_251
; %bb.250:
	v_bfe_i32 v2, v4, 0, 16
	v_cvt_f64_i32_e32 v[2:3], v2
	s_mov_b64 s[36:37], 0
	global_store_dwordx2 v[0:1], v[2:3], off
.LBB239_251:
	s_andn2_b64 vcc, exec, s[36:37]
	s_cbranch_vccnz .LBB239_253
; %bb.252:
	v_cvt_f32_i32_sdwa v2, sext(v4) dst_sel:DWORD dst_unused:UNUSED_PAD src0_sel:WORD_0
	global_store_dword v[0:1], v2, off
.LBB239_253:
	s_mov_b64 s[36:37], 0
.LBB239_254:
	s_andn2_b64 vcc, exec, s[36:37]
	s_cbranch_vccnz .LBB239_256
; %bb.255:
	v_cvt_f16_i16_e32 v2, v4
	global_store_short v[0:1], v2, off
.LBB239_256:
	s_mov_b64 s[36:37], 0
.LBB239_257:
	s_andn2_b64 vcc, exec, s[36:37]
	s_cbranch_vccnz .LBB239_273
; %bb.258:
	s_cmp_lt_i32 s44, 2
	s_mov_b64 s[36:37], -1
	s_cbranch_scc1 .LBB239_268
; %bb.259:
	s_cmp_lt_i32 s44, 3
	s_cbranch_scc1 .LBB239_265
; %bb.260:
	s_cmp_gt_i32 s44, 3
	v_bfe_i32 v2, v4, 0, 16
	s_cbranch_scc0 .LBB239_262
; %bb.261:
	v_ashrrev_i32_e32 v3, 31, v2
	global_store_dwordx2 v[0:1], v[2:3], off
	s_mov_b64 s[36:37], 0
.LBB239_262:
	s_andn2_b64 vcc, exec, s[36:37]
	s_cbranch_vccnz .LBB239_264
; %bb.263:
	global_store_dword v[0:1], v2, off
.LBB239_264:
	s_mov_b64 s[36:37], 0
.LBB239_265:
	s_andn2_b64 vcc, exec, s[36:37]
	s_cbranch_vccnz .LBB239_267
; %bb.266:
	global_store_short v[0:1], v4, off
.LBB239_267:
	s_mov_b64 s[36:37], 0
.LBB239_268:
	s_andn2_b64 vcc, exec, s[36:37]
	s_cbranch_vccnz .LBB239_273
; %bb.269:
	s_cmp_gt_i32 s44, 0
	s_mov_b64 s[36:37], -1
	s_cbranch_scc0 .LBB239_271
; %bb.270:
	global_store_byte v[0:1], v4, off
	s_mov_b64 s[36:37], 0
.LBB239_271:
	s_andn2_b64 vcc, exec, s[36:37]
	s_cbranch_vccnz .LBB239_273
; %bb.272:
	global_store_byte v[0:1], v4, off
.LBB239_273:
	s_mov_b64 s[36:37], -1
.LBB239_274:
	s_andn2_b64 vcc, exec, s[36:37]
	s_cbranch_vccnz .LBB239_276
; %bb.275:
	v_add_u32_e32 v10, 0x80, v10
	s_mov_b64 s[44:45], -1
	s_branch .LBB239_385
.LBB239_276:
	s_mov_b64 s[44:45], 0
                                        ; implicit-def: $vgpr10
	s_branch .LBB239_385
.LBB239_277:
	s_mov_b64 s[38:39], -1
                                        ; implicit-def: $vgpr4
.LBB239_278:
	s_mov_b64 s[36:37], 0
.LBB239_279:
	s_and_b64 vcc, exec, s[36:37]
	s_cbranch_vccz .LBB239_283
; %bb.280:
	s_cmp_eq_u32 s45, 29
	s_cbranch_scc0 .LBB239_282
; %bb.281:
	global_load_dwordx2 v[4:5], v[2:3], off
	s_mov_b64 s[0:1], -1
	s_mov_b64 s[38:39], 0
	s_branch .LBB239_283
.LBB239_282:
	s_mov_b64 s[38:39], -1
                                        ; implicit-def: $vgpr4
.LBB239_283:
	s_mov_b64 s[36:37], 0
.LBB239_284:
	s_and_b64 vcc, exec, s[36:37]
	s_cbranch_vccz .LBB239_300
; %bb.285:
	s_cmp_lt_i32 s45, 27
	s_cbranch_scc1 .LBB239_288
; %bb.286:
	s_cmp_gt_i32 s45, 27
	s_cbranch_scc0 .LBB239_289
; %bb.287:
	global_load_dword v4, v[2:3], off
	s_mov_b64 s[0:1], 0
	s_branch .LBB239_290
.LBB239_288:
	s_mov_b64 s[0:1], -1
                                        ; implicit-def: $vgpr4
	s_branch .LBB239_293
.LBB239_289:
	s_mov_b64 s[0:1], -1
                                        ; implicit-def: $vgpr4
.LBB239_290:
	s_andn2_b64 vcc, exec, s[0:1]
	s_cbranch_vccnz .LBB239_292
; %bb.291:
	global_load_ushort v4, v[2:3], off
.LBB239_292:
	s_mov_b64 s[0:1], 0
.LBB239_293:
	s_andn2_b64 vcc, exec, s[0:1]
	s_cbranch_vccnz .LBB239_299
; %bb.294:
	global_load_ubyte v5, v[2:3], off
	s_movk_i32 s0, 0x7f
	s_mov_b64 s[36:37], 0
	s_waitcnt vmcnt(0)
	v_cmp_lt_i16_e32 vcc, s0, v5
	s_and_saveexec_b64 s[0:1], vcc
	s_xor_b64 s[0:1], exec, s[0:1]
	s_cbranch_execz .LBB239_311
; %bb.295:
	s_movk_i32 s36, 0x80
	v_cmp_ne_u16_e32 vcc, s36, v5
	s_and_b64 s[36:37], vcc, exec
	s_andn2_saveexec_b64 s[0:1], s[0:1]
	s_cbranch_execnz .LBB239_312
.LBB239_296:
	s_or_b64 exec, exec, s[0:1]
	v_mov_b32_e32 v4, 0
	s_and_saveexec_b64 s[0:1], s[36:37]
	s_cbranch_execz .LBB239_298
.LBB239_297:
	v_lshlrev_b32_e32 v4, 24, v5
	v_and_b32_e32 v5, 0xffff, v5
	v_and_b32_e32 v6, 7, v5
	v_ffbh_u32_e32 v8, v6
	v_min_u32_e32 v8, 32, v8
	v_subrev_u32_e32 v9, 28, v8
	v_bfe_u32 v7, v5, 3, 4
	v_lshlrev_b32_e32 v5, v9, v5
	v_sub_u32_e32 v8, 29, v8
	v_and_b32_e32 v5, 7, v5
	v_cmp_eq_u32_e32 vcc, 0, v7
	v_cndmask_b32_e32 v7, v7, v8, vcc
	v_cndmask_b32_e32 v5, v6, v5, vcc
	v_mov_b32_e32 v6, 0x3b800000
	v_lshlrev_b32_e32 v5, 20, v5
	v_and_b32_e32 v4, 0x80000000, v4
	v_lshl_add_u32 v6, v7, 23, v6
	v_or3_b32 v4, v4, v6, v5
	v_cvt_i32_f32_e32 v4, v4
.LBB239_298:
	s_or_b64 exec, exec, s[0:1]
.LBB239_299:
	s_mov_b64 s[0:1], -1
.LBB239_300:
	s_mov_b64 s[36:37], 0
.LBB239_301:
	s_and_b64 vcc, exec, s[36:37]
	s_cbranch_vccz .LBB239_334
; %bb.302:
	s_cmp_gt_i32 s45, 22
	s_cbranch_scc0 .LBB239_310
; %bb.303:
	s_cmp_lt_i32 s45, 24
	s_cbranch_scc1 .LBB239_313
; %bb.304:
	s_cmp_gt_i32 s45, 24
	s_cbranch_scc0 .LBB239_314
; %bb.305:
	global_load_ubyte v5, v[2:3], off
	s_movk_i32 s0, 0x7f
	s_mov_b64 s[36:37], 0
	s_waitcnt vmcnt(0)
	v_cmp_lt_i16_e32 vcc, s0, v5
	s_and_saveexec_b64 s[0:1], vcc
	s_xor_b64 s[0:1], exec, s[0:1]
	s_cbranch_execz .LBB239_326
; %bb.306:
	s_movk_i32 s36, 0x80
	v_cmp_ne_u16_e32 vcc, s36, v5
	s_and_b64 s[36:37], vcc, exec
	s_andn2_saveexec_b64 s[0:1], s[0:1]
	s_cbranch_execnz .LBB239_327
.LBB239_307:
	s_or_b64 exec, exec, s[0:1]
	v_mov_b32_e32 v4, 0
	s_and_saveexec_b64 s[0:1], s[36:37]
	s_cbranch_execz .LBB239_309
.LBB239_308:
	v_lshlrev_b32_e32 v4, 24, v5
	v_and_b32_e32 v5, 0xffff, v5
	v_and_b32_e32 v6, 3, v5
	v_ffbh_u32_e32 v8, v6
	v_min_u32_e32 v8, 32, v8
	v_subrev_u32_e32 v9, 29, v8
	v_bfe_u32 v7, v5, 2, 5
	v_lshlrev_b32_e32 v5, v9, v5
	v_sub_u32_e32 v8, 30, v8
	v_and_b32_e32 v5, 3, v5
	v_cmp_eq_u32_e32 vcc, 0, v7
	v_cndmask_b32_e32 v7, v7, v8, vcc
	v_cndmask_b32_e32 v5, v6, v5, vcc
	v_mov_b32_e32 v6, 0x37800000
	v_lshlrev_b32_e32 v5, 21, v5
	v_and_b32_e32 v4, 0x80000000, v4
	v_lshl_add_u32 v6, v7, 23, v6
	v_or3_b32 v4, v4, v6, v5
	v_cvt_i32_f32_e32 v4, v4
.LBB239_309:
	s_or_b64 exec, exec, s[0:1]
	s_mov_b64 s[0:1], 0
	s_branch .LBB239_315
.LBB239_310:
	s_mov_b64 s[36:37], -1
                                        ; implicit-def: $vgpr4
	s_branch .LBB239_321
.LBB239_311:
	s_andn2_saveexec_b64 s[0:1], s[0:1]
	s_cbranch_execz .LBB239_296
.LBB239_312:
	v_cmp_ne_u16_e32 vcc, 0, v5
	s_andn2_b64 s[36:37], s[36:37], exec
	s_and_b64 s[48:49], vcc, exec
	s_or_b64 s[36:37], s[36:37], s[48:49]
	s_or_b64 exec, exec, s[0:1]
	v_mov_b32_e32 v4, 0
	s_and_saveexec_b64 s[0:1], s[36:37]
	s_cbranch_execnz .LBB239_297
	s_branch .LBB239_298
.LBB239_313:
	s_mov_b64 s[0:1], -1
                                        ; implicit-def: $vgpr4
	s_branch .LBB239_318
.LBB239_314:
	s_mov_b64 s[0:1], -1
                                        ; implicit-def: $vgpr4
.LBB239_315:
	s_and_b64 vcc, exec, s[0:1]
	s_cbranch_vccz .LBB239_317
; %bb.316:
	global_load_ubyte v4, v[2:3], off
	s_mov_b32 s0, 0x7f800000
	s_waitcnt vmcnt(0)
	v_lshlrev_b32_e32 v4, 24, v4
	v_and_b32_e32 v5, 0x7f000000, v4
	v_ffbh_u32_e32 v6, v5
	v_min_u32_e32 v6, 32, v6
	v_sub_u32_e64 v6, v6, 4 clamp
	v_lshlrev_b32_e32 v8, v6, v5
	v_lshlrev_b32_e32 v6, 23, v6
	v_lshrrev_b32_e32 v8, 4, v8
	v_add_u32_e32 v7, 0x1000000, v5
	v_sub_u32_e32 v6, v8, v6
	v_ashrrev_i32_e32 v7, 8, v7
	v_add_u32_e32 v6, 0x3c000000, v6
	v_and_or_b32 v6, v7, s0, v6
	v_cmp_ne_u32_e32 vcc, 0, v5
	v_cndmask_b32_e32 v5, 0, v6, vcc
	s_brev_b32 s0, 1
	v_and_or_b32 v4, v4, s0, v5
	v_cvt_i32_f32_e32 v4, v4
.LBB239_317:
	s_mov_b64 s[0:1], 0
.LBB239_318:
	s_andn2_b64 vcc, exec, s[0:1]
	s_cbranch_vccnz .LBB239_320
; %bb.319:
	global_load_ubyte v4, v[2:3], off
	s_movk_i32 s0, 0x7f00
	s_brev_b32 s1, 16
	s_waitcnt vmcnt(0)
	v_lshlrev_b16_e32 v5, 8, v4
	v_lshlrev_b32_e32 v4, 25, v4
	v_lshrrev_b32_e32 v6, 4, v4
	v_and_or_b32 v7, v5, s0, 0.5
	v_or_b32_e32 v6, 0x70000000, v6
	v_add_f32_e32 v7, -0.5, v7
	v_mul_f32_e32 v6, 0x7800000, v6
	v_cmp_gt_u32_e32 vcc, s1, v4
	v_bfe_i32 v5, v5, 0, 16
	v_cndmask_b32_e32 v4, v6, v7, vcc
	s_brev_b32 s0, 1
	v_and_or_b32 v4, v5, s0, v4
	v_cvt_i32_f32_e32 v4, v4
.LBB239_320:
	s_mov_b64 s[36:37], 0
	s_mov_b64 s[0:1], -1
.LBB239_321:
	s_andn2_b64 vcc, exec, s[36:37]
	s_cbranch_vccnz .LBB239_334
; %bb.322:
	s_cmp_gt_i32 s45, 14
	s_cbranch_scc0 .LBB239_325
; %bb.323:
	s_cmp_eq_u32 s45, 15
	s_cbranch_scc0 .LBB239_328
; %bb.324:
	global_load_ushort v4, v[2:3], off
	s_mov_b64 s[0:1], -1
	s_mov_b64 s[38:39], 0
	s_waitcnt vmcnt(0)
	v_lshlrev_b32_e32 v4, 16, v4
	v_cvt_i32_f32_e32 v4, v4
	s_branch .LBB239_329
.LBB239_325:
	s_mov_b64 s[36:37], -1
                                        ; implicit-def: $vgpr4
	s_branch .LBB239_330
.LBB239_326:
	s_andn2_saveexec_b64 s[0:1], s[0:1]
	s_cbranch_execz .LBB239_307
.LBB239_327:
	v_cmp_ne_u16_e32 vcc, 0, v5
	s_andn2_b64 s[36:37], s[36:37], exec
	s_and_b64 s[48:49], vcc, exec
	s_or_b64 s[36:37], s[36:37], s[48:49]
	s_or_b64 exec, exec, s[0:1]
	v_mov_b32_e32 v4, 0
	s_and_saveexec_b64 s[0:1], s[36:37]
	s_cbranch_execnz .LBB239_308
	s_branch .LBB239_309
.LBB239_328:
	s_mov_b64 s[38:39], -1
                                        ; implicit-def: $vgpr4
.LBB239_329:
	s_mov_b64 s[36:37], 0
.LBB239_330:
	s_and_b64 vcc, exec, s[36:37]
	s_cbranch_vccz .LBB239_334
; %bb.331:
	s_cmp_eq_u32 s45, 11
	s_cbranch_scc0 .LBB239_333
; %bb.332:
	global_load_ubyte v4, v[2:3], off
	s_mov_b64 s[0:1], -1
	s_mov_b64 s[38:39], 0
	s_waitcnt vmcnt(0)
	v_cmp_ne_u16_e32 vcc, 0, v4
	v_cndmask_b32_e64 v4, 0, 1, vcc
	s_branch .LBB239_334
.LBB239_333:
	s_mov_b64 s[38:39], -1
                                        ; implicit-def: $vgpr4
.LBB239_334:
	s_branch .LBB239_31
.LBB239_335:
	s_and_b32 s36, 0xffff, s44
	s_cmp_lt_i32 s36, 5
	s_cbranch_scc1 .LBB239_340
; %bb.336:
	s_cmp_lt_i32 s36, 8
	s_cbranch_scc1 .LBB239_341
; %bb.337:
	;; [unrolled: 3-line block ×3, first 2 shown]
	s_cmp_gt_i32 s36, 9
	s_cbranch_scc0 .LBB239_343
; %bb.339:
	global_load_dwordx2 v[4:5], v[2:3], off
	s_mov_b64 s[0:1], 0
	s_waitcnt vmcnt(0)
	v_cvt_i32_f64_e32 v4, v[4:5]
	s_branch .LBB239_344
.LBB239_340:
	s_mov_b64 s[0:1], -1
                                        ; implicit-def: $vgpr4
	s_branch .LBB239_362
.LBB239_341:
	s_mov_b64 s[0:1], -1
                                        ; implicit-def: $vgpr4
	s_branch .LBB239_350
.LBB239_342:
	s_mov_b64 s[0:1], -1
                                        ; implicit-def: $vgpr4
	s_branch .LBB239_347
.LBB239_343:
	s_mov_b64 s[0:1], -1
                                        ; implicit-def: $vgpr4
.LBB239_344:
	s_andn2_b64 vcc, exec, s[0:1]
	s_cbranch_vccnz .LBB239_346
; %bb.345:
	global_load_dword v4, v[2:3], off
	s_waitcnt vmcnt(0)
	v_cvt_i32_f32_e32 v4, v4
.LBB239_346:
	s_mov_b64 s[0:1], 0
.LBB239_347:
	s_andn2_b64 vcc, exec, s[0:1]
	s_cbranch_vccnz .LBB239_349
; %bb.348:
	global_load_dword v4, v[2:3], off
	s_waitcnt vmcnt(0)
	v_cvt_i16_f16_e32 v4, v4
.LBB239_349:
	s_mov_b64 s[0:1], 0
.LBB239_350:
	s_andn2_b64 vcc, exec, s[0:1]
	s_cbranch_vccnz .LBB239_361
; %bb.351:
	s_cmp_lt_i32 s36, 6
	s_cbranch_scc1 .LBB239_354
; %bb.352:
	s_cmp_gt_i32 s36, 6
	s_cbranch_scc0 .LBB239_355
; %bb.353:
	global_load_dwordx2 v[4:5], v[2:3], off
	s_mov_b64 s[0:1], 0
	s_waitcnt vmcnt(0)
	v_cvt_i32_f64_e32 v4, v[4:5]
	s_branch .LBB239_356
.LBB239_354:
	s_mov_b64 s[0:1], -1
                                        ; implicit-def: $vgpr4
	s_branch .LBB239_359
.LBB239_355:
	s_mov_b64 s[0:1], -1
                                        ; implicit-def: $vgpr4
.LBB239_356:
	s_andn2_b64 vcc, exec, s[0:1]
	s_cbranch_vccnz .LBB239_358
; %bb.357:
	global_load_dword v4, v[2:3], off
	s_waitcnt vmcnt(0)
	v_cvt_i32_f32_e32 v4, v4
.LBB239_358:
	s_mov_b64 s[0:1], 0
.LBB239_359:
	s_andn2_b64 vcc, exec, s[0:1]
	s_cbranch_vccnz .LBB239_361
; %bb.360:
	global_load_ushort v4, v[2:3], off
	s_waitcnt vmcnt(0)
	v_cvt_i16_f16_e32 v4, v4
.LBB239_361:
	s_mov_b64 s[0:1], 0
.LBB239_362:
	s_andn2_b64 vcc, exec, s[0:1]
	s_cbranch_vccnz .LBB239_382
; %bb.363:
	s_cmp_lt_i32 s36, 2
	s_cbranch_scc1 .LBB239_367
; %bb.364:
	s_cmp_lt_i32 s36, 3
	s_cbranch_scc1 .LBB239_368
; %bb.365:
	s_cmp_gt_i32 s36, 3
	s_cbranch_scc0 .LBB239_369
; %bb.366:
	global_load_dwordx2 v[4:5], v[2:3], off
	s_mov_b64 s[0:1], 0
	s_branch .LBB239_370
.LBB239_367:
	s_mov_b64 s[0:1], -1
                                        ; implicit-def: $vgpr4
	s_branch .LBB239_376
.LBB239_368:
	s_mov_b64 s[0:1], -1
                                        ; implicit-def: $vgpr4
	s_branch .LBB239_373
.LBB239_369:
	s_mov_b64 s[0:1], -1
                                        ; implicit-def: $vgpr4
.LBB239_370:
	s_andn2_b64 vcc, exec, s[0:1]
	s_cbranch_vccnz .LBB239_372
; %bb.371:
	global_load_dword v4, v[2:3], off
.LBB239_372:
	s_mov_b64 s[0:1], 0
.LBB239_373:
	s_andn2_b64 vcc, exec, s[0:1]
	s_cbranch_vccnz .LBB239_375
; %bb.374:
	global_load_ushort v4, v[2:3], off
.LBB239_375:
	s_mov_b64 s[0:1], 0
.LBB239_376:
	s_andn2_b64 vcc, exec, s[0:1]
	s_cbranch_vccnz .LBB239_382
; %bb.377:
	s_cmp_gt_i32 s36, 0
	s_cbranch_scc0 .LBB239_379
; %bb.378:
	global_load_sbyte v4, v[2:3], off
	s_mov_b64 s[0:1], 0
	s_branch .LBB239_380
.LBB239_379:
	s_mov_b64 s[0:1], -1
                                        ; implicit-def: $vgpr4
.LBB239_380:
	s_andn2_b64 vcc, exec, s[0:1]
	s_cbranch_vccnz .LBB239_382
; %bb.381:
	global_load_ubyte v4, v[2:3], off
.LBB239_382:
	s_branch .LBB239_32
.LBB239_383:
	s_mov_b64 s[0:1], 0
.LBB239_384:
                                        ; implicit-def: $vgpr10
	s_mov_b64 s[44:45], 0
.LBB239_385:
	s_and_b64 s[36:37], s[0:1], exec
	s_and_b64 s[38:39], s[38:39], exec
	;; [unrolled: 1-line block ×3, first 2 shown]
	s_orn2_b64 s[0:1], s[44:45], exec
.LBB239_386:
	s_or_b64 exec, exec, s[42:43]
	s_mov_b64 s[50:51], 0
	s_mov_b64 s[48:49], 0
                                        ; implicit-def: $sgpr73
                                        ; implicit-def: $vgpr4_vgpr5
                                        ; implicit-def: $vgpr0
                                        ; implicit-def: $vgpr3
                                        ; implicit-def: $vgpr1
	s_and_saveexec_b64 s[42:43], s[0:1]
	s_cbranch_execz .LBB239_394
; %bb.387:
	v_cmp_gt_i32_e32 vcc, s66, v10
	s_mov_b64 s[0:1], -1
	s_mov_b64 s[44:45], s[40:41]
	s_mov_b64 s[46:47], s[38:39]
	;; [unrolled: 1-line block ×3, first 2 shown]
	s_and_saveexec_b64 s[50:51], vcc
	s_cbranch_execz .LBB239_779
; %bb.388:
	s_andn2_b64 vcc, exec, s[20:21]
	s_cbranch_vccnz .LBB239_397
; %bb.389:
	s_andn2_b64 vcc, exec, s[34:35]
	s_cbranch_vccnz .LBB239_398
; %bb.390:
	s_add_i32 s0, s72, 1
	s_and_b32 s44, s0, 30
	s_add_u32 s0, s2, 0xffffffe8
	s_addc_u32 s1, s3, -1
	v_mov_b32_e32 v3, 0
	s_waitcnt vmcnt(0)
	v_mov_b32_e32 v5, 0
	v_mov_b32_e32 v0, 0
	;; [unrolled: 1-line block ×3, first 2 shown]
.LBB239_391:                            ; =>This Inner Loop Header: Depth=1
	s_load_dwordx4 s[52:55], s[0:1], 0x1c
	s_load_dwordx2 s[46:47], s[0:1], 0x2c
	s_load_dwordx2 s[48:49], s[0:1], 0xec
	s_load_dwordx4 s[56:59], s[0:1], 0xdc
	s_add_u32 s0, s0, 24
	s_waitcnt lgkmcnt(0)
	v_mul_hi_u32 v2, s53, v1
	s_addc_u32 s1, s1, 0
	s_add_i32 s44, s44, -2
	s_cmp_eq_u32 s44, 0
	v_add_u32_e32 v2, v1, v2
	v_lshrrev_b32_e32 v2, s54, v2
	v_mul_lo_u32 v4, v2, s52
	v_mul_hi_u32 v6, s46, v2
	v_sub_u32_e32 v4, v1, v4
	v_add_u32_e32 v1, v2, v6
	v_lshrrev_b32_e32 v1, s47, v1
	v_mul_lo_u32 v8, v1, s55
	v_mul_lo_u32 v6, v4, s56
	;; [unrolled: 1-line block ×4, first 2 shown]
	v_sub_u32_e32 v2, v2, v8
	v_mul_lo_u32 v8, v2, s59
	v_mul_lo_u32 v9, v2, s48
	;; [unrolled: 1-line block ×3, first 2 shown]
	v_add3_u32 v0, v6, v0, v8
	v_add3_u32 v5, v7, v5, v9
	;; [unrolled: 1-line block ×3, first 2 shown]
	s_cbranch_scc0 .LBB239_391
; %bb.392:
	s_bitcmp1_b32 s72, 0
	s_cselect_b64 s[44:45], -1, 0
	s_and_b64 vcc, exec, s[44:45]
	s_cbranch_vccnz .LBB239_399
; %bb.393:
	s_load_dwordx2 s[44:45], s[0:1], 0x1c
	s_load_dword s48, s[0:1], 0x24
	s_load_dwordx2 s[46:47], s[0:1], 0xdc
	s_waitcnt lgkmcnt(0)
	v_mul_hi_u32 v2, s45, v1
	v_add_u32_e32 v2, v1, v2
	v_lshrrev_b32_e32 v2, s48, v2
	v_mul_lo_u32 v2, v2, s44
	s_load_dword s44, s[0:1], 0xe4
	v_sub_u32_e32 v2, v1, v2
	v_mad_u64_u32 v[0:1], s[0:1], v2, s46, v[0:1]
	v_mad_u64_u32 v[5:6], s[0:1], v2, s47, v[5:6]
	s_waitcnt lgkmcnt(0)
	v_mad_u64_u32 v[3:4], s[0:1], v2, s44, v[3:4]
	s_branch .LBB239_399
.LBB239_394:
	s_or_b64 exec, exec, s[42:43]
	s_waitcnt lgkmcnt(0)
	s_mov_b64 s[10:11], 0
	s_and_saveexec_b64 s[0:1], s[40:41]
	s_cbranch_execnz .LBB239_1265
.LBB239_395:
	s_or_b64 exec, exec, s[0:1]
	s_and_saveexec_b64 s[0:1], s[46:47]
	s_xor_b64 s[0:1], exec, s[0:1]
	s_cbranch_execz .LBB239_1266
.LBB239_396:
	s_waitcnt vmcnt(0)
	global_load_ubyte v1, v[4:5], off
	s_or_b64 s[48:49], s[48:49], exec
	s_waitcnt vmcnt(0)
	v_cmp_ne_u16_e32 vcc, 0, v1
	v_cndmask_b32_e64 v1, 0, 1, vcc
	s_or_b64 exec, exec, s[0:1]
	s_and_saveexec_b64 s[0:1], s[50:51]
	s_cbranch_execz .LBB239_1312
	s_branch .LBB239_1267
.LBB239_397:
                                        ; implicit-def: $vgpr0
                                        ; implicit-def: $vgpr5
                                        ; implicit-def: $vgpr3
	s_andn2_b64 vcc, exec, s[0:1]
	s_cbranch_vccz .LBB239_400
	s_branch .LBB239_402
.LBB239_398:
	v_mov_b32_e32 v0, 0
	s_waitcnt vmcnt(0)
	v_mov_b32_e32 v5, 0
	v_mov_b32_e32 v3, 0
.LBB239_399:
	s_cbranch_execnz .LBB239_402
.LBB239_400:
	s_waitcnt lgkmcnt(0)
	v_mul_hi_u32 v0, s17, v10
	s_andn2_b64 vcc, exec, s[30:31]
	v_add_u32_e32 v0, v10, v0
	s_waitcnt vmcnt(0)
	v_lshrrev_b32_e32 v1, s18, v0
	v_mul_lo_u32 v0, v1, s16
	v_sub_u32_e32 v2, v10, v0
	v_mul_lo_u32 v0, v2, s12
	v_mul_lo_u32 v5, v2, s13
	;; [unrolled: 1-line block ×3, first 2 shown]
	s_cbranch_vccnz .LBB239_402
; %bb.401:
	v_mul_hi_u32 v2, s28, v1
	v_add_u32_e32 v2, v1, v2
	v_lshrrev_b32_e32 v2, s29, v2
	v_mul_lo_u32 v2, v2, s19
	v_sub_u32_e32 v2, v1, v2
	v_mad_u64_u32 v[0:1], s[0:1], v2, s15, v[0:1]
	v_mad_u64_u32 v[5:6], s[0:1], v2, s26, v[5:6]
	;; [unrolled: 1-line block ×3, first 2 shown]
.LBB239_402:
	s_waitcnt vmcnt(0) lgkmcnt(0)
	v_mov_b32_e32 v1, s11
	s_and_b32 s48, s71, 0xff
	v_add_co_u32_e32 v4, vcc, s10, v5
	s_cmp_lt_i32 s48, 11
	v_addc_co_u32_e32 v5, vcc, 0, v1, vcc
	s_cbranch_scc1 .LBB239_409
; %bb.403:
	s_and_b32 s49, 0xffff, s48
	s_cmp_gt_i32 s49, 25
	s_cbranch_scc0 .LBB239_418
; %bb.404:
	s_cmp_gt_i32 s49, 28
	s_cbranch_scc0 .LBB239_420
; %bb.405:
	;; [unrolled: 3-line block ×4, first 2 shown]
	s_cmp_eq_u32 s49, 46
	s_mov_b64 s[46:47], 0
	s_cbranch_scc0 .LBB239_428
; %bb.408:
	global_load_dword v1, v[4:5], off
	s_mov_b64 s[0:1], -1
	s_mov_b64 s[44:45], 0
	s_waitcnt vmcnt(0)
	v_lshlrev_b32_e32 v1, 16, v1
	v_cvt_i32_f32_e32 v1, v1
	s_branch .LBB239_429
.LBB239_409:
	s_mov_b64 s[0:1], 0
                                        ; implicit-def: $vgpr1
	s_mov_b64 s[44:45], s[40:41]
	s_cbranch_execnz .LBB239_491
.LBB239_410:
	s_andn2_b64 vcc, exec, s[0:1]
	s_cbranch_vccnz .LBB239_539
.LBB239_411:
	v_mov_b32_e32 v4, s25
	s_and_b32 s52, s70, 0xff
	s_waitcnt vmcnt(0)
	v_add_co_u32_e32 v2, vcc, s24, v3
	s_cmp_lt_i32 s52, 11
	v_addc_co_u32_e32 v3, vcc, 0, v4, vcc
	s_cbranch_scc1 .LBB239_419
; %bb.412:
	s_and_b32 s53, 0xffff, s52
	s_cmp_gt_i32 s53, 25
	s_cbranch_scc0 .LBB239_421
; %bb.413:
	s_cmp_gt_i32 s53, 28
	s_cbranch_scc0 .LBB239_423
; %bb.414:
	;; [unrolled: 3-line block ×4, first 2 shown]
	s_cmp_eq_u32 s53, 46
	s_mov_b64 s[48:49], 0
	s_cbranch_scc0 .LBB239_543
; %bb.417:
	global_load_dword v4, v[2:3], off
	s_mov_b64 s[0:1], -1
	s_mov_b64 s[46:47], 0
	s_waitcnt vmcnt(0)
	v_lshlrev_b32_e32 v4, 16, v4
	v_cvt_i32_f32_e32 v4, v4
	s_branch .LBB239_544
.LBB239_418:
	s_mov_b64 s[46:47], -1
	s_mov_b64 s[0:1], 0
	s_mov_b64 s[44:45], s[40:41]
                                        ; implicit-def: $vgpr1
	s_branch .LBB239_457
.LBB239_419:
	s_mov_b64 s[48:49], -1
	s_mov_b64 s[0:1], 0
                                        ; implicit-def: $vgpr4
	s_mov_b64 s[46:47], s[38:39]
	s_branch .LBB239_605
.LBB239_420:
	s_mov_b64 s[46:47], -1
	s_mov_b64 s[0:1], 0
	s_mov_b64 s[44:45], s[40:41]
                                        ; implicit-def: $vgpr1
	s_branch .LBB239_440
.LBB239_421:
	s_mov_b64 s[48:49], -1
	s_mov_b64 s[0:1], 0
	s_mov_b64 s[46:47], s[38:39]
                                        ; implicit-def: $vgpr4
	s_branch .LBB239_571
.LBB239_422:
	s_mov_b64 s[46:47], -1
	s_mov_b64 s[0:1], 0
	s_mov_b64 s[44:45], s[40:41]
                                        ; implicit-def: $vgpr1
	s_branch .LBB239_435
.LBB239_423:
	s_mov_b64 s[48:49], -1
	s_mov_b64 s[0:1], 0
	s_mov_b64 s[46:47], s[38:39]
                                        ; implicit-def: $vgpr4
	s_branch .LBB239_554
.LBB239_424:
	s_mov_b64 s[46:47], -1
	s_mov_b64 s[0:1], 0
	s_mov_b64 s[44:45], s[40:41]
                                        ; implicit-def: $vgpr1
	s_branch .LBB239_429
.LBB239_425:
	s_mov_b64 s[48:49], -1
	s_mov_b64 s[0:1], 0
	s_mov_b64 s[46:47], s[38:39]
                                        ; implicit-def: $vgpr4
	s_branch .LBB239_549
.LBB239_426:
	s_andn2_saveexec_b64 s[48:49], s[48:49]
	s_cbranch_execz .LBB239_187
.LBB239_427:
	s_mov_b32 s52, 0x46000000
	v_add_f32_e64 v3, |v2|, s52
	v_and_b32_e32 v3, 0xff, v3
	v_cmp_ne_u32_e32 vcc, 0, v3
	s_andn2_b64 s[44:45], s[44:45], exec
	s_and_b64 s[52:53], vcc, exec
	s_or_b64 s[44:45], s[44:45], s[52:53]
	s_or_b64 exec, exec, s[48:49]
	v_mov_b32_e32 v5, 0
	s_and_saveexec_b64 s[48:49], s[44:45]
	s_cbranch_execnz .LBB239_188
	s_branch .LBB239_189
.LBB239_428:
	s_mov_b64 s[44:45], -1
                                        ; implicit-def: $vgpr1
	s_mov_b64 s[0:1], 0
.LBB239_429:
	s_and_b64 vcc, exec, s[46:47]
	s_cbranch_vccz .LBB239_434
; %bb.430:
	s_cmp_eq_u32 s49, 44
	s_cbranch_scc0 .LBB239_433
; %bb.431:
	global_load_ubyte v1, v[4:5], off
	s_mov_b64 s[0:1], -1
	s_mov_b64 s[44:45], 0
	s_waitcnt vmcnt(0)
	v_lshlrev_b32_e32 v2, 23, v1
	v_cvt_i32_f32_e32 v2, v2
	v_cmp_ne_u32_e32 vcc, 0, v1
	v_cndmask_b32_e32 v1, 0, v2, vcc
	s_branch .LBB239_434
.LBB239_432:
	s_mov_b64 s[48:49], -1
	s_mov_b64 s[0:1], 0
	s_mov_b64 s[46:47], s[38:39]
                                        ; implicit-def: $vgpr4
	s_branch .LBB239_544
.LBB239_433:
	s_mov_b64 s[44:45], -1
                                        ; implicit-def: $vgpr1
.LBB239_434:
	s_mov_b64 s[46:47], 0
.LBB239_435:
	s_and_b64 vcc, exec, s[46:47]
	s_cbranch_vccz .LBB239_439
; %bb.436:
	s_cmp_eq_u32 s49, 29
	s_cbranch_scc0 .LBB239_438
; %bb.437:
	global_load_dwordx2 v[1:2], v[4:5], off
	s_mov_b64 s[0:1], -1
	s_mov_b64 s[44:45], 0
	s_branch .LBB239_439
.LBB239_438:
	s_mov_b64 s[44:45], -1
                                        ; implicit-def: $vgpr1
.LBB239_439:
	s_mov_b64 s[46:47], 0
.LBB239_440:
	s_and_b64 vcc, exec, s[46:47]
	s_cbranch_vccz .LBB239_456
; %bb.441:
	s_cmp_lt_i32 s49, 27
	s_cbranch_scc1 .LBB239_444
; %bb.442:
	s_cmp_gt_i32 s49, 27
	s_cbranch_scc0 .LBB239_445
; %bb.443:
	global_load_dword v1, v[4:5], off
	s_mov_b64 s[0:1], 0
	s_branch .LBB239_446
.LBB239_444:
	s_mov_b64 s[0:1], -1
                                        ; implicit-def: $vgpr1
	s_branch .LBB239_449
.LBB239_445:
	s_mov_b64 s[0:1], -1
                                        ; implicit-def: $vgpr1
.LBB239_446:
	s_andn2_b64 vcc, exec, s[0:1]
	s_cbranch_vccnz .LBB239_448
; %bb.447:
	global_load_ushort v1, v[4:5], off
.LBB239_448:
	s_mov_b64 s[0:1], 0
.LBB239_449:
	s_andn2_b64 vcc, exec, s[0:1]
	s_cbranch_vccnz .LBB239_455
; %bb.450:
	global_load_ubyte v2, v[4:5], off
	s_movk_i32 s0, 0x7f
	s_mov_b64 s[46:47], 0
	s_waitcnt vmcnt(0)
	v_cmp_lt_i16_e32 vcc, s0, v2
	s_and_saveexec_b64 s[0:1], vcc
	s_xor_b64 s[0:1], exec, s[0:1]
	s_cbranch_execz .LBB239_467
; %bb.451:
	s_movk_i32 s46, 0x80
	v_cmp_ne_u16_e32 vcc, s46, v2
	s_and_b64 s[46:47], vcc, exec
	s_andn2_saveexec_b64 s[0:1], s[0:1]
	s_cbranch_execnz .LBB239_468
.LBB239_452:
	s_or_b64 exec, exec, s[0:1]
	v_mov_b32_e32 v1, 0
	s_and_saveexec_b64 s[0:1], s[46:47]
	s_cbranch_execz .LBB239_454
.LBB239_453:
	v_lshlrev_b32_e32 v1, 24, v2
	v_and_b32_e32 v2, 0xffff, v2
	v_and_b32_e32 v6, 7, v2
	v_ffbh_u32_e32 v8, v6
	v_min_u32_e32 v8, 32, v8
	v_subrev_u32_e32 v9, 28, v8
	v_bfe_u32 v7, v2, 3, 4
	v_lshlrev_b32_e32 v2, v9, v2
	v_sub_u32_e32 v8, 29, v8
	v_and_b32_e32 v2, 7, v2
	v_cmp_eq_u32_e32 vcc, 0, v7
	v_cndmask_b32_e32 v7, v7, v8, vcc
	v_cndmask_b32_e32 v2, v6, v2, vcc
	v_mov_b32_e32 v6, 0x3b800000
	v_lshlrev_b32_e32 v2, 20, v2
	v_and_b32_e32 v1, 0x80000000, v1
	v_lshl_add_u32 v6, v7, 23, v6
	v_or3_b32 v1, v1, v6, v2
	v_cvt_i32_f32_e32 v1, v1
.LBB239_454:
	s_or_b64 exec, exec, s[0:1]
.LBB239_455:
	s_mov_b64 s[0:1], -1
.LBB239_456:
	s_mov_b64 s[46:47], 0
.LBB239_457:
	s_and_b64 vcc, exec, s[46:47]
	s_cbranch_vccz .LBB239_490
; %bb.458:
	s_cmp_gt_i32 s49, 22
	s_cbranch_scc0 .LBB239_466
; %bb.459:
	s_cmp_lt_i32 s49, 24
	s_cbranch_scc1 .LBB239_469
; %bb.460:
	s_cmp_gt_i32 s49, 24
	s_cbranch_scc0 .LBB239_470
; %bb.461:
	global_load_ubyte v2, v[4:5], off
	s_movk_i32 s0, 0x7f
	s_mov_b64 s[46:47], 0
	s_waitcnt vmcnt(0)
	v_cmp_lt_i16_e32 vcc, s0, v2
	s_and_saveexec_b64 s[0:1], vcc
	s_xor_b64 s[0:1], exec, s[0:1]
	s_cbranch_execz .LBB239_482
; %bb.462:
	s_movk_i32 s46, 0x80
	v_cmp_ne_u16_e32 vcc, s46, v2
	s_and_b64 s[46:47], vcc, exec
	s_andn2_saveexec_b64 s[0:1], s[0:1]
	s_cbranch_execnz .LBB239_483
.LBB239_463:
	s_or_b64 exec, exec, s[0:1]
	v_mov_b32_e32 v1, 0
	s_and_saveexec_b64 s[0:1], s[46:47]
	s_cbranch_execz .LBB239_465
.LBB239_464:
	v_lshlrev_b32_e32 v1, 24, v2
	v_and_b32_e32 v2, 0xffff, v2
	v_and_b32_e32 v6, 3, v2
	v_ffbh_u32_e32 v8, v6
	v_min_u32_e32 v8, 32, v8
	v_subrev_u32_e32 v9, 29, v8
	v_bfe_u32 v7, v2, 2, 5
	v_lshlrev_b32_e32 v2, v9, v2
	v_sub_u32_e32 v8, 30, v8
	v_and_b32_e32 v2, 3, v2
	v_cmp_eq_u32_e32 vcc, 0, v7
	v_cndmask_b32_e32 v7, v7, v8, vcc
	v_cndmask_b32_e32 v2, v6, v2, vcc
	v_mov_b32_e32 v6, 0x37800000
	v_lshlrev_b32_e32 v2, 21, v2
	v_and_b32_e32 v1, 0x80000000, v1
	v_lshl_add_u32 v6, v7, 23, v6
	v_or3_b32 v1, v1, v6, v2
	v_cvt_i32_f32_e32 v1, v1
.LBB239_465:
	s_or_b64 exec, exec, s[0:1]
	s_mov_b64 s[0:1], 0
	s_branch .LBB239_471
.LBB239_466:
	s_mov_b64 s[46:47], -1
                                        ; implicit-def: $vgpr1
	s_branch .LBB239_477
.LBB239_467:
	s_andn2_saveexec_b64 s[0:1], s[0:1]
	s_cbranch_execz .LBB239_452
.LBB239_468:
	v_cmp_ne_u16_e32 vcc, 0, v2
	s_andn2_b64 s[46:47], s[46:47], exec
	s_and_b64 s[52:53], vcc, exec
	s_or_b64 s[46:47], s[46:47], s[52:53]
	s_or_b64 exec, exec, s[0:1]
	v_mov_b32_e32 v1, 0
	s_and_saveexec_b64 s[0:1], s[46:47]
	s_cbranch_execnz .LBB239_453
	s_branch .LBB239_454
.LBB239_469:
	s_mov_b64 s[0:1], -1
                                        ; implicit-def: $vgpr1
	s_branch .LBB239_474
.LBB239_470:
	s_mov_b64 s[0:1], -1
                                        ; implicit-def: $vgpr1
.LBB239_471:
	s_and_b64 vcc, exec, s[0:1]
	s_cbranch_vccz .LBB239_473
; %bb.472:
	global_load_ubyte v1, v[4:5], off
	s_mov_b32 s0, 0x7f800000
	s_waitcnt vmcnt(0)
	v_lshlrev_b32_e32 v1, 24, v1
	v_and_b32_e32 v2, 0x7f000000, v1
	v_ffbh_u32_e32 v6, v2
	v_min_u32_e32 v6, 32, v6
	v_sub_u32_e64 v6, v6, 4 clamp
	v_lshlrev_b32_e32 v8, v6, v2
	v_lshlrev_b32_e32 v6, 23, v6
	v_lshrrev_b32_e32 v8, 4, v8
	v_add_u32_e32 v7, 0x1000000, v2
	v_sub_u32_e32 v6, v8, v6
	v_ashrrev_i32_e32 v7, 8, v7
	v_add_u32_e32 v6, 0x3c000000, v6
	v_and_or_b32 v6, v7, s0, v6
	v_cmp_ne_u32_e32 vcc, 0, v2
	v_cndmask_b32_e32 v2, 0, v6, vcc
	s_brev_b32 s0, 1
	v_and_or_b32 v1, v1, s0, v2
	v_cvt_i32_f32_e32 v1, v1
.LBB239_473:
	s_mov_b64 s[0:1], 0
.LBB239_474:
	s_andn2_b64 vcc, exec, s[0:1]
	s_cbranch_vccnz .LBB239_476
; %bb.475:
	global_load_ubyte v1, v[4:5], off
	s_movk_i32 s0, 0x7f00
	s_brev_b32 s1, 16
	s_waitcnt vmcnt(0)
	v_lshlrev_b16_e32 v2, 8, v1
	v_lshlrev_b32_e32 v1, 25, v1
	v_lshrrev_b32_e32 v6, 4, v1
	v_and_or_b32 v7, v2, s0, 0.5
	v_or_b32_e32 v6, 0x70000000, v6
	v_add_f32_e32 v7, -0.5, v7
	v_mul_f32_e32 v6, 0x7800000, v6
	v_cmp_gt_u32_e32 vcc, s1, v1
	v_bfe_i32 v2, v2, 0, 16
	v_cndmask_b32_e32 v1, v6, v7, vcc
	s_brev_b32 s0, 1
	v_and_or_b32 v1, v2, s0, v1
	v_cvt_i32_f32_e32 v1, v1
.LBB239_476:
	s_mov_b64 s[46:47], 0
	s_mov_b64 s[0:1], -1
.LBB239_477:
	s_andn2_b64 vcc, exec, s[46:47]
	s_cbranch_vccnz .LBB239_490
; %bb.478:
	s_cmp_gt_i32 s49, 14
	s_cbranch_scc0 .LBB239_481
; %bb.479:
	s_cmp_eq_u32 s49, 15
	s_cbranch_scc0 .LBB239_484
; %bb.480:
	global_load_ushort v1, v[4:5], off
	s_mov_b64 s[0:1], -1
	s_mov_b64 s[44:45], 0
	s_waitcnt vmcnt(0)
	v_lshlrev_b32_e32 v1, 16, v1
	v_cvt_i32_f32_e32 v1, v1
	s_branch .LBB239_485
.LBB239_481:
	s_mov_b64 s[46:47], -1
                                        ; implicit-def: $vgpr1
	s_branch .LBB239_486
.LBB239_482:
	s_andn2_saveexec_b64 s[0:1], s[0:1]
	s_cbranch_execz .LBB239_463
.LBB239_483:
	v_cmp_ne_u16_e32 vcc, 0, v2
	s_andn2_b64 s[46:47], s[46:47], exec
	s_and_b64 s[52:53], vcc, exec
	s_or_b64 s[46:47], s[46:47], s[52:53]
	s_or_b64 exec, exec, s[0:1]
	v_mov_b32_e32 v1, 0
	s_and_saveexec_b64 s[0:1], s[46:47]
	s_cbranch_execnz .LBB239_464
	s_branch .LBB239_465
.LBB239_484:
	s_mov_b64 s[44:45], -1
                                        ; implicit-def: $vgpr1
.LBB239_485:
	s_mov_b64 s[46:47], 0
.LBB239_486:
	s_and_b64 vcc, exec, s[46:47]
	s_cbranch_vccz .LBB239_490
; %bb.487:
	s_cmp_eq_u32 s49, 11
	s_cbranch_scc0 .LBB239_489
; %bb.488:
	global_load_ubyte v1, v[4:5], off
	s_mov_b64 s[0:1], -1
	s_mov_b64 s[44:45], 0
	s_waitcnt vmcnt(0)
	v_cmp_ne_u16_e32 vcc, 0, v1
	v_cndmask_b32_e64 v1, 0, 1, vcc
	s_branch .LBB239_490
.LBB239_489:
	s_mov_b64 s[44:45], -1
                                        ; implicit-def: $vgpr1
.LBB239_490:
	s_branch .LBB239_410
.LBB239_491:
	s_and_b32 s46, 0xffff, s48
	s_cmp_lt_i32 s46, 5
	s_cbranch_scc1 .LBB239_496
; %bb.492:
	s_cmp_lt_i32 s46, 8
	s_cbranch_scc1 .LBB239_497
; %bb.493:
	;; [unrolled: 3-line block ×3, first 2 shown]
	s_cmp_gt_i32 s46, 9
	s_cbranch_scc0 .LBB239_499
; %bb.495:
	global_load_dwordx2 v[1:2], v[4:5], off
	s_mov_b64 s[0:1], 0
	s_waitcnt vmcnt(0)
	v_cvt_i32_f64_e32 v1, v[1:2]
	s_branch .LBB239_500
.LBB239_496:
	s_mov_b64 s[0:1], -1
                                        ; implicit-def: $vgpr1
	s_branch .LBB239_518
.LBB239_497:
	s_mov_b64 s[0:1], -1
                                        ; implicit-def: $vgpr1
	s_branch .LBB239_506
.LBB239_498:
	s_mov_b64 s[0:1], -1
                                        ; implicit-def: $vgpr1
	s_branch .LBB239_503
.LBB239_499:
	s_mov_b64 s[0:1], -1
                                        ; implicit-def: $vgpr1
.LBB239_500:
	s_andn2_b64 vcc, exec, s[0:1]
	s_cbranch_vccnz .LBB239_502
; %bb.501:
	global_load_dword v1, v[4:5], off
	s_waitcnt vmcnt(0)
	v_cvt_i32_f32_e32 v1, v1
.LBB239_502:
	s_mov_b64 s[0:1], 0
.LBB239_503:
	s_andn2_b64 vcc, exec, s[0:1]
	s_cbranch_vccnz .LBB239_505
; %bb.504:
	global_load_dword v1, v[4:5], off
	s_waitcnt vmcnt(0)
	v_cvt_i16_f16_e32 v1, v1
.LBB239_505:
	s_mov_b64 s[0:1], 0
.LBB239_506:
	s_andn2_b64 vcc, exec, s[0:1]
	s_cbranch_vccnz .LBB239_517
; %bb.507:
	s_cmp_lt_i32 s46, 6
	s_cbranch_scc1 .LBB239_510
; %bb.508:
	s_cmp_gt_i32 s46, 6
	s_cbranch_scc0 .LBB239_511
; %bb.509:
	global_load_dwordx2 v[1:2], v[4:5], off
	s_mov_b64 s[0:1], 0
	s_waitcnt vmcnt(0)
	v_cvt_i32_f64_e32 v1, v[1:2]
	s_branch .LBB239_512
.LBB239_510:
	s_mov_b64 s[0:1], -1
                                        ; implicit-def: $vgpr1
	s_branch .LBB239_515
.LBB239_511:
	s_mov_b64 s[0:1], -1
                                        ; implicit-def: $vgpr1
.LBB239_512:
	s_andn2_b64 vcc, exec, s[0:1]
	s_cbranch_vccnz .LBB239_514
; %bb.513:
	global_load_dword v1, v[4:5], off
	s_waitcnt vmcnt(0)
	v_cvt_i32_f32_e32 v1, v1
.LBB239_514:
	s_mov_b64 s[0:1], 0
.LBB239_515:
	s_andn2_b64 vcc, exec, s[0:1]
	s_cbranch_vccnz .LBB239_517
; %bb.516:
	global_load_ushort v1, v[4:5], off
	s_waitcnt vmcnt(0)
	v_cvt_i16_f16_e32 v1, v1
.LBB239_517:
	s_mov_b64 s[0:1], 0
.LBB239_518:
	s_andn2_b64 vcc, exec, s[0:1]
	s_cbranch_vccnz .LBB239_538
; %bb.519:
	s_cmp_lt_i32 s46, 2
	s_cbranch_scc1 .LBB239_523
; %bb.520:
	s_cmp_lt_i32 s46, 3
	s_cbranch_scc1 .LBB239_524
; %bb.521:
	s_cmp_gt_i32 s46, 3
	s_cbranch_scc0 .LBB239_525
; %bb.522:
	global_load_dwordx2 v[1:2], v[4:5], off
	s_mov_b64 s[0:1], 0
	s_branch .LBB239_526
.LBB239_523:
	s_mov_b64 s[0:1], -1
                                        ; implicit-def: $vgpr1
	s_branch .LBB239_532
.LBB239_524:
	s_mov_b64 s[0:1], -1
                                        ; implicit-def: $vgpr1
	s_branch .LBB239_529
.LBB239_525:
	s_mov_b64 s[0:1], -1
                                        ; implicit-def: $vgpr1
.LBB239_526:
	s_andn2_b64 vcc, exec, s[0:1]
	s_cbranch_vccnz .LBB239_528
; %bb.527:
	global_load_dword v1, v[4:5], off
.LBB239_528:
	s_mov_b64 s[0:1], 0
.LBB239_529:
	s_andn2_b64 vcc, exec, s[0:1]
	s_cbranch_vccnz .LBB239_531
; %bb.530:
	global_load_ushort v1, v[4:5], off
.LBB239_531:
	s_mov_b64 s[0:1], 0
.LBB239_532:
	s_andn2_b64 vcc, exec, s[0:1]
	s_cbranch_vccnz .LBB239_538
; %bb.533:
	s_cmp_gt_i32 s46, 0
	s_cbranch_scc0 .LBB239_535
; %bb.534:
	global_load_sbyte v1, v[4:5], off
	s_mov_b64 s[0:1], 0
	s_branch .LBB239_536
.LBB239_535:
	s_mov_b64 s[0:1], -1
                                        ; implicit-def: $vgpr1
.LBB239_536:
	s_andn2_b64 vcc, exec, s[0:1]
	s_cbranch_vccnz .LBB239_538
; %bb.537:
	global_load_ubyte v1, v[4:5], off
.LBB239_538:
	s_branch .LBB239_411
.LBB239_539:
	s_mov_b64 s[52:53], 0
	s_mov_b64 s[0:1], s[36:37]
	;; [unrolled: 1-line block ×3, first 2 shown]
.LBB239_540:
                                        ; implicit-def: $vgpr10
	s_branch .LBB239_778
.LBB239_541:
	s_andn2_saveexec_b64 s[48:49], s[48:49]
	s_cbranch_execz .LBB239_200
.LBB239_542:
	s_mov_b32 s52, 0x42800000
	v_add_f32_e64 v3, |v2|, s52
	v_and_b32_e32 v3, 0xff, v3
	v_cmp_ne_u32_e32 vcc, 0, v3
	s_andn2_b64 s[44:45], s[44:45], exec
	s_and_b64 s[52:53], vcc, exec
	s_or_b64 s[44:45], s[44:45], s[52:53]
	s_or_b64 exec, exec, s[48:49]
	v_mov_b32_e32 v5, 0
	s_and_saveexec_b64 s[48:49], s[44:45]
	s_cbranch_execnz .LBB239_201
	s_branch .LBB239_202
.LBB239_543:
	s_mov_b64 s[46:47], -1
                                        ; implicit-def: $vgpr4
	s_mov_b64 s[0:1], 0
.LBB239_544:
	s_and_b64 vcc, exec, s[48:49]
	s_cbranch_vccz .LBB239_548
; %bb.545:
	s_cmp_eq_u32 s53, 44
	s_cbranch_scc0 .LBB239_547
; %bb.546:
	global_load_ubyte v4, v[2:3], off
	s_mov_b64 s[0:1], -1
	s_mov_b64 s[46:47], 0
	s_waitcnt vmcnt(0)
	v_lshlrev_b32_e32 v5, 23, v4
	v_cvt_i32_f32_e32 v5, v5
	v_cmp_ne_u32_e32 vcc, 0, v4
	v_cndmask_b32_e32 v4, 0, v5, vcc
	s_branch .LBB239_548
.LBB239_547:
	s_mov_b64 s[46:47], -1
                                        ; implicit-def: $vgpr4
.LBB239_548:
	s_mov_b64 s[48:49], 0
.LBB239_549:
	s_and_b64 vcc, exec, s[48:49]
	s_cbranch_vccz .LBB239_553
; %bb.550:
	s_cmp_eq_u32 s53, 29
	s_cbranch_scc0 .LBB239_552
; %bb.551:
	global_load_dwordx2 v[4:5], v[2:3], off
	s_mov_b64 s[0:1], -1
	s_mov_b64 s[46:47], 0
	s_branch .LBB239_553
.LBB239_552:
	s_mov_b64 s[46:47], -1
                                        ; implicit-def: $vgpr4
.LBB239_553:
	s_mov_b64 s[48:49], 0
.LBB239_554:
	s_and_b64 vcc, exec, s[48:49]
	s_cbranch_vccz .LBB239_570
; %bb.555:
	s_cmp_lt_i32 s53, 27
	s_cbranch_scc1 .LBB239_558
; %bb.556:
	s_cmp_gt_i32 s53, 27
	s_cbranch_scc0 .LBB239_559
; %bb.557:
	global_load_dword v4, v[2:3], off
	s_mov_b64 s[0:1], 0
	s_branch .LBB239_560
.LBB239_558:
	s_mov_b64 s[0:1], -1
                                        ; implicit-def: $vgpr4
	s_branch .LBB239_563
.LBB239_559:
	s_mov_b64 s[0:1], -1
                                        ; implicit-def: $vgpr4
.LBB239_560:
	s_andn2_b64 vcc, exec, s[0:1]
	s_cbranch_vccnz .LBB239_562
; %bb.561:
	global_load_ushort v4, v[2:3], off
.LBB239_562:
	s_mov_b64 s[0:1], 0
.LBB239_563:
	s_andn2_b64 vcc, exec, s[0:1]
	s_cbranch_vccnz .LBB239_569
; %bb.564:
	global_load_ubyte v5, v[2:3], off
	s_movk_i32 s0, 0x7f
	s_mov_b64 s[48:49], 0
	s_waitcnt vmcnt(0)
	v_cmp_lt_i16_e32 vcc, s0, v5
	s_and_saveexec_b64 s[0:1], vcc
	s_xor_b64 s[0:1], exec, s[0:1]
	s_cbranch_execz .LBB239_581
; %bb.565:
	s_movk_i32 s48, 0x80
	v_cmp_ne_u16_e32 vcc, s48, v5
	s_and_b64 s[48:49], vcc, exec
	s_andn2_saveexec_b64 s[0:1], s[0:1]
	s_cbranch_execnz .LBB239_582
.LBB239_566:
	s_or_b64 exec, exec, s[0:1]
	v_mov_b32_e32 v4, 0
	s_and_saveexec_b64 s[0:1], s[48:49]
	s_cbranch_execz .LBB239_568
.LBB239_567:
	v_lshlrev_b32_e32 v4, 24, v5
	v_and_b32_e32 v5, 0xffff, v5
	v_and_b32_e32 v6, 7, v5
	v_ffbh_u32_e32 v8, v6
	v_min_u32_e32 v8, 32, v8
	v_subrev_u32_e32 v9, 28, v8
	v_bfe_u32 v7, v5, 3, 4
	v_lshlrev_b32_e32 v5, v9, v5
	v_sub_u32_e32 v8, 29, v8
	v_and_b32_e32 v5, 7, v5
	v_cmp_eq_u32_e32 vcc, 0, v7
	v_cndmask_b32_e32 v7, v7, v8, vcc
	v_cndmask_b32_e32 v5, v6, v5, vcc
	v_mov_b32_e32 v6, 0x3b800000
	v_lshlrev_b32_e32 v5, 20, v5
	v_and_b32_e32 v4, 0x80000000, v4
	v_lshl_add_u32 v6, v7, 23, v6
	v_or3_b32 v4, v4, v6, v5
	v_cvt_i32_f32_e32 v4, v4
.LBB239_568:
	s_or_b64 exec, exec, s[0:1]
.LBB239_569:
	s_mov_b64 s[0:1], -1
.LBB239_570:
	s_mov_b64 s[48:49], 0
.LBB239_571:
	s_and_b64 vcc, exec, s[48:49]
	s_cbranch_vccz .LBB239_604
; %bb.572:
	s_cmp_gt_i32 s53, 22
	s_cbranch_scc0 .LBB239_580
; %bb.573:
	s_cmp_lt_i32 s53, 24
	s_cbranch_scc1 .LBB239_583
; %bb.574:
	s_cmp_gt_i32 s53, 24
	s_cbranch_scc0 .LBB239_584
; %bb.575:
	global_load_ubyte v5, v[2:3], off
	s_movk_i32 s0, 0x7f
	s_mov_b64 s[48:49], 0
	s_waitcnt vmcnt(0)
	v_cmp_lt_i16_e32 vcc, s0, v5
	s_and_saveexec_b64 s[0:1], vcc
	s_xor_b64 s[0:1], exec, s[0:1]
	s_cbranch_execz .LBB239_596
; %bb.576:
	s_movk_i32 s48, 0x80
	v_cmp_ne_u16_e32 vcc, s48, v5
	s_and_b64 s[48:49], vcc, exec
	s_andn2_saveexec_b64 s[0:1], s[0:1]
	s_cbranch_execnz .LBB239_597
.LBB239_577:
	s_or_b64 exec, exec, s[0:1]
	v_mov_b32_e32 v4, 0
	s_and_saveexec_b64 s[0:1], s[48:49]
	s_cbranch_execz .LBB239_579
.LBB239_578:
	v_lshlrev_b32_e32 v4, 24, v5
	v_and_b32_e32 v5, 0xffff, v5
	v_and_b32_e32 v6, 3, v5
	v_ffbh_u32_e32 v8, v6
	v_min_u32_e32 v8, 32, v8
	v_subrev_u32_e32 v9, 29, v8
	v_bfe_u32 v7, v5, 2, 5
	v_lshlrev_b32_e32 v5, v9, v5
	v_sub_u32_e32 v8, 30, v8
	v_and_b32_e32 v5, 3, v5
	v_cmp_eq_u32_e32 vcc, 0, v7
	v_cndmask_b32_e32 v7, v7, v8, vcc
	v_cndmask_b32_e32 v5, v6, v5, vcc
	v_mov_b32_e32 v6, 0x37800000
	v_lshlrev_b32_e32 v5, 21, v5
	v_and_b32_e32 v4, 0x80000000, v4
	v_lshl_add_u32 v6, v7, 23, v6
	v_or3_b32 v4, v4, v6, v5
	v_cvt_i32_f32_e32 v4, v4
.LBB239_579:
	s_or_b64 exec, exec, s[0:1]
	s_mov_b64 s[0:1], 0
	s_branch .LBB239_585
.LBB239_580:
	s_mov_b64 s[48:49], -1
                                        ; implicit-def: $vgpr4
	s_branch .LBB239_591
.LBB239_581:
	s_andn2_saveexec_b64 s[0:1], s[0:1]
	s_cbranch_execz .LBB239_566
.LBB239_582:
	v_cmp_ne_u16_e32 vcc, 0, v5
	s_andn2_b64 s[48:49], s[48:49], exec
	s_and_b64 s[54:55], vcc, exec
	s_or_b64 s[48:49], s[48:49], s[54:55]
	s_or_b64 exec, exec, s[0:1]
	v_mov_b32_e32 v4, 0
	s_and_saveexec_b64 s[0:1], s[48:49]
	s_cbranch_execnz .LBB239_567
	s_branch .LBB239_568
.LBB239_583:
	s_mov_b64 s[0:1], -1
                                        ; implicit-def: $vgpr4
	s_branch .LBB239_588
.LBB239_584:
	s_mov_b64 s[0:1], -1
                                        ; implicit-def: $vgpr4
.LBB239_585:
	s_and_b64 vcc, exec, s[0:1]
	s_cbranch_vccz .LBB239_587
; %bb.586:
	global_load_ubyte v4, v[2:3], off
	s_mov_b32 s0, 0x7f800000
	s_waitcnt vmcnt(0)
	v_lshlrev_b32_e32 v4, 24, v4
	v_and_b32_e32 v5, 0x7f000000, v4
	v_ffbh_u32_e32 v6, v5
	v_min_u32_e32 v6, 32, v6
	v_sub_u32_e64 v6, v6, 4 clamp
	v_lshlrev_b32_e32 v8, v6, v5
	v_lshlrev_b32_e32 v6, 23, v6
	v_lshrrev_b32_e32 v8, 4, v8
	v_add_u32_e32 v7, 0x1000000, v5
	v_sub_u32_e32 v6, v8, v6
	v_ashrrev_i32_e32 v7, 8, v7
	v_add_u32_e32 v6, 0x3c000000, v6
	v_and_or_b32 v6, v7, s0, v6
	v_cmp_ne_u32_e32 vcc, 0, v5
	v_cndmask_b32_e32 v5, 0, v6, vcc
	s_brev_b32 s0, 1
	v_and_or_b32 v4, v4, s0, v5
	v_cvt_i32_f32_e32 v4, v4
.LBB239_587:
	s_mov_b64 s[0:1], 0
.LBB239_588:
	s_andn2_b64 vcc, exec, s[0:1]
	s_cbranch_vccnz .LBB239_590
; %bb.589:
	global_load_ubyte v4, v[2:3], off
	s_movk_i32 s0, 0x7f00
	s_brev_b32 s1, 16
	s_waitcnt vmcnt(0)
	v_lshlrev_b16_e32 v5, 8, v4
	v_lshlrev_b32_e32 v4, 25, v4
	v_lshrrev_b32_e32 v6, 4, v4
	v_and_or_b32 v7, v5, s0, 0.5
	v_or_b32_e32 v6, 0x70000000, v6
	v_add_f32_e32 v7, -0.5, v7
	v_mul_f32_e32 v6, 0x7800000, v6
	v_cmp_gt_u32_e32 vcc, s1, v4
	v_bfe_i32 v5, v5, 0, 16
	v_cndmask_b32_e32 v4, v6, v7, vcc
	s_brev_b32 s0, 1
	v_and_or_b32 v4, v5, s0, v4
	v_cvt_i32_f32_e32 v4, v4
.LBB239_590:
	s_mov_b64 s[48:49], 0
	s_mov_b64 s[0:1], -1
.LBB239_591:
	s_andn2_b64 vcc, exec, s[48:49]
	s_cbranch_vccnz .LBB239_604
; %bb.592:
	s_cmp_gt_i32 s53, 14
	s_cbranch_scc0 .LBB239_595
; %bb.593:
	s_cmp_eq_u32 s53, 15
	s_cbranch_scc0 .LBB239_598
; %bb.594:
	global_load_ushort v4, v[2:3], off
	s_mov_b64 s[0:1], -1
	s_mov_b64 s[46:47], 0
	s_waitcnt vmcnt(0)
	v_lshlrev_b32_e32 v4, 16, v4
	v_cvt_i32_f32_e32 v4, v4
	s_branch .LBB239_599
.LBB239_595:
	s_mov_b64 s[48:49], -1
                                        ; implicit-def: $vgpr4
	s_branch .LBB239_600
.LBB239_596:
	s_andn2_saveexec_b64 s[0:1], s[0:1]
	s_cbranch_execz .LBB239_577
.LBB239_597:
	v_cmp_ne_u16_e32 vcc, 0, v5
	s_andn2_b64 s[48:49], s[48:49], exec
	s_and_b64 s[54:55], vcc, exec
	s_or_b64 s[48:49], s[48:49], s[54:55]
	s_or_b64 exec, exec, s[0:1]
	v_mov_b32_e32 v4, 0
	s_and_saveexec_b64 s[0:1], s[48:49]
	s_cbranch_execnz .LBB239_578
	s_branch .LBB239_579
.LBB239_598:
	s_mov_b64 s[46:47], -1
                                        ; implicit-def: $vgpr4
.LBB239_599:
	s_mov_b64 s[48:49], 0
.LBB239_600:
	s_and_b64 vcc, exec, s[48:49]
	s_cbranch_vccz .LBB239_604
; %bb.601:
	s_cmp_eq_u32 s53, 11
	s_cbranch_scc0 .LBB239_603
; %bb.602:
	global_load_ubyte v4, v[2:3], off
	s_mov_b64 s[0:1], -1
	s_mov_b64 s[46:47], 0
	s_waitcnt vmcnt(0)
	v_cmp_ne_u16_e32 vcc, 0, v4
	v_cndmask_b32_e64 v4, 0, 1, vcc
	s_branch .LBB239_604
.LBB239_603:
	s_mov_b64 s[46:47], -1
                                        ; implicit-def: $vgpr4
.LBB239_604:
	s_mov_b64 s[48:49], 0
.LBB239_605:
	s_and_b64 vcc, exec, s[48:49]
	s_cbranch_vccz .LBB239_654
; %bb.606:
	s_and_b32 s48, 0xffff, s52
	s_cmp_lt_i32 s48, 5
	s_cbranch_scc1 .LBB239_611
; %bb.607:
	s_cmp_lt_i32 s48, 8
	s_cbranch_scc1 .LBB239_612
; %bb.608:
	s_cmp_lt_i32 s48, 9
	s_cbranch_scc1 .LBB239_613
; %bb.609:
	s_cmp_gt_i32 s48, 9
	s_cbranch_scc0 .LBB239_614
; %bb.610:
	global_load_dwordx2 v[4:5], v[2:3], off
	s_mov_b64 s[0:1], 0
	s_waitcnt vmcnt(0)
	v_cvt_i32_f64_e32 v4, v[4:5]
	s_branch .LBB239_615
.LBB239_611:
	s_mov_b64 s[0:1], -1
                                        ; implicit-def: $vgpr4
	s_branch .LBB239_633
.LBB239_612:
	s_mov_b64 s[0:1], -1
                                        ; implicit-def: $vgpr4
	s_branch .LBB239_621
.LBB239_613:
	s_mov_b64 s[0:1], -1
                                        ; implicit-def: $vgpr4
	s_branch .LBB239_618
.LBB239_614:
	s_mov_b64 s[0:1], -1
                                        ; implicit-def: $vgpr4
.LBB239_615:
	s_andn2_b64 vcc, exec, s[0:1]
	s_cbranch_vccnz .LBB239_617
; %bb.616:
	global_load_dword v4, v[2:3], off
	s_waitcnt vmcnt(0)
	v_cvt_i32_f32_e32 v4, v4
.LBB239_617:
	s_mov_b64 s[0:1], 0
.LBB239_618:
	s_andn2_b64 vcc, exec, s[0:1]
	s_cbranch_vccnz .LBB239_620
; %bb.619:
	global_load_dword v4, v[2:3], off
	s_waitcnt vmcnt(0)
	v_cvt_i16_f16_e32 v4, v4
.LBB239_620:
	s_mov_b64 s[0:1], 0
.LBB239_621:
	s_andn2_b64 vcc, exec, s[0:1]
	s_cbranch_vccnz .LBB239_632
; %bb.622:
	s_cmp_lt_i32 s48, 6
	s_cbranch_scc1 .LBB239_625
; %bb.623:
	s_cmp_gt_i32 s48, 6
	s_cbranch_scc0 .LBB239_626
; %bb.624:
	global_load_dwordx2 v[4:5], v[2:3], off
	s_mov_b64 s[0:1], 0
	s_waitcnt vmcnt(0)
	v_cvt_i32_f64_e32 v4, v[4:5]
	s_branch .LBB239_627
.LBB239_625:
	s_mov_b64 s[0:1], -1
                                        ; implicit-def: $vgpr4
	s_branch .LBB239_630
.LBB239_626:
	s_mov_b64 s[0:1], -1
                                        ; implicit-def: $vgpr4
.LBB239_627:
	s_andn2_b64 vcc, exec, s[0:1]
	s_cbranch_vccnz .LBB239_629
; %bb.628:
	global_load_dword v4, v[2:3], off
	s_waitcnt vmcnt(0)
	v_cvt_i32_f32_e32 v4, v4
.LBB239_629:
	s_mov_b64 s[0:1], 0
.LBB239_630:
	s_andn2_b64 vcc, exec, s[0:1]
	s_cbranch_vccnz .LBB239_632
; %bb.631:
	global_load_ushort v4, v[2:3], off
	s_waitcnt vmcnt(0)
	v_cvt_i16_f16_e32 v4, v4
.LBB239_632:
	s_mov_b64 s[0:1], 0
.LBB239_633:
	s_andn2_b64 vcc, exec, s[0:1]
	s_cbranch_vccnz .LBB239_653
; %bb.634:
	s_cmp_lt_i32 s48, 2
	s_cbranch_scc1 .LBB239_638
; %bb.635:
	s_cmp_lt_i32 s48, 3
	s_cbranch_scc1 .LBB239_639
; %bb.636:
	s_cmp_gt_i32 s48, 3
	s_cbranch_scc0 .LBB239_640
; %bb.637:
	global_load_dwordx2 v[4:5], v[2:3], off
	s_mov_b64 s[0:1], 0
	s_branch .LBB239_641
.LBB239_638:
	s_mov_b64 s[0:1], -1
                                        ; implicit-def: $vgpr4
	s_branch .LBB239_647
.LBB239_639:
	s_mov_b64 s[0:1], -1
                                        ; implicit-def: $vgpr4
	s_branch .LBB239_644
.LBB239_640:
	s_mov_b64 s[0:1], -1
                                        ; implicit-def: $vgpr4
.LBB239_641:
	s_andn2_b64 vcc, exec, s[0:1]
	s_cbranch_vccnz .LBB239_643
; %bb.642:
	global_load_dword v4, v[2:3], off
.LBB239_643:
	s_mov_b64 s[0:1], 0
.LBB239_644:
	s_andn2_b64 vcc, exec, s[0:1]
	s_cbranch_vccnz .LBB239_646
; %bb.645:
	global_load_ushort v4, v[2:3], off
.LBB239_646:
	s_mov_b64 s[0:1], 0
.LBB239_647:
	s_andn2_b64 vcc, exec, s[0:1]
	s_cbranch_vccnz .LBB239_653
; %bb.648:
	s_cmp_gt_i32 s48, 0
	s_cbranch_scc0 .LBB239_650
; %bb.649:
	global_load_sbyte v4, v[2:3], off
	s_mov_b64 s[0:1], 0
	s_branch .LBB239_651
.LBB239_650:
	s_mov_b64 s[0:1], -1
                                        ; implicit-def: $vgpr4
.LBB239_651:
	s_andn2_b64 vcc, exec, s[0:1]
	s_cbranch_vccnz .LBB239_653
; %bb.652:
	global_load_ubyte v4, v[2:3], off
.LBB239_653:
	s_mov_b64 s[0:1], -1
.LBB239_654:
	s_andn2_b64 vcc, exec, s[0:1]
	s_cbranch_vccnz .LBB239_662
; %bb.655:
	v_ashrrev_i16_e32 v2, 15, v1
	s_waitcnt vmcnt(0)
	v_ashrrev_i32_sdwa v1, v4, sext(v1) dst_sel:DWORD dst_unused:UNUSED_PAD src0_sel:WORD_0 src1_sel:WORD_0
	v_cmp_lt_u16_e32 vcc, 14, v4
	v_cndmask_b32_e32 v4, v1, v2, vcc
	v_mov_b32_e32 v1, s9
	s_and_b32 s56, s69, 0xff
	v_add_co_u32_e32 v0, vcc, s8, v0
	s_cmp_lt_i32 s56, 11
	v_addc_co_u32_e32 v1, vcc, 0, v1, vcc
	s_cbranch_scc1 .LBB239_663
; %bb.656:
	s_and_b32 s57, 0xffff, s56
	s_cmp_gt_i32 s57, 25
	s_cbranch_scc0 .LBB239_664
; %bb.657:
	s_cmp_gt_i32 s57, 28
	s_cbranch_scc0 .LBB239_665
; %bb.658:
	;; [unrolled: 3-line block ×4, first 2 shown]
	s_mov_b64 s[52:53], 0
	s_mov_b64 s[0:1], -1
	s_cmp_eq_u32 s57, 46
	s_mov_b64 s[48:49], 0
	s_cbranch_scc0 .LBB239_668
; %bb.661:
	v_cvt_f32_i32_sdwa v2, sext(v4) dst_sel:DWORD dst_unused:UNUSED_PAD src0_sel:WORD_0
	s_movk_i32 s0, 0x7fff
	s_mov_b64 s[48:49], -1
	v_bfe_u32 v3, v2, 16, 1
	v_add3_u32 v2, v2, v3, s0
	v_lshrrev_b32_e32 v2, 16, v2
	global_store_dword v[0:1], v2, off
	s_mov_b64 s[0:1], 0
	s_branch .LBB239_668
.LBB239_662:
	s_mov_b64 s[52:53], 0
                                        ; implicit-def: $vgpr10
	s_mov_b64 s[0:1], s[36:37]
	s_branch .LBB239_778
.LBB239_663:
	s_mov_b64 s[52:53], -1
	s_mov_b64 s[48:49], 0
	s_mov_b64 s[0:1], s[36:37]
	s_branch .LBB239_737
.LBB239_664:
	s_mov_b64 s[52:53], -1
	s_mov_b64 s[48:49], 0
	s_mov_b64 s[0:1], s[36:37]
	s_branch .LBB239_695
.LBB239_665:
	s_mov_b64 s[52:53], -1
	s_mov_b64 s[48:49], 0
	s_mov_b64 s[0:1], s[36:37]
	s_branch .LBB239_678
.LBB239_666:
	s_mov_b64 s[52:53], -1
	s_mov_b64 s[48:49], 0
	s_mov_b64 s[0:1], s[36:37]
	s_branch .LBB239_674
.LBB239_667:
	s_mov_b64 s[52:53], -1
	s_mov_b64 s[48:49], 0
	s_mov_b64 s[0:1], s[36:37]
.LBB239_668:
	s_and_b64 vcc, exec, s[52:53]
	s_cbranch_vccz .LBB239_673
; %bb.669:
	s_cmp_eq_u32 s57, 44
	s_mov_b64 s[0:1], -1
	s_cbranch_scc0 .LBB239_673
; %bb.670:
	v_cvt_f32_i32_sdwa v2, sext(v4) dst_sel:DWORD dst_unused:UNUSED_PAD src0_sel:WORD_0
	s_movk_i32 s0, 0xff
	v_mov_b32_e32 v5, 0xff
	v_bfe_u32 v3, v2, 23, 8
	v_cmp_ne_u32_e32 vcc, s0, v3
	s_and_saveexec_b64 s[48:49], vcc
; %bb.671:
	s_mov_b32 s0, 0x3fffff
	v_lshrrev_b32_e32 v5, 23, v2
	v_and_b32_e32 v6, 0x400000, v2
	v_and_or_b32 v2, v2, s0, v3
	v_cmp_ne_u32_e32 vcc, 0, v6
	v_cmp_ne_u32_e64 s[0:1], 0, v2
	s_and_b64 s[0:1], vcc, s[0:1]
	v_cndmask_b32_e64 v2, 0, 1, s[0:1]
	v_add_u32_e32 v5, v5, v2
; %bb.672:
	s_or_b64 exec, exec, s[48:49]
	s_mov_b64 s[48:49], -1
	s_mov_b64 s[0:1], 0
	global_store_byte v[0:1], v5, off
.LBB239_673:
	s_mov_b64 s[52:53], 0
.LBB239_674:
	s_and_b64 vcc, exec, s[52:53]
	s_cbranch_vccz .LBB239_677
; %bb.675:
	s_cmp_eq_u32 s57, 29
	s_mov_b64 s[0:1], -1
	s_cbranch_scc0 .LBB239_677
; %bb.676:
	v_bfe_i32 v2, v4, 0, 16
	v_ashrrev_i32_e32 v3, 31, v2
	global_store_dwordx2 v[0:1], v[2:3], off
	s_mov_b64 s[48:49], -1
	s_mov_b64 s[0:1], 0
.LBB239_677:
	s_mov_b64 s[52:53], 0
.LBB239_678:
	s_and_b64 vcc, exec, s[52:53]
	s_cbranch_vccz .LBB239_694
; %bb.679:
	s_cmp_lt_i32 s57, 27
	s_mov_b64 s[48:49], -1
	s_cbranch_scc1 .LBB239_685
; %bb.680:
	s_cmp_gt_i32 s57, 27
	s_cbranch_scc0 .LBB239_682
; %bb.681:
	v_bfe_i32 v2, v4, 0, 16
	s_mov_b64 s[48:49], 0
	global_store_dword v[0:1], v2, off
.LBB239_682:
	s_andn2_b64 vcc, exec, s[48:49]
	s_cbranch_vccnz .LBB239_684
; %bb.683:
	global_store_short v[0:1], v4, off
.LBB239_684:
	s_mov_b64 s[48:49], 0
.LBB239_685:
	s_andn2_b64 vcc, exec, s[48:49]
	s_cbranch_vccnz .LBB239_693
; %bb.686:
	v_cvt_f32_i32_sdwa v2, sext(v4) dst_sel:DWORD dst_unused:UNUSED_PAD src0_sel:WORD_0
	s_mov_b32 s48, 0x43800000
	v_mov_b32_e32 v5, 0x80
	v_and_b32_e32 v3, 0x7fffffff, v2
	v_cmp_gt_u32_e32 vcc, s48, v3
	s_and_saveexec_b64 s[48:49], vcc
	s_cbranch_execz .LBB239_692
; %bb.687:
	s_mov_b32 s52, 0x3bffffff
	v_cmp_lt_u32_e32 vcc, s52, v3
	s_mov_b64 s[52:53], 0
                                        ; implicit-def: $vgpr3
	s_and_saveexec_b64 s[54:55], vcc
	s_xor_b64 s[54:55], exec, s[54:55]
	s_cbranch_execz .LBB239_806
; %bb.688:
	v_bfe_u32 v3, v2, 20, 1
	s_mov_b32 s58, 0x487ffff
	v_add3_u32 v3, v2, v3, s58
	s_mov_b64 s[52:53], exec
	v_lshrrev_b32_e32 v3, 20, v3
	s_andn2_saveexec_b64 s[54:55], s[54:55]
	s_cbranch_execnz .LBB239_807
.LBB239_689:
	s_or_b64 exec, exec, s[54:55]
	v_mov_b32_e32 v5, 0
	s_and_saveexec_b64 s[54:55], s[52:53]
.LBB239_690:
	v_lshrrev_b32_e32 v2, 24, v2
	s_movk_i32 s52, 0x80
	v_and_or_b32 v5, v2, s52, v3
.LBB239_691:
	s_or_b64 exec, exec, s[54:55]
.LBB239_692:
	s_or_b64 exec, exec, s[48:49]
	global_store_byte v[0:1], v5, off
.LBB239_693:
	s_mov_b64 s[48:49], -1
.LBB239_694:
	s_mov_b64 s[52:53], 0
.LBB239_695:
	s_and_b64 vcc, exec, s[52:53]
	s_cbranch_vccz .LBB239_736
; %bb.696:
	s_cmp_gt_i32 s57, 22
	s_mov_b64 s[52:53], -1
	s_cbranch_scc0 .LBB239_728
; %bb.697:
	s_cmp_lt_i32 s57, 24
	s_mov_b64 s[48:49], -1
	s_cbranch_scc1 .LBB239_717
; %bb.698:
	s_cmp_gt_i32 s57, 24
	s_cbranch_scc0 .LBB239_706
; %bb.699:
	v_cvt_f32_i32_sdwa v2, sext(v4) dst_sel:DWORD dst_unused:UNUSED_PAD src0_sel:WORD_0
	s_mov_b32 s48, 0x47800000
	v_mov_b32_e32 v5, 0x80
	v_and_b32_e32 v3, 0x7fffffff, v2
	v_cmp_gt_u32_e32 vcc, s48, v3
	s_and_saveexec_b64 s[48:49], vcc
	s_cbranch_execz .LBB239_705
; %bb.700:
	s_mov_b32 s52, 0x37ffffff
	v_cmp_lt_u32_e32 vcc, s52, v3
	s_mov_b64 s[52:53], 0
                                        ; implicit-def: $vgpr3
	s_and_saveexec_b64 s[54:55], vcc
	s_xor_b64 s[54:55], exec, s[54:55]
	s_cbranch_execz .LBB239_934
; %bb.701:
	v_bfe_u32 v3, v2, 21, 1
	s_mov_b32 s58, 0x88fffff
	v_add3_u32 v3, v2, v3, s58
	s_mov_b64 s[52:53], exec
	v_lshrrev_b32_e32 v3, 21, v3
	s_andn2_saveexec_b64 s[54:55], s[54:55]
	s_cbranch_execnz .LBB239_935
.LBB239_702:
	s_or_b64 exec, exec, s[54:55]
	v_mov_b32_e32 v5, 0
	s_and_saveexec_b64 s[54:55], s[52:53]
.LBB239_703:
	v_lshrrev_b32_e32 v2, 24, v2
	s_movk_i32 s52, 0x80
	v_and_or_b32 v5, v2, s52, v3
.LBB239_704:
	s_or_b64 exec, exec, s[54:55]
.LBB239_705:
	s_or_b64 exec, exec, s[48:49]
	s_mov_b64 s[48:49], 0
	global_store_byte v[0:1], v5, off
.LBB239_706:
	s_and_b64 vcc, exec, s[48:49]
	s_cbranch_vccz .LBB239_716
; %bb.707:
	v_cvt_f32_i32_sdwa v2, sext(v4) dst_sel:DWORD dst_unused:UNUSED_PAD src0_sel:WORD_0
	s_mov_b32 s48, 0x43f00000
                                        ; implicit-def: $vgpr3
	v_and_b32_e32 v5, 0x7fffffff, v2
	v_cmp_gt_u32_e32 vcc, s48, v5
	s_and_saveexec_b64 s[48:49], vcc
	s_xor_b64 s[48:49], exec, s[48:49]
	s_cbranch_execz .LBB239_713
; %bb.708:
	s_mov_b32 s52, 0x3c7fffff
	v_cmp_lt_u32_e32 vcc, s52, v5
                                        ; implicit-def: $vgpr3
	s_and_saveexec_b64 s[52:53], vcc
	s_xor_b64 s[52:53], exec, s[52:53]
; %bb.709:
	v_bfe_u32 v3, v2, 20, 1
	s_mov_b32 s54, 0x407ffff
	v_add3_u32 v3, v2, v3, s54
	v_lshrrev_b32_e32 v5, 20, v3
	v_and_b32_e32 v3, 0xff00000, v3
	s_mov_b32 s54, 0x7f00000
	v_mov_b32_e32 v6, 0x7e
	v_cmp_ne_u32_e32 vcc, s54, v3
	v_cndmask_b32_e32 v3, v6, v5, vcc
; %bb.710:
	s_andn2_saveexec_b64 s[52:53], s[52:53]
; %bb.711:
	s_mov_b32 s54, 0x46800000
	v_add_f32_e64 v3, |v2|, s54
; %bb.712:
	s_or_b64 exec, exec, s[52:53]
                                        ; implicit-def: $vgpr5
.LBB239_713:
	s_andn2_saveexec_b64 s[48:49], s[48:49]
; %bb.714:
	s_mov_b32 s52, 0x7f800000
	v_mov_b32_e32 v3, 0x7e
	v_mov_b32_e32 v6, 0x7f
	v_cmp_lt_u32_e32 vcc, s52, v5
	v_cndmask_b32_e32 v3, v3, v6, vcc
; %bb.715:
	s_or_b64 exec, exec, s[48:49]
	v_lshrrev_b32_e32 v2, 24, v2
	s_movk_i32 s48, 0x80
	v_and_or_b32 v2, v2, s48, v3
	global_store_byte v[0:1], v2, off
.LBB239_716:
	s_mov_b64 s[48:49], 0
.LBB239_717:
	s_andn2_b64 vcc, exec, s[48:49]
	s_cbranch_vccnz .LBB239_727
; %bb.718:
	v_cvt_f32_i32_sdwa v2, sext(v4) dst_sel:DWORD dst_unused:UNUSED_PAD src0_sel:WORD_0
	s_mov_b32 s48, 0x47800000
                                        ; implicit-def: $vgpr3
	v_and_b32_e32 v5, 0x7fffffff, v2
	v_cmp_gt_u32_e32 vcc, s48, v5
	s_and_saveexec_b64 s[48:49], vcc
	s_xor_b64 s[48:49], exec, s[48:49]
	s_cbranch_execz .LBB239_724
; %bb.719:
	s_mov_b32 s52, 0x387fffff
	v_cmp_lt_u32_e32 vcc, s52, v5
                                        ; implicit-def: $vgpr3
	s_and_saveexec_b64 s[52:53], vcc
	s_xor_b64 s[52:53], exec, s[52:53]
; %bb.720:
	v_bfe_u32 v3, v2, 21, 1
	s_mov_b32 s54, 0x80fffff
	v_add3_u32 v3, v2, v3, s54
	v_lshrrev_b32_e32 v3, 21, v3
; %bb.721:
	s_andn2_saveexec_b64 s[52:53], s[52:53]
; %bb.722:
	s_mov_b32 s54, 0x43000000
	v_add_f32_e64 v3, |v2|, s54
; %bb.723:
	s_or_b64 exec, exec, s[52:53]
                                        ; implicit-def: $vgpr5
.LBB239_724:
	s_andn2_saveexec_b64 s[48:49], s[48:49]
; %bb.725:
	s_mov_b32 s52, 0x7f800000
	v_mov_b32_e32 v3, 0x7c
	v_mov_b32_e32 v6, 0x7f
	v_cmp_lt_u32_e32 vcc, s52, v5
	v_cndmask_b32_e32 v3, v3, v6, vcc
; %bb.726:
	s_or_b64 exec, exec, s[48:49]
	v_lshrrev_b32_e32 v2, 24, v2
	s_movk_i32 s48, 0x80
	v_and_or_b32 v2, v2, s48, v3
	global_store_byte v[0:1], v2, off
.LBB239_727:
	s_mov_b64 s[52:53], 0
	s_mov_b64 s[48:49], -1
.LBB239_728:
	s_andn2_b64 vcc, exec, s[52:53]
	s_cbranch_vccnz .LBB239_736
; %bb.729:
	s_cmp_gt_i32 s57, 14
	s_mov_b64 s[52:53], -1
	s_cbranch_scc0 .LBB239_733
; %bb.730:
	s_cmp_eq_u32 s57, 15
	s_mov_b64 s[0:1], -1
	s_cbranch_scc0 .LBB239_732
; %bb.731:
	v_cvt_f32_i32_sdwa v2, sext(v4) dst_sel:DWORD dst_unused:UNUSED_PAD src0_sel:WORD_0
	s_movk_i32 s0, 0x7fff
	s_mov_b64 s[48:49], -1
	v_bfe_u32 v3, v2, 16, 1
	v_add3_u32 v2, v2, v3, s0
	global_store_short_d16_hi v[0:1], v2, off
	s_mov_b64 s[0:1], 0
.LBB239_732:
	s_mov_b64 s[52:53], 0
.LBB239_733:
	s_and_b64 vcc, exec, s[52:53]
	s_cbranch_vccz .LBB239_736
; %bb.734:
	s_cmp_eq_u32 s57, 11
	s_mov_b64 s[0:1], -1
	s_cbranch_scc0 .LBB239_736
; %bb.735:
	v_cmp_ne_u16_e32 vcc, 0, v4
	v_cndmask_b32_e64 v2, 0, 1, vcc
	s_mov_b64 s[48:49], -1
	s_mov_b64 s[0:1], 0
	global_store_byte v[0:1], v2, off
.LBB239_736:
	s_mov_b64 s[52:53], 0
.LBB239_737:
	s_and_b64 vcc, exec, s[52:53]
	s_cbranch_vccz .LBB239_776
; %bb.738:
	s_and_b32 s52, 0xffff, s56
	s_cmp_lt_i32 s52, 5
	s_mov_b64 s[48:49], -1
	s_cbranch_scc1 .LBB239_759
; %bb.739:
	s_cmp_lt_i32 s52, 8
	s_cbranch_scc1 .LBB239_749
; %bb.740:
	s_cmp_lt_i32 s52, 9
	s_cbranch_scc1 .LBB239_746
; %bb.741:
	s_cmp_gt_i32 s52, 9
	s_cbranch_scc0 .LBB239_743
; %bb.742:
	v_bfe_i32 v2, v4, 0, 16
	v_cvt_f64_i32_e32 v[5:6], v2
	v_mov_b32_e32 v7, 0
	v_mov_b32_e32 v8, v7
	s_mov_b64 s[48:49], 0
	global_store_dwordx4 v[0:1], v[5:8], off
.LBB239_743:
	s_andn2_b64 vcc, exec, s[48:49]
	s_cbranch_vccnz .LBB239_745
; %bb.744:
	v_cvt_f32_i32_sdwa v2, sext(v4) dst_sel:DWORD dst_unused:UNUSED_PAD src0_sel:WORD_0
	v_mov_b32_e32 v3, 0
	global_store_dwordx2 v[0:1], v[2:3], off
.LBB239_745:
	s_mov_b64 s[48:49], 0
.LBB239_746:
	s_andn2_b64 vcc, exec, s[48:49]
	s_cbranch_vccnz .LBB239_748
; %bb.747:
	v_cvt_f16_i16_e32 v2, v4
	global_store_dword v[0:1], v2, off
.LBB239_748:
	s_mov_b64 s[48:49], 0
.LBB239_749:
	s_andn2_b64 vcc, exec, s[48:49]
	s_cbranch_vccnz .LBB239_758
; %bb.750:
	s_cmp_lt_i32 s52, 6
	s_mov_b64 s[48:49], -1
	s_cbranch_scc1 .LBB239_756
; %bb.751:
	s_cmp_gt_i32 s52, 6
	s_cbranch_scc0 .LBB239_753
; %bb.752:
	v_bfe_i32 v2, v4, 0, 16
	v_cvt_f64_i32_e32 v[2:3], v2
	s_mov_b64 s[48:49], 0
	global_store_dwordx2 v[0:1], v[2:3], off
.LBB239_753:
	s_andn2_b64 vcc, exec, s[48:49]
	s_cbranch_vccnz .LBB239_755
; %bb.754:
	v_cvt_f32_i32_sdwa v2, sext(v4) dst_sel:DWORD dst_unused:UNUSED_PAD src0_sel:WORD_0
	global_store_dword v[0:1], v2, off
.LBB239_755:
	s_mov_b64 s[48:49], 0
.LBB239_756:
	s_andn2_b64 vcc, exec, s[48:49]
	s_cbranch_vccnz .LBB239_758
; %bb.757:
	v_cvt_f16_i16_e32 v2, v4
	global_store_short v[0:1], v2, off
.LBB239_758:
	s_mov_b64 s[48:49], 0
.LBB239_759:
	s_andn2_b64 vcc, exec, s[48:49]
	s_cbranch_vccnz .LBB239_775
; %bb.760:
	s_cmp_lt_i32 s52, 2
	s_mov_b64 s[48:49], -1
	s_cbranch_scc1 .LBB239_770
; %bb.761:
	s_cmp_lt_i32 s52, 3
	s_cbranch_scc1 .LBB239_767
; %bb.762:
	s_cmp_gt_i32 s52, 3
	v_bfe_i32 v2, v4, 0, 16
	s_cbranch_scc0 .LBB239_764
; %bb.763:
	v_ashrrev_i32_e32 v3, 31, v2
	s_mov_b64 s[48:49], 0
	global_store_dwordx2 v[0:1], v[2:3], off
.LBB239_764:
	s_andn2_b64 vcc, exec, s[48:49]
	s_cbranch_vccnz .LBB239_766
; %bb.765:
	global_store_dword v[0:1], v2, off
.LBB239_766:
	s_mov_b64 s[48:49], 0
.LBB239_767:
	s_andn2_b64 vcc, exec, s[48:49]
	s_cbranch_vccnz .LBB239_769
; %bb.768:
	global_store_short v[0:1], v4, off
.LBB239_769:
	s_mov_b64 s[48:49], 0
.LBB239_770:
	s_andn2_b64 vcc, exec, s[48:49]
	s_cbranch_vccnz .LBB239_775
; %bb.771:
	s_cmp_gt_i32 s52, 0
	s_mov_b64 s[48:49], -1
	s_cbranch_scc0 .LBB239_773
; %bb.772:
	s_mov_b64 s[48:49], 0
	global_store_byte v[0:1], v4, off
.LBB239_773:
	s_andn2_b64 vcc, exec, s[48:49]
	s_cbranch_vccnz .LBB239_775
; %bb.774:
	global_store_byte v[0:1], v4, off
.LBB239_775:
	s_mov_b64 s[48:49], -1
.LBB239_776:
	s_andn2_b64 vcc, exec, s[48:49]
	s_cbranch_vccnz .LBB239_788
; %bb.777:
	v_add_u32_e32 v10, 0x80, v10
	s_mov_b64 s[52:53], -1
.LBB239_778:
	s_andn2_b64 s[48:49], s[36:37], exec
	s_and_b64 s[0:1], s[0:1], exec
	s_or_b64 s[48:49], s[48:49], s[0:1]
	s_andn2_b64 s[0:1], s[38:39], exec
	s_and_b64 s[46:47], s[46:47], exec
	s_or_b64 s[46:47], s[0:1], s[46:47]
	;; [unrolled: 3-line block ×3, first 2 shown]
	s_orn2_b64 s[0:1], s[52:53], exec
.LBB239_779:
	s_or_b64 exec, exec, s[50:51]
	s_mov_b64 s[52:53], 0
	s_mov_b64 s[54:55], 0
	;; [unrolled: 1-line block ×3, first 2 shown]
                                        ; implicit-def: $sgpr73
                                        ; implicit-def: $vgpr4_vgpr5
                                        ; implicit-def: $vgpr0
                                        ; implicit-def: $vgpr3
                                        ; implicit-def: $vgpr1
	s_and_saveexec_b64 s[50:51], s[0:1]
	s_cbranch_execz .LBB239_1264
; %bb.780:
	v_cmp_gt_i32_e32 vcc, s66, v10
	s_mov_b64 s[64:65], -1
	s_mov_b64 s[0:1], s[44:45]
	s_mov_b64 s[56:57], s[46:47]
	;; [unrolled: 1-line block ×3, first 2 shown]
	s_and_saveexec_b64 s[52:53], vcc
	s_cbranch_execz .LBB239_1172
; %bb.781:
	s_andn2_b64 vcc, exec, s[20:21]
	s_cbranch_vccnz .LBB239_787
; %bb.782:
	s_andn2_b64 vcc, exec, s[34:35]
	s_cbranch_vccnz .LBB239_789
; %bb.783:
	s_add_i32 s0, s72, 1
	s_and_b32 s54, s0, 30
	s_add_u32 s0, s2, 0xffffffe8
	s_addc_u32 s1, s3, -1
	v_mov_b32_e32 v3, 0
	s_waitcnt vmcnt(0)
	v_mov_b32_e32 v5, 0
	v_mov_b32_e32 v0, 0
	;; [unrolled: 1-line block ×3, first 2 shown]
.LBB239_784:                            ; =>This Inner Loop Header: Depth=1
	s_load_dwordx4 s[56:59], s[0:1], 0x1c
	s_load_dwordx2 s[64:65], s[0:1], 0x2c
	s_load_dwordx2 s[74:75], s[0:1], 0xec
	s_load_dwordx4 s[60:63], s[0:1], 0xdc
	s_add_u32 s0, s0, 24
	s_waitcnt lgkmcnt(0)
	v_mul_hi_u32 v2, s57, v1
	s_addc_u32 s1, s1, 0
	s_add_i32 s54, s54, -2
	s_cmp_eq_u32 s54, 0
	v_add_u32_e32 v2, v1, v2
	v_lshrrev_b32_e32 v2, s58, v2
	v_mul_lo_u32 v4, v2, s56
	v_mul_hi_u32 v6, s64, v2
	v_sub_u32_e32 v4, v1, v4
	v_add_u32_e32 v1, v2, v6
	v_lshrrev_b32_e32 v1, s65, v1
	v_mul_lo_u32 v8, v1, s59
	v_mul_lo_u32 v6, v4, s60
	v_mul_lo_u32 v7, v4, s61
	v_mul_lo_u32 v4, v4, s62
	v_sub_u32_e32 v2, v2, v8
	v_mul_lo_u32 v8, v2, s63
	v_mul_lo_u32 v9, v2, s74
	;; [unrolled: 1-line block ×3, first 2 shown]
	v_add3_u32 v0, v6, v0, v8
	v_add3_u32 v5, v7, v5, v9
	;; [unrolled: 1-line block ×3, first 2 shown]
	s_cbranch_scc0 .LBB239_784
; %bb.785:
	s_bitcmp1_b32 s72, 0
	s_cselect_b64 s[54:55], -1, 0
	s_and_b64 vcc, exec, s[54:55]
	s_cbranch_vccnz .LBB239_790
; %bb.786:
	s_load_dwordx2 s[54:55], s[0:1], 0x1c
	s_load_dword s58, s[0:1], 0x24
	s_load_dwordx2 s[56:57], s[0:1], 0xdc
	s_waitcnt lgkmcnt(0)
	v_mul_hi_u32 v2, s55, v1
	v_add_u32_e32 v2, v1, v2
	v_lshrrev_b32_e32 v2, s58, v2
	v_mul_lo_u32 v2, v2, s54
	s_load_dword s54, s[0:1], 0xe4
	v_sub_u32_e32 v2, v1, v2
	v_mad_u64_u32 v[0:1], s[0:1], v2, s56, v[0:1]
	v_mad_u64_u32 v[5:6], s[0:1], v2, s57, v[5:6]
	s_waitcnt lgkmcnt(0)
	v_mad_u64_u32 v[3:4], s[0:1], v2, s54, v[3:4]
	s_branch .LBB239_790
.LBB239_787:
	s_mov_b64 s[0:1], -1
                                        ; implicit-def: $vgpr0
                                        ; implicit-def: $vgpr5
                                        ; implicit-def: $vgpr3
	s_branch .LBB239_791
.LBB239_788:
	s_mov_b64 s[52:53], 0
	s_branch .LBB239_540
.LBB239_789:
	v_mov_b32_e32 v0, 0
	s_waitcnt vmcnt(0)
	v_mov_b32_e32 v5, 0
	v_mov_b32_e32 v3, 0
.LBB239_790:
	s_mov_b64 s[0:1], 0
.LBB239_791:
	s_andn2_b64 vcc, exec, s[0:1]
	s_cbranch_vccnz .LBB239_794
; %bb.792:
	s_waitcnt lgkmcnt(0)
	v_mul_hi_u32 v0, s17, v10
	s_andn2_b64 vcc, exec, s[30:31]
	v_add_u32_e32 v0, v10, v0
	s_waitcnt vmcnt(0)
	v_lshrrev_b32_e32 v1, s18, v0
	v_mul_lo_u32 v0, v1, s16
	v_sub_u32_e32 v2, v10, v0
	v_mul_lo_u32 v0, v2, s12
	v_mul_lo_u32 v5, v2, s13
	;; [unrolled: 1-line block ×3, first 2 shown]
	s_cbranch_vccnz .LBB239_794
; %bb.793:
	v_mul_hi_u32 v2, s28, v1
	v_add_u32_e32 v2, v1, v2
	v_lshrrev_b32_e32 v2, s29, v2
	v_mul_lo_u32 v2, v2, s19
	v_sub_u32_e32 v2, v1, v2
	v_mad_u64_u32 v[0:1], s[0:1], v2, s15, v[0:1]
	v_mad_u64_u32 v[5:6], s[0:1], v2, s26, v[5:6]
	;; [unrolled: 1-line block ×3, first 2 shown]
.LBB239_794:
	s_waitcnt vmcnt(0) lgkmcnt(0)
	v_mov_b32_e32 v1, s11
	s_and_b32 s58, s71, 0xff
	v_add_co_u32_e32 v4, vcc, s10, v5
	s_cmp_lt_i32 s58, 11
	v_addc_co_u32_e32 v5, vcc, 0, v1, vcc
	s_cbranch_scc1 .LBB239_801
; %bb.795:
	s_and_b32 s59, 0xffff, s58
	s_cmp_gt_i32 s59, 25
	s_cbranch_scc0 .LBB239_802
; %bb.796:
	s_cmp_gt_i32 s59, 28
	s_cbranch_scc0 .LBB239_803
; %bb.797:
	;; [unrolled: 3-line block ×4, first 2 shown]
	s_cmp_eq_u32 s59, 46
	s_mov_b64 s[56:57], 0
	s_cbranch_scc0 .LBB239_808
; %bb.800:
	global_load_dword v1, v[4:5], off
	s_mov_b64 s[0:1], -1
	s_mov_b64 s[54:55], 0
	s_waitcnt vmcnt(0)
	v_lshlrev_b32_e32 v1, 16, v1
	v_cvt_i32_f32_e32 v1, v1
	s_branch .LBB239_809
.LBB239_801:
	s_mov_b64 s[56:57], -1
	s_mov_b64 s[0:1], 0
                                        ; implicit-def: $vgpr1
	s_mov_b64 s[54:55], s[44:45]
	s_branch .LBB239_870
.LBB239_802:
	s_mov_b64 s[56:57], -1
	s_mov_b64 s[0:1], 0
	s_mov_b64 s[54:55], s[44:45]
                                        ; implicit-def: $vgpr1
	s_branch .LBB239_836
.LBB239_803:
	s_mov_b64 s[56:57], -1
	s_mov_b64 s[0:1], 0
	s_mov_b64 s[54:55], s[44:45]
                                        ; implicit-def: $vgpr1
	s_branch .LBB239_819
.LBB239_804:
	s_mov_b64 s[56:57], -1
	s_mov_b64 s[0:1], 0
	s_mov_b64 s[54:55], s[44:45]
                                        ; implicit-def: $vgpr1
	s_branch .LBB239_814
.LBB239_805:
	s_mov_b64 s[56:57], -1
	s_mov_b64 s[0:1], 0
	s_mov_b64 s[54:55], s[44:45]
                                        ; implicit-def: $vgpr1
	s_branch .LBB239_809
.LBB239_806:
	s_andn2_saveexec_b64 s[54:55], s[54:55]
	s_cbranch_execz .LBB239_689
.LBB239_807:
	s_mov_b32 s58, 0x46000000
	v_add_f32_e64 v3, |v2|, s58
	v_and_b32_e32 v3, 0xff, v3
	v_cmp_ne_u32_e32 vcc, 0, v3
	s_andn2_b64 s[52:53], s[52:53], exec
	s_and_b64 s[58:59], vcc, exec
	s_or_b64 s[52:53], s[52:53], s[58:59]
	s_or_b64 exec, exec, s[54:55]
	v_mov_b32_e32 v5, 0
	s_and_saveexec_b64 s[54:55], s[52:53]
	s_cbranch_execnz .LBB239_690
	s_branch .LBB239_691
.LBB239_808:
	s_mov_b64 s[54:55], -1
                                        ; implicit-def: $vgpr1
	s_mov_b64 s[0:1], 0
.LBB239_809:
	s_and_b64 vcc, exec, s[56:57]
	s_cbranch_vccz .LBB239_813
; %bb.810:
	s_cmp_eq_u32 s59, 44
	s_cbranch_scc0 .LBB239_812
; %bb.811:
	global_load_ubyte v1, v[4:5], off
	s_mov_b64 s[0:1], -1
	s_mov_b64 s[54:55], 0
	s_waitcnt vmcnt(0)
	v_lshlrev_b32_e32 v2, 23, v1
	v_cvt_i32_f32_e32 v2, v2
	v_cmp_ne_u32_e32 vcc, 0, v1
	v_cndmask_b32_e32 v1, 0, v2, vcc
	s_branch .LBB239_813
.LBB239_812:
	s_mov_b64 s[54:55], -1
                                        ; implicit-def: $vgpr1
.LBB239_813:
	s_mov_b64 s[56:57], 0
.LBB239_814:
	s_and_b64 vcc, exec, s[56:57]
	s_cbranch_vccz .LBB239_818
; %bb.815:
	s_cmp_eq_u32 s59, 29
	s_cbranch_scc0 .LBB239_817
; %bb.816:
	global_load_dwordx2 v[1:2], v[4:5], off
	s_mov_b64 s[0:1], -1
	s_mov_b64 s[54:55], 0
	s_branch .LBB239_818
.LBB239_817:
	s_mov_b64 s[54:55], -1
                                        ; implicit-def: $vgpr1
.LBB239_818:
	s_mov_b64 s[56:57], 0
.LBB239_819:
	s_and_b64 vcc, exec, s[56:57]
	s_cbranch_vccz .LBB239_835
; %bb.820:
	s_cmp_lt_i32 s59, 27
	s_cbranch_scc1 .LBB239_823
; %bb.821:
	s_cmp_gt_i32 s59, 27
	s_cbranch_scc0 .LBB239_824
; %bb.822:
	global_load_dword v1, v[4:5], off
	s_mov_b64 s[0:1], 0
	s_branch .LBB239_825
.LBB239_823:
	s_mov_b64 s[0:1], -1
                                        ; implicit-def: $vgpr1
	s_branch .LBB239_828
.LBB239_824:
	s_mov_b64 s[0:1], -1
                                        ; implicit-def: $vgpr1
.LBB239_825:
	s_andn2_b64 vcc, exec, s[0:1]
	s_cbranch_vccnz .LBB239_827
; %bb.826:
	global_load_ushort v1, v[4:5], off
.LBB239_827:
	s_mov_b64 s[0:1], 0
.LBB239_828:
	s_andn2_b64 vcc, exec, s[0:1]
	s_cbranch_vccnz .LBB239_834
; %bb.829:
	global_load_ubyte v2, v[4:5], off
	s_movk_i32 s0, 0x7f
	s_mov_b64 s[56:57], 0
	s_waitcnt vmcnt(0)
	v_cmp_lt_i16_e32 vcc, s0, v2
	s_and_saveexec_b64 s[0:1], vcc
	s_xor_b64 s[0:1], exec, s[0:1]
	s_cbranch_execz .LBB239_846
; %bb.830:
	s_movk_i32 s56, 0x80
	v_cmp_ne_u16_e32 vcc, s56, v2
	s_and_b64 s[56:57], vcc, exec
	s_andn2_saveexec_b64 s[0:1], s[0:1]
	s_cbranch_execnz .LBB239_847
.LBB239_831:
	s_or_b64 exec, exec, s[0:1]
	v_mov_b32_e32 v1, 0
	s_and_saveexec_b64 s[0:1], s[56:57]
	s_cbranch_execz .LBB239_833
.LBB239_832:
	v_lshlrev_b32_e32 v1, 24, v2
	v_and_b32_e32 v2, 0xffff, v2
	v_and_b32_e32 v6, 7, v2
	v_ffbh_u32_e32 v8, v6
	v_min_u32_e32 v8, 32, v8
	v_subrev_u32_e32 v9, 28, v8
	v_bfe_u32 v7, v2, 3, 4
	v_lshlrev_b32_e32 v2, v9, v2
	v_sub_u32_e32 v8, 29, v8
	v_and_b32_e32 v2, 7, v2
	v_cmp_eq_u32_e32 vcc, 0, v7
	v_cndmask_b32_e32 v7, v7, v8, vcc
	v_cndmask_b32_e32 v2, v6, v2, vcc
	v_mov_b32_e32 v6, 0x3b800000
	v_lshlrev_b32_e32 v2, 20, v2
	v_and_b32_e32 v1, 0x80000000, v1
	v_lshl_add_u32 v6, v7, 23, v6
	v_or3_b32 v1, v1, v6, v2
	v_cvt_i32_f32_e32 v1, v1
.LBB239_833:
	s_or_b64 exec, exec, s[0:1]
.LBB239_834:
	s_mov_b64 s[0:1], -1
.LBB239_835:
	s_mov_b64 s[56:57], 0
.LBB239_836:
	s_and_b64 vcc, exec, s[56:57]
	s_cbranch_vccz .LBB239_869
; %bb.837:
	s_cmp_gt_i32 s59, 22
	s_cbranch_scc0 .LBB239_845
; %bb.838:
	s_cmp_lt_i32 s59, 24
	s_cbranch_scc1 .LBB239_848
; %bb.839:
	s_cmp_gt_i32 s59, 24
	s_cbranch_scc0 .LBB239_849
; %bb.840:
	global_load_ubyte v2, v[4:5], off
	s_movk_i32 s0, 0x7f
	s_mov_b64 s[56:57], 0
	s_waitcnt vmcnt(0)
	v_cmp_lt_i16_e32 vcc, s0, v2
	s_and_saveexec_b64 s[0:1], vcc
	s_xor_b64 s[0:1], exec, s[0:1]
	s_cbranch_execz .LBB239_861
; %bb.841:
	s_movk_i32 s56, 0x80
	v_cmp_ne_u16_e32 vcc, s56, v2
	s_and_b64 s[56:57], vcc, exec
	s_andn2_saveexec_b64 s[0:1], s[0:1]
	s_cbranch_execnz .LBB239_862
.LBB239_842:
	s_or_b64 exec, exec, s[0:1]
	v_mov_b32_e32 v1, 0
	s_and_saveexec_b64 s[0:1], s[56:57]
	s_cbranch_execz .LBB239_844
.LBB239_843:
	v_lshlrev_b32_e32 v1, 24, v2
	v_and_b32_e32 v2, 0xffff, v2
	v_and_b32_e32 v6, 3, v2
	v_ffbh_u32_e32 v8, v6
	v_min_u32_e32 v8, 32, v8
	v_subrev_u32_e32 v9, 29, v8
	v_bfe_u32 v7, v2, 2, 5
	v_lshlrev_b32_e32 v2, v9, v2
	v_sub_u32_e32 v8, 30, v8
	v_and_b32_e32 v2, 3, v2
	v_cmp_eq_u32_e32 vcc, 0, v7
	v_cndmask_b32_e32 v7, v7, v8, vcc
	v_cndmask_b32_e32 v2, v6, v2, vcc
	v_mov_b32_e32 v6, 0x37800000
	v_lshlrev_b32_e32 v2, 21, v2
	v_and_b32_e32 v1, 0x80000000, v1
	v_lshl_add_u32 v6, v7, 23, v6
	v_or3_b32 v1, v1, v6, v2
	v_cvt_i32_f32_e32 v1, v1
.LBB239_844:
	s_or_b64 exec, exec, s[0:1]
	s_mov_b64 s[0:1], 0
	s_branch .LBB239_850
.LBB239_845:
	s_mov_b64 s[56:57], -1
                                        ; implicit-def: $vgpr1
	s_branch .LBB239_856
.LBB239_846:
	s_andn2_saveexec_b64 s[0:1], s[0:1]
	s_cbranch_execz .LBB239_831
.LBB239_847:
	v_cmp_ne_u16_e32 vcc, 0, v2
	s_andn2_b64 s[56:57], s[56:57], exec
	s_and_b64 s[60:61], vcc, exec
	s_or_b64 s[56:57], s[56:57], s[60:61]
	s_or_b64 exec, exec, s[0:1]
	v_mov_b32_e32 v1, 0
	s_and_saveexec_b64 s[0:1], s[56:57]
	s_cbranch_execnz .LBB239_832
	s_branch .LBB239_833
.LBB239_848:
	s_mov_b64 s[0:1], -1
                                        ; implicit-def: $vgpr1
	s_branch .LBB239_853
.LBB239_849:
	s_mov_b64 s[0:1], -1
                                        ; implicit-def: $vgpr1
.LBB239_850:
	s_and_b64 vcc, exec, s[0:1]
	s_cbranch_vccz .LBB239_852
; %bb.851:
	global_load_ubyte v1, v[4:5], off
	s_mov_b32 s0, 0x7f800000
	s_waitcnt vmcnt(0)
	v_lshlrev_b32_e32 v1, 24, v1
	v_and_b32_e32 v2, 0x7f000000, v1
	v_ffbh_u32_e32 v6, v2
	v_min_u32_e32 v6, 32, v6
	v_sub_u32_e64 v6, v6, 4 clamp
	v_lshlrev_b32_e32 v8, v6, v2
	v_lshlrev_b32_e32 v6, 23, v6
	v_lshrrev_b32_e32 v8, 4, v8
	v_add_u32_e32 v7, 0x1000000, v2
	v_sub_u32_e32 v6, v8, v6
	v_ashrrev_i32_e32 v7, 8, v7
	v_add_u32_e32 v6, 0x3c000000, v6
	v_and_or_b32 v6, v7, s0, v6
	v_cmp_ne_u32_e32 vcc, 0, v2
	v_cndmask_b32_e32 v2, 0, v6, vcc
	s_brev_b32 s0, 1
	v_and_or_b32 v1, v1, s0, v2
	v_cvt_i32_f32_e32 v1, v1
.LBB239_852:
	s_mov_b64 s[0:1], 0
.LBB239_853:
	s_andn2_b64 vcc, exec, s[0:1]
	s_cbranch_vccnz .LBB239_855
; %bb.854:
	global_load_ubyte v1, v[4:5], off
	s_movk_i32 s0, 0x7f00
	s_brev_b32 s1, 16
	s_waitcnt vmcnt(0)
	v_lshlrev_b16_e32 v2, 8, v1
	v_lshlrev_b32_e32 v1, 25, v1
	v_lshrrev_b32_e32 v6, 4, v1
	v_and_or_b32 v7, v2, s0, 0.5
	v_or_b32_e32 v6, 0x70000000, v6
	v_add_f32_e32 v7, -0.5, v7
	v_mul_f32_e32 v6, 0x7800000, v6
	v_cmp_gt_u32_e32 vcc, s1, v1
	v_bfe_i32 v2, v2, 0, 16
	v_cndmask_b32_e32 v1, v6, v7, vcc
	s_brev_b32 s0, 1
	v_and_or_b32 v1, v2, s0, v1
	v_cvt_i32_f32_e32 v1, v1
.LBB239_855:
	s_mov_b64 s[56:57], 0
	s_mov_b64 s[0:1], -1
.LBB239_856:
	s_andn2_b64 vcc, exec, s[56:57]
	s_cbranch_vccnz .LBB239_869
; %bb.857:
	s_cmp_gt_i32 s59, 14
	s_cbranch_scc0 .LBB239_860
; %bb.858:
	s_cmp_eq_u32 s59, 15
	s_cbranch_scc0 .LBB239_863
; %bb.859:
	global_load_ushort v1, v[4:5], off
	s_mov_b64 s[0:1], -1
	s_mov_b64 s[54:55], 0
	s_waitcnt vmcnt(0)
	v_lshlrev_b32_e32 v1, 16, v1
	v_cvt_i32_f32_e32 v1, v1
	s_branch .LBB239_864
.LBB239_860:
	s_mov_b64 s[56:57], -1
                                        ; implicit-def: $vgpr1
	s_branch .LBB239_865
.LBB239_861:
	s_andn2_saveexec_b64 s[0:1], s[0:1]
	s_cbranch_execz .LBB239_842
.LBB239_862:
	v_cmp_ne_u16_e32 vcc, 0, v2
	s_andn2_b64 s[56:57], s[56:57], exec
	s_and_b64 s[60:61], vcc, exec
	s_or_b64 s[56:57], s[56:57], s[60:61]
	s_or_b64 exec, exec, s[0:1]
	v_mov_b32_e32 v1, 0
	s_and_saveexec_b64 s[0:1], s[56:57]
	s_cbranch_execnz .LBB239_843
	s_branch .LBB239_844
.LBB239_863:
	s_mov_b64 s[54:55], -1
                                        ; implicit-def: $vgpr1
.LBB239_864:
	s_mov_b64 s[56:57], 0
.LBB239_865:
	s_and_b64 vcc, exec, s[56:57]
	s_cbranch_vccz .LBB239_869
; %bb.866:
	s_cmp_eq_u32 s59, 11
	s_cbranch_scc0 .LBB239_868
; %bb.867:
	global_load_ubyte v1, v[4:5], off
	s_mov_b64 s[0:1], -1
	s_mov_b64 s[54:55], 0
	s_waitcnt vmcnt(0)
	v_cmp_ne_u16_e32 vcc, 0, v1
	v_cndmask_b32_e64 v1, 0, 1, vcc
	s_branch .LBB239_869
.LBB239_868:
	s_mov_b64 s[54:55], -1
                                        ; implicit-def: $vgpr1
.LBB239_869:
	s_mov_b64 s[56:57], 0
.LBB239_870:
	s_and_b64 vcc, exec, s[56:57]
	s_cbranch_vccz .LBB239_919
; %bb.871:
	s_and_b32 s56, 0xffff, s58
	s_cmp_lt_i32 s56, 5
	s_cbranch_scc1 .LBB239_876
; %bb.872:
	s_cmp_lt_i32 s56, 8
	s_cbranch_scc1 .LBB239_877
; %bb.873:
	s_cmp_lt_i32 s56, 9
	s_cbranch_scc1 .LBB239_878
; %bb.874:
	s_cmp_gt_i32 s56, 9
	s_cbranch_scc0 .LBB239_879
; %bb.875:
	global_load_dwordx2 v[1:2], v[4:5], off
	s_mov_b64 s[0:1], 0
	s_waitcnt vmcnt(0)
	v_cvt_i32_f64_e32 v1, v[1:2]
	s_branch .LBB239_880
.LBB239_876:
	s_mov_b64 s[0:1], -1
                                        ; implicit-def: $vgpr1
	s_branch .LBB239_898
.LBB239_877:
	s_mov_b64 s[0:1], -1
                                        ; implicit-def: $vgpr1
	s_branch .LBB239_886
.LBB239_878:
	s_mov_b64 s[0:1], -1
                                        ; implicit-def: $vgpr1
	s_branch .LBB239_883
.LBB239_879:
	s_mov_b64 s[0:1], -1
                                        ; implicit-def: $vgpr1
.LBB239_880:
	s_andn2_b64 vcc, exec, s[0:1]
	s_cbranch_vccnz .LBB239_882
; %bb.881:
	global_load_dword v1, v[4:5], off
	s_waitcnt vmcnt(0)
	v_cvt_i32_f32_e32 v1, v1
.LBB239_882:
	s_mov_b64 s[0:1], 0
.LBB239_883:
	s_andn2_b64 vcc, exec, s[0:1]
	s_cbranch_vccnz .LBB239_885
; %bb.884:
	global_load_dword v1, v[4:5], off
	s_waitcnt vmcnt(0)
	v_cvt_i16_f16_e32 v1, v1
.LBB239_885:
	s_mov_b64 s[0:1], 0
.LBB239_886:
	s_andn2_b64 vcc, exec, s[0:1]
	s_cbranch_vccnz .LBB239_897
; %bb.887:
	s_cmp_lt_i32 s56, 6
	s_cbranch_scc1 .LBB239_890
; %bb.888:
	s_cmp_gt_i32 s56, 6
	s_cbranch_scc0 .LBB239_891
; %bb.889:
	global_load_dwordx2 v[1:2], v[4:5], off
	s_mov_b64 s[0:1], 0
	s_waitcnt vmcnt(0)
	v_cvt_i32_f64_e32 v1, v[1:2]
	s_branch .LBB239_892
.LBB239_890:
	s_mov_b64 s[0:1], -1
                                        ; implicit-def: $vgpr1
	s_branch .LBB239_895
.LBB239_891:
	s_mov_b64 s[0:1], -1
                                        ; implicit-def: $vgpr1
.LBB239_892:
	s_andn2_b64 vcc, exec, s[0:1]
	s_cbranch_vccnz .LBB239_894
; %bb.893:
	global_load_dword v1, v[4:5], off
	s_waitcnt vmcnt(0)
	v_cvt_i32_f32_e32 v1, v1
.LBB239_894:
	s_mov_b64 s[0:1], 0
.LBB239_895:
	s_andn2_b64 vcc, exec, s[0:1]
	s_cbranch_vccnz .LBB239_897
; %bb.896:
	global_load_ushort v1, v[4:5], off
	s_waitcnt vmcnt(0)
	v_cvt_i16_f16_e32 v1, v1
.LBB239_897:
	s_mov_b64 s[0:1], 0
.LBB239_898:
	s_andn2_b64 vcc, exec, s[0:1]
	s_cbranch_vccnz .LBB239_918
; %bb.899:
	s_cmp_lt_i32 s56, 2
	s_cbranch_scc1 .LBB239_903
; %bb.900:
	s_cmp_lt_i32 s56, 3
	s_cbranch_scc1 .LBB239_904
; %bb.901:
	s_cmp_gt_i32 s56, 3
	s_cbranch_scc0 .LBB239_905
; %bb.902:
	global_load_dwordx2 v[1:2], v[4:5], off
	s_mov_b64 s[0:1], 0
	s_branch .LBB239_906
.LBB239_903:
	s_mov_b64 s[0:1], -1
                                        ; implicit-def: $vgpr1
	s_branch .LBB239_912
.LBB239_904:
	s_mov_b64 s[0:1], -1
                                        ; implicit-def: $vgpr1
	s_branch .LBB239_909
.LBB239_905:
	s_mov_b64 s[0:1], -1
                                        ; implicit-def: $vgpr1
.LBB239_906:
	s_andn2_b64 vcc, exec, s[0:1]
	s_cbranch_vccnz .LBB239_908
; %bb.907:
	global_load_dword v1, v[4:5], off
.LBB239_908:
	s_mov_b64 s[0:1], 0
.LBB239_909:
	s_andn2_b64 vcc, exec, s[0:1]
	s_cbranch_vccnz .LBB239_911
; %bb.910:
	global_load_ushort v1, v[4:5], off
.LBB239_911:
	s_mov_b64 s[0:1], 0
.LBB239_912:
	s_andn2_b64 vcc, exec, s[0:1]
	s_cbranch_vccnz .LBB239_918
; %bb.913:
	s_cmp_gt_i32 s56, 0
	s_cbranch_scc0 .LBB239_915
; %bb.914:
	global_load_sbyte v1, v[4:5], off
	s_mov_b64 s[0:1], 0
	s_branch .LBB239_916
.LBB239_915:
	s_mov_b64 s[0:1], -1
                                        ; implicit-def: $vgpr1
.LBB239_916:
	s_andn2_b64 vcc, exec, s[0:1]
	s_cbranch_vccnz .LBB239_918
; %bb.917:
	global_load_ubyte v1, v[4:5], off
.LBB239_918:
	s_mov_b64 s[0:1], -1
.LBB239_919:
	s_andn2_b64 vcc, exec, s[0:1]
	s_cbranch_vccnz .LBB239_927
; %bb.920:
	v_mov_b32_e32 v4, s25
	s_and_b32 s60, s70, 0xff
	s_waitcnt vmcnt(0)
	v_add_co_u32_e32 v2, vcc, s24, v3
	s_cmp_lt_i32 s60, 11
	v_addc_co_u32_e32 v3, vcc, 0, v4, vcc
	s_cbranch_scc1 .LBB239_929
; %bb.921:
	s_and_b32 s61, 0xffff, s60
	s_cmp_gt_i32 s61, 25
	s_cbranch_scc0 .LBB239_930
; %bb.922:
	s_cmp_gt_i32 s61, 28
	s_cbranch_scc0 .LBB239_931
; %bb.923:
	;; [unrolled: 3-line block ×4, first 2 shown]
	s_cmp_eq_u32 s61, 46
	s_mov_b64 s[58:59], 0
	s_cbranch_scc0 .LBB239_936
; %bb.926:
	global_load_dword v4, v[2:3], off
	s_mov_b64 s[0:1], -1
	s_mov_b64 s[56:57], 0
	s_waitcnt vmcnt(0)
	v_lshlrev_b32_e32 v4, 16, v4
	v_cvt_i32_f32_e32 v4, v4
	s_branch .LBB239_937
.LBB239_927:
	s_mov_b64 s[60:61], 0
	s_mov_b64 s[0:1], s[48:49]
	;; [unrolled: 1-line block ×3, first 2 shown]
.LBB239_928:
                                        ; implicit-def: $vgpr10
	s_branch .LBB239_1171
.LBB239_929:
	s_mov_b64 s[58:59], -1
	s_mov_b64 s[0:1], 0
                                        ; implicit-def: $vgpr4
	s_mov_b64 s[56:57], s[46:47]
	s_branch .LBB239_998
.LBB239_930:
	s_mov_b64 s[58:59], -1
	s_mov_b64 s[0:1], 0
	s_mov_b64 s[56:57], s[46:47]
                                        ; implicit-def: $vgpr4
	s_branch .LBB239_964
.LBB239_931:
	s_mov_b64 s[58:59], -1
	s_mov_b64 s[0:1], 0
	s_mov_b64 s[56:57], s[46:47]
                                        ; implicit-def: $vgpr4
	s_branch .LBB239_947
.LBB239_932:
	s_mov_b64 s[58:59], -1
	s_mov_b64 s[0:1], 0
	s_mov_b64 s[56:57], s[46:47]
                                        ; implicit-def: $vgpr4
	s_branch .LBB239_942
.LBB239_933:
	s_mov_b64 s[58:59], -1
	s_mov_b64 s[0:1], 0
	s_mov_b64 s[56:57], s[46:47]
                                        ; implicit-def: $vgpr4
	s_branch .LBB239_937
.LBB239_934:
	s_andn2_saveexec_b64 s[54:55], s[54:55]
	s_cbranch_execz .LBB239_702
.LBB239_935:
	s_mov_b32 s58, 0x42800000
	v_add_f32_e64 v3, |v2|, s58
	v_and_b32_e32 v3, 0xff, v3
	v_cmp_ne_u32_e32 vcc, 0, v3
	s_andn2_b64 s[52:53], s[52:53], exec
	s_and_b64 s[58:59], vcc, exec
	s_or_b64 s[52:53], s[52:53], s[58:59]
	s_or_b64 exec, exec, s[54:55]
	v_mov_b32_e32 v5, 0
	s_and_saveexec_b64 s[54:55], s[52:53]
	s_cbranch_execnz .LBB239_703
	s_branch .LBB239_704
.LBB239_936:
	s_mov_b64 s[56:57], -1
                                        ; implicit-def: $vgpr4
	s_mov_b64 s[0:1], 0
.LBB239_937:
	s_and_b64 vcc, exec, s[58:59]
	s_cbranch_vccz .LBB239_941
; %bb.938:
	s_cmp_eq_u32 s61, 44
	s_cbranch_scc0 .LBB239_940
; %bb.939:
	global_load_ubyte v4, v[2:3], off
	s_mov_b64 s[0:1], -1
	s_mov_b64 s[56:57], 0
	s_waitcnt vmcnt(0)
	v_lshlrev_b32_e32 v5, 23, v4
	v_cvt_i32_f32_e32 v5, v5
	v_cmp_ne_u32_e32 vcc, 0, v4
	v_cndmask_b32_e32 v4, 0, v5, vcc
	s_branch .LBB239_941
.LBB239_940:
	s_mov_b64 s[56:57], -1
                                        ; implicit-def: $vgpr4
.LBB239_941:
	s_mov_b64 s[58:59], 0
.LBB239_942:
	s_and_b64 vcc, exec, s[58:59]
	s_cbranch_vccz .LBB239_946
; %bb.943:
	s_cmp_eq_u32 s61, 29
	s_cbranch_scc0 .LBB239_945
; %bb.944:
	global_load_dwordx2 v[4:5], v[2:3], off
	s_mov_b64 s[0:1], -1
	s_mov_b64 s[56:57], 0
	s_branch .LBB239_946
.LBB239_945:
	s_mov_b64 s[56:57], -1
                                        ; implicit-def: $vgpr4
.LBB239_946:
	s_mov_b64 s[58:59], 0
.LBB239_947:
	s_and_b64 vcc, exec, s[58:59]
	s_cbranch_vccz .LBB239_963
; %bb.948:
	s_cmp_lt_i32 s61, 27
	s_cbranch_scc1 .LBB239_951
; %bb.949:
	s_cmp_gt_i32 s61, 27
	s_cbranch_scc0 .LBB239_952
; %bb.950:
	global_load_dword v4, v[2:3], off
	s_mov_b64 s[0:1], 0
	s_branch .LBB239_953
.LBB239_951:
	s_mov_b64 s[0:1], -1
                                        ; implicit-def: $vgpr4
	s_branch .LBB239_956
.LBB239_952:
	s_mov_b64 s[0:1], -1
                                        ; implicit-def: $vgpr4
.LBB239_953:
	s_andn2_b64 vcc, exec, s[0:1]
	s_cbranch_vccnz .LBB239_955
; %bb.954:
	global_load_ushort v4, v[2:3], off
.LBB239_955:
	s_mov_b64 s[0:1], 0
.LBB239_956:
	s_andn2_b64 vcc, exec, s[0:1]
	s_cbranch_vccnz .LBB239_962
; %bb.957:
	global_load_ubyte v5, v[2:3], off
	s_movk_i32 s0, 0x7f
	s_mov_b64 s[58:59], 0
	s_waitcnt vmcnt(0)
	v_cmp_lt_i16_e32 vcc, s0, v5
	s_and_saveexec_b64 s[0:1], vcc
	s_xor_b64 s[0:1], exec, s[0:1]
	s_cbranch_execz .LBB239_974
; %bb.958:
	s_movk_i32 s58, 0x80
	v_cmp_ne_u16_e32 vcc, s58, v5
	s_and_b64 s[58:59], vcc, exec
	s_andn2_saveexec_b64 s[0:1], s[0:1]
	s_cbranch_execnz .LBB239_975
.LBB239_959:
	s_or_b64 exec, exec, s[0:1]
	v_mov_b32_e32 v4, 0
	s_and_saveexec_b64 s[0:1], s[58:59]
	s_cbranch_execz .LBB239_961
.LBB239_960:
	v_lshlrev_b32_e32 v4, 24, v5
	v_and_b32_e32 v5, 0xffff, v5
	v_and_b32_e32 v6, 7, v5
	v_ffbh_u32_e32 v8, v6
	v_min_u32_e32 v8, 32, v8
	v_subrev_u32_e32 v9, 28, v8
	v_bfe_u32 v7, v5, 3, 4
	v_lshlrev_b32_e32 v5, v9, v5
	v_sub_u32_e32 v8, 29, v8
	v_and_b32_e32 v5, 7, v5
	v_cmp_eq_u32_e32 vcc, 0, v7
	v_cndmask_b32_e32 v7, v7, v8, vcc
	v_cndmask_b32_e32 v5, v6, v5, vcc
	v_mov_b32_e32 v6, 0x3b800000
	v_lshlrev_b32_e32 v5, 20, v5
	v_and_b32_e32 v4, 0x80000000, v4
	v_lshl_add_u32 v6, v7, 23, v6
	v_or3_b32 v4, v4, v6, v5
	v_cvt_i32_f32_e32 v4, v4
.LBB239_961:
	s_or_b64 exec, exec, s[0:1]
.LBB239_962:
	s_mov_b64 s[0:1], -1
.LBB239_963:
	s_mov_b64 s[58:59], 0
.LBB239_964:
	s_and_b64 vcc, exec, s[58:59]
	s_cbranch_vccz .LBB239_997
; %bb.965:
	s_cmp_gt_i32 s61, 22
	s_cbranch_scc0 .LBB239_973
; %bb.966:
	s_cmp_lt_i32 s61, 24
	s_cbranch_scc1 .LBB239_976
; %bb.967:
	s_cmp_gt_i32 s61, 24
	s_cbranch_scc0 .LBB239_977
; %bb.968:
	global_load_ubyte v5, v[2:3], off
	s_movk_i32 s0, 0x7f
	s_mov_b64 s[58:59], 0
	s_waitcnt vmcnt(0)
	v_cmp_lt_i16_e32 vcc, s0, v5
	s_and_saveexec_b64 s[0:1], vcc
	s_xor_b64 s[0:1], exec, s[0:1]
	s_cbranch_execz .LBB239_989
; %bb.969:
	s_movk_i32 s58, 0x80
	v_cmp_ne_u16_e32 vcc, s58, v5
	s_and_b64 s[58:59], vcc, exec
	s_andn2_saveexec_b64 s[0:1], s[0:1]
	s_cbranch_execnz .LBB239_990
.LBB239_970:
	s_or_b64 exec, exec, s[0:1]
	v_mov_b32_e32 v4, 0
	s_and_saveexec_b64 s[0:1], s[58:59]
	s_cbranch_execz .LBB239_972
.LBB239_971:
	v_lshlrev_b32_e32 v4, 24, v5
	v_and_b32_e32 v5, 0xffff, v5
	v_and_b32_e32 v6, 3, v5
	v_ffbh_u32_e32 v8, v6
	v_min_u32_e32 v8, 32, v8
	v_subrev_u32_e32 v9, 29, v8
	v_bfe_u32 v7, v5, 2, 5
	v_lshlrev_b32_e32 v5, v9, v5
	v_sub_u32_e32 v8, 30, v8
	v_and_b32_e32 v5, 3, v5
	v_cmp_eq_u32_e32 vcc, 0, v7
	v_cndmask_b32_e32 v7, v7, v8, vcc
	v_cndmask_b32_e32 v5, v6, v5, vcc
	v_mov_b32_e32 v6, 0x37800000
	v_lshlrev_b32_e32 v5, 21, v5
	v_and_b32_e32 v4, 0x80000000, v4
	v_lshl_add_u32 v6, v7, 23, v6
	v_or3_b32 v4, v4, v6, v5
	v_cvt_i32_f32_e32 v4, v4
.LBB239_972:
	s_or_b64 exec, exec, s[0:1]
	s_mov_b64 s[0:1], 0
	s_branch .LBB239_978
.LBB239_973:
	s_mov_b64 s[58:59], -1
                                        ; implicit-def: $vgpr4
	s_branch .LBB239_984
.LBB239_974:
	s_andn2_saveexec_b64 s[0:1], s[0:1]
	s_cbranch_execz .LBB239_959
.LBB239_975:
	v_cmp_ne_u16_e32 vcc, 0, v5
	s_andn2_b64 s[58:59], s[58:59], exec
	s_and_b64 s[62:63], vcc, exec
	s_or_b64 s[58:59], s[58:59], s[62:63]
	s_or_b64 exec, exec, s[0:1]
	v_mov_b32_e32 v4, 0
	s_and_saveexec_b64 s[0:1], s[58:59]
	s_cbranch_execnz .LBB239_960
	s_branch .LBB239_961
.LBB239_976:
	s_mov_b64 s[0:1], -1
                                        ; implicit-def: $vgpr4
	s_branch .LBB239_981
.LBB239_977:
	s_mov_b64 s[0:1], -1
                                        ; implicit-def: $vgpr4
.LBB239_978:
	s_and_b64 vcc, exec, s[0:1]
	s_cbranch_vccz .LBB239_980
; %bb.979:
	global_load_ubyte v4, v[2:3], off
	s_mov_b32 s0, 0x7f800000
	s_waitcnt vmcnt(0)
	v_lshlrev_b32_e32 v4, 24, v4
	v_and_b32_e32 v5, 0x7f000000, v4
	v_ffbh_u32_e32 v6, v5
	v_min_u32_e32 v6, 32, v6
	v_sub_u32_e64 v6, v6, 4 clamp
	v_lshlrev_b32_e32 v8, v6, v5
	v_lshlrev_b32_e32 v6, 23, v6
	v_lshrrev_b32_e32 v8, 4, v8
	v_add_u32_e32 v7, 0x1000000, v5
	v_sub_u32_e32 v6, v8, v6
	v_ashrrev_i32_e32 v7, 8, v7
	v_add_u32_e32 v6, 0x3c000000, v6
	v_and_or_b32 v6, v7, s0, v6
	v_cmp_ne_u32_e32 vcc, 0, v5
	v_cndmask_b32_e32 v5, 0, v6, vcc
	s_brev_b32 s0, 1
	v_and_or_b32 v4, v4, s0, v5
	v_cvt_i32_f32_e32 v4, v4
.LBB239_980:
	s_mov_b64 s[0:1], 0
.LBB239_981:
	s_andn2_b64 vcc, exec, s[0:1]
	s_cbranch_vccnz .LBB239_983
; %bb.982:
	global_load_ubyte v4, v[2:3], off
	s_movk_i32 s0, 0x7f00
	s_brev_b32 s1, 16
	s_waitcnt vmcnt(0)
	v_lshlrev_b16_e32 v5, 8, v4
	v_lshlrev_b32_e32 v4, 25, v4
	v_lshrrev_b32_e32 v6, 4, v4
	v_and_or_b32 v7, v5, s0, 0.5
	v_or_b32_e32 v6, 0x70000000, v6
	v_add_f32_e32 v7, -0.5, v7
	v_mul_f32_e32 v6, 0x7800000, v6
	v_cmp_gt_u32_e32 vcc, s1, v4
	v_bfe_i32 v5, v5, 0, 16
	v_cndmask_b32_e32 v4, v6, v7, vcc
	s_brev_b32 s0, 1
	v_and_or_b32 v4, v5, s0, v4
	v_cvt_i32_f32_e32 v4, v4
.LBB239_983:
	s_mov_b64 s[58:59], 0
	s_mov_b64 s[0:1], -1
.LBB239_984:
	s_andn2_b64 vcc, exec, s[58:59]
	s_cbranch_vccnz .LBB239_997
; %bb.985:
	s_cmp_gt_i32 s61, 14
	s_cbranch_scc0 .LBB239_988
; %bb.986:
	s_cmp_eq_u32 s61, 15
	s_cbranch_scc0 .LBB239_991
; %bb.987:
	global_load_ushort v4, v[2:3], off
	s_mov_b64 s[0:1], -1
	s_mov_b64 s[56:57], 0
	s_waitcnt vmcnt(0)
	v_lshlrev_b32_e32 v4, 16, v4
	v_cvt_i32_f32_e32 v4, v4
	s_branch .LBB239_992
.LBB239_988:
	s_mov_b64 s[58:59], -1
                                        ; implicit-def: $vgpr4
	s_branch .LBB239_993
.LBB239_989:
	s_andn2_saveexec_b64 s[0:1], s[0:1]
	s_cbranch_execz .LBB239_970
.LBB239_990:
	v_cmp_ne_u16_e32 vcc, 0, v5
	s_andn2_b64 s[58:59], s[58:59], exec
	s_and_b64 s[62:63], vcc, exec
	s_or_b64 s[58:59], s[58:59], s[62:63]
	s_or_b64 exec, exec, s[0:1]
	v_mov_b32_e32 v4, 0
	s_and_saveexec_b64 s[0:1], s[58:59]
	s_cbranch_execnz .LBB239_971
	s_branch .LBB239_972
.LBB239_991:
	s_mov_b64 s[56:57], -1
                                        ; implicit-def: $vgpr4
.LBB239_992:
	s_mov_b64 s[58:59], 0
.LBB239_993:
	s_and_b64 vcc, exec, s[58:59]
	s_cbranch_vccz .LBB239_997
; %bb.994:
	s_cmp_eq_u32 s61, 11
	s_cbranch_scc0 .LBB239_996
; %bb.995:
	global_load_ubyte v4, v[2:3], off
	s_mov_b64 s[0:1], -1
	s_mov_b64 s[56:57], 0
	s_waitcnt vmcnt(0)
	v_cmp_ne_u16_e32 vcc, 0, v4
	v_cndmask_b32_e64 v4, 0, 1, vcc
	s_branch .LBB239_997
.LBB239_996:
	s_mov_b64 s[56:57], -1
                                        ; implicit-def: $vgpr4
.LBB239_997:
	s_mov_b64 s[58:59], 0
.LBB239_998:
	s_and_b64 vcc, exec, s[58:59]
	s_cbranch_vccz .LBB239_1047
; %bb.999:
	s_and_b32 s58, 0xffff, s60
	s_cmp_lt_i32 s58, 5
	s_cbranch_scc1 .LBB239_1004
; %bb.1000:
	s_cmp_lt_i32 s58, 8
	s_cbranch_scc1 .LBB239_1005
; %bb.1001:
	s_cmp_lt_i32 s58, 9
	s_cbranch_scc1 .LBB239_1006
; %bb.1002:
	s_cmp_gt_i32 s58, 9
	s_cbranch_scc0 .LBB239_1007
; %bb.1003:
	global_load_dwordx2 v[4:5], v[2:3], off
	s_mov_b64 s[0:1], 0
	s_waitcnt vmcnt(0)
	v_cvt_i32_f64_e32 v4, v[4:5]
	s_branch .LBB239_1008
.LBB239_1004:
	s_mov_b64 s[0:1], -1
                                        ; implicit-def: $vgpr4
	s_branch .LBB239_1026
.LBB239_1005:
	s_mov_b64 s[0:1], -1
                                        ; implicit-def: $vgpr4
	s_branch .LBB239_1014
.LBB239_1006:
	s_mov_b64 s[0:1], -1
                                        ; implicit-def: $vgpr4
	s_branch .LBB239_1011
.LBB239_1007:
	s_mov_b64 s[0:1], -1
                                        ; implicit-def: $vgpr4
.LBB239_1008:
	s_andn2_b64 vcc, exec, s[0:1]
	s_cbranch_vccnz .LBB239_1010
; %bb.1009:
	global_load_dword v4, v[2:3], off
	s_waitcnt vmcnt(0)
	v_cvt_i32_f32_e32 v4, v4
.LBB239_1010:
	s_mov_b64 s[0:1], 0
.LBB239_1011:
	s_andn2_b64 vcc, exec, s[0:1]
	s_cbranch_vccnz .LBB239_1013
; %bb.1012:
	global_load_dword v4, v[2:3], off
	s_waitcnt vmcnt(0)
	v_cvt_i16_f16_e32 v4, v4
.LBB239_1013:
	s_mov_b64 s[0:1], 0
.LBB239_1014:
	s_andn2_b64 vcc, exec, s[0:1]
	s_cbranch_vccnz .LBB239_1025
; %bb.1015:
	s_cmp_lt_i32 s58, 6
	s_cbranch_scc1 .LBB239_1018
; %bb.1016:
	s_cmp_gt_i32 s58, 6
	s_cbranch_scc0 .LBB239_1019
; %bb.1017:
	global_load_dwordx2 v[4:5], v[2:3], off
	s_mov_b64 s[0:1], 0
	s_waitcnt vmcnt(0)
	v_cvt_i32_f64_e32 v4, v[4:5]
	s_branch .LBB239_1020
.LBB239_1018:
	s_mov_b64 s[0:1], -1
                                        ; implicit-def: $vgpr4
	s_branch .LBB239_1023
.LBB239_1019:
	s_mov_b64 s[0:1], -1
                                        ; implicit-def: $vgpr4
.LBB239_1020:
	s_andn2_b64 vcc, exec, s[0:1]
	s_cbranch_vccnz .LBB239_1022
; %bb.1021:
	global_load_dword v4, v[2:3], off
	s_waitcnt vmcnt(0)
	v_cvt_i32_f32_e32 v4, v4
.LBB239_1022:
	s_mov_b64 s[0:1], 0
.LBB239_1023:
	s_andn2_b64 vcc, exec, s[0:1]
	s_cbranch_vccnz .LBB239_1025
; %bb.1024:
	global_load_ushort v4, v[2:3], off
	s_waitcnt vmcnt(0)
	v_cvt_i16_f16_e32 v4, v4
.LBB239_1025:
	s_mov_b64 s[0:1], 0
.LBB239_1026:
	s_andn2_b64 vcc, exec, s[0:1]
	s_cbranch_vccnz .LBB239_1046
; %bb.1027:
	s_cmp_lt_i32 s58, 2
	s_cbranch_scc1 .LBB239_1031
; %bb.1028:
	s_cmp_lt_i32 s58, 3
	s_cbranch_scc1 .LBB239_1032
; %bb.1029:
	s_cmp_gt_i32 s58, 3
	s_cbranch_scc0 .LBB239_1033
; %bb.1030:
	global_load_dwordx2 v[4:5], v[2:3], off
	s_mov_b64 s[0:1], 0
	s_branch .LBB239_1034
.LBB239_1031:
	s_mov_b64 s[0:1], -1
                                        ; implicit-def: $vgpr4
	s_branch .LBB239_1040
.LBB239_1032:
	s_mov_b64 s[0:1], -1
                                        ; implicit-def: $vgpr4
	s_branch .LBB239_1037
.LBB239_1033:
	s_mov_b64 s[0:1], -1
                                        ; implicit-def: $vgpr4
.LBB239_1034:
	s_andn2_b64 vcc, exec, s[0:1]
	s_cbranch_vccnz .LBB239_1036
; %bb.1035:
	global_load_dword v4, v[2:3], off
.LBB239_1036:
	s_mov_b64 s[0:1], 0
.LBB239_1037:
	s_andn2_b64 vcc, exec, s[0:1]
	s_cbranch_vccnz .LBB239_1039
; %bb.1038:
	global_load_ushort v4, v[2:3], off
.LBB239_1039:
	s_mov_b64 s[0:1], 0
.LBB239_1040:
	s_andn2_b64 vcc, exec, s[0:1]
	s_cbranch_vccnz .LBB239_1046
; %bb.1041:
	s_cmp_gt_i32 s58, 0
	s_cbranch_scc0 .LBB239_1043
; %bb.1042:
	global_load_sbyte v4, v[2:3], off
	s_mov_b64 s[0:1], 0
	s_branch .LBB239_1044
.LBB239_1043:
	s_mov_b64 s[0:1], -1
                                        ; implicit-def: $vgpr4
.LBB239_1044:
	s_andn2_b64 vcc, exec, s[0:1]
	s_cbranch_vccnz .LBB239_1046
; %bb.1045:
	global_load_ubyte v4, v[2:3], off
.LBB239_1046:
	s_mov_b64 s[0:1], -1
.LBB239_1047:
	s_andn2_b64 vcc, exec, s[0:1]
	s_cbranch_vccnz .LBB239_1055
; %bb.1048:
	v_ashrrev_i16_e32 v2, 15, v1
	s_waitcnt vmcnt(0)
	v_ashrrev_i32_sdwa v1, v4, sext(v1) dst_sel:DWORD dst_unused:UNUSED_PAD src0_sel:WORD_0 src1_sel:WORD_0
	v_cmp_lt_u16_e32 vcc, 14, v4
	v_cndmask_b32_e32 v2, v1, v2, vcc
	v_mov_b32_e32 v1, s9
	s_and_b32 s64, s69, 0xff
	v_add_co_u32_e32 v0, vcc, s8, v0
	s_cmp_lt_i32 s64, 11
	v_addc_co_u32_e32 v1, vcc, 0, v1, vcc
	s_cbranch_scc1 .LBB239_1056
; %bb.1049:
	s_and_b32 s65, 0xffff, s64
	s_cmp_gt_i32 s65, 25
	s_cbranch_scc0 .LBB239_1057
; %bb.1050:
	s_cmp_gt_i32 s65, 28
	s_cbranch_scc0 .LBB239_1058
; %bb.1051:
	s_cmp_gt_i32 s65, 43
	s_cbranch_scc0 .LBB239_1059
; %bb.1052:
	s_cmp_gt_i32 s65, 45
	s_cbranch_scc0 .LBB239_1060
; %bb.1053:
	s_mov_b64 s[60:61], 0
	s_mov_b64 s[0:1], -1
	s_cmp_eq_u32 s65, 46
	s_mov_b64 s[58:59], 0
	s_cbranch_scc0 .LBB239_1061
; %bb.1054:
	v_cvt_f32_i32_sdwa v3, sext(v2) dst_sel:DWORD dst_unused:UNUSED_PAD src0_sel:WORD_0
	s_movk_i32 s0, 0x7fff
	s_mov_b64 s[58:59], -1
	v_bfe_u32 v4, v3, 16, 1
	v_add3_u32 v3, v3, v4, s0
	v_lshrrev_b32_e32 v3, 16, v3
	global_store_dword v[0:1], v3, off
	s_mov_b64 s[0:1], 0
	s_branch .LBB239_1061
.LBB239_1055:
	s_mov_b64 s[60:61], 0
                                        ; implicit-def: $vgpr10
	s_mov_b64 s[0:1], s[48:49]
	s_branch .LBB239_1171
.LBB239_1056:
	s_mov_b64 s[60:61], -1
	s_mov_b64 s[58:59], 0
	s_mov_b64 s[0:1], s[48:49]
	s_branch .LBB239_1130
.LBB239_1057:
	s_mov_b64 s[60:61], -1
	s_mov_b64 s[58:59], 0
	s_mov_b64 s[0:1], s[48:49]
	s_branch .LBB239_1088
.LBB239_1058:
	s_mov_b64 s[60:61], -1
	s_mov_b64 s[58:59], 0
	s_mov_b64 s[0:1], s[48:49]
	s_branch .LBB239_1071
.LBB239_1059:
	s_mov_b64 s[60:61], -1
	s_mov_b64 s[58:59], 0
	s_mov_b64 s[0:1], s[48:49]
	s_branch .LBB239_1067
.LBB239_1060:
	s_mov_b64 s[60:61], -1
	s_mov_b64 s[58:59], 0
	s_mov_b64 s[0:1], s[48:49]
.LBB239_1061:
	s_and_b64 vcc, exec, s[60:61]
	s_cbranch_vccz .LBB239_1066
; %bb.1062:
	s_cmp_eq_u32 s65, 44
	s_mov_b64 s[0:1], -1
	s_cbranch_scc0 .LBB239_1066
; %bb.1063:
	v_cvt_f32_i32_sdwa v3, sext(v2) dst_sel:DWORD dst_unused:UNUSED_PAD src0_sel:WORD_0
	s_movk_i32 s0, 0xff
	v_mov_b32_e32 v5, 0xff
	v_bfe_u32 v4, v3, 23, 8
	v_cmp_ne_u32_e32 vcc, s0, v4
	s_and_saveexec_b64 s[58:59], vcc
; %bb.1064:
	s_mov_b32 s0, 0x3fffff
	v_lshrrev_b32_e32 v5, 23, v3
	v_and_b32_e32 v6, 0x400000, v3
	v_and_or_b32 v3, v3, s0, v4
	v_cmp_ne_u32_e32 vcc, 0, v6
	v_cmp_ne_u32_e64 s[0:1], 0, v3
	s_and_b64 s[0:1], vcc, s[0:1]
	v_cndmask_b32_e64 v3, 0, 1, s[0:1]
	v_add_u32_e32 v5, v5, v3
; %bb.1065:
	s_or_b64 exec, exec, s[58:59]
	s_mov_b64 s[58:59], -1
	s_mov_b64 s[0:1], 0
	global_store_byte v[0:1], v5, off
.LBB239_1066:
	s_mov_b64 s[60:61], 0
.LBB239_1067:
	s_and_b64 vcc, exec, s[60:61]
	s_cbranch_vccz .LBB239_1070
; %bb.1068:
	s_cmp_eq_u32 s65, 29
	s_mov_b64 s[0:1], -1
	s_cbranch_scc0 .LBB239_1070
; %bb.1069:
	v_bfe_i32 v3, v2, 0, 16
	v_ashrrev_i32_e32 v4, 31, v3
	global_store_dwordx2 v[0:1], v[3:4], off
	s_mov_b64 s[58:59], -1
	s_mov_b64 s[0:1], 0
.LBB239_1070:
	s_mov_b64 s[60:61], 0
.LBB239_1071:
	s_and_b64 vcc, exec, s[60:61]
	s_cbranch_vccz .LBB239_1087
; %bb.1072:
	s_cmp_lt_i32 s65, 27
	s_mov_b64 s[58:59], -1
	s_cbranch_scc1 .LBB239_1078
; %bb.1073:
	s_cmp_gt_i32 s65, 27
	s_cbranch_scc0 .LBB239_1075
; %bb.1074:
	v_bfe_i32 v3, v2, 0, 16
	s_mov_b64 s[58:59], 0
	global_store_dword v[0:1], v3, off
.LBB239_1075:
	s_andn2_b64 vcc, exec, s[58:59]
	s_cbranch_vccnz .LBB239_1077
; %bb.1076:
	global_store_short v[0:1], v2, off
.LBB239_1077:
	s_mov_b64 s[58:59], 0
.LBB239_1078:
	s_andn2_b64 vcc, exec, s[58:59]
	s_cbranch_vccnz .LBB239_1086
; %bb.1079:
	v_cvt_f32_i32_sdwa v3, sext(v2) dst_sel:DWORD dst_unused:UNUSED_PAD src0_sel:WORD_0
	s_mov_b32 s58, 0x43800000
	v_mov_b32_e32 v5, 0x80
	v_and_b32_e32 v4, 0x7fffffff, v3
	v_cmp_gt_u32_e32 vcc, s58, v4
	s_and_saveexec_b64 s[58:59], vcc
	s_cbranch_execz .LBB239_1085
; %bb.1080:
	s_mov_b32 s60, 0x3bffffff
	v_cmp_lt_u32_e32 vcc, s60, v4
	s_mov_b64 s[60:61], 0
                                        ; implicit-def: $vgpr4
	s_and_saveexec_b64 s[62:63], vcc
	s_xor_b64 s[62:63], exec, s[62:63]
	s_cbranch_execz .LBB239_1199
; %bb.1081:
	v_bfe_u32 v4, v3, 20, 1
	s_mov_b32 s67, 0x487ffff
	v_add3_u32 v4, v3, v4, s67
	s_mov_b64 s[60:61], exec
	v_lshrrev_b32_e32 v4, 20, v4
	s_andn2_saveexec_b64 s[62:63], s[62:63]
	s_cbranch_execnz .LBB239_1200
.LBB239_1082:
	s_or_b64 exec, exec, s[62:63]
	v_mov_b32_e32 v5, 0
	s_and_saveexec_b64 s[62:63], s[60:61]
.LBB239_1083:
	v_lshrrev_b32_e32 v3, 24, v3
	s_movk_i32 s60, 0x80
	v_and_or_b32 v5, v3, s60, v4
.LBB239_1084:
	s_or_b64 exec, exec, s[62:63]
.LBB239_1085:
	s_or_b64 exec, exec, s[58:59]
	global_store_byte v[0:1], v5, off
.LBB239_1086:
	s_mov_b64 s[58:59], -1
.LBB239_1087:
	s_mov_b64 s[60:61], 0
.LBB239_1088:
	s_and_b64 vcc, exec, s[60:61]
	s_cbranch_vccz .LBB239_1129
; %bb.1089:
	s_cmp_gt_i32 s65, 22
	s_mov_b64 s[60:61], -1
	s_cbranch_scc0 .LBB239_1121
; %bb.1090:
	s_cmp_lt_i32 s65, 24
	s_mov_b64 s[58:59], -1
	s_cbranch_scc1 .LBB239_1110
; %bb.1091:
	s_cmp_gt_i32 s65, 24
	s_cbranch_scc0 .LBB239_1099
; %bb.1092:
	v_cvt_f32_i32_sdwa v3, sext(v2) dst_sel:DWORD dst_unused:UNUSED_PAD src0_sel:WORD_0
	s_mov_b32 s58, 0x47800000
	v_mov_b32_e32 v5, 0x80
	v_and_b32_e32 v4, 0x7fffffff, v3
	v_cmp_gt_u32_e32 vcc, s58, v4
	s_and_saveexec_b64 s[58:59], vcc
	s_cbranch_execz .LBB239_1098
; %bb.1093:
	s_mov_b32 s60, 0x37ffffff
	v_cmp_lt_u32_e32 vcc, s60, v4
	s_mov_b64 s[60:61], 0
                                        ; implicit-def: $vgpr4
	s_and_saveexec_b64 s[62:63], vcc
	s_xor_b64 s[62:63], exec, s[62:63]
	s_cbranch_execz .LBB239_2236
; %bb.1094:
	v_bfe_u32 v4, v3, 21, 1
	s_mov_b32 s67, 0x88fffff
	v_add3_u32 v4, v3, v4, s67
	s_mov_b64 s[60:61], exec
	v_lshrrev_b32_e32 v4, 21, v4
	s_andn2_saveexec_b64 s[62:63], s[62:63]
	s_cbranch_execnz .LBB239_2237
.LBB239_1095:
	s_or_b64 exec, exec, s[62:63]
	v_mov_b32_e32 v5, 0
	s_and_saveexec_b64 s[62:63], s[60:61]
.LBB239_1096:
	v_lshrrev_b32_e32 v3, 24, v3
	s_movk_i32 s60, 0x80
	v_and_or_b32 v5, v3, s60, v4
.LBB239_1097:
	s_or_b64 exec, exec, s[62:63]
.LBB239_1098:
	s_or_b64 exec, exec, s[58:59]
	s_mov_b64 s[58:59], 0
	global_store_byte v[0:1], v5, off
.LBB239_1099:
	s_and_b64 vcc, exec, s[58:59]
	s_cbranch_vccz .LBB239_1109
; %bb.1100:
	v_cvt_f32_i32_sdwa v3, sext(v2) dst_sel:DWORD dst_unused:UNUSED_PAD src0_sel:WORD_0
	s_mov_b32 s58, 0x43f00000
                                        ; implicit-def: $vgpr4
	v_and_b32_e32 v5, 0x7fffffff, v3
	v_cmp_gt_u32_e32 vcc, s58, v5
	s_and_saveexec_b64 s[58:59], vcc
	s_xor_b64 s[58:59], exec, s[58:59]
	s_cbranch_execz .LBB239_1106
; %bb.1101:
	s_mov_b32 s60, 0x3c7fffff
	v_cmp_lt_u32_e32 vcc, s60, v5
                                        ; implicit-def: $vgpr4
	s_and_saveexec_b64 s[60:61], vcc
	s_xor_b64 s[60:61], exec, s[60:61]
; %bb.1102:
	v_bfe_u32 v4, v3, 20, 1
	s_mov_b32 s62, 0x407ffff
	v_add3_u32 v4, v3, v4, s62
	v_lshrrev_b32_e32 v5, 20, v4
	v_and_b32_e32 v4, 0xff00000, v4
	s_mov_b32 s62, 0x7f00000
	v_mov_b32_e32 v6, 0x7e
	v_cmp_ne_u32_e32 vcc, s62, v4
	v_cndmask_b32_e32 v4, v6, v5, vcc
; %bb.1103:
	s_andn2_saveexec_b64 s[60:61], s[60:61]
; %bb.1104:
	s_mov_b32 s62, 0x46800000
	v_add_f32_e64 v4, |v3|, s62
; %bb.1105:
	s_or_b64 exec, exec, s[60:61]
                                        ; implicit-def: $vgpr5
.LBB239_1106:
	s_andn2_saveexec_b64 s[58:59], s[58:59]
; %bb.1107:
	s_mov_b32 s60, 0x7f800000
	v_mov_b32_e32 v4, 0x7e
	v_mov_b32_e32 v6, 0x7f
	v_cmp_lt_u32_e32 vcc, s60, v5
	v_cndmask_b32_e32 v4, v4, v6, vcc
; %bb.1108:
	s_or_b64 exec, exec, s[58:59]
	v_lshrrev_b32_e32 v3, 24, v3
	s_movk_i32 s58, 0x80
	v_and_or_b32 v3, v3, s58, v4
	global_store_byte v[0:1], v3, off
.LBB239_1109:
	s_mov_b64 s[58:59], 0
.LBB239_1110:
	s_andn2_b64 vcc, exec, s[58:59]
	s_cbranch_vccnz .LBB239_1120
; %bb.1111:
	v_cvt_f32_i32_sdwa v3, sext(v2) dst_sel:DWORD dst_unused:UNUSED_PAD src0_sel:WORD_0
	s_mov_b32 s58, 0x47800000
                                        ; implicit-def: $vgpr4
	v_and_b32_e32 v5, 0x7fffffff, v3
	v_cmp_gt_u32_e32 vcc, s58, v5
	s_and_saveexec_b64 s[58:59], vcc
	s_xor_b64 s[58:59], exec, s[58:59]
	s_cbranch_execz .LBB239_1117
; %bb.1112:
	s_mov_b32 s60, 0x387fffff
	v_cmp_lt_u32_e32 vcc, s60, v5
                                        ; implicit-def: $vgpr4
	s_and_saveexec_b64 s[60:61], vcc
	s_xor_b64 s[60:61], exec, s[60:61]
; %bb.1113:
	v_bfe_u32 v4, v3, 21, 1
	s_mov_b32 s62, 0x80fffff
	v_add3_u32 v4, v3, v4, s62
	v_lshrrev_b32_e32 v4, 21, v4
; %bb.1114:
	s_andn2_saveexec_b64 s[60:61], s[60:61]
; %bb.1115:
	s_mov_b32 s62, 0x43000000
	v_add_f32_e64 v4, |v3|, s62
; %bb.1116:
	s_or_b64 exec, exec, s[60:61]
                                        ; implicit-def: $vgpr5
.LBB239_1117:
	s_andn2_saveexec_b64 s[58:59], s[58:59]
; %bb.1118:
	s_mov_b32 s60, 0x7f800000
	v_mov_b32_e32 v4, 0x7c
	v_mov_b32_e32 v6, 0x7f
	v_cmp_lt_u32_e32 vcc, s60, v5
	v_cndmask_b32_e32 v4, v4, v6, vcc
; %bb.1119:
	s_or_b64 exec, exec, s[58:59]
	v_lshrrev_b32_e32 v3, 24, v3
	s_movk_i32 s58, 0x80
	v_and_or_b32 v3, v3, s58, v4
	global_store_byte v[0:1], v3, off
.LBB239_1120:
	s_mov_b64 s[60:61], 0
	s_mov_b64 s[58:59], -1
.LBB239_1121:
	s_andn2_b64 vcc, exec, s[60:61]
	s_cbranch_vccnz .LBB239_1129
; %bb.1122:
	s_cmp_gt_i32 s65, 14
	s_mov_b64 s[60:61], -1
	s_cbranch_scc0 .LBB239_1126
; %bb.1123:
	s_cmp_eq_u32 s65, 15
	s_mov_b64 s[0:1], -1
	s_cbranch_scc0 .LBB239_1125
; %bb.1124:
	v_cvt_f32_i32_sdwa v3, sext(v2) dst_sel:DWORD dst_unused:UNUSED_PAD src0_sel:WORD_0
	s_movk_i32 s0, 0x7fff
	s_mov_b64 s[58:59], -1
	v_bfe_u32 v4, v3, 16, 1
	v_add3_u32 v3, v3, v4, s0
	global_store_short_d16_hi v[0:1], v3, off
	s_mov_b64 s[0:1], 0
.LBB239_1125:
	s_mov_b64 s[60:61], 0
.LBB239_1126:
	s_and_b64 vcc, exec, s[60:61]
	s_cbranch_vccz .LBB239_1129
; %bb.1127:
	s_cmp_eq_u32 s65, 11
	s_mov_b64 s[0:1], -1
	s_cbranch_scc0 .LBB239_1129
; %bb.1128:
	v_cmp_ne_u16_e32 vcc, 0, v2
	v_cndmask_b32_e64 v3, 0, 1, vcc
	s_mov_b64 s[58:59], -1
	s_mov_b64 s[0:1], 0
	global_store_byte v[0:1], v3, off
.LBB239_1129:
	s_mov_b64 s[60:61], 0
.LBB239_1130:
	s_and_b64 vcc, exec, s[60:61]
	s_cbranch_vccz .LBB239_1169
; %bb.1131:
	s_and_b32 s60, 0xffff, s64
	s_cmp_lt_i32 s60, 5
	s_mov_b64 s[58:59], -1
	s_cbranch_scc1 .LBB239_1152
; %bb.1132:
	s_cmp_lt_i32 s60, 8
	s_cbranch_scc1 .LBB239_1142
; %bb.1133:
	s_cmp_lt_i32 s60, 9
	s_cbranch_scc1 .LBB239_1139
; %bb.1134:
	s_cmp_gt_i32 s60, 9
	s_cbranch_scc0 .LBB239_1136
; %bb.1135:
	v_bfe_i32 v3, v2, 0, 16
	v_cvt_f64_i32_e32 v[3:4], v3
	v_mov_b32_e32 v5, 0
	v_mov_b32_e32 v6, v5
	s_mov_b64 s[58:59], 0
	global_store_dwordx4 v[0:1], v[3:6], off
.LBB239_1136:
	s_andn2_b64 vcc, exec, s[58:59]
	s_cbranch_vccnz .LBB239_1138
; %bb.1137:
	v_cvt_f32_i32_sdwa v3, sext(v2) dst_sel:DWORD dst_unused:UNUSED_PAD src0_sel:WORD_0
	v_mov_b32_e32 v4, 0
	global_store_dwordx2 v[0:1], v[3:4], off
.LBB239_1138:
	s_mov_b64 s[58:59], 0
.LBB239_1139:
	s_andn2_b64 vcc, exec, s[58:59]
	s_cbranch_vccnz .LBB239_1141
; %bb.1140:
	v_cvt_f16_i16_e32 v3, v2
	global_store_dword v[0:1], v3, off
.LBB239_1141:
	s_mov_b64 s[58:59], 0
.LBB239_1142:
	s_andn2_b64 vcc, exec, s[58:59]
	s_cbranch_vccnz .LBB239_1151
; %bb.1143:
	s_cmp_lt_i32 s60, 6
	s_mov_b64 s[58:59], -1
	s_cbranch_scc1 .LBB239_1149
; %bb.1144:
	s_cmp_gt_i32 s60, 6
	s_cbranch_scc0 .LBB239_1146
; %bb.1145:
	v_bfe_i32 v3, v2, 0, 16
	v_cvt_f64_i32_e32 v[3:4], v3
	s_mov_b64 s[58:59], 0
	global_store_dwordx2 v[0:1], v[3:4], off
.LBB239_1146:
	s_andn2_b64 vcc, exec, s[58:59]
	s_cbranch_vccnz .LBB239_1148
; %bb.1147:
	v_cvt_f32_i32_sdwa v3, sext(v2) dst_sel:DWORD dst_unused:UNUSED_PAD src0_sel:WORD_0
	global_store_dword v[0:1], v3, off
.LBB239_1148:
	s_mov_b64 s[58:59], 0
.LBB239_1149:
	s_andn2_b64 vcc, exec, s[58:59]
	s_cbranch_vccnz .LBB239_1151
; %bb.1150:
	v_cvt_f16_i16_e32 v3, v2
	global_store_short v[0:1], v3, off
.LBB239_1151:
	s_mov_b64 s[58:59], 0
.LBB239_1152:
	s_andn2_b64 vcc, exec, s[58:59]
	s_cbranch_vccnz .LBB239_1168
; %bb.1153:
	s_cmp_lt_i32 s60, 2
	s_mov_b64 s[58:59], -1
	s_cbranch_scc1 .LBB239_1163
; %bb.1154:
	s_cmp_lt_i32 s60, 3
	s_cbranch_scc1 .LBB239_1160
; %bb.1155:
	s_cmp_gt_i32 s60, 3
	s_cbranch_scc0 .LBB239_1157
; %bb.1156:
	v_bfe_i32 v3, v2, 0, 16
	v_ashrrev_i32_e32 v4, 31, v3
	s_mov_b64 s[58:59], 0
	global_store_dwordx2 v[0:1], v[3:4], off
.LBB239_1157:
	s_andn2_b64 vcc, exec, s[58:59]
	s_cbranch_vccnz .LBB239_1159
; %bb.1158:
	v_bfe_i32 v3, v2, 0, 16
	global_store_dword v[0:1], v3, off
.LBB239_1159:
	s_mov_b64 s[58:59], 0
.LBB239_1160:
	s_andn2_b64 vcc, exec, s[58:59]
	s_cbranch_vccnz .LBB239_1162
; %bb.1161:
	global_store_short v[0:1], v2, off
.LBB239_1162:
	s_mov_b64 s[58:59], 0
.LBB239_1163:
	s_andn2_b64 vcc, exec, s[58:59]
	s_cbranch_vccnz .LBB239_1168
; %bb.1164:
	s_cmp_gt_i32 s60, 0
	s_mov_b64 s[58:59], -1
	s_cbranch_scc0 .LBB239_1166
; %bb.1165:
	s_mov_b64 s[58:59], 0
	global_store_byte v[0:1], v2, off
.LBB239_1166:
	s_andn2_b64 vcc, exec, s[58:59]
	s_cbranch_vccnz .LBB239_1168
; %bb.1167:
	global_store_byte v[0:1], v2, off
.LBB239_1168:
	s_mov_b64 s[58:59], -1
.LBB239_1169:
	s_andn2_b64 vcc, exec, s[58:59]
	s_cbranch_vccnz .LBB239_1181
; %bb.1170:
	v_add_u32_e32 v10, 0x80, v10
	s_mov_b64 s[60:61], -1
.LBB239_1171:
	s_andn2_b64 s[58:59], s[48:49], exec
	s_and_b64 s[0:1], s[0:1], exec
	s_or_b64 s[58:59], s[58:59], s[0:1]
	s_andn2_b64 s[0:1], s[46:47], exec
	s_and_b64 s[56:57], s[56:57], exec
	s_or_b64 s[56:57], s[0:1], s[56:57]
	s_andn2_b64 s[0:1], s[44:45], exec
	s_and_b64 s[54:55], s[54:55], exec
	s_or_b64 s[0:1], s[0:1], s[54:55]
	s_orn2_b64 s[64:65], s[60:61], exec
.LBB239_1172:
	s_or_b64 exec, exec, s[52:53]
	s_mov_b64 s[60:61], 0
	s_mov_b64 s[54:55], 0
	;; [unrolled: 1-line block ×3, first 2 shown]
                                        ; implicit-def: $sgpr73
                                        ; implicit-def: $vgpr4_vgpr5
                                        ; implicit-def: $vgpr0
                                        ; implicit-def: $vgpr3
                                        ; implicit-def: $vgpr1
	s_and_saveexec_b64 s[52:53], s[64:65]
	s_cbranch_execz .LBB239_1263
; %bb.1173:
	v_cmp_gt_i32_e32 vcc, s66, v10
	s_mov_b64 s[64:65], s[0:1]
	s_mov_b64 s[66:67], 0
                                        ; implicit-def: $sgpr73
                                        ; implicit-def: $vgpr4_vgpr5
                                        ; implicit-def: $vgpr0
                                        ; implicit-def: $vgpr3
                                        ; implicit-def: $vgpr1
	s_and_saveexec_b64 s[54:55], vcc
	s_cbranch_execz .LBB239_1262
; %bb.1174:
	s_andn2_b64 vcc, exec, s[20:21]
	s_cbranch_vccnz .LBB239_1180
; %bb.1175:
	s_andn2_b64 vcc, exec, s[34:35]
	s_cbranch_vccnz .LBB239_1182
; %bb.1176:
	s_add_i32 s34, s72, 1
	s_and_b32 s60, s34, 30
	s_add_u32 s34, s2, 0xffffffe8
	s_addc_u32 s35, s3, -1
	v_mov_b32_e32 v3, 0
	s_waitcnt vmcnt(0)
	v_mov_b32_e32 v5, 0
	v_mov_b32_e32 v0, 0
	;; [unrolled: 1-line block ×3, first 2 shown]
.LBB239_1177:                           ; =>This Inner Loop Header: Depth=1
	s_load_dwordx4 s[64:67], s[34:35], 0x1c
	s_load_dwordx2 s[62:63], s[34:35], 0x2c
	s_load_dwordx2 s[74:75], s[34:35], 0xec
	s_load_dwordx4 s[76:79], s[34:35], 0xdc
	s_add_u32 s34, s34, 24
	s_waitcnt lgkmcnt(0)
	v_mul_hi_u32 v2, s65, v1
	s_addc_u32 s35, s35, 0
	s_add_i32 s60, s60, -2
	s_cmp_eq_u32 s60, 0
	v_add_u32_e32 v2, v1, v2
	v_lshrrev_b32_e32 v2, s66, v2
	v_mul_lo_u32 v4, v2, s64
	v_mul_hi_u32 v6, s62, v2
	v_sub_u32_e32 v4, v1, v4
	v_add_u32_e32 v1, v2, v6
	v_lshrrev_b32_e32 v1, s63, v1
	v_mul_lo_u32 v8, v1, s67
	v_mul_lo_u32 v6, v4, s76
	;; [unrolled: 1-line block ×4, first 2 shown]
	v_sub_u32_e32 v2, v2, v8
	v_mul_lo_u32 v8, v2, s79
	v_mul_lo_u32 v9, v2, s74
	;; [unrolled: 1-line block ×3, first 2 shown]
	v_add3_u32 v0, v6, v0, v8
	v_add3_u32 v5, v7, v5, v9
	;; [unrolled: 1-line block ×3, first 2 shown]
	s_cbranch_scc0 .LBB239_1177
; %bb.1178:
	s_bitcmp1_b32 s72, 0
	s_cselect_b64 s[60:61], -1, 0
	s_and_b64 vcc, exec, s[60:61]
	s_cbranch_vccnz .LBB239_1183
; %bb.1179:
	s_load_dwordx2 s[60:61], s[34:35], 0x1c
	s_load_dword s64, s[34:35], 0x24
	s_load_dwordx2 s[62:63], s[34:35], 0xdc
	s_waitcnt lgkmcnt(0)
	v_mul_hi_u32 v2, s61, v1
	v_add_u32_e32 v2, v1, v2
	v_lshrrev_b32_e32 v2, s64, v2
	v_mul_lo_u32 v2, v2, s60
	s_load_dword s60, s[34:35], 0xe4
	v_sub_u32_e32 v2, v1, v2
	v_mad_u64_u32 v[0:1], s[34:35], v2, s62, v[0:1]
	v_mad_u64_u32 v[5:6], s[34:35], v2, s63, v[5:6]
	s_waitcnt lgkmcnt(0)
	v_mad_u64_u32 v[3:4], s[34:35], v2, s60, v[3:4]
	s_branch .LBB239_1183
.LBB239_1180:
	s_mov_b64 s[34:35], -1
                                        ; implicit-def: $vgpr0
                                        ; implicit-def: $vgpr5
                                        ; implicit-def: $vgpr3
	s_branch .LBB239_1184
.LBB239_1181:
	s_mov_b64 s[60:61], 0
	s_branch .LBB239_928
.LBB239_1182:
	v_mov_b32_e32 v0, 0
	s_waitcnt vmcnt(0)
	v_mov_b32_e32 v5, 0
	v_mov_b32_e32 v3, 0
.LBB239_1183:
	s_mov_b64 s[34:35], 0
.LBB239_1184:
	s_andn2_b64 vcc, exec, s[34:35]
	s_cbranch_vccnz .LBB239_1187
; %bb.1185:
	s_waitcnt lgkmcnt(0)
	v_mul_hi_u32 v0, s17, v10
	s_andn2_b64 vcc, exec, s[30:31]
	v_add_u32_e32 v0, v10, v0
	s_waitcnt vmcnt(0)
	v_lshrrev_b32_e32 v1, s18, v0
	v_mul_lo_u32 v0, v1, s16
	v_sub_u32_e32 v2, v10, v0
	v_mul_lo_u32 v0, v2, s12
	v_mul_lo_u32 v5, v2, s13
	;; [unrolled: 1-line block ×3, first 2 shown]
	s_cbranch_vccnz .LBB239_1187
; %bb.1186:
	v_mul_hi_u32 v2, s28, v1
	v_add_u32_e32 v2, v1, v2
	v_lshrrev_b32_e32 v2, s29, v2
	v_mul_lo_u32 v2, v2, s19
	v_sub_u32_e32 v2, v1, v2
	v_mad_u64_u32 v[0:1], s[12:13], v2, s15, v[0:1]
	v_mad_u64_u32 v[5:6], s[12:13], v2, s26, v[5:6]
	;; [unrolled: 1-line block ×3, first 2 shown]
.LBB239_1187:
	s_waitcnt vmcnt(0) lgkmcnt(0)
	v_mov_b32_e32 v1, s11
	s_and_b32 s73, s71, 0xff
	v_add_co_u32_e32 v4, vcc, s10, v5
	s_cmp_lt_i32 s73, 11
	v_addc_co_u32_e32 v5, vcc, 0, v1, vcc
	s_cbranch_scc1 .LBB239_1194
; %bb.1188:
	s_and_b32 s18, 0xffff, s73
	s_cmp_gt_i32 s18, 25
	s_mov_b64 s[12:13], 0
	s_cbranch_scc0 .LBB239_1195
; %bb.1189:
	s_cmp_gt_i32 s18, 28
	s_cbranch_scc0 .LBB239_1196
; %bb.1190:
	s_cmp_gt_i32 s18, 43
	;; [unrolled: 3-line block ×3, first 2 shown]
	s_cbranch_scc0 .LBB239_1198
; %bb.1192:
	s_cmp_eq_u32 s18, 46
	s_mov_b64 s[16:17], 0
	s_cbranch_scc0 .LBB239_1201
; %bb.1193:
	global_load_dword v1, v[4:5], off
	s_mov_b64 s[10:11], 0
	s_mov_b64 s[14:15], -1
	s_waitcnt vmcnt(0)
	v_lshlrev_b32_e32 v1, 16, v1
	v_cvt_i32_f32_e32 v1, v1
	s_branch .LBB239_1202
.LBB239_1194:
	s_mov_b64 s[16:17], -1
	s_mov_b64 s[14:15], 0
	s_mov_b64 s[12:13], 0
	;; [unrolled: 1-line block ×3, first 2 shown]
                                        ; implicit-def: $vgpr1
	s_branch .LBB239_1261
.LBB239_1195:
	s_mov_b64 s[16:17], -1
	s_mov_b64 s[14:15], 0
	s_mov_b64 s[10:11], s[0:1]
                                        ; implicit-def: $vgpr1
	s_branch .LBB239_1229
.LBB239_1196:
	s_mov_b64 s[16:17], -1
	s_mov_b64 s[14:15], 0
	s_mov_b64 s[10:11], s[0:1]
                                        ; implicit-def: $vgpr1
	s_branch .LBB239_1212
.LBB239_1197:
	s_mov_b64 s[16:17], -1
	s_mov_b64 s[14:15], 0
	s_mov_b64 s[10:11], s[0:1]
                                        ; implicit-def: $vgpr1
	s_branch .LBB239_1207
.LBB239_1198:
	s_mov_b64 s[16:17], -1
	s_mov_b64 s[14:15], 0
	s_mov_b64 s[10:11], s[0:1]
                                        ; implicit-def: $vgpr1
	s_branch .LBB239_1202
.LBB239_1199:
	s_andn2_saveexec_b64 s[62:63], s[62:63]
	s_cbranch_execz .LBB239_1082
.LBB239_1200:
	s_mov_b32 s67, 0x46000000
	v_add_f32_e64 v4, |v3|, s67
	v_and_b32_e32 v4, 0xff, v4
	v_cmp_ne_u32_e32 vcc, 0, v4
	s_andn2_b64 s[60:61], s[60:61], exec
	s_and_b64 s[74:75], vcc, exec
	s_or_b64 s[60:61], s[60:61], s[74:75]
	s_or_b64 exec, exec, s[62:63]
	v_mov_b32_e32 v5, 0
	s_and_saveexec_b64 s[62:63], s[60:61]
	s_cbranch_execnz .LBB239_1083
	s_branch .LBB239_1084
.LBB239_1201:
	s_mov_b64 s[10:11], -1
                                        ; implicit-def: $vgpr1
	s_mov_b64 s[14:15], 0
.LBB239_1202:
	s_and_b64 vcc, exec, s[16:17]
	s_cbranch_vccz .LBB239_1206
; %bb.1203:
	s_cmp_eq_u32 s18, 44
	s_cbranch_scc0 .LBB239_1205
; %bb.1204:
	global_load_ubyte v1, v[4:5], off
	s_mov_b64 s[10:11], 0
	s_mov_b64 s[14:15], -1
	s_waitcnt vmcnt(0)
	v_lshlrev_b32_e32 v2, 23, v1
	v_cvt_i32_f32_e32 v2, v2
	v_cmp_ne_u32_e32 vcc, 0, v1
	v_cndmask_b32_e32 v1, 0, v2, vcc
	s_branch .LBB239_1206
.LBB239_1205:
	s_mov_b64 s[10:11], -1
                                        ; implicit-def: $vgpr1
.LBB239_1206:
	s_mov_b64 s[16:17], 0
.LBB239_1207:
	s_and_b64 vcc, exec, s[16:17]
	s_cbranch_vccz .LBB239_1211
; %bb.1208:
	s_cmp_eq_u32 s18, 29
	s_cbranch_scc0 .LBB239_1210
; %bb.1209:
	global_load_dwordx2 v[1:2], v[4:5], off
	s_mov_b64 s[10:11], 0
	s_mov_b64 s[14:15], -1
	s_branch .LBB239_1211
.LBB239_1210:
	s_mov_b64 s[10:11], -1
                                        ; implicit-def: $vgpr1
.LBB239_1211:
	s_mov_b64 s[16:17], 0
.LBB239_1212:
	s_and_b64 vcc, exec, s[16:17]
	s_cbranch_vccz .LBB239_1228
; %bb.1213:
	s_cmp_lt_i32 s18, 27
	s_cbranch_scc1 .LBB239_1216
; %bb.1214:
	s_cmp_gt_i32 s18, 27
	s_cbranch_scc0 .LBB239_1217
; %bb.1215:
	global_load_dword v1, v[4:5], off
	s_mov_b64 s[14:15], 0
	s_branch .LBB239_1218
.LBB239_1216:
	s_mov_b64 s[14:15], -1
                                        ; implicit-def: $vgpr1
	s_branch .LBB239_1221
.LBB239_1217:
	s_mov_b64 s[14:15], -1
                                        ; implicit-def: $vgpr1
.LBB239_1218:
	s_andn2_b64 vcc, exec, s[14:15]
	s_cbranch_vccnz .LBB239_1220
; %bb.1219:
	global_load_ushort v1, v[4:5], off
.LBB239_1220:
	s_mov_b64 s[14:15], 0
.LBB239_1221:
	s_andn2_b64 vcc, exec, s[14:15]
	s_cbranch_vccnz .LBB239_1227
; %bb.1222:
	global_load_ubyte v2, v[4:5], off
	s_movk_i32 s14, 0x7f
	s_mov_b64 s[16:17], 0
	s_waitcnt vmcnt(0)
	v_cmp_lt_i16_e32 vcc, s14, v2
	s_and_saveexec_b64 s[14:15], vcc
	s_xor_b64 s[14:15], exec, s[14:15]
	s_cbranch_execz .LBB239_1239
; %bb.1223:
	s_movk_i32 s16, 0x80
	v_cmp_ne_u16_e32 vcc, s16, v2
	s_and_b64 s[16:17], vcc, exec
	s_andn2_saveexec_b64 s[14:15], s[14:15]
	s_cbranch_execnz .LBB239_1240
.LBB239_1224:
	s_or_b64 exec, exec, s[14:15]
	v_mov_b32_e32 v1, 0
	s_and_saveexec_b64 s[14:15], s[16:17]
	s_cbranch_execz .LBB239_1226
.LBB239_1225:
	v_lshlrev_b32_e32 v1, 24, v2
	v_and_b32_e32 v2, 0xffff, v2
	v_and_b32_e32 v6, 7, v2
	v_ffbh_u32_e32 v8, v6
	v_min_u32_e32 v8, 32, v8
	v_subrev_u32_e32 v9, 28, v8
	v_bfe_u32 v7, v2, 3, 4
	v_lshlrev_b32_e32 v2, v9, v2
	v_sub_u32_e32 v8, 29, v8
	v_and_b32_e32 v2, 7, v2
	v_cmp_eq_u32_e32 vcc, 0, v7
	v_cndmask_b32_e32 v7, v7, v8, vcc
	v_cndmask_b32_e32 v2, v6, v2, vcc
	v_mov_b32_e32 v6, 0x3b800000
	v_lshlrev_b32_e32 v2, 20, v2
	v_and_b32_e32 v1, 0x80000000, v1
	v_lshl_add_u32 v6, v7, 23, v6
	v_or3_b32 v1, v1, v6, v2
	v_cvt_i32_f32_e32 v1, v1
.LBB239_1226:
	s_or_b64 exec, exec, s[14:15]
.LBB239_1227:
	s_mov_b64 s[14:15], -1
.LBB239_1228:
	s_mov_b64 s[16:17], 0
.LBB239_1229:
	s_and_b64 vcc, exec, s[16:17]
	s_cbranch_vccz .LBB239_1260
; %bb.1230:
	s_cmp_gt_i32 s18, 22
	s_cbranch_scc0 .LBB239_1238
; %bb.1231:
	s_cmp_lt_i32 s18, 24
	s_cbranch_scc1 .LBB239_1241
; %bb.1232:
	s_cmp_gt_i32 s18, 24
	s_cbranch_scc0 .LBB239_1242
; %bb.1233:
	global_load_ubyte v2, v[4:5], off
	s_movk_i32 s12, 0x7f
	s_mov_b64 s[14:15], 0
	s_waitcnt vmcnt(0)
	v_cmp_lt_i16_e32 vcc, s12, v2
	s_and_saveexec_b64 s[12:13], vcc
	s_xor_b64 s[12:13], exec, s[12:13]
	s_cbranch_execz .LBB239_1254
; %bb.1234:
	s_movk_i32 s14, 0x80
	v_cmp_ne_u16_e32 vcc, s14, v2
	s_and_b64 s[14:15], vcc, exec
	s_andn2_saveexec_b64 s[12:13], s[12:13]
	s_cbranch_execnz .LBB239_1255
.LBB239_1235:
	s_or_b64 exec, exec, s[12:13]
	v_mov_b32_e32 v1, 0
	s_and_saveexec_b64 s[12:13], s[14:15]
	s_cbranch_execz .LBB239_1237
.LBB239_1236:
	v_lshlrev_b32_e32 v1, 24, v2
	v_and_b32_e32 v2, 0xffff, v2
	v_and_b32_e32 v6, 3, v2
	v_ffbh_u32_e32 v8, v6
	v_min_u32_e32 v8, 32, v8
	v_subrev_u32_e32 v9, 29, v8
	v_bfe_u32 v7, v2, 2, 5
	v_lshlrev_b32_e32 v2, v9, v2
	v_sub_u32_e32 v8, 30, v8
	v_and_b32_e32 v2, 3, v2
	v_cmp_eq_u32_e32 vcc, 0, v7
	v_cndmask_b32_e32 v7, v7, v8, vcc
	v_cndmask_b32_e32 v2, v6, v2, vcc
	v_mov_b32_e32 v6, 0x37800000
	v_lshlrev_b32_e32 v2, 21, v2
	v_and_b32_e32 v1, 0x80000000, v1
	v_lshl_add_u32 v6, v7, 23, v6
	v_or3_b32 v1, v1, v6, v2
	v_cvt_i32_f32_e32 v1, v1
.LBB239_1237:
	s_or_b64 exec, exec, s[12:13]
	s_mov_b64 s[12:13], 0
	s_branch .LBB239_1243
.LBB239_1238:
	s_mov_b64 s[12:13], -1
                                        ; implicit-def: $vgpr1
	s_branch .LBB239_1249
.LBB239_1239:
	s_andn2_saveexec_b64 s[14:15], s[14:15]
	s_cbranch_execz .LBB239_1224
.LBB239_1240:
	v_cmp_ne_u16_e32 vcc, 0, v2
	s_andn2_b64 s[16:17], s[16:17], exec
	s_and_b64 s[26:27], vcc, exec
	s_or_b64 s[16:17], s[16:17], s[26:27]
	s_or_b64 exec, exec, s[14:15]
	v_mov_b32_e32 v1, 0
	s_and_saveexec_b64 s[14:15], s[16:17]
	s_cbranch_execnz .LBB239_1225
	s_branch .LBB239_1226
.LBB239_1241:
	s_mov_b64 s[12:13], -1
                                        ; implicit-def: $vgpr1
	s_branch .LBB239_1246
.LBB239_1242:
	s_mov_b64 s[12:13], -1
                                        ; implicit-def: $vgpr1
.LBB239_1243:
	s_and_b64 vcc, exec, s[12:13]
	s_cbranch_vccz .LBB239_1245
; %bb.1244:
	global_load_ubyte v1, v[4:5], off
	s_mov_b32 s12, 0x7f800000
	s_waitcnt vmcnt(0)
	v_lshlrev_b32_e32 v1, 24, v1
	v_and_b32_e32 v2, 0x7f000000, v1
	v_ffbh_u32_e32 v6, v2
	v_min_u32_e32 v6, 32, v6
	v_sub_u32_e64 v6, v6, 4 clamp
	v_lshlrev_b32_e32 v8, v6, v2
	v_lshlrev_b32_e32 v6, 23, v6
	v_lshrrev_b32_e32 v8, 4, v8
	v_add_u32_e32 v7, 0x1000000, v2
	v_sub_u32_e32 v6, v8, v6
	v_ashrrev_i32_e32 v7, 8, v7
	v_add_u32_e32 v6, 0x3c000000, v6
	v_and_or_b32 v6, v7, s12, v6
	v_cmp_ne_u32_e32 vcc, 0, v2
	v_cndmask_b32_e32 v2, 0, v6, vcc
	s_brev_b32 s12, 1
	v_and_or_b32 v1, v1, s12, v2
	v_cvt_i32_f32_e32 v1, v1
.LBB239_1245:
	s_mov_b64 s[12:13], 0
.LBB239_1246:
	s_andn2_b64 vcc, exec, s[12:13]
	s_cbranch_vccnz .LBB239_1248
; %bb.1247:
	global_load_ubyte v1, v[4:5], off
	s_movk_i32 s12, 0x7f00
	s_brev_b32 s13, 16
	s_waitcnt vmcnt(0)
	v_lshlrev_b16_e32 v2, 8, v1
	v_lshlrev_b32_e32 v1, 25, v1
	v_lshrrev_b32_e32 v6, 4, v1
	v_and_or_b32 v7, v2, s12, 0.5
	v_or_b32_e32 v6, 0x70000000, v6
	v_add_f32_e32 v7, -0.5, v7
	v_mul_f32_e32 v6, 0x7800000, v6
	v_cmp_gt_u32_e32 vcc, s13, v1
	v_bfe_i32 v2, v2, 0, 16
	v_cndmask_b32_e32 v1, v6, v7, vcc
	s_brev_b32 s12, 1
	v_and_or_b32 v1, v2, s12, v1
	v_cvt_i32_f32_e32 v1, v1
.LBB239_1248:
	s_mov_b64 s[12:13], 0
	s_mov_b64 s[14:15], -1
.LBB239_1249:
	s_andn2_b64 vcc, exec, s[12:13]
	s_mov_b64 s[12:13], 0
	s_cbranch_vccnz .LBB239_1260
; %bb.1250:
	s_cmp_gt_i32 s18, 14
	s_cbranch_scc0 .LBB239_1253
; %bb.1251:
	s_cmp_eq_u32 s18, 15
	s_cbranch_scc0 .LBB239_1256
; %bb.1252:
	global_load_ushort v1, v[4:5], off
	s_mov_b64 s[10:11], 0
	s_mov_b64 s[14:15], -1
	s_waitcnt vmcnt(0)
	v_lshlrev_b32_e32 v1, 16, v1
	v_cvt_i32_f32_e32 v1, v1
	s_branch .LBB239_1257
.LBB239_1253:
	s_mov_b64 s[16:17], -1
                                        ; implicit-def: $vgpr1
	s_branch .LBB239_1258
.LBB239_1254:
	s_andn2_saveexec_b64 s[12:13], s[12:13]
	s_cbranch_execz .LBB239_1235
.LBB239_1255:
	v_cmp_ne_u16_e32 vcc, 0, v2
	s_andn2_b64 s[14:15], s[14:15], exec
	s_and_b64 s[16:17], vcc, exec
	s_or_b64 s[14:15], s[14:15], s[16:17]
	s_or_b64 exec, exec, s[12:13]
	v_mov_b32_e32 v1, 0
	s_and_saveexec_b64 s[12:13], s[14:15]
	s_cbranch_execnz .LBB239_1236
	s_branch .LBB239_1237
.LBB239_1256:
	s_mov_b64 s[10:11], -1
                                        ; implicit-def: $vgpr1
.LBB239_1257:
	s_mov_b64 s[16:17], 0
.LBB239_1258:
	s_and_b64 vcc, exec, s[16:17]
	s_cbranch_vccz .LBB239_1260
; %bb.1259:
	s_cmp_lg_u32 s18, 11
	s_cselect_b64 s[16:17], -1, 0
	s_andn2_b64 s[10:11], s[10:11], exec
	s_and_b64 s[16:17], s[16:17], exec
	s_mov_b64 s[12:13], -1
	s_or_b64 s[10:11], s[10:11], s[16:17]
.LBB239_1260:
	s_mov_b64 s[16:17], 0
.LBB239_1261:
	s_and_b64 s[60:61], s[12:13], exec
	s_andn2_b64 s[12:13], s[0:1], exec
	s_and_b64 s[10:11], s[10:11], exec
	s_and_b64 s[62:63], s[14:15], exec
	;; [unrolled: 1-line block ×3, first 2 shown]
	s_or_b64 s[64:65], s[12:13], s[10:11]
.LBB239_1262:
	s_or_b64 exec, exec, s[54:55]
	s_andn2_b64 s[0:1], s[0:1], exec
	s_waitcnt lgkmcnt(0)
	s_and_b64 s[10:11], s[64:65], exec
	s_and_b64 s[62:63], s[62:63], exec
	;; [unrolled: 1-line block ×4, first 2 shown]
	s_or_b64 s[0:1], s[0:1], s[10:11]
.LBB239_1263:
	s_or_b64 exec, exec, s[52:53]
	s_waitcnt lgkmcnt(0)
	s_andn2_b64 s[10:11], s[48:49], exec
	s_and_b64 s[12:13], s[58:59], exec
	s_or_b64 s[48:49], s[10:11], s[12:13]
	s_andn2_b64 s[10:11], s[46:47], exec
	s_and_b64 s[12:13], s[56:57], exec
	s_or_b64 s[46:47], s[10:11], s[12:13]
	s_andn2_b64 s[10:11], s[44:45], exec
	s_and_b64 s[0:1], s[0:1], exec
	s_and_b64 s[56:57], s[62:63], exec
	;; [unrolled: 1-line block ×4, first 2 shown]
	s_or_b64 s[44:45], s[10:11], s[0:1]
.LBB239_1264:
	s_or_b64 exec, exec, s[50:51]
	s_andn2_b64 s[0:1], s[36:37], exec
	s_waitcnt lgkmcnt(0)
	s_and_b64 s[10:11], s[48:49], exec
	s_or_b64 s[36:37], s[0:1], s[10:11]
	s_andn2_b64 s[0:1], s[38:39], exec
	s_and_b64 s[10:11], s[46:47], exec
	s_or_b64 s[38:39], s[0:1], s[10:11]
	s_andn2_b64 s[0:1], s[40:41], exec
	s_and_b64 s[10:11], s[44:45], exec
	s_and_b64 s[48:49], s[56:57], exec
	;; [unrolled: 1-line block ×4, first 2 shown]
	s_or_b64 s[40:41], s[0:1], s[10:11]
	s_or_b64 exec, exec, s[42:43]
	s_mov_b64 s[10:11], 0
	s_and_saveexec_b64 s[0:1], s[40:41]
	s_cbranch_execz .LBB239_395
.LBB239_1265:
	s_mov_b64 s[10:11], exec
	s_andn2_b64 s[46:47], s[46:47], exec
	s_trap 2
	s_or_b64 exec, exec, s[0:1]
	s_and_saveexec_b64 s[0:1], s[46:47]
	s_xor_b64 s[0:1], exec, s[0:1]
	s_cbranch_execnz .LBB239_396
.LBB239_1266:
	s_or_b64 exec, exec, s[0:1]
	s_and_saveexec_b64 s[0:1], s[50:51]
	s_cbranch_execz .LBB239_1312
.LBB239_1267:
	s_sext_i32_i16 s12, s73
	s_cmp_lt_i32 s12, 5
	s_cbranch_scc1 .LBB239_1272
; %bb.1268:
	s_cmp_lt_i32 s12, 8
	s_cbranch_scc1 .LBB239_1273
; %bb.1269:
	;; [unrolled: 3-line block ×3, first 2 shown]
	s_cmp_gt_i32 s12, 9
	s_cbranch_scc0 .LBB239_1275
; %bb.1271:
	s_waitcnt vmcnt(0)
	global_load_dwordx2 v[1:2], v[4:5], off
	s_mov_b64 s[12:13], 0
	s_waitcnt vmcnt(0)
	v_cvt_i32_f64_e32 v1, v[1:2]
	s_branch .LBB239_1276
.LBB239_1272:
                                        ; implicit-def: $vgpr1
	s_branch .LBB239_1293
.LBB239_1273:
                                        ; implicit-def: $vgpr1
	s_branch .LBB239_1282
.LBB239_1274:
	s_mov_b64 s[12:13], -1
                                        ; implicit-def: $vgpr1
	s_branch .LBB239_1279
.LBB239_1275:
	s_mov_b64 s[12:13], -1
                                        ; implicit-def: $vgpr1
.LBB239_1276:
	s_andn2_b64 vcc, exec, s[12:13]
	s_cbranch_vccnz .LBB239_1278
; %bb.1277:
	s_waitcnt vmcnt(0)
	global_load_dword v1, v[4:5], off
	s_waitcnt vmcnt(0)
	v_cvt_i32_f32_e32 v1, v1
.LBB239_1278:
	s_mov_b64 s[12:13], 0
.LBB239_1279:
	s_andn2_b64 vcc, exec, s[12:13]
	s_cbranch_vccnz .LBB239_1281
; %bb.1280:
	s_waitcnt vmcnt(0)
	global_load_dword v1, v[4:5], off
	s_waitcnt vmcnt(0)
	v_cvt_i16_f16_e32 v1, v1
.LBB239_1281:
	s_cbranch_execnz .LBB239_1292
.LBB239_1282:
	s_sext_i32_i16 s12, s73
	s_cmp_lt_i32 s12, 6
	s_cbranch_scc1 .LBB239_1285
; %bb.1283:
	s_cmp_gt_i32 s12, 6
	s_cbranch_scc0 .LBB239_1286
; %bb.1284:
	s_waitcnt vmcnt(0)
	global_load_dwordx2 v[1:2], v[4:5], off
	s_mov_b64 s[12:13], 0
	s_waitcnt vmcnt(0)
	v_cvt_i32_f64_e32 v1, v[1:2]
	s_branch .LBB239_1287
.LBB239_1285:
	s_mov_b64 s[12:13], -1
                                        ; implicit-def: $vgpr1
	s_branch .LBB239_1290
.LBB239_1286:
	s_mov_b64 s[12:13], -1
                                        ; implicit-def: $vgpr1
.LBB239_1287:
	s_andn2_b64 vcc, exec, s[12:13]
	s_cbranch_vccnz .LBB239_1289
; %bb.1288:
	s_waitcnt vmcnt(0)
	global_load_dword v1, v[4:5], off
	s_waitcnt vmcnt(0)
	v_cvt_i32_f32_e32 v1, v1
.LBB239_1289:
	s_mov_b64 s[12:13], 0
.LBB239_1290:
	s_andn2_b64 vcc, exec, s[12:13]
	s_cbranch_vccnz .LBB239_1292
; %bb.1291:
	s_waitcnt vmcnt(0)
	global_load_ushort v1, v[4:5], off
	s_waitcnt vmcnt(0)
	v_cvt_i16_f16_e32 v1, v1
.LBB239_1292:
	s_cbranch_execnz .LBB239_1311
.LBB239_1293:
	s_sext_i32_i16 s12, s73
	s_cmp_lt_i32 s12, 2
	s_cbranch_scc1 .LBB239_1297
; %bb.1294:
	s_cmp_lt_i32 s12, 3
	s_cbranch_scc1 .LBB239_1298
; %bb.1295:
	s_cmp_gt_i32 s12, 3
	s_cbranch_scc0 .LBB239_1299
; %bb.1296:
	s_waitcnt vmcnt(0)
	global_load_dwordx2 v[1:2], v[4:5], off
	s_mov_b64 s[12:13], 0
	s_branch .LBB239_1300
.LBB239_1297:
                                        ; implicit-def: $vgpr1
	s_branch .LBB239_1306
.LBB239_1298:
	s_mov_b64 s[12:13], -1
                                        ; implicit-def: $vgpr1
	s_branch .LBB239_1303
.LBB239_1299:
	s_mov_b64 s[12:13], -1
                                        ; implicit-def: $vgpr1
.LBB239_1300:
	s_andn2_b64 vcc, exec, s[12:13]
	s_cbranch_vccnz .LBB239_1302
; %bb.1301:
	s_waitcnt vmcnt(0)
	global_load_dword v1, v[4:5], off
.LBB239_1302:
	s_mov_b64 s[12:13], 0
.LBB239_1303:
	s_andn2_b64 vcc, exec, s[12:13]
	s_cbranch_vccnz .LBB239_1305
; %bb.1304:
	s_waitcnt vmcnt(0)
	global_load_ushort v1, v[4:5], off
.LBB239_1305:
	s_cbranch_execnz .LBB239_1311
.LBB239_1306:
	s_sext_i32_i16 s12, s73
	s_cmp_gt_i32 s12, 0
	s_cbranch_scc0 .LBB239_1308
; %bb.1307:
	s_waitcnt vmcnt(0)
	global_load_sbyte v1, v[4:5], off
	s_mov_b64 s[12:13], 0
	s_branch .LBB239_1309
.LBB239_1308:
	s_mov_b64 s[12:13], -1
                                        ; implicit-def: $vgpr1
.LBB239_1309:
	s_andn2_b64 vcc, exec, s[12:13]
	s_cbranch_vccnz .LBB239_1311
; %bb.1310:
	s_waitcnt vmcnt(0)
	global_load_ubyte v1, v[4:5], off
.LBB239_1311:
	s_or_b64 s[48:49], s[48:49], exec
.LBB239_1312:
	s_or_b64 exec, exec, s[0:1]
	s_mov_b64 s[16:17], 0
	s_mov_b64 s[18:19], 0
	;; [unrolled: 1-line block ×3, first 2 shown]
                                        ; implicit-def: $sgpr26
                                        ; implicit-def: $vgpr4_vgpr5
                                        ; implicit-def: $vgpr6
	s_and_saveexec_b64 s[0:1], s[48:49]
	s_cbranch_execz .LBB239_1320
; %bb.1313:
	s_waitcnt vmcnt(0)
	v_mov_b32_e32 v2, s25
	s_and_b32 s26, s70, 0xff
	v_add_co_u32_e32 v4, vcc, s24, v3
	s_cmp_lt_i32 s26, 11
	v_addc_co_u32_e32 v5, vcc, 0, v2, vcc
	s_cbranch_scc1 .LBB239_1323
; %bb.1314:
	s_and_b32 s24, 0xffff, s26
	s_cmp_gt_i32 s24, 25
	s_cbranch_scc0 .LBB239_1324
; %bb.1315:
	s_cmp_gt_i32 s24, 28
	s_cbranch_scc0 .LBB239_1325
; %bb.1316:
	;; [unrolled: 3-line block ×4, first 2 shown]
	s_cmp_eq_u32 s24, 46
	s_cbranch_scc0 .LBB239_1328
; %bb.1319:
	global_load_dword v2, v[4:5], off
	s_mov_b64 s[12:13], 0
	s_mov_b64 s[14:15], -1
	s_waitcnt vmcnt(0)
	v_lshlrev_b32_e32 v2, 16, v2
	v_cvt_i32_f32_e32 v6, v2
	s_branch .LBB239_1330
.LBB239_1320:
	s_or_b64 exec, exec, s[0:1]
	s_and_saveexec_b64 s[0:1], s[38:39]
	s_cbranch_execnz .LBB239_1389
.LBB239_1321:
	s_or_b64 exec, exec, s[0:1]
	s_and_saveexec_b64 s[0:1], s[16:17]
	s_xor_b64 s[0:1], exec, s[0:1]
	s_cbranch_execz .LBB239_1390
.LBB239_1322:
	s_waitcnt vmcnt(0)
	global_load_ubyte v2, v[4:5], off
	s_or_b64 s[14:15], s[14:15], exec
	s_waitcnt vmcnt(0)
	v_cmp_ne_u16_e32 vcc, 0, v2
	v_cndmask_b32_e64 v6, 0, 1, vcc
	s_or_b64 exec, exec, s[0:1]
	s_and_saveexec_b64 s[0:1], s[18:19]
	s_cbranch_execz .LBB239_1436
	s_branch .LBB239_1391
.LBB239_1323:
	s_mov_b64 s[18:19], -1
                                        ; implicit-def: $vgpr6
	s_mov_b64 s[12:13], s[38:39]
	s_branch .LBB239_1388
.LBB239_1324:
	s_mov_b64 s[12:13], s[38:39]
                                        ; implicit-def: $vgpr6
	s_cbranch_execnz .LBB239_1357
	s_branch .LBB239_1387
.LBB239_1325:
	s_mov_b64 s[18:19], -1
	s_mov_b64 s[12:13], s[38:39]
                                        ; implicit-def: $vgpr6
	s_branch .LBB239_1340
.LBB239_1326:
	s_mov_b64 s[18:19], -1
	s_mov_b64 s[12:13], s[38:39]
                                        ; implicit-def: $vgpr6
	s_branch .LBB239_1335
.LBB239_1327:
	s_mov_b64 s[18:19], -1
	s_mov_b64 s[12:13], s[38:39]
	s_branch .LBB239_1329
.LBB239_1328:
	s_mov_b64 s[12:13], -1
.LBB239_1329:
                                        ; implicit-def: $vgpr6
.LBB239_1330:
	s_and_b64 vcc, exec, s[18:19]
	s_cbranch_vccz .LBB239_1334
; %bb.1331:
	s_cmp_eq_u32 s24, 44
	s_cbranch_scc0 .LBB239_1333
; %bb.1332:
	global_load_ubyte v2, v[4:5], off
	s_mov_b64 s[12:13], 0
	s_mov_b64 s[14:15], -1
	s_waitcnt vmcnt(0)
	v_lshlrev_b32_e32 v3, 23, v2
	v_cvt_i32_f32_e32 v3, v3
	v_cmp_ne_u32_e32 vcc, 0, v2
	v_cndmask_b32_e32 v6, 0, v3, vcc
	s_branch .LBB239_1334
.LBB239_1333:
	s_mov_b64 s[12:13], -1
                                        ; implicit-def: $vgpr6
.LBB239_1334:
	s_mov_b64 s[18:19], 0
.LBB239_1335:
	s_and_b64 vcc, exec, s[18:19]
	s_cbranch_vccz .LBB239_1339
; %bb.1336:
	s_cmp_eq_u32 s24, 29
	s_cbranch_scc0 .LBB239_1338
; %bb.1337:
	global_load_dwordx2 v[6:7], v[4:5], off
	s_mov_b64 s[12:13], 0
	s_mov_b64 s[14:15], -1
	s_branch .LBB239_1339
.LBB239_1338:
	s_mov_b64 s[12:13], -1
                                        ; implicit-def: $vgpr6
.LBB239_1339:
	s_mov_b64 s[18:19], 0
.LBB239_1340:
	s_and_b64 vcc, exec, s[18:19]
	s_cbranch_vccz .LBB239_1356
; %bb.1341:
	s_cmp_lt_i32 s24, 27
	s_cbranch_scc1 .LBB239_1344
; %bb.1342:
	s_cmp_gt_i32 s24, 27
	s_cbranch_scc0 .LBB239_1345
; %bb.1343:
	global_load_dword v6, v[4:5], off
	s_mov_b64 s[14:15], 0
	s_branch .LBB239_1346
.LBB239_1344:
	s_mov_b64 s[14:15], -1
                                        ; implicit-def: $vgpr6
	s_branch .LBB239_1349
.LBB239_1345:
	s_mov_b64 s[14:15], -1
                                        ; implicit-def: $vgpr6
.LBB239_1346:
	s_andn2_b64 vcc, exec, s[14:15]
	s_cbranch_vccnz .LBB239_1348
; %bb.1347:
	global_load_ushort v6, v[4:5], off
.LBB239_1348:
	s_mov_b64 s[14:15], 0
.LBB239_1349:
	s_andn2_b64 vcc, exec, s[14:15]
	s_cbranch_vccnz .LBB239_1355
; %bb.1350:
	global_load_ubyte v2, v[4:5], off
	s_movk_i32 s14, 0x7f
	s_mov_b64 s[18:19], 0
	s_waitcnt vmcnt(0)
	v_cmp_lt_i16_e32 vcc, s14, v2
	s_and_saveexec_b64 s[14:15], vcc
	s_xor_b64 s[14:15], exec, s[14:15]
	s_cbranch_execz .LBB239_1366
; %bb.1351:
	s_movk_i32 s18, 0x80
	v_cmp_ne_u16_e32 vcc, s18, v2
	s_and_b64 s[18:19], vcc, exec
	s_andn2_saveexec_b64 s[14:15], s[14:15]
	s_cbranch_execnz .LBB239_1367
.LBB239_1352:
	s_or_b64 exec, exec, s[14:15]
	v_mov_b32_e32 v6, 0
	s_and_saveexec_b64 s[14:15], s[18:19]
	s_cbranch_execz .LBB239_1354
.LBB239_1353:
	v_lshlrev_b32_e32 v3, 24, v2
	v_and_b32_e32 v2, 0xffff, v2
	v_and_b32_e32 v6, 7, v2
	v_ffbh_u32_e32 v8, v6
	v_min_u32_e32 v8, 32, v8
	v_subrev_u32_e32 v9, 28, v8
	v_bfe_u32 v7, v2, 3, 4
	v_lshlrev_b32_e32 v2, v9, v2
	v_sub_u32_e32 v8, 29, v8
	v_and_b32_e32 v2, 7, v2
	v_cmp_eq_u32_e32 vcc, 0, v7
	v_cndmask_b32_e32 v7, v7, v8, vcc
	v_cndmask_b32_e32 v2, v6, v2, vcc
	v_mov_b32_e32 v6, 0x3b800000
	v_lshlrev_b32_e32 v2, 20, v2
	v_and_b32_e32 v3, 0x80000000, v3
	v_lshl_add_u32 v6, v7, 23, v6
	v_or3_b32 v2, v3, v6, v2
	v_cvt_i32_f32_e32 v6, v2
.LBB239_1354:
	s_or_b64 exec, exec, s[14:15]
.LBB239_1355:
	s_mov_b64 s[14:15], -1
.LBB239_1356:
	s_branch .LBB239_1387
.LBB239_1357:
	s_cmp_gt_i32 s24, 22
	s_cbranch_scc0 .LBB239_1365
; %bb.1358:
	s_cmp_lt_i32 s24, 24
	s_cbranch_scc1 .LBB239_1368
; %bb.1359:
	s_cmp_gt_i32 s24, 24
	s_cbranch_scc0 .LBB239_1369
; %bb.1360:
	global_load_ubyte v2, v[4:5], off
	s_movk_i32 s14, 0x7f
	s_waitcnt vmcnt(0)
	v_cmp_lt_i16_e32 vcc, s14, v2
	s_and_saveexec_b64 s[14:15], vcc
	s_xor_b64 s[14:15], exec, s[14:15]
	s_cbranch_execz .LBB239_1381
; %bb.1361:
	s_movk_i32 s16, 0x80
	v_cmp_ne_u16_e32 vcc, s16, v2
	s_and_b64 s[16:17], vcc, exec
	s_andn2_saveexec_b64 s[14:15], s[14:15]
	s_cbranch_execnz .LBB239_1382
.LBB239_1362:
	s_or_b64 exec, exec, s[14:15]
	v_mov_b32_e32 v6, 0
	s_and_saveexec_b64 s[14:15], s[16:17]
	s_cbranch_execz .LBB239_1364
.LBB239_1363:
	v_lshlrev_b32_e32 v3, 24, v2
	v_and_b32_e32 v2, 0xffff, v2
	v_and_b32_e32 v6, 3, v2
	v_ffbh_u32_e32 v8, v6
	v_min_u32_e32 v8, 32, v8
	v_subrev_u32_e32 v9, 29, v8
	v_bfe_u32 v7, v2, 2, 5
	v_lshlrev_b32_e32 v2, v9, v2
	v_sub_u32_e32 v8, 30, v8
	v_and_b32_e32 v2, 3, v2
	v_cmp_eq_u32_e32 vcc, 0, v7
	v_cndmask_b32_e32 v7, v7, v8, vcc
	v_cndmask_b32_e32 v2, v6, v2, vcc
	v_mov_b32_e32 v6, 0x37800000
	v_lshlrev_b32_e32 v2, 21, v2
	v_and_b32_e32 v3, 0x80000000, v3
	v_lshl_add_u32 v6, v7, 23, v6
	v_or3_b32 v2, v3, v6, v2
	v_cvt_i32_f32_e32 v6, v2
.LBB239_1364:
	s_or_b64 exec, exec, s[14:15]
	s_mov_b64 s[14:15], 0
	s_branch .LBB239_1370
.LBB239_1365:
	s_mov_b64 s[16:17], -1
                                        ; implicit-def: $vgpr6
	s_branch .LBB239_1376
.LBB239_1366:
	s_andn2_saveexec_b64 s[14:15], s[14:15]
	s_cbranch_execz .LBB239_1352
.LBB239_1367:
	v_cmp_ne_u16_e32 vcc, 0, v2
	s_andn2_b64 s[18:19], s[18:19], exec
	s_and_b64 s[28:29], vcc, exec
	s_or_b64 s[18:19], s[18:19], s[28:29]
	s_or_b64 exec, exec, s[14:15]
	v_mov_b32_e32 v6, 0
	s_and_saveexec_b64 s[14:15], s[18:19]
	s_cbranch_execnz .LBB239_1353
	s_branch .LBB239_1354
.LBB239_1368:
	s_mov_b64 s[14:15], -1
                                        ; implicit-def: $vgpr6
	s_branch .LBB239_1373
.LBB239_1369:
	s_mov_b64 s[14:15], -1
                                        ; implicit-def: $vgpr6
.LBB239_1370:
	s_and_b64 vcc, exec, s[14:15]
	s_cbranch_vccz .LBB239_1372
; %bb.1371:
	global_load_ubyte v2, v[4:5], off
	s_mov_b32 s14, 0x7f800000
	s_waitcnt vmcnt(0)
	v_lshlrev_b32_e32 v2, 24, v2
	v_and_b32_e32 v3, 0x7f000000, v2
	v_ffbh_u32_e32 v6, v3
	v_min_u32_e32 v6, 32, v6
	v_sub_u32_e64 v6, v6, 4 clamp
	v_lshlrev_b32_e32 v8, v6, v3
	v_lshlrev_b32_e32 v6, 23, v6
	v_lshrrev_b32_e32 v8, 4, v8
	v_add_u32_e32 v7, 0x1000000, v3
	v_sub_u32_e32 v6, v8, v6
	v_ashrrev_i32_e32 v7, 8, v7
	v_add_u32_e32 v6, 0x3c000000, v6
	v_and_or_b32 v6, v7, s14, v6
	v_cmp_ne_u32_e32 vcc, 0, v3
	v_cndmask_b32_e32 v3, 0, v6, vcc
	s_brev_b32 s14, 1
	v_and_or_b32 v2, v2, s14, v3
	v_cvt_i32_f32_e32 v6, v2
.LBB239_1372:
	s_mov_b64 s[14:15], 0
.LBB239_1373:
	s_andn2_b64 vcc, exec, s[14:15]
	s_cbranch_vccnz .LBB239_1375
; %bb.1374:
	global_load_ubyte v2, v[4:5], off
	s_movk_i32 s14, 0x7f00
	s_brev_b32 s15, 16
	s_waitcnt vmcnt(0)
	v_lshlrev_b16_e32 v3, 8, v2
	v_lshlrev_b32_e32 v2, 25, v2
	v_lshrrev_b32_e32 v6, 4, v2
	v_and_or_b32 v7, v3, s14, 0.5
	v_or_b32_e32 v6, 0x70000000, v6
	v_add_f32_e32 v7, -0.5, v7
	v_mul_f32_e32 v6, 0x7800000, v6
	v_cmp_gt_u32_e32 vcc, s15, v2
	v_bfe_i32 v3, v3, 0, 16
	v_cndmask_b32_e32 v2, v6, v7, vcc
	s_brev_b32 s14, 1
	v_and_or_b32 v2, v3, s14, v2
	v_cvt_i32_f32_e32 v6, v2
.LBB239_1375:
	s_mov_b64 s[16:17], 0
	s_mov_b64 s[14:15], -1
.LBB239_1376:
	s_andn2_b64 vcc, exec, s[16:17]
	s_mov_b64 s[16:17], 0
	s_cbranch_vccnz .LBB239_1387
; %bb.1377:
	s_cmp_gt_i32 s24, 14
	s_cbranch_scc0 .LBB239_1380
; %bb.1378:
	s_cmp_eq_u32 s24, 15
	s_cbranch_scc0 .LBB239_1383
; %bb.1379:
	global_load_ushort v2, v[4:5], off
	s_mov_b64 s[12:13], 0
	s_mov_b64 s[14:15], -1
	s_waitcnt vmcnt(0)
	v_lshlrev_b32_e32 v2, 16, v2
	v_cvt_i32_f32_e32 v6, v2
	s_branch .LBB239_1384
.LBB239_1380:
	s_mov_b64 s[18:19], -1
                                        ; implicit-def: $vgpr6
	s_branch .LBB239_1385
.LBB239_1381:
	s_andn2_saveexec_b64 s[14:15], s[14:15]
	s_cbranch_execz .LBB239_1362
.LBB239_1382:
	v_cmp_ne_u16_e32 vcc, 0, v2
	s_andn2_b64 s[16:17], s[16:17], exec
	s_and_b64 s[18:19], vcc, exec
	s_or_b64 s[16:17], s[16:17], s[18:19]
	s_or_b64 exec, exec, s[14:15]
	v_mov_b32_e32 v6, 0
	s_and_saveexec_b64 s[14:15], s[16:17]
	s_cbranch_execnz .LBB239_1363
	s_branch .LBB239_1364
.LBB239_1383:
	s_mov_b64 s[12:13], -1
                                        ; implicit-def: $vgpr6
.LBB239_1384:
	s_mov_b64 s[18:19], 0
.LBB239_1385:
	s_and_b64 vcc, exec, s[18:19]
	s_cbranch_vccz .LBB239_1387
; %bb.1386:
	s_cmp_lg_u32 s24, 11
	s_cselect_b64 s[18:19], -1, 0
	s_andn2_b64 s[12:13], s[12:13], exec
	s_and_b64 s[18:19], s[18:19], exec
	s_mov_b64 s[16:17], -1
	s_or_b64 s[12:13], s[12:13], s[18:19]
.LBB239_1387:
	s_mov_b64 s[18:19], 0
.LBB239_1388:
	s_andn2_b64 s[24:25], s[38:39], exec
	s_and_b64 s[12:13], s[12:13], exec
	s_and_b64 s[14:15], s[14:15], exec
	;; [unrolled: 1-line block ×4, first 2 shown]
	s_or_b64 s[38:39], s[24:25], s[12:13]
	s_or_b64 exec, exec, s[0:1]
	s_and_saveexec_b64 s[0:1], s[38:39]
	s_cbranch_execz .LBB239_1321
.LBB239_1389:
	s_or_b64 s[10:11], s[10:11], exec
	s_andn2_b64 s[16:17], s[16:17], exec
	s_trap 2
	s_or_b64 exec, exec, s[0:1]
	s_and_saveexec_b64 s[0:1], s[16:17]
	s_xor_b64 s[0:1], exec, s[0:1]
	s_cbranch_execnz .LBB239_1322
.LBB239_1390:
	s_or_b64 exec, exec, s[0:1]
	s_and_saveexec_b64 s[0:1], s[18:19]
	s_cbranch_execz .LBB239_1436
.LBB239_1391:
	s_sext_i32_i16 s12, s26
	s_cmp_lt_i32 s12, 5
	s_cbranch_scc1 .LBB239_1396
; %bb.1392:
	s_cmp_lt_i32 s12, 8
	s_cbranch_scc1 .LBB239_1397
; %bb.1393:
	s_cmp_lt_i32 s12, 9
	s_cbranch_scc1 .LBB239_1398
; %bb.1394:
	s_cmp_gt_i32 s12, 9
	s_cbranch_scc0 .LBB239_1399
; %bb.1395:
	s_waitcnt vmcnt(0)
	global_load_dwordx2 v[2:3], v[4:5], off
	s_mov_b64 s[12:13], 0
	s_waitcnt vmcnt(0)
	v_cvt_i32_f64_e32 v6, v[2:3]
	s_branch .LBB239_1400
.LBB239_1396:
                                        ; implicit-def: $vgpr6
	s_branch .LBB239_1417
.LBB239_1397:
                                        ; implicit-def: $vgpr6
	s_branch .LBB239_1406
.LBB239_1398:
	s_mov_b64 s[12:13], -1
                                        ; implicit-def: $vgpr6
	s_branch .LBB239_1403
.LBB239_1399:
	s_mov_b64 s[12:13], -1
                                        ; implicit-def: $vgpr6
.LBB239_1400:
	s_andn2_b64 vcc, exec, s[12:13]
	s_cbranch_vccnz .LBB239_1402
; %bb.1401:
	s_waitcnt vmcnt(0)
	global_load_dword v2, v[4:5], off
	s_waitcnt vmcnt(0)
	v_cvt_i32_f32_e32 v6, v2
.LBB239_1402:
	s_mov_b64 s[12:13], 0
.LBB239_1403:
	s_andn2_b64 vcc, exec, s[12:13]
	s_cbranch_vccnz .LBB239_1405
; %bb.1404:
	s_waitcnt vmcnt(0)
	global_load_dword v2, v[4:5], off
	s_waitcnt vmcnt(0)
	v_cvt_i16_f16_e32 v6, v2
.LBB239_1405:
	s_cbranch_execnz .LBB239_1416
.LBB239_1406:
	s_sext_i32_i16 s12, s26
	s_cmp_lt_i32 s12, 6
	s_cbranch_scc1 .LBB239_1409
; %bb.1407:
	s_cmp_gt_i32 s12, 6
	s_cbranch_scc0 .LBB239_1410
; %bb.1408:
	s_waitcnt vmcnt(0)
	global_load_dwordx2 v[2:3], v[4:5], off
	s_mov_b64 s[12:13], 0
	s_waitcnt vmcnt(0)
	v_cvt_i32_f64_e32 v6, v[2:3]
	s_branch .LBB239_1411
.LBB239_1409:
	s_mov_b64 s[12:13], -1
                                        ; implicit-def: $vgpr6
	s_branch .LBB239_1414
.LBB239_1410:
	s_mov_b64 s[12:13], -1
                                        ; implicit-def: $vgpr6
.LBB239_1411:
	s_andn2_b64 vcc, exec, s[12:13]
	s_cbranch_vccnz .LBB239_1413
; %bb.1412:
	s_waitcnt vmcnt(0)
	global_load_dword v2, v[4:5], off
	s_waitcnt vmcnt(0)
	v_cvt_i32_f32_e32 v6, v2
.LBB239_1413:
	s_mov_b64 s[12:13], 0
.LBB239_1414:
	s_andn2_b64 vcc, exec, s[12:13]
	s_cbranch_vccnz .LBB239_1416
; %bb.1415:
	s_waitcnt vmcnt(0)
	global_load_ushort v2, v[4:5], off
	s_waitcnt vmcnt(0)
	v_cvt_i16_f16_e32 v6, v2
.LBB239_1416:
	s_cbranch_execnz .LBB239_1435
.LBB239_1417:
	s_sext_i32_i16 s12, s26
	s_cmp_lt_i32 s12, 2
	s_cbranch_scc1 .LBB239_1421
; %bb.1418:
	s_cmp_lt_i32 s12, 3
	s_cbranch_scc1 .LBB239_1422
; %bb.1419:
	s_cmp_gt_i32 s12, 3
	s_cbranch_scc0 .LBB239_1423
; %bb.1420:
	s_waitcnt vmcnt(0)
	global_load_dwordx2 v[6:7], v[4:5], off
	s_mov_b64 s[12:13], 0
	s_branch .LBB239_1424
.LBB239_1421:
                                        ; implicit-def: $vgpr6
	s_branch .LBB239_1430
.LBB239_1422:
	s_mov_b64 s[12:13], -1
                                        ; implicit-def: $vgpr6
	s_branch .LBB239_1427
.LBB239_1423:
	s_mov_b64 s[12:13], -1
                                        ; implicit-def: $vgpr6
.LBB239_1424:
	s_andn2_b64 vcc, exec, s[12:13]
	s_cbranch_vccnz .LBB239_1426
; %bb.1425:
	s_waitcnt vmcnt(0)
	global_load_dword v6, v[4:5], off
.LBB239_1426:
	s_mov_b64 s[12:13], 0
.LBB239_1427:
	s_andn2_b64 vcc, exec, s[12:13]
	s_cbranch_vccnz .LBB239_1429
; %bb.1428:
	s_waitcnt vmcnt(0)
	global_load_ushort v6, v[4:5], off
.LBB239_1429:
	s_cbranch_execnz .LBB239_1435
.LBB239_1430:
	s_sext_i32_i16 s12, s26
	s_cmp_gt_i32 s12, 0
	s_cbranch_scc0 .LBB239_1432
; %bb.1431:
	s_waitcnt vmcnt(0)
	global_load_sbyte v6, v[4:5], off
	s_mov_b64 s[12:13], 0
	s_branch .LBB239_1433
.LBB239_1432:
	s_mov_b64 s[12:13], -1
                                        ; implicit-def: $vgpr6
.LBB239_1433:
	s_andn2_b64 vcc, exec, s[12:13]
	s_cbranch_vccnz .LBB239_1435
; %bb.1434:
	s_waitcnt vmcnt(0)
	global_load_ubyte v6, v[4:5], off
.LBB239_1435:
	s_or_b64 s[14:15], s[14:15], exec
.LBB239_1436:
	s_or_b64 exec, exec, s[0:1]
	s_mov_b64 s[18:19], 0
	s_mov_b64 s[16:17], 0
                                        ; implicit-def: $sgpr24
                                        ; implicit-def: $vgpr2_vgpr3
                                        ; implicit-def: $vgpr4
	s_and_saveexec_b64 s[12:13], s[14:15]
	s_cbranch_execz .LBB239_1444
; %bb.1437:
	s_waitcnt vmcnt(0)
	v_ashrrev_i16_e32 v2, 15, v1
	v_ashrrev_i32_sdwa v1, v6, sext(v1) dst_sel:DWORD dst_unused:UNUSED_PAD src0_sel:WORD_0 src1_sel:WORD_0
	v_cmp_lt_u16_e32 vcc, 14, v6
	v_cndmask_b32_e32 v4, v1, v2, vcc
	v_mov_b32_e32 v1, s9
	s_and_b32 s24, s69, 0xff
	v_add_co_u32_e32 v2, vcc, s8, v0
	s_cmp_lt_i32 s24, 11
	v_addc_co_u32_e32 v3, vcc, 0, v1, vcc
	s_cbranch_scc1 .LBB239_1447
; %bb.1438:
	s_and_b32 s25, 0xffff, s24
	s_mov_b64 s[14:15], -1
	s_cmp_gt_i32 s25, 25
	s_mov_b64 s[0:1], s[36:37]
	s_cbranch_scc0 .LBB239_1475
; %bb.1439:
	s_mov_b64 s[8:9], -1
	s_cmp_gt_i32 s25, 28
	s_mov_b64 s[0:1], s[36:37]
	s_cbranch_scc0 .LBB239_1459
; %bb.1440:
	s_cmp_gt_i32 s25, 43
	s_mov_b64 s[0:1], s[36:37]
	s_cbranch_scc0 .LBB239_1455
; %bb.1441:
	;; [unrolled: 4-line block ×3, first 2 shown]
	s_cmp_eq_u32 s25, 46
	s_mov_b64 s[0:1], -1
	s_cbranch_scc0 .LBB239_1448
; %bb.1443:
	v_cvt_f32_i32_sdwa v0, sext(v4) dst_sel:DWORD dst_unused:UNUSED_PAD src0_sel:WORD_0
	s_movk_i32 s0, 0x7fff
	s_mov_b64 s[8:9], 0
	v_bfe_u32 v1, v0, 16, 1
	v_add3_u32 v0, v0, v1, s0
	v_lshrrev_b32_e32 v0, 16, v0
	global_store_dword v[2:3], v0, off
	s_mov_b64 s[0:1], 0
	s_branch .LBB239_1449
.LBB239_1444:
	s_or_b64 exec, exec, s[12:13]
	s_and_saveexec_b64 s[0:1], s[36:37]
	s_cbranch_execnz .LBB239_1517
.LBB239_1445:
	s_or_b64 exec, exec, s[0:1]
	s_and_saveexec_b64 s[0:1], s[18:19]
	s_xor_b64 s[0:1], exec, s[0:1]
	s_cbranch_execz .LBB239_1518
.LBB239_1446:
	s_waitcnt vmcnt(0)
	v_cmp_ne_u16_e32 vcc, 0, v4
	v_cndmask_b32_e64 v0, 0, 1, vcc
	global_store_byte v[2:3], v0, off
	s_or_b64 exec, exec, s[0:1]
	s_and_saveexec_b64 s[0:1], s[16:17]
	s_xor_b64 s[0:1], exec, s[0:1]
	s_cbranch_execz .LBB239_1556
	s_branch .LBB239_1519
.LBB239_1447:
	s_mov_b64 s[14:15], 0
	s_mov_b64 s[8:9], -1
	s_mov_b64 s[0:1], s[36:37]
	s_branch .LBB239_1516
.LBB239_1448:
	s_mov_b64 s[8:9], 0
.LBB239_1449:
	s_and_b64 vcc, exec, s[8:9]
	s_cbranch_vccz .LBB239_1454
; %bb.1450:
	s_cmp_eq_u32 s25, 44
	s_mov_b64 s[0:1], -1
	s_cbranch_scc0 .LBB239_1454
; %bb.1451:
	v_cvt_f32_i32_sdwa v0, sext(v4) dst_sel:DWORD dst_unused:UNUSED_PAD src0_sel:WORD_0
	s_movk_i32 s0, 0xff
	v_mov_b32_e32 v5, 0xff
	v_bfe_u32 v1, v0, 23, 8
	v_cmp_ne_u32_e32 vcc, s0, v1
	s_and_saveexec_b64 s[8:9], vcc
; %bb.1452:
	s_mov_b32 s0, 0x3fffff
	v_lshrrev_b32_e32 v5, 23, v0
	v_and_b32_e32 v6, 0x400000, v0
	v_and_or_b32 v0, v0, s0, v1
	v_cmp_ne_u32_e32 vcc, 0, v6
	v_cmp_ne_u32_e64 s[0:1], 0, v0
	s_and_b64 s[0:1], vcc, s[0:1]
	v_cndmask_b32_e64 v0, 0, 1, s[0:1]
	v_add_u32_e32 v5, v5, v0
; %bb.1453:
	s_or_b64 exec, exec, s[8:9]
	s_mov_b64 s[0:1], 0
	global_store_byte v[2:3], v5, off
.LBB239_1454:
	s_mov_b64 s[8:9], 0
.LBB239_1455:
	s_and_b64 vcc, exec, s[8:9]
	s_cbranch_vccz .LBB239_1458
; %bb.1456:
	s_cmp_eq_u32 s25, 29
	s_mov_b64 s[0:1], -1
	s_cbranch_scc0 .LBB239_1458
; %bb.1457:
	v_bfe_i32 v0, v4, 0, 16
	v_ashrrev_i32_e32 v1, 31, v0
	global_store_dwordx2 v[2:3], v[0:1], off
	s_mov_b64 s[0:1], 0
.LBB239_1458:
	s_mov_b64 s[8:9], 0
.LBB239_1459:
	s_and_b64 vcc, exec, s[8:9]
	s_cbranch_vccz .LBB239_1474
; %bb.1460:
	s_cmp_lt_i32 s25, 27
	s_mov_b64 s[8:9], -1
	s_cbranch_scc1 .LBB239_1466
; %bb.1461:
	s_cmp_gt_i32 s25, 27
	s_cbranch_scc0 .LBB239_1463
; %bb.1462:
	v_bfe_i32 v0, v4, 0, 16
	s_mov_b64 s[8:9], 0
	global_store_dword v[2:3], v0, off
.LBB239_1463:
	s_andn2_b64 vcc, exec, s[8:9]
	s_cbranch_vccnz .LBB239_1465
; %bb.1464:
	global_store_short v[2:3], v4, off
.LBB239_1465:
	s_mov_b64 s[8:9], 0
.LBB239_1466:
	s_andn2_b64 vcc, exec, s[8:9]
	s_cbranch_vccnz .LBB239_1474
; %bb.1467:
	v_cvt_f32_i32_sdwa v0, sext(v4) dst_sel:DWORD dst_unused:UNUSED_PAD src0_sel:WORD_0
	s_mov_b32 s8, 0x43800000
	v_mov_b32_e32 v5, 0x80
	v_and_b32_e32 v1, 0x7fffffff, v0
	v_cmp_gt_u32_e32 vcc, s8, v1
	s_and_saveexec_b64 s[8:9], vcc
	s_cbranch_execz .LBB239_1473
; %bb.1468:
	s_mov_b32 s14, 0x3bffffff
	v_cmp_lt_u32_e32 vcc, s14, v1
	s_mov_b64 s[14:15], 0
                                        ; implicit-def: $vgpr1
	s_and_saveexec_b64 s[16:17], vcc
	s_xor_b64 s[16:17], exec, s[16:17]
	s_cbranch_execz .LBB239_1615
; %bb.1469:
	v_bfe_u32 v1, v0, 20, 1
	s_mov_b32 s18, 0x487ffff
	v_add3_u32 v1, v0, v1, s18
	s_mov_b64 s[14:15], exec
	v_lshrrev_b32_e32 v1, 20, v1
	s_andn2_saveexec_b64 s[16:17], s[16:17]
	s_cbranch_execnz .LBB239_1616
.LBB239_1470:
	s_or_b64 exec, exec, s[16:17]
	v_mov_b32_e32 v5, 0
	s_and_saveexec_b64 s[16:17], s[14:15]
.LBB239_1471:
	v_lshrrev_b32_e32 v0, 24, v0
	s_movk_i32 s14, 0x80
	v_and_or_b32 v5, v0, s14, v1
.LBB239_1472:
	s_or_b64 exec, exec, s[16:17]
.LBB239_1473:
	s_or_b64 exec, exec, s[8:9]
	global_store_byte v[2:3], v5, off
.LBB239_1474:
	s_mov_b64 s[14:15], 0
.LBB239_1475:
	s_mov_b64 s[8:9], 0
	s_and_b64 vcc, exec, s[14:15]
	s_cbranch_vccz .LBB239_1515
; %bb.1476:
	s_cmp_gt_i32 s25, 22
	s_mov_b64 s[14:15], -1
	s_cbranch_scc0 .LBB239_1508
; %bb.1477:
	s_cmp_lt_i32 s25, 24
	s_cbranch_scc1 .LBB239_1497
; %bb.1478:
	s_cmp_gt_i32 s25, 24
	s_cbranch_scc0 .LBB239_1486
; %bb.1479:
	v_cvt_f32_i32_sdwa v0, sext(v4) dst_sel:DWORD dst_unused:UNUSED_PAD src0_sel:WORD_0
	s_mov_b32 s14, 0x47800000
	v_mov_b32_e32 v5, 0x80
	v_and_b32_e32 v1, 0x7fffffff, v0
	v_cmp_gt_u32_e32 vcc, s14, v1
	s_and_saveexec_b64 s[14:15], vcc
	s_cbranch_execz .LBB239_1485
; %bb.1480:
	s_mov_b32 s16, 0x37ffffff
	v_cmp_lt_u32_e32 vcc, s16, v1
	s_mov_b64 s[16:17], 0
                                        ; implicit-def: $vgpr1
	s_and_saveexec_b64 s[18:19], vcc
	s_xor_b64 s[18:19], exec, s[18:19]
	s_cbranch_execz .LBB239_1735
; %bb.1481:
	v_bfe_u32 v1, v0, 21, 1
	s_mov_b32 s26, 0x88fffff
	v_add3_u32 v1, v0, v1, s26
	s_mov_b64 s[16:17], exec
	v_lshrrev_b32_e32 v1, 21, v1
	s_andn2_saveexec_b64 s[18:19], s[18:19]
	s_cbranch_execnz .LBB239_1736
.LBB239_1482:
	s_or_b64 exec, exec, s[18:19]
	v_mov_b32_e32 v5, 0
	s_and_saveexec_b64 s[18:19], s[16:17]
.LBB239_1483:
	v_lshrrev_b32_e32 v0, 24, v0
	s_movk_i32 s16, 0x80
	v_and_or_b32 v5, v0, s16, v1
.LBB239_1484:
	s_or_b64 exec, exec, s[18:19]
.LBB239_1485:
	s_or_b64 exec, exec, s[14:15]
	s_mov_b64 s[14:15], 0
	global_store_byte v[2:3], v5, off
.LBB239_1486:
	s_and_b64 vcc, exec, s[14:15]
	s_cbranch_vccz .LBB239_1496
; %bb.1487:
	v_cvt_f32_i32_sdwa v0, sext(v4) dst_sel:DWORD dst_unused:UNUSED_PAD src0_sel:WORD_0
	s_mov_b32 s14, 0x43f00000
                                        ; implicit-def: $vgpr1
	v_and_b32_e32 v5, 0x7fffffff, v0
	v_cmp_gt_u32_e32 vcc, s14, v5
	s_and_saveexec_b64 s[14:15], vcc
	s_xor_b64 s[14:15], exec, s[14:15]
	s_cbranch_execz .LBB239_1493
; %bb.1488:
	s_mov_b32 s16, 0x3c7fffff
	v_cmp_lt_u32_e32 vcc, s16, v5
                                        ; implicit-def: $vgpr1
	s_and_saveexec_b64 s[16:17], vcc
	s_xor_b64 s[16:17], exec, s[16:17]
; %bb.1489:
	v_bfe_u32 v1, v0, 20, 1
	s_mov_b32 s18, 0x407ffff
	v_add3_u32 v1, v0, v1, s18
	v_lshrrev_b32_e32 v5, 20, v1
	v_and_b32_e32 v1, 0xff00000, v1
	s_mov_b32 s18, 0x7f00000
	v_mov_b32_e32 v6, 0x7e
	v_cmp_ne_u32_e32 vcc, s18, v1
	v_cndmask_b32_e32 v1, v6, v5, vcc
; %bb.1490:
	s_andn2_saveexec_b64 s[16:17], s[16:17]
; %bb.1491:
	s_mov_b32 s18, 0x46800000
	v_add_f32_e64 v1, |v0|, s18
; %bb.1492:
	s_or_b64 exec, exec, s[16:17]
                                        ; implicit-def: $vgpr5
.LBB239_1493:
	s_andn2_saveexec_b64 s[14:15], s[14:15]
; %bb.1494:
	s_mov_b32 s16, 0x7f800000
	v_mov_b32_e32 v1, 0x7e
	v_mov_b32_e32 v6, 0x7f
	v_cmp_lt_u32_e32 vcc, s16, v5
	v_cndmask_b32_e32 v1, v1, v6, vcc
; %bb.1495:
	s_or_b64 exec, exec, s[14:15]
	v_lshrrev_b32_e32 v0, 24, v0
	s_movk_i32 s14, 0x80
	v_and_or_b32 v0, v0, s14, v1
	global_store_byte v[2:3], v0, off
.LBB239_1496:
	s_mov_b64 s[14:15], 0
.LBB239_1497:
	s_andn2_b64 vcc, exec, s[14:15]
	s_cbranch_vccnz .LBB239_1507
; %bb.1498:
	v_cvt_f32_i32_sdwa v0, sext(v4) dst_sel:DWORD dst_unused:UNUSED_PAD src0_sel:WORD_0
	s_mov_b32 s14, 0x47800000
                                        ; implicit-def: $vgpr1
	v_and_b32_e32 v5, 0x7fffffff, v0
	v_cmp_gt_u32_e32 vcc, s14, v5
	s_and_saveexec_b64 s[14:15], vcc
	s_xor_b64 s[14:15], exec, s[14:15]
	s_cbranch_execz .LBB239_1504
; %bb.1499:
	s_mov_b32 s16, 0x387fffff
	v_cmp_lt_u32_e32 vcc, s16, v5
                                        ; implicit-def: $vgpr1
	s_and_saveexec_b64 s[16:17], vcc
	s_xor_b64 s[16:17], exec, s[16:17]
; %bb.1500:
	v_bfe_u32 v1, v0, 21, 1
	s_mov_b32 s18, 0x80fffff
	v_add3_u32 v1, v0, v1, s18
	v_lshrrev_b32_e32 v1, 21, v1
; %bb.1501:
	s_andn2_saveexec_b64 s[16:17], s[16:17]
; %bb.1502:
	s_mov_b32 s18, 0x43000000
	v_add_f32_e64 v1, |v0|, s18
; %bb.1503:
	s_or_b64 exec, exec, s[16:17]
                                        ; implicit-def: $vgpr5
.LBB239_1504:
	s_andn2_saveexec_b64 s[14:15], s[14:15]
; %bb.1505:
	s_mov_b32 s16, 0x7f800000
	v_mov_b32_e32 v1, 0x7c
	v_mov_b32_e32 v6, 0x7f
	v_cmp_lt_u32_e32 vcc, s16, v5
	v_cndmask_b32_e32 v1, v1, v6, vcc
; %bb.1506:
	s_or_b64 exec, exec, s[14:15]
	v_lshrrev_b32_e32 v0, 24, v0
	s_movk_i32 s14, 0x80
	v_and_or_b32 v0, v0, s14, v1
	global_store_byte v[2:3], v0, off
.LBB239_1507:
	s_mov_b64 s[14:15], 0
.LBB239_1508:
	s_andn2_b64 vcc, exec, s[14:15]
	s_mov_b64 s[14:15], 0
	s_cbranch_vccnz .LBB239_1516
; %bb.1509:
	s_cmp_gt_i32 s25, 14
	s_mov_b64 s[16:17], -1
	s_cbranch_scc0 .LBB239_1513
; %bb.1510:
	s_cmp_eq_u32 s25, 15
	s_mov_b64 s[0:1], -1
	s_cbranch_scc0 .LBB239_1512
; %bb.1511:
	v_cvt_f32_i32_sdwa v0, sext(v4) dst_sel:DWORD dst_unused:UNUSED_PAD src0_sel:WORD_0
	s_movk_i32 s0, 0x7fff
	v_bfe_u32 v1, v0, 16, 1
	v_add3_u32 v0, v0, v1, s0
	global_store_short_d16_hi v[2:3], v0, off
	s_mov_b64 s[0:1], 0
.LBB239_1512:
	s_mov_b64 s[16:17], 0
.LBB239_1513:
	s_and_b64 vcc, exec, s[16:17]
	s_cbranch_vccz .LBB239_1516
; %bb.1514:
	s_cmp_lg_u32 s25, 11
	s_cselect_b64 s[16:17], -1, 0
	s_andn2_b64 s[0:1], s[0:1], exec
	s_and_b64 s[16:17], s[16:17], exec
	s_mov_b64 s[14:15], -1
	s_or_b64 s[0:1], s[0:1], s[16:17]
	s_branch .LBB239_1516
.LBB239_1515:
	s_mov_b64 s[14:15], 0
.LBB239_1516:
	s_and_b64 s[16:17], s[8:9], exec
	s_andn2_b64 s[8:9], s[36:37], exec
	s_and_b64 s[0:1], s[0:1], exec
	s_and_b64 s[18:19], s[14:15], exec
	s_or_b64 s[36:37], s[8:9], s[0:1]
	s_or_b64 exec, exec, s[12:13]
	s_and_saveexec_b64 s[0:1], s[36:37]
	s_cbranch_execz .LBB239_1445
.LBB239_1517:
	s_or_b64 s[10:11], s[10:11], exec
	s_andn2_b64 s[18:19], s[18:19], exec
	s_trap 2
	s_or_b64 exec, exec, s[0:1]
	s_and_saveexec_b64 s[0:1], s[18:19]
	s_xor_b64 s[0:1], exec, s[0:1]
	s_cbranch_execnz .LBB239_1446
.LBB239_1518:
	s_or_b64 exec, exec, s[0:1]
	s_and_saveexec_b64 s[0:1], s[16:17]
	s_xor_b64 s[0:1], exec, s[0:1]
	s_cbranch_execz .LBB239_1556
.LBB239_1519:
	s_sext_i32_i16 s12, s24
	s_cmp_lt_i32 s12, 5
	s_mov_b64 s[8:9], -1
	s_cbranch_scc1 .LBB239_1540
; %bb.1520:
	s_cmp_lt_i32 s12, 8
	s_cbranch_scc1 .LBB239_1530
; %bb.1521:
	s_cmp_lt_i32 s12, 9
	s_cbranch_scc1 .LBB239_1527
; %bb.1522:
	s_cmp_gt_i32 s12, 9
	s_cbranch_scc0 .LBB239_1524
; %bb.1523:
	s_waitcnt vmcnt(0)
	v_bfe_i32 v0, v4, 0, 16
	v_cvt_f64_i32_e32 v[5:6], v0
	v_mov_b32_e32 v7, 0
	v_mov_b32_e32 v8, v7
	s_mov_b64 s[8:9], 0
	global_store_dwordx4 v[2:3], v[5:8], off
.LBB239_1524:
	s_andn2_b64 vcc, exec, s[8:9]
	s_cbranch_vccnz .LBB239_1526
; %bb.1525:
	s_waitcnt vmcnt(0)
	v_cvt_f32_i32_sdwa v0, sext(v4) dst_sel:DWORD dst_unused:UNUSED_PAD src0_sel:WORD_0
	v_mov_b32_e32 v1, 0
	global_store_dwordx2 v[2:3], v[0:1], off
.LBB239_1526:
	s_mov_b64 s[8:9], 0
.LBB239_1527:
	s_andn2_b64 vcc, exec, s[8:9]
	s_cbranch_vccnz .LBB239_1529
; %bb.1528:
	s_waitcnt vmcnt(0)
	v_cvt_f16_i16_e32 v0, v4
	global_store_dword v[2:3], v0, off
.LBB239_1529:
	s_mov_b64 s[8:9], 0
.LBB239_1530:
	s_andn2_b64 vcc, exec, s[8:9]
	s_cbranch_vccnz .LBB239_1539
; %bb.1531:
	s_sext_i32_i16 s12, s24
	s_cmp_lt_i32 s12, 6
	s_mov_b64 s[8:9], -1
	s_cbranch_scc1 .LBB239_1537
; %bb.1532:
	s_cmp_gt_i32 s12, 6
	s_cbranch_scc0 .LBB239_1534
; %bb.1533:
	s_waitcnt vmcnt(0)
	v_bfe_i32 v0, v4, 0, 16
	v_cvt_f64_i32_e32 v[0:1], v0
	s_mov_b64 s[8:9], 0
	global_store_dwordx2 v[2:3], v[0:1], off
.LBB239_1534:
	s_andn2_b64 vcc, exec, s[8:9]
	s_cbranch_vccnz .LBB239_1536
; %bb.1535:
	s_waitcnt vmcnt(0)
	v_cvt_f32_i32_sdwa v0, sext(v4) dst_sel:DWORD dst_unused:UNUSED_PAD src0_sel:WORD_0
	global_store_dword v[2:3], v0, off
.LBB239_1536:
	s_mov_b64 s[8:9], 0
.LBB239_1537:
	s_andn2_b64 vcc, exec, s[8:9]
	s_cbranch_vccnz .LBB239_1539
; %bb.1538:
	s_waitcnt vmcnt(0)
	v_cvt_f16_i16_e32 v0, v4
	global_store_short v[2:3], v0, off
.LBB239_1539:
	s_mov_b64 s[8:9], 0
.LBB239_1540:
	s_andn2_b64 vcc, exec, s[8:9]
	s_cbranch_vccnz .LBB239_1556
; %bb.1541:
	s_sext_i32_i16 s12, s24
	s_cmp_lt_i32 s12, 2
	s_mov_b64 s[8:9], -1
	s_cbranch_scc1 .LBB239_1551
; %bb.1542:
	s_cmp_lt_i32 s12, 3
	s_cbranch_scc1 .LBB239_1548
; %bb.1543:
	s_cmp_gt_i32 s12, 3
	s_waitcnt vmcnt(0)
	v_bfe_i32 v0, v4, 0, 16
	s_cbranch_scc0 .LBB239_1545
; %bb.1544:
	v_ashrrev_i32_e32 v1, 31, v0
	s_mov_b64 s[8:9], 0
	global_store_dwordx2 v[2:3], v[0:1], off
.LBB239_1545:
	s_andn2_b64 vcc, exec, s[8:9]
	s_cbranch_vccnz .LBB239_1547
; %bb.1546:
	global_store_dword v[2:3], v0, off
.LBB239_1547:
	s_mov_b64 s[8:9], 0
.LBB239_1548:
	s_andn2_b64 vcc, exec, s[8:9]
	s_cbranch_vccnz .LBB239_1550
; %bb.1549:
	s_waitcnt vmcnt(0)
	global_store_short v[2:3], v4, off
.LBB239_1550:
	s_mov_b64 s[8:9], 0
.LBB239_1551:
	s_andn2_b64 vcc, exec, s[8:9]
	s_cbranch_vccnz .LBB239_1556
; %bb.1552:
	s_sext_i32_i16 s8, s24
	s_cmp_gt_i32 s8, 0
	s_mov_b64 s[8:9], -1
	s_cbranch_scc0 .LBB239_1554
; %bb.1553:
	s_mov_b64 s[8:9], 0
	s_waitcnt vmcnt(0)
	global_store_byte v[2:3], v4, off
.LBB239_1554:
	s_andn2_b64 vcc, exec, s[8:9]
	s_cbranch_vccnz .LBB239_1556
; %bb.1555:
	s_waitcnt vmcnt(0)
	global_store_byte v[2:3], v4, off
.LBB239_1556:
	s_or_b64 exec, exec, s[0:1]
	s_and_b64 s[12:13], s[10:11], exec
                                        ; implicit-def: $vgpr21
                                        ; implicit-def: $vgpr10
.LBB239_1557:
	s_or_saveexec_b64 s[14:15], s[22:23]
	s_mov_b64 s[0:1], 0
                                        ; implicit-def: $vgpr0_vgpr1
                                        ; implicit-def: $sgpr18
                                        ; implicit-def: $vgpr4
	s_xor_b64 exec, exec, s[14:15]
	s_cbranch_execz .LBB239_3038
; %bb.1558:
	v_cndmask_b32_e64 v0, 0, 1, s[20:21]
	v_cmp_ne_u32_e64 s[0:1], 1, v0
	s_andn2_b64 vcc, exec, s[20:21]
	s_cbranch_vccnz .LBB239_1564
; %bb.1559:
	s_cmp_lg_u32 s33, 0
	s_cbranch_scc0 .LBB239_1565
; %bb.1560:
	s_min_u32 s8, s68, 15
	s_add_i32 s6, s8, 1
	s_and_b32 s9, s6, 30
	s_add_u32 s6, s2, 0xffffffe8
	s_addc_u32 s7, s3, -1
	v_mov_b32_e32 v13, 0
	v_mov_b32_e32 v8, 0
	s_waitcnt vmcnt(0)
	v_mov_b32_e32 v6, 0
	v_mov_b32_e32 v0, v10
.LBB239_1561:                           ; =>This Inner Loop Header: Depth=1
	s_load_dwordx4 s[16:19], s[6:7], 0x1c
	s_load_dwordx2 s[10:11], s[6:7], 0x2c
	s_load_dwordx2 s[24:25], s[6:7], 0xec
	s_load_dwordx4 s[20:23], s[6:7], 0xdc
	s_add_u32 s6, s6, 24
	s_waitcnt lgkmcnt(0)
	v_mul_hi_u32 v1, s17, v0
	s_addc_u32 s7, s7, 0
	s_add_i32 s9, s9, -2
	s_cmp_lg_u32 s9, 0
	v_add_u32_e32 v1, v0, v1
	v_lshrrev_b32_e32 v1, s18, v1
	v_mul_lo_u32 v2, v1, s16
	v_mul_hi_u32 v3, s10, v1
	v_sub_u32_e32 v2, v0, v2
	v_add_u32_e32 v0, v1, v3
	v_lshrrev_b32_e32 v0, s11, v0
	v_mul_lo_u32 v5, v0, s19
	v_mul_lo_u32 v3, v2, s20
	;; [unrolled: 1-line block ×4, first 2 shown]
	v_sub_u32_e32 v1, v1, v5
	v_mul_lo_u32 v5, v1, s23
	v_mul_lo_u32 v7, v1, s24
	;; [unrolled: 1-line block ×3, first 2 shown]
	v_add3_u32 v6, v3, v6, v5
	v_add3_u32 v8, v4, v8, v7
	;; [unrolled: 1-line block ×3, first 2 shown]
	s_cbranch_scc1 .LBB239_1561
; %bb.1562:
	s_bitcmp1_b32 s8, 0
	s_cselect_b64 s[8:9], -1, 0
	s_and_b64 vcc, exec, s[8:9]
	s_cbranch_vccnz .LBB239_1566
; %bb.1563:
	s_load_dwordx2 s[8:9], s[6:7], 0x1c
	s_load_dword s16, s[6:7], 0x24
	s_load_dwordx2 s[10:11], s[6:7], 0xdc
	s_waitcnt lgkmcnt(0)
	v_mul_hi_u32 v1, s9, v0
	v_add_u32_e32 v1, v0, v1
	v_lshrrev_b32_e32 v1, s16, v1
	v_mul_lo_u32 v1, v1, s8
	s_load_dword s8, s[6:7], 0xe4
	v_sub_u32_e32 v0, v0, v1
	v_mad_u64_u32 v[6:7], s[6:7], v0, s10, v[6:7]
	v_mad_u64_u32 v[8:9], s[6:7], v0, s11, v[8:9]
	s_waitcnt lgkmcnt(0)
	v_mad_u64_u32 v[13:14], s[6:7], v0, s8, v[13:14]
	s_cbranch_execz .LBB239_1567
	s_branch .LBB239_1569
.LBB239_1564:
                                        ; implicit-def: $vgpr6
                                        ; implicit-def: $vgpr8
                                        ; implicit-def: $vgpr13
	s_branch .LBB239_1567
.LBB239_1565:
	s_waitcnt vmcnt(0)
	v_mov_b32_e32 v6, 0
	v_mov_b32_e32 v8, 0
	;; [unrolled: 1-line block ×3, first 2 shown]
.LBB239_1566:
	s_cbranch_execnz .LBB239_1569
.LBB239_1567:
	s_load_dwordx4 s[8:11], s[2:3], 0x4
	s_load_dwordx4 s[16:19], s[2:3], 0xc4
	s_cmp_lt_u32 s33, 2
	s_waitcnt lgkmcnt(0)
	v_mul_hi_u32 v0, s9, v10
	v_add_u32_e32 v0, v10, v0
	v_lshrrev_b32_e32 v0, s10, v0
	s_waitcnt vmcnt(0)
	v_mul_lo_u32 v1, v0, s8
	v_sub_u32_e32 v1, v10, v1
	v_mul_lo_u32 v6, v1, s16
	v_mul_lo_u32 v8, v1, s17
	;; [unrolled: 1-line block ×3, first 2 shown]
	s_cbranch_scc1 .LBB239_1569
; %bb.1568:
	s_load_dwordx4 s[8:11], s[2:3], 0x10
	s_load_dwordx4 s[16:19], s[2:3], 0xd0
	s_waitcnt lgkmcnt(0)
	v_mul_hi_u32 v1, s9, v0
	v_add_u32_e32 v1, v0, v1
	v_lshrrev_b32_e32 v1, s10, v1
	v_mul_lo_u32 v1, v1, s8
	v_sub_u32_e32 v0, v0, v1
	v_mad_u64_u32 v[6:7], s[6:7], v0, s16, v[6:7]
	v_mad_u64_u32 v[8:9], s[6:7], v0, s17, v[8:9]
	;; [unrolled: 1-line block ×3, first 2 shown]
.LBB239_1569:
	s_and_b64 vcc, exec, s[0:1]
	v_add_u32_e32 v0, 0x80, v10
	s_cbranch_vccnz .LBB239_1575
; %bb.1570:
	s_cmp_lg_u32 s33, 0
	s_cbranch_scc0 .LBB239_1576
; %bb.1571:
	s_min_u32 s8, s68, 15
	s_add_i32 s6, s8, 1
	s_and_b32 s9, s6, 30
	s_add_u32 s6, s2, 0xffffffe8
	s_addc_u32 s7, s3, -1
	v_mov_b32_e32 v18, 0
	v_mov_b32_e32 v11, 0
	s_waitcnt vmcnt(0)
	v_mov_b32_e32 v4, 0
	v_mov_b32_e32 v1, v0
.LBB239_1572:                           ; =>This Inner Loop Header: Depth=1
	s_load_dwordx4 s[16:19], s[6:7], 0x1c
	s_load_dwordx2 s[10:11], s[6:7], 0x2c
	s_load_dwordx2 s[24:25], s[6:7], 0xec
	s_load_dwordx4 s[20:23], s[6:7], 0xdc
	s_add_u32 s6, s6, 24
	s_waitcnt lgkmcnt(0)
	v_mul_hi_u32 v2, s17, v1
	s_addc_u32 s7, s7, 0
	s_add_i32 s9, s9, -2
	s_cmp_lg_u32 s9, 0
	v_add_u32_e32 v2, v1, v2
	v_lshrrev_b32_e32 v2, s18, v2
	v_mul_lo_u32 v3, v2, s16
	v_mul_hi_u32 v5, s10, v2
	v_sub_u32_e32 v3, v1, v3
	v_add_u32_e32 v1, v2, v5
	v_lshrrev_b32_e32 v1, s11, v1
	v_mul_lo_u32 v9, v1, s19
	v_mul_lo_u32 v5, v3, s20
	;; [unrolled: 1-line block ×4, first 2 shown]
	v_sub_u32_e32 v2, v2, v9
	v_mul_lo_u32 v9, v2, s23
	v_mul_lo_u32 v12, v2, s24
	v_mul_lo_u32 v2, v2, s25
	v_add3_u32 v4, v5, v4, v9
	v_add3_u32 v11, v7, v11, v12
	;; [unrolled: 1-line block ×3, first 2 shown]
	s_cbranch_scc1 .LBB239_1572
; %bb.1573:
	s_bitcmp1_b32 s8, 0
	s_cselect_b64 s[8:9], -1, 0
	s_and_b64 vcc, exec, s[8:9]
	s_cbranch_vccnz .LBB239_1577
; %bb.1574:
	s_load_dwordx2 s[8:9], s[6:7], 0x1c
	s_load_dword s16, s[6:7], 0x24
	s_load_dwordx2 s[10:11], s[6:7], 0xdc
	s_waitcnt lgkmcnt(0)
	v_mul_hi_u32 v2, s9, v1
	v_add_u32_e32 v2, v1, v2
	v_lshrrev_b32_e32 v2, s16, v2
	v_mul_lo_u32 v2, v2, s8
	s_load_dword s8, s[6:7], 0xe4
	v_sub_u32_e32 v1, v1, v2
	v_mad_u64_u32 v[4:5], s[6:7], v1, s10, v[4:5]
	v_mad_u64_u32 v[11:12], s[6:7], v1, s11, v[11:12]
	s_waitcnt lgkmcnt(0)
	v_mad_u64_u32 v[18:19], s[6:7], v1, s8, v[18:19]
	s_cbranch_execz .LBB239_1578
	s_branch .LBB239_1580
.LBB239_1575:
                                        ; implicit-def: $vgpr4
                                        ; implicit-def: $vgpr11
                                        ; implicit-def: $vgpr18
	s_branch .LBB239_1578
.LBB239_1576:
	s_waitcnt vmcnt(0)
	v_mov_b32_e32 v4, 0
	v_mov_b32_e32 v11, 0
	;; [unrolled: 1-line block ×3, first 2 shown]
.LBB239_1577:
	s_cbranch_execnz .LBB239_1580
.LBB239_1578:
	s_load_dwordx4 s[8:11], s[2:3], 0x4
	s_load_dwordx4 s[16:19], s[2:3], 0xc4
	s_cmp_lt_u32 s33, 2
	s_waitcnt vmcnt(0) lgkmcnt(0)
	v_mul_hi_u32 v1, s9, v0
	v_add_u32_e32 v1, v0, v1
	v_lshrrev_b32_e32 v1, s10, v1
	v_mul_lo_u32 v2, v1, s8
	v_sub_u32_e32 v0, v0, v2
	v_mul_lo_u32 v4, v0, s16
	v_mul_lo_u32 v11, v0, s17
	;; [unrolled: 1-line block ×3, first 2 shown]
	s_cbranch_scc1 .LBB239_1580
; %bb.1579:
	s_load_dwordx4 s[8:11], s[2:3], 0x10
	s_load_dwordx4 s[16:19], s[2:3], 0xd0
	s_waitcnt lgkmcnt(0)
	v_mul_hi_u32 v0, s9, v1
	v_add_u32_e32 v0, v1, v0
	v_lshrrev_b32_e32 v0, s10, v0
	v_mul_lo_u32 v0, v0, s8
	v_sub_u32_e32 v0, v1, v0
	v_mad_u64_u32 v[4:5], s[6:7], v0, s16, v[4:5]
	v_mad_u64_u32 v[11:12], s[6:7], v0, s17, v[11:12]
	;; [unrolled: 1-line block ×3, first 2 shown]
.LBB239_1580:
	s_and_b64 vcc, exec, s[0:1]
	v_add_u32_e32 v0, 0x100, v10
	s_cbranch_vccnz .LBB239_1586
; %bb.1581:
	s_cmp_lg_u32 s33, 0
	s_cbranch_scc0 .LBB239_1587
; %bb.1582:
	s_min_u32 s8, s68, 15
	s_add_i32 s6, s8, 1
	s_and_b32 s9, s6, 30
	s_add_u32 s6, s2, 0xffffffe8
	s_addc_u32 s7, s3, -1
	v_mov_b32_e32 v19, 0
	v_mov_b32_e32 v16, 0
	s_waitcnt vmcnt(0)
	v_mov_b32_e32 v2, 0
	v_mov_b32_e32 v1, v0
.LBB239_1583:                           ; =>This Inner Loop Header: Depth=1
	s_load_dwordx4 s[16:19], s[6:7], 0x1c
	s_load_dwordx2 s[10:11], s[6:7], 0x2c
	s_load_dwordx2 s[24:25], s[6:7], 0xec
	s_load_dwordx4 s[20:23], s[6:7], 0xdc
	s_add_u32 s6, s6, 24
	s_waitcnt lgkmcnt(0)
	v_mul_hi_u32 v3, s17, v1
	s_addc_u32 s7, s7, 0
	s_add_i32 s9, s9, -2
	s_cmp_lg_u32 s9, 0
	v_add_u32_e32 v3, v1, v3
	v_lshrrev_b32_e32 v3, s18, v3
	v_mul_lo_u32 v5, v3, s16
	v_mul_hi_u32 v7, s10, v3
	v_sub_u32_e32 v5, v1, v5
	v_add_u32_e32 v1, v3, v7
	v_lshrrev_b32_e32 v1, s11, v1
	v_mul_lo_u32 v10, v1, s19
	v_mul_lo_u32 v7, v5, s20
	;; [unrolled: 1-line block ×4, first 2 shown]
	v_sub_u32_e32 v3, v3, v10
	v_mul_lo_u32 v10, v3, s23
	v_mul_lo_u32 v12, v3, s24
	v_mul_lo_u32 v3, v3, s25
	v_add3_u32 v2, v7, v2, v10
	v_add3_u32 v16, v9, v16, v12
	;; [unrolled: 1-line block ×3, first 2 shown]
	s_cbranch_scc1 .LBB239_1583
; %bb.1584:
	s_bitcmp1_b32 s8, 0
	s_cselect_b64 s[8:9], -1, 0
	s_and_b64 vcc, exec, s[8:9]
	s_cbranch_vccnz .LBB239_1588
; %bb.1585:
	s_load_dwordx2 s[8:9], s[6:7], 0x1c
	s_load_dword s16, s[6:7], 0x24
	s_load_dwordx2 s[10:11], s[6:7], 0xdc
	s_waitcnt lgkmcnt(0)
	v_mul_hi_u32 v3, s9, v1
	v_add_u32_e32 v3, v1, v3
	v_lshrrev_b32_e32 v3, s16, v3
	v_mul_lo_u32 v3, v3, s8
	s_load_dword s8, s[6:7], 0xe4
	v_sub_u32_e32 v1, v1, v3
	v_mad_u64_u32 v[2:3], s[6:7], v1, s10, v[2:3]
	v_mad_u64_u32 v[16:17], s[6:7], v1, s11, v[16:17]
	s_waitcnt lgkmcnt(0)
	v_mad_u64_u32 v[19:20], s[6:7], v1, s8, v[19:20]
	s_cbranch_execz .LBB239_1589
	s_branch .LBB239_1591
.LBB239_1586:
                                        ; implicit-def: $vgpr2
                                        ; implicit-def: $vgpr16
                                        ; implicit-def: $vgpr19
	s_branch .LBB239_1589
.LBB239_1587:
	s_waitcnt vmcnt(0)
	v_mov_b32_e32 v2, 0
	v_mov_b32_e32 v16, 0
	;; [unrolled: 1-line block ×3, first 2 shown]
.LBB239_1588:
	s_cbranch_execnz .LBB239_1591
.LBB239_1589:
	s_load_dwordx4 s[8:11], s[2:3], 0x4
	s_load_dwordx4 s[16:19], s[2:3], 0xc4
	s_cmp_lt_u32 s33, 2
	s_waitcnt vmcnt(0) lgkmcnt(0)
	v_mul_hi_u32 v1, s9, v0
	v_add_u32_e32 v1, v0, v1
	v_lshrrev_b32_e32 v1, s10, v1
	v_mul_lo_u32 v2, v1, s8
	v_sub_u32_e32 v0, v0, v2
	v_mul_lo_u32 v2, v0, s16
	v_mul_lo_u32 v16, v0, s17
	;; [unrolled: 1-line block ×3, first 2 shown]
	s_cbranch_scc1 .LBB239_1591
; %bb.1590:
	s_load_dwordx4 s[8:11], s[2:3], 0x10
	s_load_dwordx4 s[16:19], s[2:3], 0xd0
	s_waitcnt lgkmcnt(0)
	v_mul_hi_u32 v0, s9, v1
	v_add_u32_e32 v0, v1, v0
	v_lshrrev_b32_e32 v0, s10, v0
	v_mul_lo_u32 v0, v0, s8
	v_sub_u32_e32 v0, v1, v0
	v_mad_u64_u32 v[2:3], s[6:7], v0, s16, v[2:3]
	v_mad_u64_u32 v[16:17], s[6:7], v0, s17, v[16:17]
	v_mad_u64_u32 v[19:20], s[6:7], v0, s18, v[19:20]
.LBB239_1591:
	s_and_b64 vcc, exec, s[0:1]
	s_cbranch_vccnz .LBB239_1597
; %bb.1592:
	s_cmp_lg_u32 s33, 0
	s_cbranch_scc0 .LBB239_1598
; %bb.1593:
	s_min_u32 s6, s68, 15
	s_add_i32 s0, s6, 1
	s_and_b32 s7, s0, 30
	s_add_u32 s0, s2, 0xffffffe8
	s_addc_u32 s1, s3, -1
	v_mov_b32_e32 v9, 0
	v_mov_b32_e32 v14, 0
	;; [unrolled: 1-line block ×3, first 2 shown]
	s_waitcnt vmcnt(0)
	v_mov_b32_e32 v1, v21
.LBB239_1594:                           ; =>This Inner Loop Header: Depth=1
	s_load_dwordx4 s[8:11], s[0:1], 0x1c
	s_load_dwordx2 s[20:21], s[0:1], 0x2c
	s_load_dwordx2 s[22:23], s[0:1], 0xec
	s_load_dwordx4 s[16:19], s[0:1], 0xdc
	s_add_u32 s0, s0, 24
	s_waitcnt lgkmcnt(0)
	v_mul_hi_u32 v3, s9, v1
	s_addc_u32 s1, s1, 0
	s_add_i32 s7, s7, -2
	s_cmp_lg_u32 s7, 0
	v_add_u32_e32 v3, v1, v3
	v_lshrrev_b32_e32 v3, s10, v3
	v_mul_lo_u32 v5, v3, s8
	v_mul_hi_u32 v7, s20, v3
	v_sub_u32_e32 v5, v1, v5
	v_add_u32_e32 v1, v3, v7
	v_lshrrev_b32_e32 v1, s21, v1
	v_mul_lo_u32 v12, v1, s11
	v_mul_lo_u32 v7, v5, s16
	;; [unrolled: 1-line block ×4, first 2 shown]
	v_sub_u32_e32 v3, v3, v12
	v_mul_lo_u32 v12, v3, s19
	v_mul_lo_u32 v15, v3, s22
	;; [unrolled: 1-line block ×3, first 2 shown]
	v_add3_u32 v0, v7, v0, v12
	v_add3_u32 v14, v10, v14, v15
	v_add3_u32 v9, v5, v9, v3
	s_cbranch_scc1 .LBB239_1594
; %bb.1595:
	s_bitcmp1_b32 s6, 0
	s_cselect_b64 s[6:7], -1, 0
	s_and_b64 vcc, exec, s[6:7]
	s_cbranch_vccnz .LBB239_1599
; %bb.1596:
	s_load_dwordx2 s[6:7], s[0:1], 0x1c
	s_load_dword s10, s[0:1], 0x24
	s_load_dwordx2 s[8:9], s[0:1], 0xdc
	s_waitcnt lgkmcnt(0)
	v_mul_hi_u32 v3, s7, v1
	v_add_u32_e32 v3, v1, v3
	v_lshrrev_b32_e32 v3, s10, v3
	v_mul_lo_u32 v3, v3, s6
	s_load_dword s6, s[0:1], 0xe4
	v_sub_u32_e32 v3, v1, v3
	v_mad_u64_u32 v[0:1], s[0:1], v3, s8, v[0:1]
	v_mad_u64_u32 v[14:15], s[0:1], v3, s9, v[14:15]
	s_waitcnt lgkmcnt(0)
	v_mad_u64_u32 v[9:10], s[0:1], v3, s6, v[9:10]
	s_cbranch_execz .LBB239_1600
	s_branch .LBB239_1602
.LBB239_1597:
                                        ; implicit-def: $vgpr0
                                        ; implicit-def: $vgpr14
                                        ; implicit-def: $vgpr9
	s_branch .LBB239_1600
.LBB239_1598:
	v_mov_b32_e32 v0, 0
	v_mov_b32_e32 v14, 0
	;; [unrolled: 1-line block ×3, first 2 shown]
.LBB239_1599:
	s_cbranch_execnz .LBB239_1602
.LBB239_1600:
	s_load_dwordx4 s[8:11], s[2:3], 0x4
	s_load_dwordx4 s[16:19], s[2:3], 0xc4
	s_cmp_lt_u32 s33, 2
	s_waitcnt lgkmcnt(0)
	v_mul_hi_u32 v0, s9, v21
	v_add_u32_e32 v0, v21, v0
	s_waitcnt vmcnt(0)
	v_lshrrev_b32_e32 v1, s10, v0
	v_mul_lo_u32 v0, v1, s8
	v_sub_u32_e32 v3, v21, v0
	v_mul_lo_u32 v0, v3, s16
	v_mul_lo_u32 v14, v3, s17
	;; [unrolled: 1-line block ×3, first 2 shown]
	s_cbranch_scc1 .LBB239_1602
; %bb.1601:
	s_load_dwordx4 s[8:11], s[2:3], 0x10
	s_load_dwordx4 s[16:19], s[2:3], 0xd0
	s_waitcnt lgkmcnt(0)
	v_mul_hi_u32 v3, s9, v1
	v_add_u32_e32 v3, v1, v3
	v_lshrrev_b32_e32 v3, s10, v3
	v_mul_lo_u32 v3, v3, s8
	v_sub_u32_e32 v3, v1, v3
	v_mad_u64_u32 v[0:1], s[0:1], v3, s16, v[0:1]
	v_mad_u64_u32 v[14:15], s[0:1], v3, s17, v[14:15]
	;; [unrolled: 1-line block ×3, first 2 shown]
.LBB239_1602:
	s_load_dwordx4 s[8:11], s[2:3], 0x188
	s_load_dword s20, s[4:5], 0x1a8
	s_waitcnt vmcnt(0) lgkmcnt(0)
	v_mov_b32_e32 v1, s11
	s_bfe_u32 s18, s20, 0x80010
	v_add_co_u32_e32 v20, vcc, s10, v8
	s_cmp_lt_i32 s18, 11
	v_addc_co_u32_e32 v21, vcc, 0, v1, vcc
	s_cbranch_scc1 .LBB239_1609
; %bb.1603:
	s_and_b32 s19, 0xffff, s18
	s_cmp_gt_i32 s19, 25
	s_mov_b64 s[6:7], 0
	s_cbranch_scc0 .LBB239_1611
; %bb.1604:
	s_cmp_gt_i32 s19, 28
	s_cbranch_scc0 .LBB239_1612
; %bb.1605:
	s_cmp_gt_i32 s19, 43
	;; [unrolled: 3-line block ×3, first 2 shown]
	s_cbranch_scc0 .LBB239_1614
; %bb.1607:
	s_cmp_eq_u32 s19, 46
	s_mov_b64 s[4:5], 0
	s_cbranch_scc0 .LBB239_1617
; %bb.1608:
	global_load_dword v1, v[20:21], off
	s_mov_b64 s[0:1], 0
	s_mov_b64 s[16:17], -1
	s_waitcnt vmcnt(0)
	v_lshlrev_b32_e32 v1, 16, v1
	v_cvt_i32_f32_e32 v7, v1
	s_branch .LBB239_1618
.LBB239_1609:
	s_mov_b64 s[16:17], 0
                                        ; implicit-def: $vgpr7
	s_mov_b64 s[4:5], s[12:13]
	s_cbranch_execnz .LBB239_1676
.LBB239_1610:
	s_andn2_b64 vcc, exec, s[16:17]
	s_cbranch_vccz .LBB239_1721
	s_branch .LBB239_3036
.LBB239_1611:
	s_mov_b64 s[16:17], 0
	s_mov_b64 s[0:1], 0
                                        ; implicit-def: $vgpr7
	s_cbranch_execnz .LBB239_1643
	s_branch .LBB239_1672
.LBB239_1612:
	s_mov_b64 s[16:17], 0
	s_mov_b64 s[0:1], 0
                                        ; implicit-def: $vgpr7
	s_cbranch_execz .LBB239_1642
	s_branch .LBB239_1627
.LBB239_1613:
	s_mov_b64 s[16:17], 0
	s_mov_b64 s[0:1], 0
                                        ; implicit-def: $vgpr7
	s_cbranch_execnz .LBB239_1623
	s_branch .LBB239_1626
.LBB239_1614:
	s_mov_b64 s[4:5], -1
	s_mov_b64 s[16:17], 0
	s_mov_b64 s[0:1], 0
                                        ; implicit-def: $vgpr7
	s_branch .LBB239_1618
.LBB239_1615:
	s_andn2_saveexec_b64 s[16:17], s[16:17]
	s_cbranch_execz .LBB239_1470
.LBB239_1616:
	s_mov_b32 s18, 0x46000000
	v_add_f32_e64 v1, |v0|, s18
	v_and_b32_e32 v1, 0xff, v1
	v_cmp_ne_u32_e32 vcc, 0, v1
	s_andn2_b64 s[14:15], s[14:15], exec
	s_and_b64 s[18:19], vcc, exec
	s_or_b64 s[14:15], s[14:15], s[18:19]
	s_or_b64 exec, exec, s[16:17]
	v_mov_b32_e32 v5, 0
	s_and_saveexec_b64 s[16:17], s[14:15]
	s_cbranch_execnz .LBB239_1471
	s_branch .LBB239_1472
.LBB239_1617:
	s_mov_b64 s[0:1], -1
                                        ; implicit-def: $vgpr7
	s_mov_b64 s[16:17], 0
.LBB239_1618:
	s_and_b64 vcc, exec, s[4:5]
	s_cbranch_vccz .LBB239_1621
; %bb.1619:
	s_cmp_eq_u32 s19, 44
	s_cbranch_scc0 .LBB239_1622
; %bb.1620:
	global_load_ubyte v1, v[20:21], off
	s_mov_b64 s[0:1], 0
	s_mov_b64 s[16:17], -1
	s_waitcnt vmcnt(0)
	v_lshlrev_b32_e32 v3, 23, v1
	v_cvt_i32_f32_e32 v3, v3
	v_cmp_ne_u32_e32 vcc, 0, v1
	v_cndmask_b32_e32 v7, 0, v3, vcc
.LBB239_1621:
	s_branch .LBB239_1626
.LBB239_1622:
	s_mov_b64 s[0:1], -1
                                        ; implicit-def: $vgpr7
	s_branch .LBB239_1626
.LBB239_1623:
	s_cmp_eq_u32 s19, 29
	s_cbranch_scc0 .LBB239_1625
; %bb.1624:
	global_load_dwordx2 v[7:8], v[20:21], off
	s_mov_b64 s[0:1], 0
	s_mov_b64 s[16:17], -1
	s_branch .LBB239_1626
.LBB239_1625:
	s_mov_b64 s[0:1], -1
                                        ; implicit-def: $vgpr7
.LBB239_1626:
	s_branch .LBB239_1642
.LBB239_1627:
	s_cmp_lt_i32 s19, 27
	s_cbranch_scc1 .LBB239_1630
; %bb.1628:
	s_cmp_gt_i32 s19, 27
	s_cbranch_scc0 .LBB239_1631
; %bb.1629:
	global_load_dword v7, v[20:21], off
	s_mov_b64 s[4:5], 0
	s_branch .LBB239_1632
.LBB239_1630:
	s_mov_b64 s[4:5], -1
                                        ; implicit-def: $vgpr7
	s_branch .LBB239_1635
.LBB239_1631:
	s_mov_b64 s[4:5], -1
                                        ; implicit-def: $vgpr7
.LBB239_1632:
	s_andn2_b64 vcc, exec, s[4:5]
	s_cbranch_vccnz .LBB239_1634
; %bb.1633:
	global_load_ushort v7, v[20:21], off
.LBB239_1634:
	s_mov_b64 s[4:5], 0
.LBB239_1635:
	s_andn2_b64 vcc, exec, s[4:5]
	s_cbranch_vccnz .LBB239_1641
; %bb.1636:
	global_load_ubyte v1, v[20:21], off
	s_movk_i32 s4, 0x7f
	s_mov_b64 s[16:17], 0
	s_waitcnt vmcnt(0)
	v_cmp_lt_i16_e32 vcc, s4, v1
	s_and_saveexec_b64 s[4:5], vcc
	s_xor_b64 s[4:5], exec, s[4:5]
	s_cbranch_execz .LBB239_1652
; %bb.1637:
	s_movk_i32 s16, 0x80
	v_cmp_ne_u16_e32 vcc, s16, v1
	s_and_b64 s[16:17], vcc, exec
	s_andn2_saveexec_b64 s[4:5], s[4:5]
	s_cbranch_execnz .LBB239_1653
.LBB239_1638:
	s_or_b64 exec, exec, s[4:5]
	v_mov_b32_e32 v7, 0
	s_and_saveexec_b64 s[4:5], s[16:17]
	s_cbranch_execz .LBB239_1640
.LBB239_1639:
	v_lshlrev_b32_e32 v3, 24, v1
	v_and_b32_e32 v1, 0xffff, v1
	v_and_b32_e32 v5, 7, v1
	v_ffbh_u32_e32 v8, v5
	v_min_u32_e32 v8, 32, v8
	v_subrev_u32_e32 v10, 28, v8
	v_bfe_u32 v7, v1, 3, 4
	v_lshlrev_b32_e32 v1, v10, v1
	v_sub_u32_e32 v8, 29, v8
	v_and_b32_e32 v1, 7, v1
	v_cmp_eq_u32_e32 vcc, 0, v7
	v_cndmask_b32_e32 v7, v7, v8, vcc
	v_cndmask_b32_e32 v1, v5, v1, vcc
	v_mov_b32_e32 v5, 0x3b800000
	v_lshlrev_b32_e32 v1, 20, v1
	v_and_b32_e32 v3, 0x80000000, v3
	v_lshl_add_u32 v5, v7, 23, v5
	v_or3_b32 v1, v3, v5, v1
	v_cvt_i32_f32_e32 v7, v1
.LBB239_1640:
	s_or_b64 exec, exec, s[4:5]
.LBB239_1641:
	s_mov_b64 s[16:17], -1
.LBB239_1642:
	s_branch .LBB239_1672
.LBB239_1643:
	s_cmp_gt_i32 s19, 22
	s_cbranch_scc0 .LBB239_1651
; %bb.1644:
	s_cmp_lt_i32 s19, 24
	s_cbranch_scc1 .LBB239_1654
; %bb.1645:
	s_cmp_gt_i32 s19, 24
	s_cbranch_scc0 .LBB239_1655
; %bb.1646:
	global_load_ubyte v1, v[20:21], off
	s_movk_i32 s4, 0x7f
	s_waitcnt vmcnt(0)
	v_cmp_lt_i16_e32 vcc, s4, v1
	s_and_saveexec_b64 s[4:5], vcc
	s_xor_b64 s[4:5], exec, s[4:5]
	s_cbranch_execz .LBB239_1666
; %bb.1647:
	s_movk_i32 s6, 0x80
	v_cmp_ne_u16_e32 vcc, s6, v1
	s_and_b64 s[6:7], vcc, exec
	s_andn2_saveexec_b64 s[4:5], s[4:5]
	s_cbranch_execnz .LBB239_1667
.LBB239_1648:
	s_or_b64 exec, exec, s[4:5]
	v_mov_b32_e32 v7, 0
	s_and_saveexec_b64 s[4:5], s[6:7]
	s_cbranch_execz .LBB239_1650
.LBB239_1649:
	v_lshlrev_b32_e32 v3, 24, v1
	v_and_b32_e32 v1, 0xffff, v1
	v_and_b32_e32 v5, 3, v1
	v_ffbh_u32_e32 v8, v5
	v_min_u32_e32 v8, 32, v8
	v_subrev_u32_e32 v10, 29, v8
	v_bfe_u32 v7, v1, 2, 5
	v_lshlrev_b32_e32 v1, v10, v1
	v_sub_u32_e32 v8, 30, v8
	v_and_b32_e32 v1, 3, v1
	v_cmp_eq_u32_e32 vcc, 0, v7
	v_cndmask_b32_e32 v7, v7, v8, vcc
	v_cndmask_b32_e32 v1, v5, v1, vcc
	v_mov_b32_e32 v5, 0x37800000
	v_lshlrev_b32_e32 v1, 21, v1
	v_and_b32_e32 v3, 0x80000000, v3
	v_lshl_add_u32 v5, v7, 23, v5
	v_or3_b32 v1, v3, v5, v1
	v_cvt_i32_f32_e32 v7, v1
.LBB239_1650:
	s_or_b64 exec, exec, s[4:5]
	s_mov_b64 s[4:5], 0
	s_branch .LBB239_1656
.LBB239_1651:
                                        ; implicit-def: $vgpr7
	s_mov_b64 s[6:7], 0
	s_branch .LBB239_1662
.LBB239_1652:
	s_andn2_saveexec_b64 s[4:5], s[4:5]
	s_cbranch_execz .LBB239_1638
.LBB239_1653:
	v_cmp_ne_u16_e32 vcc, 0, v1
	s_andn2_b64 s[16:17], s[16:17], exec
	s_and_b64 s[22:23], vcc, exec
	s_or_b64 s[16:17], s[16:17], s[22:23]
	s_or_b64 exec, exec, s[4:5]
	v_mov_b32_e32 v7, 0
	s_and_saveexec_b64 s[4:5], s[16:17]
	s_cbranch_execnz .LBB239_1639
	s_branch .LBB239_1640
.LBB239_1654:
	s_mov_b64 s[4:5], -1
                                        ; implicit-def: $vgpr7
	s_branch .LBB239_1659
.LBB239_1655:
	s_mov_b64 s[4:5], -1
                                        ; implicit-def: $vgpr7
.LBB239_1656:
	s_and_b64 vcc, exec, s[4:5]
	s_cbranch_vccz .LBB239_1658
; %bb.1657:
	global_load_ubyte v1, v[20:21], off
	s_mov_b32 s4, 0x7f800000
	s_waitcnt vmcnt(0)
	v_lshlrev_b32_e32 v1, 24, v1
	v_and_b32_e32 v3, 0x7f000000, v1
	v_ffbh_u32_e32 v5, v3
	v_min_u32_e32 v5, 32, v5
	v_sub_u32_e64 v5, v5, 4 clamp
	v_lshlrev_b32_e32 v8, v5, v3
	v_lshlrev_b32_e32 v5, 23, v5
	v_lshrrev_b32_e32 v8, 4, v8
	v_add_u32_e32 v7, 0x1000000, v3
	v_sub_u32_e32 v5, v8, v5
	v_ashrrev_i32_e32 v7, 8, v7
	v_add_u32_e32 v5, 0x3c000000, v5
	v_and_or_b32 v5, v7, s4, v5
	v_cmp_ne_u32_e32 vcc, 0, v3
	v_cndmask_b32_e32 v3, 0, v5, vcc
	s_brev_b32 s4, 1
	v_and_or_b32 v1, v1, s4, v3
	v_cvt_i32_f32_e32 v7, v1
.LBB239_1658:
	s_mov_b64 s[4:5], 0
.LBB239_1659:
	s_andn2_b64 vcc, exec, s[4:5]
	s_cbranch_vccnz .LBB239_1661
; %bb.1660:
	global_load_ubyte v1, v[20:21], off
	s_movk_i32 s4, 0x7f00
	s_brev_b32 s5, 16
	s_waitcnt vmcnt(0)
	v_lshlrev_b16_e32 v3, 8, v1
	v_lshlrev_b32_e32 v1, 25, v1
	v_lshrrev_b32_e32 v5, 4, v1
	v_and_or_b32 v7, v3, s4, 0.5
	v_or_b32_e32 v5, 0x70000000, v5
	v_add_f32_e32 v7, -0.5, v7
	v_mul_f32_e32 v5, 0x7800000, v5
	v_cmp_gt_u32_e32 vcc, s5, v1
	v_bfe_i32 v3, v3, 0, 16
	v_cndmask_b32_e32 v1, v5, v7, vcc
	s_brev_b32 s4, 1
	v_and_or_b32 v1, v3, s4, v1
	v_cvt_i32_f32_e32 v7, v1
.LBB239_1661:
	s_mov_b64 s[16:17], -1
	s_mov_b64 s[6:7], 0
	s_cbranch_execnz .LBB239_1672
.LBB239_1662:
	s_cmp_gt_i32 s19, 14
	s_cbranch_scc0 .LBB239_1665
; %bb.1663:
	s_cmp_eq_u32 s19, 15
	s_cbranch_scc0 .LBB239_1668
; %bb.1664:
	global_load_ushort v1, v[20:21], off
	s_mov_b64 s[0:1], 0
	s_mov_b64 s[16:17], -1
	s_waitcnt vmcnt(0)
	v_lshlrev_b32_e32 v1, 16, v1
	v_cvt_i32_f32_e32 v7, v1
	s_branch .LBB239_1669
.LBB239_1665:
	s_mov_b64 s[4:5], -1
                                        ; implicit-def: $vgpr7
	s_branch .LBB239_1670
.LBB239_1666:
	s_andn2_saveexec_b64 s[4:5], s[4:5]
	s_cbranch_execz .LBB239_1648
.LBB239_1667:
	v_cmp_ne_u16_e32 vcc, 0, v1
	s_andn2_b64 s[6:7], s[6:7], exec
	s_and_b64 s[16:17], vcc, exec
	s_or_b64 s[6:7], s[6:7], s[16:17]
	s_or_b64 exec, exec, s[4:5]
	v_mov_b32_e32 v7, 0
	s_and_saveexec_b64 s[4:5], s[6:7]
	s_cbranch_execnz .LBB239_1649
	s_branch .LBB239_1650
.LBB239_1668:
	s_mov_b64 s[0:1], -1
                                        ; implicit-def: $vgpr7
.LBB239_1669:
	s_mov_b64 s[4:5], 0
.LBB239_1670:
	s_and_b64 vcc, exec, s[4:5]
	s_cbranch_vccz .LBB239_1672
; %bb.1671:
	s_cmp_lg_u32 s19, 11
	s_mov_b64 s[6:7], -1
	s_cselect_b64 s[0:1], -1, 0
.LBB239_1672:
	s_and_b64 vcc, exec, s[0:1]
	s_mov_b64 s[4:5], s[12:13]
	s_cbranch_vccnz .LBB239_1733
; %bb.1673:
	s_andn2_b64 vcc, exec, s[6:7]
	s_cbranch_vccnz .LBB239_1675
.LBB239_1674:
	global_load_ubyte v1, v[20:21], off
	s_mov_b64 s[16:17], -1
	s_waitcnt vmcnt(0)
	v_cmp_ne_u16_e32 vcc, 0, v1
	v_cndmask_b32_e64 v7, 0, 1, vcc
.LBB239_1675:
	s_branch .LBB239_1610
.LBB239_1676:
	s_and_b32 s6, 0xffff, s18
	s_cmp_lt_i32 s6, 5
	s_cbranch_scc1 .LBB239_1681
; %bb.1677:
	s_cmp_lt_i32 s6, 8
	s_cbranch_scc1 .LBB239_1682
; %bb.1678:
	;; [unrolled: 3-line block ×3, first 2 shown]
	s_cmp_gt_i32 s6, 9
	s_cbranch_scc0 .LBB239_1684
; %bb.1680:
	global_load_dwordx2 v[7:8], v[20:21], off
	s_mov_b64 s[0:1], 0
	s_waitcnt vmcnt(0)
	v_cvt_i32_f64_e32 v7, v[7:8]
	s_branch .LBB239_1685
.LBB239_1681:
                                        ; implicit-def: $vgpr7
	s_branch .LBB239_1702
.LBB239_1682:
                                        ; implicit-def: $vgpr7
	s_branch .LBB239_1691
.LBB239_1683:
	s_mov_b64 s[0:1], -1
                                        ; implicit-def: $vgpr7
	s_branch .LBB239_1688
.LBB239_1684:
	s_mov_b64 s[0:1], -1
                                        ; implicit-def: $vgpr7
.LBB239_1685:
	s_andn2_b64 vcc, exec, s[0:1]
	s_cbranch_vccnz .LBB239_1687
; %bb.1686:
	global_load_dword v1, v[20:21], off
	s_waitcnt vmcnt(0)
	v_cvt_i32_f32_e32 v7, v1
.LBB239_1687:
	s_mov_b64 s[0:1], 0
.LBB239_1688:
	s_andn2_b64 vcc, exec, s[0:1]
	s_cbranch_vccnz .LBB239_1690
; %bb.1689:
	global_load_dword v1, v[20:21], off
	s_waitcnt vmcnt(0)
	v_cvt_i16_f16_e32 v7, v1
.LBB239_1690:
	s_cbranch_execnz .LBB239_1701
.LBB239_1691:
	s_cmp_lt_i32 s6, 6
	s_cbranch_scc1 .LBB239_1694
; %bb.1692:
	s_cmp_gt_i32 s6, 6
	s_cbranch_scc0 .LBB239_1695
; %bb.1693:
	global_load_dwordx2 v[7:8], v[20:21], off
	s_mov_b64 s[0:1], 0
	s_waitcnt vmcnt(0)
	v_cvt_i32_f64_e32 v7, v[7:8]
	s_branch .LBB239_1696
.LBB239_1694:
	s_mov_b64 s[0:1], -1
                                        ; implicit-def: $vgpr7
	s_branch .LBB239_1699
.LBB239_1695:
	s_mov_b64 s[0:1], -1
                                        ; implicit-def: $vgpr7
.LBB239_1696:
	s_andn2_b64 vcc, exec, s[0:1]
	s_cbranch_vccnz .LBB239_1698
; %bb.1697:
	global_load_dword v1, v[20:21], off
	s_waitcnt vmcnt(0)
	v_cvt_i32_f32_e32 v7, v1
.LBB239_1698:
	s_mov_b64 s[0:1], 0
.LBB239_1699:
	s_andn2_b64 vcc, exec, s[0:1]
	s_cbranch_vccnz .LBB239_1701
; %bb.1700:
	global_load_ushort v1, v[20:21], off
	s_waitcnt vmcnt(0)
	v_cvt_i16_f16_e32 v7, v1
.LBB239_1701:
	s_cbranch_execnz .LBB239_1720
.LBB239_1702:
	s_cmp_lt_i32 s6, 2
	s_cbranch_scc1 .LBB239_1706
; %bb.1703:
	s_cmp_lt_i32 s6, 3
	s_cbranch_scc1 .LBB239_1707
; %bb.1704:
	s_cmp_gt_i32 s6, 3
	s_cbranch_scc0 .LBB239_1708
; %bb.1705:
	global_load_dwordx2 v[7:8], v[20:21], off
	s_mov_b64 s[0:1], 0
	s_branch .LBB239_1709
.LBB239_1706:
                                        ; implicit-def: $vgpr7
	s_branch .LBB239_1715
.LBB239_1707:
	s_mov_b64 s[0:1], -1
                                        ; implicit-def: $vgpr7
	s_branch .LBB239_1712
.LBB239_1708:
	s_mov_b64 s[0:1], -1
                                        ; implicit-def: $vgpr7
.LBB239_1709:
	s_andn2_b64 vcc, exec, s[0:1]
	s_cbranch_vccnz .LBB239_1711
; %bb.1710:
	global_load_dword v7, v[20:21], off
.LBB239_1711:
	s_mov_b64 s[0:1], 0
.LBB239_1712:
	s_andn2_b64 vcc, exec, s[0:1]
	s_cbranch_vccnz .LBB239_1714
; %bb.1713:
	global_load_ushort v7, v[20:21], off
.LBB239_1714:
	s_cbranch_execnz .LBB239_1720
.LBB239_1715:
	s_cmp_gt_i32 s6, 0
	s_cbranch_scc0 .LBB239_1717
; %bb.1716:
	global_load_sbyte v7, v[20:21], off
	s_mov_b64 s[0:1], 0
	s_branch .LBB239_1718
.LBB239_1717:
	s_mov_b64 s[0:1], -1
                                        ; implicit-def: $vgpr7
.LBB239_1718:
	s_andn2_b64 vcc, exec, s[0:1]
	s_cbranch_vccnz .LBB239_1720
; %bb.1719:
	global_load_ubyte v7, v[20:21], off
.LBB239_1720:
.LBB239_1721:
	s_load_dwordx2 s[0:1], s[2:3], 0x198
	s_lshr_b32 s21, s20, 24
	s_cmp_lt_i32 s21, 11
	s_waitcnt lgkmcnt(0)
	v_mov_b32_e32 v1, s1
	v_add_co_u32_e32 v20, vcc, s0, v13
	v_addc_co_u32_e32 v21, vcc, 0, v1, vcc
	s_cbranch_scc1 .LBB239_1728
; %bb.1722:
	s_and_b32 s22, 0xffff, s21
	s_cmp_gt_i32 s22, 25
	s_mov_b64 s[6:7], 0
	s_cbranch_scc0 .LBB239_1730
; %bb.1723:
	s_cmp_gt_i32 s22, 28
	s_cbranch_scc0 .LBB239_1731
; %bb.1724:
	s_cmp_gt_i32 s22, 43
	;; [unrolled: 3-line block ×3, first 2 shown]
	s_cbranch_scc0 .LBB239_1734
; %bb.1726:
	s_cmp_eq_u32 s22, 46
	s_mov_b64 s[18:19], 0
	s_cbranch_scc0 .LBB239_1737
; %bb.1727:
	global_load_dword v1, v[20:21], off
	s_mov_b64 s[2:3], 0
	s_mov_b64 s[16:17], -1
	s_waitcnt vmcnt(0)
	v_lshlrev_b32_e32 v1, 16, v1
	v_cvt_i32_f32_e32 v12, v1
	s_branch .LBB239_1738
.LBB239_1728:
	s_mov_b64 s[16:17], 0
                                        ; implicit-def: $vgpr12
	s_cbranch_execnz .LBB239_1799
.LBB239_1729:
	s_andn2_b64 vcc, exec, s[16:17]
	s_cbranch_vccnz .LBB239_3036
	s_branch .LBB239_1846
.LBB239_1730:
	s_mov_b64 s[16:17], 0
	s_mov_b64 s[2:3], 0
                                        ; implicit-def: $vgpr12
	s_cbranch_execnz .LBB239_1765
	s_branch .LBB239_1795
.LBB239_1731:
	s_mov_b64 s[18:19], -1
	s_mov_b64 s[16:17], 0
	s_mov_b64 s[2:3], 0
                                        ; implicit-def: $vgpr12
	s_branch .LBB239_1748
.LBB239_1732:
	s_mov_b64 s[18:19], -1
	s_mov_b64 s[16:17], 0
	s_mov_b64 s[2:3], 0
                                        ; implicit-def: $vgpr12
	s_branch .LBB239_1743
.LBB239_1733:
	s_or_b64 s[4:5], s[12:13], exec
	s_trap 2
	s_cbranch_execz .LBB239_1674
	s_branch .LBB239_1675
.LBB239_1734:
	s_mov_b64 s[18:19], -1
	s_mov_b64 s[16:17], 0
	s_mov_b64 s[2:3], 0
                                        ; implicit-def: $vgpr12
	s_branch .LBB239_1738
.LBB239_1735:
	s_andn2_saveexec_b64 s[18:19], s[18:19]
	s_cbranch_execz .LBB239_1482
.LBB239_1736:
	s_mov_b32 s26, 0x42800000
	v_add_f32_e64 v1, |v0|, s26
	v_and_b32_e32 v1, 0xff, v1
	v_cmp_ne_u32_e32 vcc, 0, v1
	s_andn2_b64 s[16:17], s[16:17], exec
	s_and_b64 s[26:27], vcc, exec
	s_or_b64 s[16:17], s[16:17], s[26:27]
	s_or_b64 exec, exec, s[18:19]
	v_mov_b32_e32 v5, 0
	s_and_saveexec_b64 s[18:19], s[16:17]
	s_cbranch_execnz .LBB239_1483
	s_branch .LBB239_1484
.LBB239_1737:
	s_mov_b64 s[2:3], -1
                                        ; implicit-def: $vgpr12
	s_mov_b64 s[16:17], 0
.LBB239_1738:
	s_and_b64 vcc, exec, s[18:19]
	s_cbranch_vccz .LBB239_1742
; %bb.1739:
	s_cmp_eq_u32 s22, 44
	s_cbranch_scc0 .LBB239_1741
; %bb.1740:
	global_load_ubyte v1, v[20:21], off
	s_mov_b64 s[2:3], 0
	s_mov_b64 s[16:17], -1
	s_waitcnt vmcnt(0)
	v_lshlrev_b32_e32 v3, 23, v1
	v_cvt_i32_f32_e32 v3, v3
	v_cmp_ne_u32_e32 vcc, 0, v1
	v_cndmask_b32_e32 v12, 0, v3, vcc
	s_branch .LBB239_1742
.LBB239_1741:
	s_mov_b64 s[2:3], -1
                                        ; implicit-def: $vgpr12
.LBB239_1742:
	s_mov_b64 s[18:19], 0
.LBB239_1743:
	s_and_b64 vcc, exec, s[18:19]
	s_cbranch_vccz .LBB239_1747
; %bb.1744:
	s_cmp_eq_u32 s22, 29
	s_cbranch_scc0 .LBB239_1746
; %bb.1745:
	global_load_dwordx2 v[12:13], v[20:21], off
	s_mov_b64 s[2:3], 0
	s_mov_b64 s[16:17], -1
	s_branch .LBB239_1747
.LBB239_1746:
	s_mov_b64 s[2:3], -1
                                        ; implicit-def: $vgpr12
.LBB239_1747:
	s_mov_b64 s[18:19], 0
.LBB239_1748:
	s_and_b64 vcc, exec, s[18:19]
	s_cbranch_vccz .LBB239_1764
; %bb.1749:
	s_cmp_lt_i32 s22, 27
	s_cbranch_scc1 .LBB239_1752
; %bb.1750:
	s_cmp_gt_i32 s22, 27
	s_cbranch_scc0 .LBB239_1753
; %bb.1751:
	global_load_dword v12, v[20:21], off
	s_mov_b64 s[16:17], 0
	s_branch .LBB239_1754
.LBB239_1752:
	s_mov_b64 s[16:17], -1
                                        ; implicit-def: $vgpr12
	s_branch .LBB239_1757
.LBB239_1753:
	s_mov_b64 s[16:17], -1
                                        ; implicit-def: $vgpr12
.LBB239_1754:
	s_andn2_b64 vcc, exec, s[16:17]
	s_cbranch_vccnz .LBB239_1756
; %bb.1755:
	global_load_ushort v12, v[20:21], off
.LBB239_1756:
	s_mov_b64 s[16:17], 0
.LBB239_1757:
	s_andn2_b64 vcc, exec, s[16:17]
	s_cbranch_vccnz .LBB239_1763
; %bb.1758:
	global_load_ubyte v1, v[20:21], off
	s_movk_i32 s16, 0x7f
	s_mov_b64 s[18:19], 0
	s_waitcnt vmcnt(0)
	v_cmp_lt_i16_e32 vcc, s16, v1
	s_and_saveexec_b64 s[16:17], vcc
	s_xor_b64 s[16:17], exec, s[16:17]
	s_cbranch_execz .LBB239_1774
; %bb.1759:
	s_movk_i32 s18, 0x80
	v_cmp_ne_u16_e32 vcc, s18, v1
	s_and_b64 s[18:19], vcc, exec
	s_andn2_saveexec_b64 s[16:17], s[16:17]
	s_cbranch_execnz .LBB239_1775
.LBB239_1760:
	s_or_b64 exec, exec, s[16:17]
	v_mov_b32_e32 v12, 0
	s_and_saveexec_b64 s[16:17], s[18:19]
	s_cbranch_execz .LBB239_1762
.LBB239_1761:
	v_lshlrev_b32_e32 v3, 24, v1
	v_and_b32_e32 v1, 0xffff, v1
	v_and_b32_e32 v5, 7, v1
	v_ffbh_u32_e32 v10, v5
	v_min_u32_e32 v10, 32, v10
	v_subrev_u32_e32 v12, 28, v10
	v_bfe_u32 v8, v1, 3, 4
	v_lshlrev_b32_e32 v1, v12, v1
	v_sub_u32_e32 v10, 29, v10
	v_and_b32_e32 v1, 7, v1
	v_cmp_eq_u32_e32 vcc, 0, v8
	v_cndmask_b32_e32 v8, v8, v10, vcc
	v_cndmask_b32_e32 v1, v5, v1, vcc
	v_mov_b32_e32 v5, 0x3b800000
	v_lshlrev_b32_e32 v1, 20, v1
	v_and_b32_e32 v3, 0x80000000, v3
	v_lshl_add_u32 v5, v8, 23, v5
	v_or3_b32 v1, v3, v5, v1
	v_cvt_i32_f32_e32 v12, v1
.LBB239_1762:
	s_or_b64 exec, exec, s[16:17]
.LBB239_1763:
	s_mov_b64 s[16:17], -1
.LBB239_1764:
	s_branch .LBB239_1795
.LBB239_1765:
	s_cmp_gt_i32 s22, 22
	s_cbranch_scc0 .LBB239_1773
; %bb.1766:
	s_cmp_lt_i32 s22, 24
	s_cbranch_scc1 .LBB239_1776
; %bb.1767:
	s_cmp_gt_i32 s22, 24
	s_cbranch_scc0 .LBB239_1777
; %bb.1768:
	global_load_ubyte v1, v[20:21], off
	s_movk_i32 s6, 0x7f
	s_mov_b64 s[16:17], 0
	s_waitcnt vmcnt(0)
	v_cmp_lt_i16_e32 vcc, s6, v1
	s_and_saveexec_b64 s[6:7], vcc
	s_xor_b64 s[6:7], exec, s[6:7]
	s_cbranch_execz .LBB239_1789
; %bb.1769:
	s_movk_i32 s16, 0x80
	v_cmp_ne_u16_e32 vcc, s16, v1
	s_and_b64 s[16:17], vcc, exec
	s_andn2_saveexec_b64 s[6:7], s[6:7]
	s_cbranch_execnz .LBB239_1790
.LBB239_1770:
	s_or_b64 exec, exec, s[6:7]
	v_mov_b32_e32 v12, 0
	s_and_saveexec_b64 s[6:7], s[16:17]
	s_cbranch_execz .LBB239_1772
.LBB239_1771:
	v_lshlrev_b32_e32 v3, 24, v1
	v_and_b32_e32 v1, 0xffff, v1
	v_and_b32_e32 v5, 3, v1
	v_ffbh_u32_e32 v10, v5
	v_min_u32_e32 v10, 32, v10
	v_subrev_u32_e32 v12, 29, v10
	v_bfe_u32 v8, v1, 2, 5
	v_lshlrev_b32_e32 v1, v12, v1
	v_sub_u32_e32 v10, 30, v10
	v_and_b32_e32 v1, 3, v1
	v_cmp_eq_u32_e32 vcc, 0, v8
	v_cndmask_b32_e32 v8, v8, v10, vcc
	v_cndmask_b32_e32 v1, v5, v1, vcc
	v_mov_b32_e32 v5, 0x37800000
	v_lshlrev_b32_e32 v1, 21, v1
	v_and_b32_e32 v3, 0x80000000, v3
	v_lshl_add_u32 v5, v8, 23, v5
	v_or3_b32 v1, v3, v5, v1
	v_cvt_i32_f32_e32 v12, v1
.LBB239_1772:
	s_or_b64 exec, exec, s[6:7]
	s_mov_b64 s[6:7], 0
	s_branch .LBB239_1778
.LBB239_1773:
	s_mov_b64 s[6:7], -1
                                        ; implicit-def: $vgpr12
	s_branch .LBB239_1784
.LBB239_1774:
	s_andn2_saveexec_b64 s[16:17], s[16:17]
	s_cbranch_execz .LBB239_1760
.LBB239_1775:
	v_cmp_ne_u16_e32 vcc, 0, v1
	s_andn2_b64 s[18:19], s[18:19], exec
	s_and_b64 s[24:25], vcc, exec
	s_or_b64 s[18:19], s[18:19], s[24:25]
	s_or_b64 exec, exec, s[16:17]
	v_mov_b32_e32 v12, 0
	s_and_saveexec_b64 s[16:17], s[18:19]
	s_cbranch_execnz .LBB239_1761
	s_branch .LBB239_1762
.LBB239_1776:
	s_mov_b64 s[6:7], -1
                                        ; implicit-def: $vgpr12
	s_branch .LBB239_1781
.LBB239_1777:
	s_mov_b64 s[6:7], -1
                                        ; implicit-def: $vgpr12
.LBB239_1778:
	s_and_b64 vcc, exec, s[6:7]
	s_cbranch_vccz .LBB239_1780
; %bb.1779:
	global_load_ubyte v1, v[20:21], off
	s_mov_b32 s6, 0x7f800000
	s_waitcnt vmcnt(0)
	v_lshlrev_b32_e32 v1, 24, v1
	v_and_b32_e32 v3, 0x7f000000, v1
	v_ffbh_u32_e32 v5, v3
	v_min_u32_e32 v5, 32, v5
	v_sub_u32_e64 v5, v5, 4 clamp
	v_lshlrev_b32_e32 v10, v5, v3
	v_lshlrev_b32_e32 v5, 23, v5
	v_lshrrev_b32_e32 v10, 4, v10
	v_add_u32_e32 v8, 0x1000000, v3
	v_sub_u32_e32 v5, v10, v5
	v_ashrrev_i32_e32 v8, 8, v8
	v_add_u32_e32 v5, 0x3c000000, v5
	v_and_or_b32 v5, v8, s6, v5
	v_cmp_ne_u32_e32 vcc, 0, v3
	v_cndmask_b32_e32 v3, 0, v5, vcc
	s_brev_b32 s6, 1
	v_and_or_b32 v1, v1, s6, v3
	v_cvt_i32_f32_e32 v12, v1
.LBB239_1780:
	s_mov_b64 s[6:7], 0
.LBB239_1781:
	s_andn2_b64 vcc, exec, s[6:7]
	s_cbranch_vccnz .LBB239_1783
; %bb.1782:
	global_load_ubyte v1, v[20:21], off
	s_movk_i32 s6, 0x7f00
	s_brev_b32 s7, 16
	s_waitcnt vmcnt(0)
	v_lshlrev_b16_e32 v3, 8, v1
	v_lshlrev_b32_e32 v1, 25, v1
	v_lshrrev_b32_e32 v5, 4, v1
	v_and_or_b32 v8, v3, s6, 0.5
	v_or_b32_e32 v5, 0x70000000, v5
	v_add_f32_e32 v8, -0.5, v8
	v_mul_f32_e32 v5, 0x7800000, v5
	v_cmp_gt_u32_e32 vcc, s7, v1
	v_bfe_i32 v3, v3, 0, 16
	v_cndmask_b32_e32 v1, v5, v8, vcc
	s_brev_b32 s6, 1
	v_and_or_b32 v1, v3, s6, v1
	v_cvt_i32_f32_e32 v12, v1
.LBB239_1783:
	s_mov_b64 s[6:7], 0
	s_mov_b64 s[16:17], -1
.LBB239_1784:
	s_andn2_b64 vcc, exec, s[6:7]
	s_mov_b64 s[6:7], 0
	s_cbranch_vccnz .LBB239_1795
; %bb.1785:
	s_cmp_gt_i32 s22, 14
	s_cbranch_scc0 .LBB239_1788
; %bb.1786:
	s_cmp_eq_u32 s22, 15
	s_cbranch_scc0 .LBB239_1791
; %bb.1787:
	global_load_ushort v1, v[20:21], off
	s_mov_b64 s[2:3], 0
	s_mov_b64 s[16:17], -1
	s_waitcnt vmcnt(0)
	v_lshlrev_b32_e32 v1, 16, v1
	v_cvt_i32_f32_e32 v12, v1
	s_branch .LBB239_1792
.LBB239_1788:
	s_mov_b64 s[18:19], -1
                                        ; implicit-def: $vgpr12
	s_branch .LBB239_1793
.LBB239_1789:
	s_andn2_saveexec_b64 s[6:7], s[6:7]
	s_cbranch_execz .LBB239_1770
.LBB239_1790:
	v_cmp_ne_u16_e32 vcc, 0, v1
	s_andn2_b64 s[16:17], s[16:17], exec
	s_and_b64 s[18:19], vcc, exec
	s_or_b64 s[16:17], s[16:17], s[18:19]
	s_or_b64 exec, exec, s[6:7]
	v_mov_b32_e32 v12, 0
	s_and_saveexec_b64 s[6:7], s[16:17]
	s_cbranch_execnz .LBB239_1771
	s_branch .LBB239_1772
.LBB239_1791:
	s_mov_b64 s[2:3], -1
                                        ; implicit-def: $vgpr12
.LBB239_1792:
	s_mov_b64 s[18:19], 0
.LBB239_1793:
	s_and_b64 vcc, exec, s[18:19]
	s_cbranch_vccz .LBB239_1795
; %bb.1794:
	s_cmp_lg_u32 s22, 11
	s_mov_b64 s[6:7], -1
	s_cselect_b64 s[2:3], -1, 0
.LBB239_1795:
	s_and_b64 vcc, exec, s[2:3]
	s_cbranch_vccnz .LBB239_1858
; %bb.1796:
	s_andn2_b64 vcc, exec, s[6:7]
	s_cbranch_vccnz .LBB239_1798
.LBB239_1797:
	global_load_ubyte v1, v[20:21], off
	s_mov_b64 s[16:17], -1
	s_waitcnt vmcnt(0)
	v_cmp_ne_u16_e32 vcc, 0, v1
	v_cndmask_b32_e64 v12, 0, 1, vcc
.LBB239_1798:
	s_branch .LBB239_1729
.LBB239_1799:
	s_and_b32 s6, 0xffff, s21
	s_cmp_lt_i32 s6, 5
	s_cbranch_scc1 .LBB239_1804
; %bb.1800:
	s_cmp_lt_i32 s6, 8
	s_cbranch_scc1 .LBB239_1805
; %bb.1801:
	;; [unrolled: 3-line block ×3, first 2 shown]
	s_cmp_gt_i32 s6, 9
	s_cbranch_scc0 .LBB239_1807
; %bb.1803:
	global_load_dwordx2 v[12:13], v[20:21], off
	s_mov_b64 s[2:3], 0
	s_waitcnt vmcnt(0)
	v_cvt_i32_f64_e32 v12, v[12:13]
	s_branch .LBB239_1808
.LBB239_1804:
                                        ; implicit-def: $vgpr12
	s_branch .LBB239_1826
.LBB239_1805:
	s_mov_b64 s[2:3], -1
                                        ; implicit-def: $vgpr12
	s_branch .LBB239_1814
.LBB239_1806:
	s_mov_b64 s[2:3], -1
                                        ; implicit-def: $vgpr12
	s_branch .LBB239_1811
.LBB239_1807:
	s_mov_b64 s[2:3], -1
                                        ; implicit-def: $vgpr12
.LBB239_1808:
	s_andn2_b64 vcc, exec, s[2:3]
	s_cbranch_vccnz .LBB239_1810
; %bb.1809:
	global_load_dword v1, v[20:21], off
	s_waitcnt vmcnt(0)
	v_cvt_i32_f32_e32 v12, v1
.LBB239_1810:
	s_mov_b64 s[2:3], 0
.LBB239_1811:
	s_andn2_b64 vcc, exec, s[2:3]
	s_cbranch_vccnz .LBB239_1813
; %bb.1812:
	global_load_dword v1, v[20:21], off
	s_waitcnt vmcnt(0)
	v_cvt_i16_f16_e32 v12, v1
.LBB239_1813:
	s_mov_b64 s[2:3], 0
.LBB239_1814:
	s_andn2_b64 vcc, exec, s[2:3]
	s_cbranch_vccnz .LBB239_1825
; %bb.1815:
	s_cmp_lt_i32 s6, 6
	s_cbranch_scc1 .LBB239_1818
; %bb.1816:
	s_cmp_gt_i32 s6, 6
	s_cbranch_scc0 .LBB239_1819
; %bb.1817:
	global_load_dwordx2 v[12:13], v[20:21], off
	s_mov_b64 s[2:3], 0
	s_waitcnt vmcnt(0)
	v_cvt_i32_f64_e32 v12, v[12:13]
	s_branch .LBB239_1820
.LBB239_1818:
	s_mov_b64 s[2:3], -1
                                        ; implicit-def: $vgpr12
	s_branch .LBB239_1823
.LBB239_1819:
	s_mov_b64 s[2:3], -1
                                        ; implicit-def: $vgpr12
.LBB239_1820:
	s_andn2_b64 vcc, exec, s[2:3]
	s_cbranch_vccnz .LBB239_1822
; %bb.1821:
	global_load_dword v1, v[20:21], off
	s_waitcnt vmcnt(0)
	v_cvt_i32_f32_e32 v12, v1
.LBB239_1822:
	s_mov_b64 s[2:3], 0
.LBB239_1823:
	s_andn2_b64 vcc, exec, s[2:3]
	s_cbranch_vccnz .LBB239_1825
; %bb.1824:
	global_load_ushort v1, v[20:21], off
	s_waitcnt vmcnt(0)
	v_cvt_i16_f16_e32 v12, v1
.LBB239_1825:
	s_cbranch_execnz .LBB239_1845
.LBB239_1826:
	s_cmp_lt_i32 s6, 2
	s_cbranch_scc1 .LBB239_1830
; %bb.1827:
	s_cmp_lt_i32 s6, 3
	s_cbranch_scc1 .LBB239_1831
; %bb.1828:
	s_cmp_gt_i32 s6, 3
	s_cbranch_scc0 .LBB239_1832
; %bb.1829:
	global_load_dwordx2 v[12:13], v[20:21], off
	s_mov_b64 s[2:3], 0
	s_branch .LBB239_1833
.LBB239_1830:
	s_mov_b64 s[2:3], -1
                                        ; implicit-def: $vgpr12
	s_branch .LBB239_1839
.LBB239_1831:
	s_mov_b64 s[2:3], -1
                                        ; implicit-def: $vgpr12
	s_branch .LBB239_1836
.LBB239_1832:
	s_mov_b64 s[2:3], -1
                                        ; implicit-def: $vgpr12
.LBB239_1833:
	s_andn2_b64 vcc, exec, s[2:3]
	s_cbranch_vccnz .LBB239_1835
; %bb.1834:
	global_load_dword v12, v[20:21], off
.LBB239_1835:
	s_mov_b64 s[2:3], 0
.LBB239_1836:
	s_andn2_b64 vcc, exec, s[2:3]
	s_cbranch_vccnz .LBB239_1838
; %bb.1837:
	global_load_ushort v12, v[20:21], off
.LBB239_1838:
	s_mov_b64 s[2:3], 0
.LBB239_1839:
	s_andn2_b64 vcc, exec, s[2:3]
	s_cbranch_vccnz .LBB239_1845
; %bb.1840:
	s_cmp_gt_i32 s6, 0
	s_cbranch_scc0 .LBB239_1842
; %bb.1841:
	global_load_sbyte v12, v[20:21], off
	s_mov_b64 s[2:3], 0
	s_branch .LBB239_1843
.LBB239_1842:
	s_mov_b64 s[2:3], -1
                                        ; implicit-def: $vgpr12
.LBB239_1843:
	s_andn2_b64 vcc, exec, s[2:3]
	s_cbranch_vccnz .LBB239_1845
; %bb.1844:
	global_load_ubyte v12, v[20:21], off
.LBB239_1845:
.LBB239_1846:
	s_lshr_b32 s2, s20, 16
	v_mov_b32_e32 v1, s11
	s_and_b32 s22, s2, 0xff
	v_add_co_u32_e32 v20, vcc, s10, v11
	s_cmp_lt_i32 s22, 11
	v_addc_co_u32_e32 v21, vcc, 0, v1, vcc
	s_cbranch_scc1 .LBB239_1853
; %bb.1847:
	s_and_b32 s23, 0xffff, s22
	s_cmp_gt_i32 s23, 25
	s_mov_b64 s[6:7], 0
	s_cbranch_scc0 .LBB239_1855
; %bb.1848:
	s_cmp_gt_i32 s23, 28
	s_cbranch_scc0 .LBB239_1856
; %bb.1849:
	s_cmp_gt_i32 s23, 43
	;; [unrolled: 3-line block ×3, first 2 shown]
	s_cbranch_scc0 .LBB239_1859
; %bb.1851:
	s_cmp_eq_u32 s23, 46
	s_mov_b64 s[18:19], 0
	s_cbranch_scc0 .LBB239_1860
; %bb.1852:
	global_load_dword v1, v[20:21], off
	s_mov_b64 s[2:3], 0
	s_mov_b64 s[16:17], -1
	s_waitcnt vmcnt(0)
	v_lshlrev_b32_e32 v1, 16, v1
	v_cvt_i32_f32_e32 v10, v1
	s_branch .LBB239_1861
.LBB239_1853:
	s_mov_b64 s[16:17], 0
                                        ; implicit-def: $vgpr10
	s_cbranch_execnz .LBB239_1923
.LBB239_1854:
	s_andn2_b64 vcc, exec, s[16:17]
	s_cbranch_vccnz .LBB239_3036
	s_branch .LBB239_1971
.LBB239_1855:
	s_mov_b64 s[18:19], -1
	s_mov_b64 s[16:17], 0
	s_mov_b64 s[2:3], 0
                                        ; implicit-def: $vgpr10
	s_branch .LBB239_1888
.LBB239_1856:
	s_mov_b64 s[18:19], -1
	s_mov_b64 s[16:17], 0
	s_mov_b64 s[2:3], 0
                                        ; implicit-def: $vgpr10
	s_branch .LBB239_1871
.LBB239_1857:
	s_mov_b64 s[18:19], -1
	s_mov_b64 s[16:17], 0
	s_mov_b64 s[2:3], 0
                                        ; implicit-def: $vgpr10
	s_branch .LBB239_1866
.LBB239_1858:
	s_trap 2
	s_or_b64 s[4:5], s[4:5], exec
	s_cbranch_execz .LBB239_1797
	s_branch .LBB239_1798
.LBB239_1859:
	s_mov_b64 s[18:19], -1
	s_mov_b64 s[16:17], 0
	s_mov_b64 s[2:3], 0
                                        ; implicit-def: $vgpr10
	s_branch .LBB239_1861
.LBB239_1860:
	s_mov_b64 s[2:3], -1
                                        ; implicit-def: $vgpr10
	s_mov_b64 s[16:17], 0
.LBB239_1861:
	s_and_b64 vcc, exec, s[18:19]
	s_cbranch_vccz .LBB239_1865
; %bb.1862:
	s_cmp_eq_u32 s23, 44
	s_cbranch_scc0 .LBB239_1864
; %bb.1863:
	global_load_ubyte v1, v[20:21], off
	s_mov_b64 s[2:3], 0
	s_mov_b64 s[16:17], -1
	s_waitcnt vmcnt(0)
	v_lshlrev_b32_e32 v3, 23, v1
	v_cvt_i32_f32_e32 v3, v3
	v_cmp_ne_u32_e32 vcc, 0, v1
	v_cndmask_b32_e32 v10, 0, v3, vcc
	s_branch .LBB239_1865
.LBB239_1864:
	s_mov_b64 s[2:3], -1
                                        ; implicit-def: $vgpr10
.LBB239_1865:
	s_mov_b64 s[18:19], 0
.LBB239_1866:
	s_and_b64 vcc, exec, s[18:19]
	s_cbranch_vccz .LBB239_1870
; %bb.1867:
	s_cmp_eq_u32 s23, 29
	s_cbranch_scc0 .LBB239_1869
; %bb.1868:
	global_load_dwordx2 v[10:11], v[20:21], off
	s_mov_b64 s[2:3], 0
	s_mov_b64 s[16:17], -1
	s_branch .LBB239_1870
.LBB239_1869:
	s_mov_b64 s[2:3], -1
                                        ; implicit-def: $vgpr10
.LBB239_1870:
	s_mov_b64 s[18:19], 0
.LBB239_1871:
	s_and_b64 vcc, exec, s[18:19]
	s_cbranch_vccz .LBB239_1887
; %bb.1872:
	s_cmp_lt_i32 s23, 27
	s_cbranch_scc1 .LBB239_1875
; %bb.1873:
	s_cmp_gt_i32 s23, 27
	s_cbranch_scc0 .LBB239_1876
; %bb.1874:
	global_load_dword v10, v[20:21], off
	s_mov_b64 s[16:17], 0
	s_branch .LBB239_1877
.LBB239_1875:
	s_mov_b64 s[16:17], -1
                                        ; implicit-def: $vgpr10
	s_branch .LBB239_1880
.LBB239_1876:
	s_mov_b64 s[16:17], -1
                                        ; implicit-def: $vgpr10
.LBB239_1877:
	s_andn2_b64 vcc, exec, s[16:17]
	s_cbranch_vccnz .LBB239_1879
; %bb.1878:
	global_load_ushort v10, v[20:21], off
.LBB239_1879:
	s_mov_b64 s[16:17], 0
.LBB239_1880:
	s_andn2_b64 vcc, exec, s[16:17]
	s_cbranch_vccnz .LBB239_1886
; %bb.1881:
	global_load_ubyte v1, v[20:21], off
	s_movk_i32 s16, 0x7f
	s_mov_b64 s[18:19], 0
	s_waitcnt vmcnt(0)
	v_cmp_lt_i16_e32 vcc, s16, v1
	s_and_saveexec_b64 s[16:17], vcc
	s_xor_b64 s[16:17], exec, s[16:17]
	s_cbranch_execz .LBB239_1898
; %bb.1882:
	s_movk_i32 s18, 0x80
	v_cmp_ne_u16_e32 vcc, s18, v1
	s_and_b64 s[18:19], vcc, exec
	s_andn2_saveexec_b64 s[16:17], s[16:17]
	s_cbranch_execnz .LBB239_1899
.LBB239_1883:
	s_or_b64 exec, exec, s[16:17]
	v_mov_b32_e32 v10, 0
	s_and_saveexec_b64 s[16:17], s[18:19]
	s_cbranch_execz .LBB239_1885
.LBB239_1884:
	v_lshlrev_b32_e32 v3, 24, v1
	v_and_b32_e32 v1, 0xffff, v1
	v_and_b32_e32 v5, 7, v1
	v_ffbh_u32_e32 v10, v5
	v_min_u32_e32 v10, 32, v10
	v_subrev_u32_e32 v11, 28, v10
	v_bfe_u32 v8, v1, 3, 4
	v_lshlrev_b32_e32 v1, v11, v1
	v_sub_u32_e32 v10, 29, v10
	v_and_b32_e32 v1, 7, v1
	v_cmp_eq_u32_e32 vcc, 0, v8
	v_cndmask_b32_e32 v8, v8, v10, vcc
	v_cndmask_b32_e32 v1, v5, v1, vcc
	v_mov_b32_e32 v5, 0x3b800000
	v_lshlrev_b32_e32 v1, 20, v1
	v_and_b32_e32 v3, 0x80000000, v3
	v_lshl_add_u32 v5, v8, 23, v5
	v_or3_b32 v1, v3, v5, v1
	v_cvt_i32_f32_e32 v10, v1
.LBB239_1885:
	s_or_b64 exec, exec, s[16:17]
.LBB239_1886:
	s_mov_b64 s[16:17], -1
.LBB239_1887:
	s_mov_b64 s[18:19], 0
.LBB239_1888:
	s_and_b64 vcc, exec, s[18:19]
	s_cbranch_vccz .LBB239_1919
; %bb.1889:
	s_cmp_gt_i32 s23, 22
	s_cbranch_scc0 .LBB239_1897
; %bb.1890:
	s_cmp_lt_i32 s23, 24
	s_cbranch_scc1 .LBB239_1900
; %bb.1891:
	s_cmp_gt_i32 s23, 24
	s_cbranch_scc0 .LBB239_1901
; %bb.1892:
	global_load_ubyte v1, v[20:21], off
	s_movk_i32 s6, 0x7f
	s_mov_b64 s[16:17], 0
	s_waitcnt vmcnt(0)
	v_cmp_lt_i16_e32 vcc, s6, v1
	s_and_saveexec_b64 s[6:7], vcc
	s_xor_b64 s[6:7], exec, s[6:7]
	s_cbranch_execz .LBB239_1913
; %bb.1893:
	s_movk_i32 s16, 0x80
	v_cmp_ne_u16_e32 vcc, s16, v1
	s_and_b64 s[16:17], vcc, exec
	s_andn2_saveexec_b64 s[6:7], s[6:7]
	s_cbranch_execnz .LBB239_1914
.LBB239_1894:
	s_or_b64 exec, exec, s[6:7]
	v_mov_b32_e32 v10, 0
	s_and_saveexec_b64 s[6:7], s[16:17]
	s_cbranch_execz .LBB239_1896
.LBB239_1895:
	v_lshlrev_b32_e32 v3, 24, v1
	v_and_b32_e32 v1, 0xffff, v1
	v_and_b32_e32 v5, 3, v1
	v_ffbh_u32_e32 v10, v5
	v_min_u32_e32 v10, 32, v10
	v_subrev_u32_e32 v11, 29, v10
	v_bfe_u32 v8, v1, 2, 5
	v_lshlrev_b32_e32 v1, v11, v1
	v_sub_u32_e32 v10, 30, v10
	v_and_b32_e32 v1, 3, v1
	v_cmp_eq_u32_e32 vcc, 0, v8
	v_cndmask_b32_e32 v8, v8, v10, vcc
	v_cndmask_b32_e32 v1, v5, v1, vcc
	v_mov_b32_e32 v5, 0x37800000
	v_lshlrev_b32_e32 v1, 21, v1
	v_and_b32_e32 v3, 0x80000000, v3
	v_lshl_add_u32 v5, v8, 23, v5
	v_or3_b32 v1, v3, v5, v1
	v_cvt_i32_f32_e32 v10, v1
.LBB239_1896:
	s_or_b64 exec, exec, s[6:7]
	s_mov_b64 s[6:7], 0
	s_branch .LBB239_1902
.LBB239_1897:
	s_mov_b64 s[6:7], -1
                                        ; implicit-def: $vgpr10
	s_branch .LBB239_1908
.LBB239_1898:
	s_andn2_saveexec_b64 s[16:17], s[16:17]
	s_cbranch_execz .LBB239_1883
.LBB239_1899:
	v_cmp_ne_u16_e32 vcc, 0, v1
	s_andn2_b64 s[18:19], s[18:19], exec
	s_and_b64 s[24:25], vcc, exec
	s_or_b64 s[18:19], s[18:19], s[24:25]
	s_or_b64 exec, exec, s[16:17]
	v_mov_b32_e32 v10, 0
	s_and_saveexec_b64 s[16:17], s[18:19]
	s_cbranch_execnz .LBB239_1884
	s_branch .LBB239_1885
.LBB239_1900:
	s_mov_b64 s[6:7], -1
                                        ; implicit-def: $vgpr10
	s_branch .LBB239_1905
.LBB239_1901:
	s_mov_b64 s[6:7], -1
                                        ; implicit-def: $vgpr10
.LBB239_1902:
	s_and_b64 vcc, exec, s[6:7]
	s_cbranch_vccz .LBB239_1904
; %bb.1903:
	global_load_ubyte v1, v[20:21], off
	s_mov_b32 s6, 0x7f800000
	s_waitcnt vmcnt(0)
	v_lshlrev_b32_e32 v1, 24, v1
	v_and_b32_e32 v3, 0x7f000000, v1
	v_ffbh_u32_e32 v5, v3
	v_min_u32_e32 v5, 32, v5
	v_sub_u32_e64 v5, v5, 4 clamp
	v_lshlrev_b32_e32 v10, v5, v3
	v_lshlrev_b32_e32 v5, 23, v5
	v_lshrrev_b32_e32 v10, 4, v10
	v_add_u32_e32 v8, 0x1000000, v3
	v_sub_u32_e32 v5, v10, v5
	v_ashrrev_i32_e32 v8, 8, v8
	v_add_u32_e32 v5, 0x3c000000, v5
	v_and_or_b32 v5, v8, s6, v5
	v_cmp_ne_u32_e32 vcc, 0, v3
	v_cndmask_b32_e32 v3, 0, v5, vcc
	s_brev_b32 s6, 1
	v_and_or_b32 v1, v1, s6, v3
	v_cvt_i32_f32_e32 v10, v1
.LBB239_1904:
	s_mov_b64 s[6:7], 0
.LBB239_1905:
	s_andn2_b64 vcc, exec, s[6:7]
	s_cbranch_vccnz .LBB239_1907
; %bb.1906:
	global_load_ubyte v1, v[20:21], off
	s_movk_i32 s6, 0x7f00
	s_brev_b32 s7, 16
	s_waitcnt vmcnt(0)
	v_lshlrev_b16_e32 v3, 8, v1
	v_lshlrev_b32_e32 v1, 25, v1
	v_lshrrev_b32_e32 v5, 4, v1
	v_and_or_b32 v8, v3, s6, 0.5
	v_or_b32_e32 v5, 0x70000000, v5
	v_add_f32_e32 v8, -0.5, v8
	v_mul_f32_e32 v5, 0x7800000, v5
	v_cmp_gt_u32_e32 vcc, s7, v1
	v_bfe_i32 v3, v3, 0, 16
	v_cndmask_b32_e32 v1, v5, v8, vcc
	s_brev_b32 s6, 1
	v_and_or_b32 v1, v3, s6, v1
	v_cvt_i32_f32_e32 v10, v1
.LBB239_1907:
	s_mov_b64 s[6:7], 0
	s_mov_b64 s[16:17], -1
.LBB239_1908:
	s_andn2_b64 vcc, exec, s[6:7]
	s_mov_b64 s[6:7], 0
	s_cbranch_vccnz .LBB239_1919
; %bb.1909:
	s_cmp_gt_i32 s23, 14
	s_cbranch_scc0 .LBB239_1912
; %bb.1910:
	s_cmp_eq_u32 s23, 15
	s_cbranch_scc0 .LBB239_1915
; %bb.1911:
	global_load_ushort v1, v[20:21], off
	s_mov_b64 s[2:3], 0
	s_mov_b64 s[16:17], -1
	s_waitcnt vmcnt(0)
	v_lshlrev_b32_e32 v1, 16, v1
	v_cvt_i32_f32_e32 v10, v1
	s_branch .LBB239_1916
.LBB239_1912:
	s_mov_b64 s[18:19], -1
                                        ; implicit-def: $vgpr10
	s_branch .LBB239_1917
.LBB239_1913:
	s_andn2_saveexec_b64 s[6:7], s[6:7]
	s_cbranch_execz .LBB239_1894
.LBB239_1914:
	v_cmp_ne_u16_e32 vcc, 0, v1
	s_andn2_b64 s[16:17], s[16:17], exec
	s_and_b64 s[18:19], vcc, exec
	s_or_b64 s[16:17], s[16:17], s[18:19]
	s_or_b64 exec, exec, s[6:7]
	v_mov_b32_e32 v10, 0
	s_and_saveexec_b64 s[6:7], s[16:17]
	s_cbranch_execnz .LBB239_1895
	s_branch .LBB239_1896
.LBB239_1915:
	s_mov_b64 s[2:3], -1
                                        ; implicit-def: $vgpr10
.LBB239_1916:
	s_mov_b64 s[18:19], 0
.LBB239_1917:
	s_and_b64 vcc, exec, s[18:19]
	s_cbranch_vccz .LBB239_1919
; %bb.1918:
	s_cmp_lg_u32 s23, 11
	s_mov_b64 s[6:7], -1
	s_cselect_b64 s[2:3], -1, 0
.LBB239_1919:
	s_and_b64 vcc, exec, s[2:3]
	s_cbranch_vccnz .LBB239_1982
; %bb.1920:
	s_andn2_b64 vcc, exec, s[6:7]
	s_cbranch_vccnz .LBB239_1922
.LBB239_1921:
	global_load_ubyte v1, v[20:21], off
	s_mov_b64 s[16:17], -1
	s_waitcnt vmcnt(0)
	v_cmp_ne_u16_e32 vcc, 0, v1
	v_cndmask_b32_e64 v10, 0, 1, vcc
.LBB239_1922:
	s_branch .LBB239_1854
.LBB239_1923:
	s_and_b32 s6, 0xffff, s22
	s_cmp_lt_i32 s6, 5
	s_cbranch_scc1 .LBB239_1928
; %bb.1924:
	s_cmp_lt_i32 s6, 8
	s_cbranch_scc1 .LBB239_1929
; %bb.1925:
	;; [unrolled: 3-line block ×3, first 2 shown]
	s_cmp_gt_i32 s6, 9
	s_cbranch_scc0 .LBB239_1931
; %bb.1927:
	global_load_dwordx2 v[10:11], v[20:21], off
	s_mov_b64 s[2:3], 0
	s_waitcnt vmcnt(0)
	v_cvt_i32_f64_e32 v10, v[10:11]
	s_branch .LBB239_1932
.LBB239_1928:
	s_mov_b64 s[2:3], -1
                                        ; implicit-def: $vgpr10
	s_branch .LBB239_1950
.LBB239_1929:
	s_mov_b64 s[2:3], -1
                                        ; implicit-def: $vgpr10
	s_branch .LBB239_1938
.LBB239_1930:
	s_mov_b64 s[2:3], -1
                                        ; implicit-def: $vgpr10
	s_branch .LBB239_1935
.LBB239_1931:
	s_mov_b64 s[2:3], -1
                                        ; implicit-def: $vgpr10
.LBB239_1932:
	s_andn2_b64 vcc, exec, s[2:3]
	s_cbranch_vccnz .LBB239_1934
; %bb.1933:
	global_load_dword v1, v[20:21], off
	s_waitcnt vmcnt(0)
	v_cvt_i32_f32_e32 v10, v1
.LBB239_1934:
	s_mov_b64 s[2:3], 0
.LBB239_1935:
	s_andn2_b64 vcc, exec, s[2:3]
	s_cbranch_vccnz .LBB239_1937
; %bb.1936:
	global_load_dword v1, v[20:21], off
	s_waitcnt vmcnt(0)
	v_cvt_i16_f16_e32 v10, v1
.LBB239_1937:
	s_mov_b64 s[2:3], 0
.LBB239_1938:
	s_andn2_b64 vcc, exec, s[2:3]
	s_cbranch_vccnz .LBB239_1949
; %bb.1939:
	s_cmp_lt_i32 s6, 6
	s_cbranch_scc1 .LBB239_1942
; %bb.1940:
	s_cmp_gt_i32 s6, 6
	s_cbranch_scc0 .LBB239_1943
; %bb.1941:
	global_load_dwordx2 v[10:11], v[20:21], off
	s_mov_b64 s[2:3], 0
	s_waitcnt vmcnt(0)
	v_cvt_i32_f64_e32 v10, v[10:11]
	s_branch .LBB239_1944
.LBB239_1942:
	s_mov_b64 s[2:3], -1
                                        ; implicit-def: $vgpr10
	s_branch .LBB239_1947
.LBB239_1943:
	s_mov_b64 s[2:3], -1
                                        ; implicit-def: $vgpr10
.LBB239_1944:
	s_andn2_b64 vcc, exec, s[2:3]
	s_cbranch_vccnz .LBB239_1946
; %bb.1945:
	global_load_dword v1, v[20:21], off
	s_waitcnt vmcnt(0)
	v_cvt_i32_f32_e32 v10, v1
.LBB239_1946:
	s_mov_b64 s[2:3], 0
.LBB239_1947:
	s_andn2_b64 vcc, exec, s[2:3]
	s_cbranch_vccnz .LBB239_1949
; %bb.1948:
	global_load_ushort v1, v[20:21], off
	s_waitcnt vmcnt(0)
	v_cvt_i16_f16_e32 v10, v1
.LBB239_1949:
	s_mov_b64 s[2:3], 0
.LBB239_1950:
	s_andn2_b64 vcc, exec, s[2:3]
	s_cbranch_vccnz .LBB239_1970
; %bb.1951:
	s_cmp_lt_i32 s6, 2
	s_cbranch_scc1 .LBB239_1955
; %bb.1952:
	s_cmp_lt_i32 s6, 3
	s_cbranch_scc1 .LBB239_1956
; %bb.1953:
	s_cmp_gt_i32 s6, 3
	s_cbranch_scc0 .LBB239_1957
; %bb.1954:
	global_load_dwordx2 v[10:11], v[20:21], off
	s_mov_b64 s[2:3], 0
	s_branch .LBB239_1958
.LBB239_1955:
	s_mov_b64 s[2:3], -1
                                        ; implicit-def: $vgpr10
	s_branch .LBB239_1964
.LBB239_1956:
	s_mov_b64 s[2:3], -1
                                        ; implicit-def: $vgpr10
	s_branch .LBB239_1961
.LBB239_1957:
	s_mov_b64 s[2:3], -1
                                        ; implicit-def: $vgpr10
.LBB239_1958:
	s_andn2_b64 vcc, exec, s[2:3]
	s_cbranch_vccnz .LBB239_1960
; %bb.1959:
	global_load_dword v10, v[20:21], off
.LBB239_1960:
	s_mov_b64 s[2:3], 0
.LBB239_1961:
	s_andn2_b64 vcc, exec, s[2:3]
	s_cbranch_vccnz .LBB239_1963
; %bb.1962:
	global_load_ushort v10, v[20:21], off
.LBB239_1963:
	s_mov_b64 s[2:3], 0
.LBB239_1964:
	s_andn2_b64 vcc, exec, s[2:3]
	s_cbranch_vccnz .LBB239_1970
; %bb.1965:
	s_cmp_gt_i32 s6, 0
	s_cbranch_scc0 .LBB239_1967
; %bb.1966:
	global_load_sbyte v10, v[20:21], off
	s_mov_b64 s[2:3], 0
	s_branch .LBB239_1968
.LBB239_1967:
	s_mov_b64 s[2:3], -1
                                        ; implicit-def: $vgpr10
.LBB239_1968:
	s_andn2_b64 vcc, exec, s[2:3]
	s_cbranch_vccnz .LBB239_1970
; %bb.1969:
	global_load_ubyte v10, v[20:21], off
.LBB239_1970:
.LBB239_1971:
	v_mov_b32_e32 v1, s1
	s_and_b32 s21, 0xffff, s21
	v_add_co_u32_e32 v20, vcc, s0, v18
	s_cmp_lt_i32 s21, 11
	v_addc_co_u32_e32 v21, vcc, 0, v1, vcc
	s_cbranch_scc1 .LBB239_1978
; %bb.1972:
	s_cmp_gt_i32 s21, 25
	s_mov_b64 s[6:7], 0
	s_cbranch_scc0 .LBB239_1979
; %bb.1973:
	s_cmp_gt_i32 s21, 28
	s_cbranch_scc0 .LBB239_1980
; %bb.1974:
	s_cmp_gt_i32 s21, 43
	;; [unrolled: 3-line block ×3, first 2 shown]
	s_cbranch_scc0 .LBB239_1983
; %bb.1976:
	s_cmp_eq_u32 s21, 46
	s_mov_b64 s[18:19], 0
	s_cbranch_scc0 .LBB239_1984
; %bb.1977:
	global_load_dword v1, v[20:21], off
	s_mov_b64 s[2:3], 0
	s_mov_b64 s[16:17], -1
	s_waitcnt vmcnt(0)
	v_lshlrev_b32_e32 v1, 16, v1
	v_cvt_i32_f32_e32 v17, v1
	s_branch .LBB239_1985
.LBB239_1978:
	s_mov_b64 s[2:3], -1
	s_mov_b64 s[16:17], 0
                                        ; implicit-def: $vgpr17
	s_branch .LBB239_2047
.LBB239_1979:
	s_mov_b64 s[18:19], -1
	s_mov_b64 s[16:17], 0
	s_mov_b64 s[2:3], 0
                                        ; implicit-def: $vgpr17
	s_branch .LBB239_2012
.LBB239_1980:
	s_mov_b64 s[18:19], -1
	s_mov_b64 s[16:17], 0
	s_mov_b64 s[2:3], 0
                                        ; implicit-def: $vgpr17
	s_branch .LBB239_1995
.LBB239_1981:
	s_mov_b64 s[18:19], -1
	s_mov_b64 s[16:17], 0
	s_mov_b64 s[2:3], 0
                                        ; implicit-def: $vgpr17
	s_branch .LBB239_1990
.LBB239_1982:
	s_trap 2
	s_or_b64 s[4:5], s[4:5], exec
	s_cbranch_execz .LBB239_1921
	s_branch .LBB239_1922
.LBB239_1983:
	s_mov_b64 s[18:19], -1
	s_mov_b64 s[16:17], 0
	s_mov_b64 s[2:3], 0
                                        ; implicit-def: $vgpr17
	s_branch .LBB239_1985
.LBB239_1984:
	s_mov_b64 s[2:3], -1
                                        ; implicit-def: $vgpr17
	s_mov_b64 s[16:17], 0
.LBB239_1985:
	s_and_b64 vcc, exec, s[18:19]
	s_cbranch_vccz .LBB239_1989
; %bb.1986:
	s_cmp_eq_u32 s21, 44
	s_cbranch_scc0 .LBB239_1988
; %bb.1987:
	global_load_ubyte v1, v[20:21], off
	s_mov_b64 s[2:3], 0
	s_mov_b64 s[16:17], -1
	s_waitcnt vmcnt(0)
	v_lshlrev_b32_e32 v3, 23, v1
	v_cvt_i32_f32_e32 v3, v3
	v_cmp_ne_u32_e32 vcc, 0, v1
	v_cndmask_b32_e32 v17, 0, v3, vcc
	s_branch .LBB239_1989
.LBB239_1988:
	s_mov_b64 s[2:3], -1
                                        ; implicit-def: $vgpr17
.LBB239_1989:
	s_mov_b64 s[18:19], 0
.LBB239_1990:
	s_and_b64 vcc, exec, s[18:19]
	s_cbranch_vccz .LBB239_1994
; %bb.1991:
	s_cmp_eq_u32 s21, 29
	s_cbranch_scc0 .LBB239_1993
; %bb.1992:
	global_load_dwordx2 v[17:18], v[20:21], off
	s_mov_b64 s[2:3], 0
	s_mov_b64 s[16:17], -1
	s_branch .LBB239_1994
.LBB239_1993:
	s_mov_b64 s[2:3], -1
                                        ; implicit-def: $vgpr17
.LBB239_1994:
	s_mov_b64 s[18:19], 0
.LBB239_1995:
	s_and_b64 vcc, exec, s[18:19]
	s_cbranch_vccz .LBB239_2011
; %bb.1996:
	s_cmp_lt_i32 s21, 27
	s_cbranch_scc1 .LBB239_1999
; %bb.1997:
	s_cmp_gt_i32 s21, 27
	s_cbranch_scc0 .LBB239_2000
; %bb.1998:
	global_load_dword v17, v[20:21], off
	s_mov_b64 s[16:17], 0
	s_branch .LBB239_2001
.LBB239_1999:
	s_mov_b64 s[16:17], -1
                                        ; implicit-def: $vgpr17
	s_branch .LBB239_2004
.LBB239_2000:
	s_mov_b64 s[16:17], -1
                                        ; implicit-def: $vgpr17
.LBB239_2001:
	s_andn2_b64 vcc, exec, s[16:17]
	s_cbranch_vccnz .LBB239_2003
; %bb.2002:
	global_load_ushort v17, v[20:21], off
.LBB239_2003:
	s_mov_b64 s[16:17], 0
.LBB239_2004:
	s_andn2_b64 vcc, exec, s[16:17]
	s_cbranch_vccnz .LBB239_2010
; %bb.2005:
	global_load_ubyte v1, v[20:21], off
	s_movk_i32 s16, 0x7f
	s_mov_b64 s[18:19], 0
	s_waitcnt vmcnt(0)
	v_cmp_lt_i16_e32 vcc, s16, v1
	s_and_saveexec_b64 s[16:17], vcc
	s_xor_b64 s[16:17], exec, s[16:17]
	s_cbranch_execz .LBB239_2022
; %bb.2006:
	s_movk_i32 s18, 0x80
	v_cmp_ne_u16_e32 vcc, s18, v1
	s_and_b64 s[18:19], vcc, exec
	s_andn2_saveexec_b64 s[16:17], s[16:17]
	s_cbranch_execnz .LBB239_2023
.LBB239_2007:
	s_or_b64 exec, exec, s[16:17]
	v_mov_b32_e32 v17, 0
	s_and_saveexec_b64 s[16:17], s[18:19]
	s_cbranch_execz .LBB239_2009
.LBB239_2008:
	v_lshlrev_b32_e32 v3, 24, v1
	v_and_b32_e32 v1, 0xffff, v1
	v_and_b32_e32 v5, 7, v1
	v_ffbh_u32_e32 v11, v5
	v_min_u32_e32 v11, 32, v11
	v_subrev_u32_e32 v13, 28, v11
	v_bfe_u32 v8, v1, 3, 4
	v_lshlrev_b32_e32 v1, v13, v1
	v_sub_u32_e32 v11, 29, v11
	v_and_b32_e32 v1, 7, v1
	v_cmp_eq_u32_e32 vcc, 0, v8
	v_cndmask_b32_e32 v8, v8, v11, vcc
	v_cndmask_b32_e32 v1, v5, v1, vcc
	v_mov_b32_e32 v5, 0x3b800000
	v_lshlrev_b32_e32 v1, 20, v1
	v_and_b32_e32 v3, 0x80000000, v3
	v_lshl_add_u32 v5, v8, 23, v5
	v_or3_b32 v1, v3, v5, v1
	v_cvt_i32_f32_e32 v17, v1
.LBB239_2009:
	s_or_b64 exec, exec, s[16:17]
.LBB239_2010:
	s_mov_b64 s[16:17], -1
.LBB239_2011:
	s_mov_b64 s[18:19], 0
.LBB239_2012:
	s_and_b64 vcc, exec, s[18:19]
	s_cbranch_vccz .LBB239_2043
; %bb.2013:
	s_cmp_gt_i32 s21, 22
	s_cbranch_scc0 .LBB239_2021
; %bb.2014:
	s_cmp_lt_i32 s21, 24
	s_cbranch_scc1 .LBB239_2024
; %bb.2015:
	s_cmp_gt_i32 s21, 24
	s_cbranch_scc0 .LBB239_2025
; %bb.2016:
	global_load_ubyte v1, v[20:21], off
	s_movk_i32 s6, 0x7f
	s_mov_b64 s[16:17], 0
	s_waitcnt vmcnt(0)
	v_cmp_lt_i16_e32 vcc, s6, v1
	s_and_saveexec_b64 s[6:7], vcc
	s_xor_b64 s[6:7], exec, s[6:7]
	s_cbranch_execz .LBB239_2037
; %bb.2017:
	s_movk_i32 s16, 0x80
	v_cmp_ne_u16_e32 vcc, s16, v1
	s_and_b64 s[16:17], vcc, exec
	s_andn2_saveexec_b64 s[6:7], s[6:7]
	s_cbranch_execnz .LBB239_2038
.LBB239_2018:
	s_or_b64 exec, exec, s[6:7]
	v_mov_b32_e32 v17, 0
	s_and_saveexec_b64 s[6:7], s[16:17]
	s_cbranch_execz .LBB239_2020
.LBB239_2019:
	v_lshlrev_b32_e32 v3, 24, v1
	v_and_b32_e32 v1, 0xffff, v1
	v_and_b32_e32 v5, 3, v1
	v_ffbh_u32_e32 v11, v5
	v_min_u32_e32 v11, 32, v11
	v_subrev_u32_e32 v13, 29, v11
	v_bfe_u32 v8, v1, 2, 5
	v_lshlrev_b32_e32 v1, v13, v1
	v_sub_u32_e32 v11, 30, v11
	v_and_b32_e32 v1, 3, v1
	v_cmp_eq_u32_e32 vcc, 0, v8
	v_cndmask_b32_e32 v8, v8, v11, vcc
	v_cndmask_b32_e32 v1, v5, v1, vcc
	v_mov_b32_e32 v5, 0x37800000
	v_lshlrev_b32_e32 v1, 21, v1
	v_and_b32_e32 v3, 0x80000000, v3
	v_lshl_add_u32 v5, v8, 23, v5
	v_or3_b32 v1, v3, v5, v1
	v_cvt_i32_f32_e32 v17, v1
.LBB239_2020:
	s_or_b64 exec, exec, s[6:7]
	s_mov_b64 s[6:7], 0
	s_branch .LBB239_2026
.LBB239_2021:
	s_mov_b64 s[6:7], -1
                                        ; implicit-def: $vgpr17
	s_branch .LBB239_2032
.LBB239_2022:
	s_andn2_saveexec_b64 s[16:17], s[16:17]
	s_cbranch_execz .LBB239_2007
.LBB239_2023:
	v_cmp_ne_u16_e32 vcc, 0, v1
	s_andn2_b64 s[18:19], s[18:19], exec
	s_and_b64 s[24:25], vcc, exec
	s_or_b64 s[18:19], s[18:19], s[24:25]
	s_or_b64 exec, exec, s[16:17]
	v_mov_b32_e32 v17, 0
	s_and_saveexec_b64 s[16:17], s[18:19]
	s_cbranch_execnz .LBB239_2008
	s_branch .LBB239_2009
.LBB239_2024:
	s_mov_b64 s[6:7], -1
                                        ; implicit-def: $vgpr17
	s_branch .LBB239_2029
.LBB239_2025:
	s_mov_b64 s[6:7], -1
                                        ; implicit-def: $vgpr17
.LBB239_2026:
	s_and_b64 vcc, exec, s[6:7]
	s_cbranch_vccz .LBB239_2028
; %bb.2027:
	global_load_ubyte v1, v[20:21], off
	s_mov_b32 s6, 0x7f800000
	s_waitcnt vmcnt(0)
	v_lshlrev_b32_e32 v1, 24, v1
	v_and_b32_e32 v3, 0x7f000000, v1
	v_ffbh_u32_e32 v5, v3
	v_min_u32_e32 v5, 32, v5
	v_sub_u32_e64 v5, v5, 4 clamp
	v_lshlrev_b32_e32 v11, v5, v3
	v_lshlrev_b32_e32 v5, 23, v5
	v_lshrrev_b32_e32 v11, 4, v11
	v_add_u32_e32 v8, 0x1000000, v3
	v_sub_u32_e32 v5, v11, v5
	v_ashrrev_i32_e32 v8, 8, v8
	v_add_u32_e32 v5, 0x3c000000, v5
	v_and_or_b32 v5, v8, s6, v5
	v_cmp_ne_u32_e32 vcc, 0, v3
	v_cndmask_b32_e32 v3, 0, v5, vcc
	s_brev_b32 s6, 1
	v_and_or_b32 v1, v1, s6, v3
	v_cvt_i32_f32_e32 v17, v1
.LBB239_2028:
	s_mov_b64 s[6:7], 0
.LBB239_2029:
	s_andn2_b64 vcc, exec, s[6:7]
	s_cbranch_vccnz .LBB239_2031
; %bb.2030:
	global_load_ubyte v1, v[20:21], off
	s_movk_i32 s6, 0x7f00
	s_brev_b32 s7, 16
	s_waitcnt vmcnt(0)
	v_lshlrev_b16_e32 v3, 8, v1
	v_lshlrev_b32_e32 v1, 25, v1
	v_lshrrev_b32_e32 v5, 4, v1
	v_and_or_b32 v8, v3, s6, 0.5
	v_or_b32_e32 v5, 0x70000000, v5
	v_add_f32_e32 v8, -0.5, v8
	v_mul_f32_e32 v5, 0x7800000, v5
	v_cmp_gt_u32_e32 vcc, s7, v1
	v_bfe_i32 v3, v3, 0, 16
	v_cndmask_b32_e32 v1, v5, v8, vcc
	s_brev_b32 s6, 1
	v_and_or_b32 v1, v3, s6, v1
	v_cvt_i32_f32_e32 v17, v1
.LBB239_2031:
	s_mov_b64 s[6:7], 0
	s_mov_b64 s[16:17], -1
.LBB239_2032:
	s_andn2_b64 vcc, exec, s[6:7]
	s_mov_b64 s[6:7], 0
	s_cbranch_vccnz .LBB239_2043
; %bb.2033:
	s_cmp_gt_i32 s21, 14
	s_cbranch_scc0 .LBB239_2036
; %bb.2034:
	s_cmp_eq_u32 s21, 15
	s_cbranch_scc0 .LBB239_2039
; %bb.2035:
	global_load_ushort v1, v[20:21], off
	s_mov_b64 s[2:3], 0
	s_mov_b64 s[16:17], -1
	s_waitcnt vmcnt(0)
	v_lshlrev_b32_e32 v1, 16, v1
	v_cvt_i32_f32_e32 v17, v1
	s_branch .LBB239_2040
.LBB239_2036:
	s_mov_b64 s[18:19], -1
                                        ; implicit-def: $vgpr17
	s_branch .LBB239_2041
.LBB239_2037:
	s_andn2_saveexec_b64 s[6:7], s[6:7]
	s_cbranch_execz .LBB239_2018
.LBB239_2038:
	v_cmp_ne_u16_e32 vcc, 0, v1
	s_andn2_b64 s[16:17], s[16:17], exec
	s_and_b64 s[18:19], vcc, exec
	s_or_b64 s[16:17], s[16:17], s[18:19]
	s_or_b64 exec, exec, s[6:7]
	v_mov_b32_e32 v17, 0
	s_and_saveexec_b64 s[6:7], s[16:17]
	s_cbranch_execnz .LBB239_2019
	s_branch .LBB239_2020
.LBB239_2039:
	s_mov_b64 s[2:3], -1
                                        ; implicit-def: $vgpr17
.LBB239_2040:
	s_mov_b64 s[18:19], 0
.LBB239_2041:
	s_and_b64 vcc, exec, s[18:19]
	s_cbranch_vccz .LBB239_2043
; %bb.2042:
	s_cmp_lg_u32 s21, 11
	s_mov_b64 s[6:7], -1
	s_cselect_b64 s[2:3], -1, 0
.LBB239_2043:
	s_and_b64 vcc, exec, s[2:3]
	s_cbranch_vccnz .LBB239_2108
; %bb.2044:
	s_andn2_b64 vcc, exec, s[6:7]
	s_cbranch_vccnz .LBB239_2046
.LBB239_2045:
	global_load_ubyte v1, v[20:21], off
	s_mov_b64 s[16:17], -1
	s_waitcnt vmcnt(0)
	v_cmp_ne_u16_e32 vcc, 0, v1
	v_cndmask_b32_e64 v17, 0, 1, vcc
.LBB239_2046:
	s_mov_b64 s[2:3], 0
.LBB239_2047:
	s_and_b64 vcc, exec, s[2:3]
	s_cbranch_vccz .LBB239_2096
; %bb.2048:
	s_cmp_lt_i32 s21, 5
	s_cbranch_scc1 .LBB239_2053
; %bb.2049:
	s_cmp_lt_i32 s21, 8
	s_cbranch_scc1 .LBB239_2054
	;; [unrolled: 3-line block ×3, first 2 shown]
; %bb.2051:
	s_cmp_gt_i32 s21, 9
	s_cbranch_scc0 .LBB239_2056
; %bb.2052:
	global_load_dwordx2 v[17:18], v[20:21], off
	s_mov_b64 s[2:3], 0
	s_waitcnt vmcnt(0)
	v_cvt_i32_f64_e32 v17, v[17:18]
	s_branch .LBB239_2057
.LBB239_2053:
	s_mov_b64 s[2:3], -1
                                        ; implicit-def: $vgpr17
	s_branch .LBB239_2075
.LBB239_2054:
	s_mov_b64 s[2:3], -1
                                        ; implicit-def: $vgpr17
	s_branch .LBB239_2063
.LBB239_2055:
	s_mov_b64 s[2:3], -1
                                        ; implicit-def: $vgpr17
	s_branch .LBB239_2060
.LBB239_2056:
	s_mov_b64 s[2:3], -1
                                        ; implicit-def: $vgpr17
.LBB239_2057:
	s_andn2_b64 vcc, exec, s[2:3]
	s_cbranch_vccnz .LBB239_2059
; %bb.2058:
	global_load_dword v1, v[20:21], off
	s_waitcnt vmcnt(0)
	v_cvt_i32_f32_e32 v17, v1
.LBB239_2059:
	s_mov_b64 s[2:3], 0
.LBB239_2060:
	s_andn2_b64 vcc, exec, s[2:3]
	s_cbranch_vccnz .LBB239_2062
; %bb.2061:
	global_load_dword v1, v[20:21], off
	s_waitcnt vmcnt(0)
	v_cvt_i16_f16_e32 v17, v1
.LBB239_2062:
	s_mov_b64 s[2:3], 0
.LBB239_2063:
	s_andn2_b64 vcc, exec, s[2:3]
	s_cbranch_vccnz .LBB239_2074
; %bb.2064:
	s_cmp_lt_i32 s21, 6
	s_cbranch_scc1 .LBB239_2067
; %bb.2065:
	s_cmp_gt_i32 s21, 6
	s_cbranch_scc0 .LBB239_2068
; %bb.2066:
	global_load_dwordx2 v[17:18], v[20:21], off
	s_mov_b64 s[2:3], 0
	s_waitcnt vmcnt(0)
	v_cvt_i32_f64_e32 v17, v[17:18]
	s_branch .LBB239_2069
.LBB239_2067:
	s_mov_b64 s[2:3], -1
                                        ; implicit-def: $vgpr17
	s_branch .LBB239_2072
.LBB239_2068:
	s_mov_b64 s[2:3], -1
                                        ; implicit-def: $vgpr17
.LBB239_2069:
	s_andn2_b64 vcc, exec, s[2:3]
	s_cbranch_vccnz .LBB239_2071
; %bb.2070:
	global_load_dword v1, v[20:21], off
	s_waitcnt vmcnt(0)
	v_cvt_i32_f32_e32 v17, v1
.LBB239_2071:
	s_mov_b64 s[2:3], 0
.LBB239_2072:
	s_andn2_b64 vcc, exec, s[2:3]
	s_cbranch_vccnz .LBB239_2074
; %bb.2073:
	global_load_ushort v1, v[20:21], off
	s_waitcnt vmcnt(0)
	v_cvt_i16_f16_e32 v17, v1
.LBB239_2074:
	s_mov_b64 s[2:3], 0
.LBB239_2075:
	s_andn2_b64 vcc, exec, s[2:3]
	s_cbranch_vccnz .LBB239_2095
; %bb.2076:
	s_cmp_lt_i32 s21, 2
	s_cbranch_scc1 .LBB239_2080
; %bb.2077:
	s_cmp_lt_i32 s21, 3
	s_cbranch_scc1 .LBB239_2081
; %bb.2078:
	s_cmp_gt_i32 s21, 3
	s_cbranch_scc0 .LBB239_2082
; %bb.2079:
	global_load_dwordx2 v[17:18], v[20:21], off
	s_mov_b64 s[2:3], 0
	s_branch .LBB239_2083
.LBB239_2080:
	s_mov_b64 s[2:3], -1
                                        ; implicit-def: $vgpr17
	s_branch .LBB239_2089
.LBB239_2081:
	s_mov_b64 s[2:3], -1
                                        ; implicit-def: $vgpr17
	s_branch .LBB239_2086
.LBB239_2082:
	s_mov_b64 s[2:3], -1
                                        ; implicit-def: $vgpr17
.LBB239_2083:
	s_andn2_b64 vcc, exec, s[2:3]
	s_cbranch_vccnz .LBB239_2085
; %bb.2084:
	global_load_dword v17, v[20:21], off
.LBB239_2085:
	s_mov_b64 s[2:3], 0
.LBB239_2086:
	s_andn2_b64 vcc, exec, s[2:3]
	s_cbranch_vccnz .LBB239_2088
; %bb.2087:
	global_load_ushort v17, v[20:21], off
.LBB239_2088:
	s_mov_b64 s[2:3], 0
.LBB239_2089:
	s_andn2_b64 vcc, exec, s[2:3]
	s_cbranch_vccnz .LBB239_2095
; %bb.2090:
	s_cmp_gt_i32 s21, 0
	s_cbranch_scc0 .LBB239_2092
; %bb.2091:
	global_load_sbyte v17, v[20:21], off
	s_mov_b64 s[2:3], 0
	s_branch .LBB239_2093
.LBB239_2092:
	s_mov_b64 s[2:3], -1
                                        ; implicit-def: $vgpr17
.LBB239_2093:
	s_andn2_b64 vcc, exec, s[2:3]
	s_cbranch_vccnz .LBB239_2095
; %bb.2094:
	global_load_ubyte v17, v[20:21], off
.LBB239_2095:
	s_mov_b64 s[16:17], -1
.LBB239_2096:
	s_andn2_b64 vcc, exec, s[16:17]
	s_cbranch_vccnz .LBB239_3036
; %bb.2097:
	v_mov_b32_e32 v1, s11
	v_add_co_u32_e32 v20, vcc, s10, v16
	s_cmp_lt_i32 s22, 11
	v_addc_co_u32_e32 v21, vcc, 0, v1, vcc
	s_cbranch_scc1 .LBB239_2104
; %bb.2098:
	s_and_b32 s23, 0xffff, s22
	s_cmp_gt_i32 s23, 25
	s_mov_b64 s[6:7], 0
	s_cbranch_scc0 .LBB239_2105
; %bb.2099:
	s_cmp_gt_i32 s23, 28
	s_cbranch_scc0 .LBB239_2106
; %bb.2100:
	s_cmp_gt_i32 s23, 43
	;; [unrolled: 3-line block ×3, first 2 shown]
	s_cbranch_scc0 .LBB239_2109
; %bb.2102:
	s_cmp_eq_u32 s23, 46
	s_mov_b64 s[18:19], 0
	s_cbranch_scc0 .LBB239_2110
; %bb.2103:
	global_load_dword v1, v[20:21], off
	s_mov_b64 s[2:3], 0
	s_mov_b64 s[16:17], -1
	s_waitcnt vmcnt(0)
	v_lshlrev_b32_e32 v1, 16, v1
	v_cvt_i32_f32_e32 v15, v1
	s_branch .LBB239_2111
.LBB239_2104:
	s_mov_b64 s[2:3], -1
	s_mov_b64 s[16:17], 0
                                        ; implicit-def: $vgpr15
	s_branch .LBB239_2173
.LBB239_2105:
	s_mov_b64 s[18:19], -1
	s_mov_b64 s[16:17], 0
	s_mov_b64 s[2:3], 0
                                        ; implicit-def: $vgpr15
	s_branch .LBB239_2138
.LBB239_2106:
	s_mov_b64 s[18:19], -1
	s_mov_b64 s[16:17], 0
	s_mov_b64 s[2:3], 0
                                        ; implicit-def: $vgpr15
	s_branch .LBB239_2121
.LBB239_2107:
	s_mov_b64 s[18:19], -1
	s_mov_b64 s[16:17], 0
	s_mov_b64 s[2:3], 0
                                        ; implicit-def: $vgpr15
	s_branch .LBB239_2116
.LBB239_2108:
	s_trap 2
	s_or_b64 s[4:5], s[4:5], exec
	s_cbranch_execz .LBB239_2045
	s_branch .LBB239_2046
.LBB239_2109:
	s_mov_b64 s[18:19], -1
	s_mov_b64 s[16:17], 0
	s_mov_b64 s[2:3], 0
                                        ; implicit-def: $vgpr15
	s_branch .LBB239_2111
.LBB239_2110:
	s_mov_b64 s[2:3], -1
                                        ; implicit-def: $vgpr15
	s_mov_b64 s[16:17], 0
.LBB239_2111:
	s_and_b64 vcc, exec, s[18:19]
	s_cbranch_vccz .LBB239_2115
; %bb.2112:
	s_cmp_eq_u32 s23, 44
	s_cbranch_scc0 .LBB239_2114
; %bb.2113:
	global_load_ubyte v1, v[20:21], off
	s_mov_b64 s[2:3], 0
	s_mov_b64 s[16:17], -1
	s_waitcnt vmcnt(0)
	v_lshlrev_b32_e32 v3, 23, v1
	v_cvt_i32_f32_e32 v3, v3
	v_cmp_ne_u32_e32 vcc, 0, v1
	v_cndmask_b32_e32 v15, 0, v3, vcc
	s_branch .LBB239_2115
.LBB239_2114:
	s_mov_b64 s[2:3], -1
                                        ; implicit-def: $vgpr15
.LBB239_2115:
	s_mov_b64 s[18:19], 0
.LBB239_2116:
	s_and_b64 vcc, exec, s[18:19]
	s_cbranch_vccz .LBB239_2120
; %bb.2117:
	s_cmp_eq_u32 s23, 29
	s_cbranch_scc0 .LBB239_2119
; %bb.2118:
	global_load_dwordx2 v[15:16], v[20:21], off
	s_mov_b64 s[2:3], 0
	s_mov_b64 s[16:17], -1
	s_branch .LBB239_2120
.LBB239_2119:
	s_mov_b64 s[2:3], -1
                                        ; implicit-def: $vgpr15
.LBB239_2120:
	s_mov_b64 s[18:19], 0
.LBB239_2121:
	s_and_b64 vcc, exec, s[18:19]
	s_cbranch_vccz .LBB239_2137
; %bb.2122:
	s_cmp_lt_i32 s23, 27
	s_cbranch_scc1 .LBB239_2125
; %bb.2123:
	s_cmp_gt_i32 s23, 27
	s_cbranch_scc0 .LBB239_2126
; %bb.2124:
	global_load_dword v15, v[20:21], off
	s_mov_b64 s[16:17], 0
	s_branch .LBB239_2127
.LBB239_2125:
	s_mov_b64 s[16:17], -1
                                        ; implicit-def: $vgpr15
	s_branch .LBB239_2130
.LBB239_2126:
	s_mov_b64 s[16:17], -1
                                        ; implicit-def: $vgpr15
.LBB239_2127:
	s_andn2_b64 vcc, exec, s[16:17]
	s_cbranch_vccnz .LBB239_2129
; %bb.2128:
	global_load_ushort v15, v[20:21], off
.LBB239_2129:
	s_mov_b64 s[16:17], 0
.LBB239_2130:
	s_andn2_b64 vcc, exec, s[16:17]
	s_cbranch_vccnz .LBB239_2136
; %bb.2131:
	global_load_ubyte v1, v[20:21], off
	s_movk_i32 s16, 0x7f
	s_mov_b64 s[18:19], 0
	s_waitcnt vmcnt(0)
	v_cmp_lt_i16_e32 vcc, s16, v1
	s_and_saveexec_b64 s[16:17], vcc
	s_xor_b64 s[16:17], exec, s[16:17]
	s_cbranch_execz .LBB239_2148
; %bb.2132:
	s_movk_i32 s18, 0x80
	v_cmp_ne_u16_e32 vcc, s18, v1
	s_and_b64 s[18:19], vcc, exec
	s_andn2_saveexec_b64 s[16:17], s[16:17]
	s_cbranch_execnz .LBB239_2149
.LBB239_2133:
	s_or_b64 exec, exec, s[16:17]
	v_mov_b32_e32 v15, 0
	s_and_saveexec_b64 s[16:17], s[18:19]
	s_cbranch_execz .LBB239_2135
.LBB239_2134:
	v_lshlrev_b32_e32 v3, 24, v1
	v_and_b32_e32 v1, 0xffff, v1
	v_and_b32_e32 v5, 7, v1
	v_ffbh_u32_e32 v11, v5
	v_min_u32_e32 v11, 32, v11
	v_subrev_u32_e32 v13, 28, v11
	v_bfe_u32 v8, v1, 3, 4
	v_lshlrev_b32_e32 v1, v13, v1
	v_sub_u32_e32 v11, 29, v11
	v_and_b32_e32 v1, 7, v1
	v_cmp_eq_u32_e32 vcc, 0, v8
	v_cndmask_b32_e32 v8, v8, v11, vcc
	v_cndmask_b32_e32 v1, v5, v1, vcc
	v_mov_b32_e32 v5, 0x3b800000
	v_lshlrev_b32_e32 v1, 20, v1
	v_and_b32_e32 v3, 0x80000000, v3
	v_lshl_add_u32 v5, v8, 23, v5
	v_or3_b32 v1, v3, v5, v1
	v_cvt_i32_f32_e32 v15, v1
.LBB239_2135:
	s_or_b64 exec, exec, s[16:17]
.LBB239_2136:
	s_mov_b64 s[16:17], -1
.LBB239_2137:
	s_mov_b64 s[18:19], 0
.LBB239_2138:
	s_and_b64 vcc, exec, s[18:19]
	s_cbranch_vccz .LBB239_2169
; %bb.2139:
	s_cmp_gt_i32 s23, 22
	s_cbranch_scc0 .LBB239_2147
; %bb.2140:
	s_cmp_lt_i32 s23, 24
	s_cbranch_scc1 .LBB239_2150
; %bb.2141:
	s_cmp_gt_i32 s23, 24
	s_cbranch_scc0 .LBB239_2151
; %bb.2142:
	global_load_ubyte v1, v[20:21], off
	s_movk_i32 s6, 0x7f
	s_mov_b64 s[16:17], 0
	s_waitcnt vmcnt(0)
	v_cmp_lt_i16_e32 vcc, s6, v1
	s_and_saveexec_b64 s[6:7], vcc
	s_xor_b64 s[6:7], exec, s[6:7]
	s_cbranch_execz .LBB239_2163
; %bb.2143:
	s_movk_i32 s16, 0x80
	v_cmp_ne_u16_e32 vcc, s16, v1
	s_and_b64 s[16:17], vcc, exec
	s_andn2_saveexec_b64 s[6:7], s[6:7]
	s_cbranch_execnz .LBB239_2164
.LBB239_2144:
	s_or_b64 exec, exec, s[6:7]
	v_mov_b32_e32 v15, 0
	s_and_saveexec_b64 s[6:7], s[16:17]
	s_cbranch_execz .LBB239_2146
.LBB239_2145:
	v_lshlrev_b32_e32 v3, 24, v1
	v_and_b32_e32 v1, 0xffff, v1
	v_and_b32_e32 v5, 3, v1
	v_ffbh_u32_e32 v11, v5
	v_min_u32_e32 v11, 32, v11
	v_subrev_u32_e32 v13, 29, v11
	v_bfe_u32 v8, v1, 2, 5
	v_lshlrev_b32_e32 v1, v13, v1
	v_sub_u32_e32 v11, 30, v11
	v_and_b32_e32 v1, 3, v1
	v_cmp_eq_u32_e32 vcc, 0, v8
	v_cndmask_b32_e32 v8, v8, v11, vcc
	v_cndmask_b32_e32 v1, v5, v1, vcc
	v_mov_b32_e32 v5, 0x37800000
	v_lshlrev_b32_e32 v1, 21, v1
	v_and_b32_e32 v3, 0x80000000, v3
	v_lshl_add_u32 v5, v8, 23, v5
	v_or3_b32 v1, v3, v5, v1
	v_cvt_i32_f32_e32 v15, v1
.LBB239_2146:
	s_or_b64 exec, exec, s[6:7]
	s_mov_b64 s[6:7], 0
	s_branch .LBB239_2152
.LBB239_2147:
	s_mov_b64 s[6:7], -1
                                        ; implicit-def: $vgpr15
	s_branch .LBB239_2158
.LBB239_2148:
	s_andn2_saveexec_b64 s[16:17], s[16:17]
	s_cbranch_execz .LBB239_2133
.LBB239_2149:
	v_cmp_ne_u16_e32 vcc, 0, v1
	s_andn2_b64 s[18:19], s[18:19], exec
	s_and_b64 s[24:25], vcc, exec
	s_or_b64 s[18:19], s[18:19], s[24:25]
	s_or_b64 exec, exec, s[16:17]
	v_mov_b32_e32 v15, 0
	s_and_saveexec_b64 s[16:17], s[18:19]
	s_cbranch_execnz .LBB239_2134
	s_branch .LBB239_2135
.LBB239_2150:
	s_mov_b64 s[6:7], -1
                                        ; implicit-def: $vgpr15
	s_branch .LBB239_2155
.LBB239_2151:
	s_mov_b64 s[6:7], -1
                                        ; implicit-def: $vgpr15
.LBB239_2152:
	s_and_b64 vcc, exec, s[6:7]
	s_cbranch_vccz .LBB239_2154
; %bb.2153:
	global_load_ubyte v1, v[20:21], off
	s_mov_b32 s6, 0x7f800000
	s_waitcnt vmcnt(0)
	v_lshlrev_b32_e32 v1, 24, v1
	v_and_b32_e32 v3, 0x7f000000, v1
	v_ffbh_u32_e32 v5, v3
	v_min_u32_e32 v5, 32, v5
	v_sub_u32_e64 v5, v5, 4 clamp
	v_lshlrev_b32_e32 v11, v5, v3
	v_lshlrev_b32_e32 v5, 23, v5
	v_lshrrev_b32_e32 v11, 4, v11
	v_add_u32_e32 v8, 0x1000000, v3
	v_sub_u32_e32 v5, v11, v5
	v_ashrrev_i32_e32 v8, 8, v8
	v_add_u32_e32 v5, 0x3c000000, v5
	v_and_or_b32 v5, v8, s6, v5
	v_cmp_ne_u32_e32 vcc, 0, v3
	v_cndmask_b32_e32 v3, 0, v5, vcc
	s_brev_b32 s6, 1
	v_and_or_b32 v1, v1, s6, v3
	v_cvt_i32_f32_e32 v15, v1
.LBB239_2154:
	s_mov_b64 s[6:7], 0
.LBB239_2155:
	s_andn2_b64 vcc, exec, s[6:7]
	s_cbranch_vccnz .LBB239_2157
; %bb.2156:
	global_load_ubyte v1, v[20:21], off
	s_movk_i32 s6, 0x7f00
	s_brev_b32 s7, 16
	s_waitcnt vmcnt(0)
	v_lshlrev_b16_e32 v3, 8, v1
	v_lshlrev_b32_e32 v1, 25, v1
	v_lshrrev_b32_e32 v5, 4, v1
	v_and_or_b32 v8, v3, s6, 0.5
	v_or_b32_e32 v5, 0x70000000, v5
	v_add_f32_e32 v8, -0.5, v8
	v_mul_f32_e32 v5, 0x7800000, v5
	v_cmp_gt_u32_e32 vcc, s7, v1
	v_bfe_i32 v3, v3, 0, 16
	v_cndmask_b32_e32 v1, v5, v8, vcc
	s_brev_b32 s6, 1
	v_and_or_b32 v1, v3, s6, v1
	v_cvt_i32_f32_e32 v15, v1
.LBB239_2157:
	s_mov_b64 s[6:7], 0
	s_mov_b64 s[16:17], -1
.LBB239_2158:
	s_andn2_b64 vcc, exec, s[6:7]
	s_mov_b64 s[6:7], 0
	s_cbranch_vccnz .LBB239_2169
; %bb.2159:
	s_cmp_gt_i32 s23, 14
	s_cbranch_scc0 .LBB239_2162
; %bb.2160:
	s_cmp_eq_u32 s23, 15
	s_cbranch_scc0 .LBB239_2165
; %bb.2161:
	global_load_ushort v1, v[20:21], off
	s_mov_b64 s[2:3], 0
	s_mov_b64 s[16:17], -1
	s_waitcnt vmcnt(0)
	v_lshlrev_b32_e32 v1, 16, v1
	v_cvt_i32_f32_e32 v15, v1
	s_branch .LBB239_2166
.LBB239_2162:
	s_mov_b64 s[18:19], -1
                                        ; implicit-def: $vgpr15
	s_branch .LBB239_2167
.LBB239_2163:
	s_andn2_saveexec_b64 s[6:7], s[6:7]
	s_cbranch_execz .LBB239_2144
.LBB239_2164:
	v_cmp_ne_u16_e32 vcc, 0, v1
	s_andn2_b64 s[16:17], s[16:17], exec
	s_and_b64 s[18:19], vcc, exec
	s_or_b64 s[16:17], s[16:17], s[18:19]
	s_or_b64 exec, exec, s[6:7]
	v_mov_b32_e32 v15, 0
	s_and_saveexec_b64 s[6:7], s[16:17]
	s_cbranch_execnz .LBB239_2145
	s_branch .LBB239_2146
.LBB239_2165:
	s_mov_b64 s[2:3], -1
                                        ; implicit-def: $vgpr15
.LBB239_2166:
	s_mov_b64 s[18:19], 0
.LBB239_2167:
	s_and_b64 vcc, exec, s[18:19]
	s_cbranch_vccz .LBB239_2169
; %bb.2168:
	s_cmp_lg_u32 s23, 11
	s_mov_b64 s[6:7], -1
	s_cselect_b64 s[2:3], -1, 0
.LBB239_2169:
	s_and_b64 vcc, exec, s[2:3]
	s_cbranch_vccnz .LBB239_2234
; %bb.2170:
	s_andn2_b64 vcc, exec, s[6:7]
	s_cbranch_vccnz .LBB239_2172
.LBB239_2171:
	global_load_ubyte v1, v[20:21], off
	s_mov_b64 s[16:17], -1
	s_waitcnt vmcnt(0)
	v_cmp_ne_u16_e32 vcc, 0, v1
	v_cndmask_b32_e64 v15, 0, 1, vcc
.LBB239_2172:
	s_mov_b64 s[2:3], 0
.LBB239_2173:
	s_and_b64 vcc, exec, s[2:3]
	s_cbranch_vccz .LBB239_2222
; %bb.2174:
	s_and_b32 s6, 0xffff, s22
	s_cmp_lt_i32 s6, 5
	s_cbranch_scc1 .LBB239_2179
; %bb.2175:
	s_cmp_lt_i32 s6, 8
	s_cbranch_scc1 .LBB239_2180
; %bb.2176:
	;; [unrolled: 3-line block ×3, first 2 shown]
	s_cmp_gt_i32 s6, 9
	s_cbranch_scc0 .LBB239_2182
; %bb.2178:
	global_load_dwordx2 v[15:16], v[20:21], off
	s_mov_b64 s[2:3], 0
	s_waitcnt vmcnt(0)
	v_cvt_i32_f64_e32 v15, v[15:16]
	s_branch .LBB239_2183
.LBB239_2179:
	s_mov_b64 s[2:3], -1
                                        ; implicit-def: $vgpr15
	s_branch .LBB239_2201
.LBB239_2180:
	s_mov_b64 s[2:3], -1
                                        ; implicit-def: $vgpr15
	s_branch .LBB239_2189
.LBB239_2181:
	s_mov_b64 s[2:3], -1
                                        ; implicit-def: $vgpr15
	s_branch .LBB239_2186
.LBB239_2182:
	s_mov_b64 s[2:3], -1
                                        ; implicit-def: $vgpr15
.LBB239_2183:
	s_andn2_b64 vcc, exec, s[2:3]
	s_cbranch_vccnz .LBB239_2185
; %bb.2184:
	global_load_dword v1, v[20:21], off
	s_waitcnt vmcnt(0)
	v_cvt_i32_f32_e32 v15, v1
.LBB239_2185:
	s_mov_b64 s[2:3], 0
.LBB239_2186:
	s_andn2_b64 vcc, exec, s[2:3]
	s_cbranch_vccnz .LBB239_2188
; %bb.2187:
	global_load_dword v1, v[20:21], off
	s_waitcnt vmcnt(0)
	v_cvt_i16_f16_e32 v15, v1
.LBB239_2188:
	s_mov_b64 s[2:3], 0
.LBB239_2189:
	s_andn2_b64 vcc, exec, s[2:3]
	s_cbranch_vccnz .LBB239_2200
; %bb.2190:
	s_cmp_lt_i32 s6, 6
	s_cbranch_scc1 .LBB239_2193
; %bb.2191:
	s_cmp_gt_i32 s6, 6
	s_cbranch_scc0 .LBB239_2194
; %bb.2192:
	global_load_dwordx2 v[15:16], v[20:21], off
	s_mov_b64 s[2:3], 0
	s_waitcnt vmcnt(0)
	v_cvt_i32_f64_e32 v15, v[15:16]
	s_branch .LBB239_2195
.LBB239_2193:
	s_mov_b64 s[2:3], -1
                                        ; implicit-def: $vgpr15
	s_branch .LBB239_2198
.LBB239_2194:
	s_mov_b64 s[2:3], -1
                                        ; implicit-def: $vgpr15
.LBB239_2195:
	s_andn2_b64 vcc, exec, s[2:3]
	s_cbranch_vccnz .LBB239_2197
; %bb.2196:
	global_load_dword v1, v[20:21], off
	s_waitcnt vmcnt(0)
	v_cvt_i32_f32_e32 v15, v1
.LBB239_2197:
	s_mov_b64 s[2:3], 0
.LBB239_2198:
	s_andn2_b64 vcc, exec, s[2:3]
	s_cbranch_vccnz .LBB239_2200
; %bb.2199:
	global_load_ushort v1, v[20:21], off
	s_waitcnt vmcnt(0)
	v_cvt_i16_f16_e32 v15, v1
.LBB239_2200:
	s_mov_b64 s[2:3], 0
.LBB239_2201:
	s_andn2_b64 vcc, exec, s[2:3]
	s_cbranch_vccnz .LBB239_2221
; %bb.2202:
	s_cmp_lt_i32 s6, 2
	s_cbranch_scc1 .LBB239_2206
; %bb.2203:
	s_cmp_lt_i32 s6, 3
	s_cbranch_scc1 .LBB239_2207
; %bb.2204:
	s_cmp_gt_i32 s6, 3
	s_cbranch_scc0 .LBB239_2208
; %bb.2205:
	global_load_dwordx2 v[15:16], v[20:21], off
	s_mov_b64 s[2:3], 0
	s_branch .LBB239_2209
.LBB239_2206:
	s_mov_b64 s[2:3], -1
                                        ; implicit-def: $vgpr15
	s_branch .LBB239_2215
.LBB239_2207:
	s_mov_b64 s[2:3], -1
                                        ; implicit-def: $vgpr15
	s_branch .LBB239_2212
.LBB239_2208:
	s_mov_b64 s[2:3], -1
                                        ; implicit-def: $vgpr15
.LBB239_2209:
	s_andn2_b64 vcc, exec, s[2:3]
	s_cbranch_vccnz .LBB239_2211
; %bb.2210:
	global_load_dword v15, v[20:21], off
.LBB239_2211:
	s_mov_b64 s[2:3], 0
.LBB239_2212:
	s_andn2_b64 vcc, exec, s[2:3]
	s_cbranch_vccnz .LBB239_2214
; %bb.2213:
	global_load_ushort v15, v[20:21], off
.LBB239_2214:
	s_mov_b64 s[2:3], 0
.LBB239_2215:
	s_andn2_b64 vcc, exec, s[2:3]
	s_cbranch_vccnz .LBB239_2221
; %bb.2216:
	s_cmp_gt_i32 s6, 0
	s_cbranch_scc0 .LBB239_2218
; %bb.2217:
	global_load_sbyte v15, v[20:21], off
	s_mov_b64 s[2:3], 0
	s_branch .LBB239_2219
.LBB239_2218:
	s_mov_b64 s[2:3], -1
                                        ; implicit-def: $vgpr15
.LBB239_2219:
	s_andn2_b64 vcc, exec, s[2:3]
	s_cbranch_vccnz .LBB239_2221
; %bb.2220:
	global_load_ubyte v15, v[20:21], off
.LBB239_2221:
	s_mov_b64 s[16:17], -1
.LBB239_2222:
	s_andn2_b64 vcc, exec, s[16:17]
	s_cbranch_vccnz .LBB239_3036
; %bb.2223:
	v_mov_b32_e32 v1, s1
	v_add_co_u32_e32 v20, vcc, s0, v19
	s_cmp_lt_i32 s21, 11
	v_addc_co_u32_e32 v21, vcc, 0, v1, vcc
	s_cbranch_scc1 .LBB239_2230
; %bb.2224:
	s_cmp_gt_i32 s21, 25
	s_mov_b64 s[6:7], 0
	s_cbranch_scc0 .LBB239_2231
; %bb.2225:
	s_cmp_gt_i32 s21, 28
	s_cbranch_scc0 .LBB239_2232
; %bb.2226:
	s_cmp_gt_i32 s21, 43
	s_cbranch_scc0 .LBB239_2233
; %bb.2227:
	s_cmp_gt_i32 s21, 45
	s_cbranch_scc0 .LBB239_2235
; %bb.2228:
	s_cmp_eq_u32 s21, 46
	s_mov_b64 s[18:19], 0
	s_cbranch_scc0 .LBB239_2238
; %bb.2229:
	global_load_dword v1, v[20:21], off
	s_mov_b64 s[2:3], 0
	s_mov_b64 s[16:17], -1
	s_waitcnt vmcnt(0)
	v_lshlrev_b32_e32 v1, 16, v1
	v_cvt_i32_f32_e32 v18, v1
	s_branch .LBB239_2239
.LBB239_2230:
	s_mov_b64 s[2:3], -1
	s_mov_b64 s[16:17], 0
                                        ; implicit-def: $vgpr18
	s_branch .LBB239_2301
.LBB239_2231:
	s_mov_b64 s[18:19], -1
	s_mov_b64 s[16:17], 0
	s_mov_b64 s[2:3], 0
                                        ; implicit-def: $vgpr18
	s_branch .LBB239_2266
.LBB239_2232:
	s_mov_b64 s[18:19], -1
	s_mov_b64 s[16:17], 0
	s_mov_b64 s[2:3], 0
                                        ; implicit-def: $vgpr18
	s_branch .LBB239_2249
.LBB239_2233:
	s_mov_b64 s[18:19], -1
	s_mov_b64 s[16:17], 0
	s_mov_b64 s[2:3], 0
                                        ; implicit-def: $vgpr18
	s_branch .LBB239_2244
.LBB239_2234:
	s_trap 2
	s_or_b64 s[4:5], s[4:5], exec
	s_cbranch_execz .LBB239_2171
	s_branch .LBB239_2172
.LBB239_2235:
	s_mov_b64 s[18:19], -1
	s_mov_b64 s[16:17], 0
	s_mov_b64 s[2:3], 0
                                        ; implicit-def: $vgpr18
	s_branch .LBB239_2239
.LBB239_2236:
	s_andn2_saveexec_b64 s[62:63], s[62:63]
	s_cbranch_execz .LBB239_1095
.LBB239_2237:
	s_mov_b32 s67, 0x42800000
	v_add_f32_e64 v4, |v3|, s67
	v_and_b32_e32 v4, 0xff, v4
	v_cmp_ne_u32_e32 vcc, 0, v4
	s_andn2_b64 s[60:61], s[60:61], exec
	s_and_b64 s[74:75], vcc, exec
	s_or_b64 s[60:61], s[60:61], s[74:75]
	s_or_b64 exec, exec, s[62:63]
	v_mov_b32_e32 v5, 0
	s_and_saveexec_b64 s[62:63], s[60:61]
	s_cbranch_execnz .LBB239_1096
	s_branch .LBB239_1097
.LBB239_2238:
	s_mov_b64 s[2:3], -1
                                        ; implicit-def: $vgpr18
	s_mov_b64 s[16:17], 0
.LBB239_2239:
	s_and_b64 vcc, exec, s[18:19]
	s_cbranch_vccz .LBB239_2243
; %bb.2240:
	s_cmp_eq_u32 s21, 44
	s_cbranch_scc0 .LBB239_2242
; %bb.2241:
	global_load_ubyte v1, v[20:21], off
	s_mov_b64 s[2:3], 0
	s_mov_b64 s[16:17], -1
	s_waitcnt vmcnt(0)
	v_lshlrev_b32_e32 v3, 23, v1
	v_cvt_i32_f32_e32 v3, v3
	v_cmp_ne_u32_e32 vcc, 0, v1
	v_cndmask_b32_e32 v18, 0, v3, vcc
	s_branch .LBB239_2243
.LBB239_2242:
	s_mov_b64 s[2:3], -1
                                        ; implicit-def: $vgpr18
.LBB239_2243:
	s_mov_b64 s[18:19], 0
.LBB239_2244:
	s_and_b64 vcc, exec, s[18:19]
	s_cbranch_vccz .LBB239_2248
; %bb.2245:
	s_cmp_eq_u32 s21, 29
	s_cbranch_scc0 .LBB239_2247
; %bb.2246:
	global_load_dwordx2 v[18:19], v[20:21], off
	s_mov_b64 s[2:3], 0
	s_mov_b64 s[16:17], -1
	s_branch .LBB239_2248
.LBB239_2247:
	s_mov_b64 s[2:3], -1
                                        ; implicit-def: $vgpr18
.LBB239_2248:
	s_mov_b64 s[18:19], 0
.LBB239_2249:
	s_and_b64 vcc, exec, s[18:19]
	s_cbranch_vccz .LBB239_2265
; %bb.2250:
	s_cmp_lt_i32 s21, 27
	s_cbranch_scc1 .LBB239_2253
; %bb.2251:
	s_cmp_gt_i32 s21, 27
	s_cbranch_scc0 .LBB239_2254
; %bb.2252:
	global_load_dword v18, v[20:21], off
	s_mov_b64 s[16:17], 0
	s_branch .LBB239_2255
.LBB239_2253:
	s_mov_b64 s[16:17], -1
                                        ; implicit-def: $vgpr18
	s_branch .LBB239_2258
.LBB239_2254:
	s_mov_b64 s[16:17], -1
                                        ; implicit-def: $vgpr18
.LBB239_2255:
	s_andn2_b64 vcc, exec, s[16:17]
	s_cbranch_vccnz .LBB239_2257
; %bb.2256:
	global_load_ushort v18, v[20:21], off
.LBB239_2257:
	s_mov_b64 s[16:17], 0
.LBB239_2258:
	s_andn2_b64 vcc, exec, s[16:17]
	s_cbranch_vccnz .LBB239_2264
; %bb.2259:
	global_load_ubyte v1, v[20:21], off
	s_movk_i32 s16, 0x7f
	s_mov_b64 s[18:19], 0
	s_waitcnt vmcnt(0)
	v_cmp_lt_i16_e32 vcc, s16, v1
	s_and_saveexec_b64 s[16:17], vcc
	s_xor_b64 s[16:17], exec, s[16:17]
	s_cbranch_execz .LBB239_2276
; %bb.2260:
	s_movk_i32 s18, 0x80
	v_cmp_ne_u16_e32 vcc, s18, v1
	s_and_b64 s[18:19], vcc, exec
	s_andn2_saveexec_b64 s[16:17], s[16:17]
	s_cbranch_execnz .LBB239_2277
.LBB239_2261:
	s_or_b64 exec, exec, s[16:17]
	v_mov_b32_e32 v18, 0
	s_and_saveexec_b64 s[16:17], s[18:19]
	s_cbranch_execz .LBB239_2263
.LBB239_2262:
	v_lshlrev_b32_e32 v3, 24, v1
	v_and_b32_e32 v1, 0xffff, v1
	v_and_b32_e32 v5, 7, v1
	v_ffbh_u32_e32 v11, v5
	v_min_u32_e32 v11, 32, v11
	v_subrev_u32_e32 v13, 28, v11
	v_bfe_u32 v8, v1, 3, 4
	v_lshlrev_b32_e32 v1, v13, v1
	v_sub_u32_e32 v11, 29, v11
	v_and_b32_e32 v1, 7, v1
	v_cmp_eq_u32_e32 vcc, 0, v8
	v_cndmask_b32_e32 v8, v8, v11, vcc
	v_cndmask_b32_e32 v1, v5, v1, vcc
	v_mov_b32_e32 v5, 0x3b800000
	v_lshlrev_b32_e32 v1, 20, v1
	v_and_b32_e32 v3, 0x80000000, v3
	v_lshl_add_u32 v5, v8, 23, v5
	v_or3_b32 v1, v3, v5, v1
	v_cvt_i32_f32_e32 v18, v1
.LBB239_2263:
	s_or_b64 exec, exec, s[16:17]
.LBB239_2264:
	s_mov_b64 s[16:17], -1
.LBB239_2265:
	s_mov_b64 s[18:19], 0
.LBB239_2266:
	s_and_b64 vcc, exec, s[18:19]
	s_cbranch_vccz .LBB239_2297
; %bb.2267:
	s_cmp_gt_i32 s21, 22
	s_cbranch_scc0 .LBB239_2275
; %bb.2268:
	s_cmp_lt_i32 s21, 24
	s_cbranch_scc1 .LBB239_2278
; %bb.2269:
	s_cmp_gt_i32 s21, 24
	s_cbranch_scc0 .LBB239_2279
; %bb.2270:
	global_load_ubyte v1, v[20:21], off
	s_movk_i32 s6, 0x7f
	s_mov_b64 s[16:17], 0
	s_waitcnt vmcnt(0)
	v_cmp_lt_i16_e32 vcc, s6, v1
	s_and_saveexec_b64 s[6:7], vcc
	s_xor_b64 s[6:7], exec, s[6:7]
	s_cbranch_execz .LBB239_2291
; %bb.2271:
	s_movk_i32 s16, 0x80
	v_cmp_ne_u16_e32 vcc, s16, v1
	s_and_b64 s[16:17], vcc, exec
	s_andn2_saveexec_b64 s[6:7], s[6:7]
	s_cbranch_execnz .LBB239_2292
.LBB239_2272:
	s_or_b64 exec, exec, s[6:7]
	v_mov_b32_e32 v18, 0
	s_and_saveexec_b64 s[6:7], s[16:17]
	s_cbranch_execz .LBB239_2274
.LBB239_2273:
	v_lshlrev_b32_e32 v3, 24, v1
	v_and_b32_e32 v1, 0xffff, v1
	v_and_b32_e32 v5, 3, v1
	v_ffbh_u32_e32 v11, v5
	v_min_u32_e32 v11, 32, v11
	v_subrev_u32_e32 v13, 29, v11
	v_bfe_u32 v8, v1, 2, 5
	v_lshlrev_b32_e32 v1, v13, v1
	v_sub_u32_e32 v11, 30, v11
	v_and_b32_e32 v1, 3, v1
	v_cmp_eq_u32_e32 vcc, 0, v8
	v_cndmask_b32_e32 v8, v8, v11, vcc
	v_cndmask_b32_e32 v1, v5, v1, vcc
	v_mov_b32_e32 v5, 0x37800000
	v_lshlrev_b32_e32 v1, 21, v1
	v_and_b32_e32 v3, 0x80000000, v3
	v_lshl_add_u32 v5, v8, 23, v5
	v_or3_b32 v1, v3, v5, v1
	v_cvt_i32_f32_e32 v18, v1
.LBB239_2274:
	s_or_b64 exec, exec, s[6:7]
	s_mov_b64 s[6:7], 0
	s_branch .LBB239_2280
.LBB239_2275:
	s_mov_b64 s[6:7], -1
                                        ; implicit-def: $vgpr18
	s_branch .LBB239_2286
.LBB239_2276:
	s_andn2_saveexec_b64 s[16:17], s[16:17]
	s_cbranch_execz .LBB239_2261
.LBB239_2277:
	v_cmp_ne_u16_e32 vcc, 0, v1
	s_andn2_b64 s[18:19], s[18:19], exec
	s_and_b64 s[24:25], vcc, exec
	s_or_b64 s[18:19], s[18:19], s[24:25]
	s_or_b64 exec, exec, s[16:17]
	v_mov_b32_e32 v18, 0
	s_and_saveexec_b64 s[16:17], s[18:19]
	s_cbranch_execnz .LBB239_2262
	s_branch .LBB239_2263
.LBB239_2278:
	s_mov_b64 s[6:7], -1
                                        ; implicit-def: $vgpr18
	s_branch .LBB239_2283
.LBB239_2279:
	s_mov_b64 s[6:7], -1
                                        ; implicit-def: $vgpr18
.LBB239_2280:
	s_and_b64 vcc, exec, s[6:7]
	s_cbranch_vccz .LBB239_2282
; %bb.2281:
	global_load_ubyte v1, v[20:21], off
	s_mov_b32 s6, 0x7f800000
	s_waitcnt vmcnt(0)
	v_lshlrev_b32_e32 v1, 24, v1
	v_and_b32_e32 v3, 0x7f000000, v1
	v_ffbh_u32_e32 v5, v3
	v_min_u32_e32 v5, 32, v5
	v_sub_u32_e64 v5, v5, 4 clamp
	v_lshlrev_b32_e32 v11, v5, v3
	v_lshlrev_b32_e32 v5, 23, v5
	v_lshrrev_b32_e32 v11, 4, v11
	v_add_u32_e32 v8, 0x1000000, v3
	v_sub_u32_e32 v5, v11, v5
	v_ashrrev_i32_e32 v8, 8, v8
	v_add_u32_e32 v5, 0x3c000000, v5
	v_and_or_b32 v5, v8, s6, v5
	v_cmp_ne_u32_e32 vcc, 0, v3
	v_cndmask_b32_e32 v3, 0, v5, vcc
	s_brev_b32 s6, 1
	v_and_or_b32 v1, v1, s6, v3
	v_cvt_i32_f32_e32 v18, v1
.LBB239_2282:
	s_mov_b64 s[6:7], 0
.LBB239_2283:
	s_andn2_b64 vcc, exec, s[6:7]
	s_cbranch_vccnz .LBB239_2285
; %bb.2284:
	global_load_ubyte v1, v[20:21], off
	s_movk_i32 s6, 0x7f00
	s_brev_b32 s7, 16
	s_waitcnt vmcnt(0)
	v_lshlrev_b16_e32 v3, 8, v1
	v_lshlrev_b32_e32 v1, 25, v1
	v_lshrrev_b32_e32 v5, 4, v1
	v_and_or_b32 v8, v3, s6, 0.5
	v_or_b32_e32 v5, 0x70000000, v5
	v_add_f32_e32 v8, -0.5, v8
	v_mul_f32_e32 v5, 0x7800000, v5
	v_cmp_gt_u32_e32 vcc, s7, v1
	v_bfe_i32 v3, v3, 0, 16
	v_cndmask_b32_e32 v1, v5, v8, vcc
	s_brev_b32 s6, 1
	v_and_or_b32 v1, v3, s6, v1
	v_cvt_i32_f32_e32 v18, v1
.LBB239_2285:
	s_mov_b64 s[6:7], 0
	s_mov_b64 s[16:17], -1
.LBB239_2286:
	s_andn2_b64 vcc, exec, s[6:7]
	s_mov_b64 s[6:7], 0
	s_cbranch_vccnz .LBB239_2297
; %bb.2287:
	s_cmp_gt_i32 s21, 14
	s_cbranch_scc0 .LBB239_2290
; %bb.2288:
	s_cmp_eq_u32 s21, 15
	s_cbranch_scc0 .LBB239_2293
; %bb.2289:
	global_load_ushort v1, v[20:21], off
	s_mov_b64 s[2:3], 0
	s_mov_b64 s[16:17], -1
	s_waitcnt vmcnt(0)
	v_lshlrev_b32_e32 v1, 16, v1
	v_cvt_i32_f32_e32 v18, v1
	s_branch .LBB239_2294
.LBB239_2290:
	s_mov_b64 s[18:19], -1
                                        ; implicit-def: $vgpr18
	s_branch .LBB239_2295
.LBB239_2291:
	s_andn2_saveexec_b64 s[6:7], s[6:7]
	s_cbranch_execz .LBB239_2272
.LBB239_2292:
	v_cmp_ne_u16_e32 vcc, 0, v1
	s_andn2_b64 s[16:17], s[16:17], exec
	s_and_b64 s[18:19], vcc, exec
	s_or_b64 s[16:17], s[16:17], s[18:19]
	s_or_b64 exec, exec, s[6:7]
	v_mov_b32_e32 v18, 0
	s_and_saveexec_b64 s[6:7], s[16:17]
	s_cbranch_execnz .LBB239_2273
	s_branch .LBB239_2274
.LBB239_2293:
	s_mov_b64 s[2:3], -1
                                        ; implicit-def: $vgpr18
.LBB239_2294:
	s_mov_b64 s[18:19], 0
.LBB239_2295:
	s_and_b64 vcc, exec, s[18:19]
	s_cbranch_vccz .LBB239_2297
; %bb.2296:
	s_cmp_lg_u32 s21, 11
	s_mov_b64 s[6:7], -1
	s_cselect_b64 s[2:3], -1, 0
.LBB239_2297:
	s_and_b64 vcc, exec, s[2:3]
	s_cbranch_vccnz .LBB239_2362
; %bb.2298:
	s_andn2_b64 vcc, exec, s[6:7]
	s_cbranch_vccnz .LBB239_2300
.LBB239_2299:
	global_load_ubyte v1, v[20:21], off
	s_mov_b64 s[16:17], -1
	s_waitcnt vmcnt(0)
	v_cmp_ne_u16_e32 vcc, 0, v1
	v_cndmask_b32_e64 v18, 0, 1, vcc
.LBB239_2300:
	s_mov_b64 s[2:3], 0
.LBB239_2301:
	s_and_b64 vcc, exec, s[2:3]
	s_cbranch_vccz .LBB239_2350
; %bb.2302:
	s_cmp_lt_i32 s21, 5
	s_cbranch_scc1 .LBB239_2307
; %bb.2303:
	s_cmp_lt_i32 s21, 8
	s_cbranch_scc1 .LBB239_2308
	;; [unrolled: 3-line block ×3, first 2 shown]
; %bb.2305:
	s_cmp_gt_i32 s21, 9
	s_cbranch_scc0 .LBB239_2310
; %bb.2306:
	global_load_dwordx2 v[18:19], v[20:21], off
	s_mov_b64 s[2:3], 0
	s_waitcnt vmcnt(0)
	v_cvt_i32_f64_e32 v18, v[18:19]
	s_branch .LBB239_2311
.LBB239_2307:
	s_mov_b64 s[2:3], -1
                                        ; implicit-def: $vgpr18
	s_branch .LBB239_2329
.LBB239_2308:
	s_mov_b64 s[2:3], -1
                                        ; implicit-def: $vgpr18
	s_branch .LBB239_2317
.LBB239_2309:
	s_mov_b64 s[2:3], -1
                                        ; implicit-def: $vgpr18
	s_branch .LBB239_2314
.LBB239_2310:
	s_mov_b64 s[2:3], -1
                                        ; implicit-def: $vgpr18
.LBB239_2311:
	s_andn2_b64 vcc, exec, s[2:3]
	s_cbranch_vccnz .LBB239_2313
; %bb.2312:
	global_load_dword v1, v[20:21], off
	s_waitcnt vmcnt(0)
	v_cvt_i32_f32_e32 v18, v1
.LBB239_2313:
	s_mov_b64 s[2:3], 0
.LBB239_2314:
	s_andn2_b64 vcc, exec, s[2:3]
	s_cbranch_vccnz .LBB239_2316
; %bb.2315:
	global_load_dword v1, v[20:21], off
	s_waitcnt vmcnt(0)
	v_cvt_i16_f16_e32 v18, v1
.LBB239_2316:
	s_mov_b64 s[2:3], 0
.LBB239_2317:
	s_andn2_b64 vcc, exec, s[2:3]
	s_cbranch_vccnz .LBB239_2328
; %bb.2318:
	s_cmp_lt_i32 s21, 6
	s_cbranch_scc1 .LBB239_2321
; %bb.2319:
	s_cmp_gt_i32 s21, 6
	s_cbranch_scc0 .LBB239_2322
; %bb.2320:
	global_load_dwordx2 v[18:19], v[20:21], off
	s_mov_b64 s[2:3], 0
	s_waitcnt vmcnt(0)
	v_cvt_i32_f64_e32 v18, v[18:19]
	s_branch .LBB239_2323
.LBB239_2321:
	s_mov_b64 s[2:3], -1
                                        ; implicit-def: $vgpr18
	s_branch .LBB239_2326
.LBB239_2322:
	s_mov_b64 s[2:3], -1
                                        ; implicit-def: $vgpr18
.LBB239_2323:
	s_andn2_b64 vcc, exec, s[2:3]
	s_cbranch_vccnz .LBB239_2325
; %bb.2324:
	global_load_dword v1, v[20:21], off
	s_waitcnt vmcnt(0)
	v_cvt_i32_f32_e32 v18, v1
.LBB239_2325:
	s_mov_b64 s[2:3], 0
.LBB239_2326:
	s_andn2_b64 vcc, exec, s[2:3]
	s_cbranch_vccnz .LBB239_2328
; %bb.2327:
	global_load_ushort v1, v[20:21], off
	s_waitcnt vmcnt(0)
	v_cvt_i16_f16_e32 v18, v1
.LBB239_2328:
	s_mov_b64 s[2:3], 0
.LBB239_2329:
	s_andn2_b64 vcc, exec, s[2:3]
	s_cbranch_vccnz .LBB239_2349
; %bb.2330:
	s_cmp_lt_i32 s21, 2
	s_cbranch_scc1 .LBB239_2334
; %bb.2331:
	s_cmp_lt_i32 s21, 3
	s_cbranch_scc1 .LBB239_2335
; %bb.2332:
	s_cmp_gt_i32 s21, 3
	s_cbranch_scc0 .LBB239_2336
; %bb.2333:
	global_load_dwordx2 v[18:19], v[20:21], off
	s_mov_b64 s[2:3], 0
	s_branch .LBB239_2337
.LBB239_2334:
	s_mov_b64 s[2:3], -1
                                        ; implicit-def: $vgpr18
	s_branch .LBB239_2343
.LBB239_2335:
	s_mov_b64 s[2:3], -1
                                        ; implicit-def: $vgpr18
	s_branch .LBB239_2340
.LBB239_2336:
	s_mov_b64 s[2:3], -1
                                        ; implicit-def: $vgpr18
.LBB239_2337:
	s_andn2_b64 vcc, exec, s[2:3]
	s_cbranch_vccnz .LBB239_2339
; %bb.2338:
	global_load_dword v18, v[20:21], off
.LBB239_2339:
	s_mov_b64 s[2:3], 0
.LBB239_2340:
	s_andn2_b64 vcc, exec, s[2:3]
	s_cbranch_vccnz .LBB239_2342
; %bb.2341:
	global_load_ushort v18, v[20:21], off
.LBB239_2342:
	s_mov_b64 s[2:3], 0
.LBB239_2343:
	s_andn2_b64 vcc, exec, s[2:3]
	s_cbranch_vccnz .LBB239_2349
; %bb.2344:
	s_cmp_gt_i32 s21, 0
	s_cbranch_scc0 .LBB239_2346
; %bb.2345:
	global_load_sbyte v18, v[20:21], off
	s_mov_b64 s[2:3], 0
	s_branch .LBB239_2347
.LBB239_2346:
	s_mov_b64 s[2:3], -1
                                        ; implicit-def: $vgpr18
.LBB239_2347:
	s_andn2_b64 vcc, exec, s[2:3]
	s_cbranch_vccnz .LBB239_2349
; %bb.2348:
	global_load_ubyte v18, v[20:21], off
.LBB239_2349:
	s_mov_b64 s[16:17], -1
.LBB239_2350:
	s_andn2_b64 vcc, exec, s[16:17]
	s_cbranch_vccnz .LBB239_3036
; %bb.2351:
	v_mov_b32_e32 v1, s11
	s_waitcnt vmcnt(0)
	v_add_co_u32_e32 v19, vcc, s10, v14
	s_cmp_lt_i32 s22, 11
	v_addc_co_u32_e32 v20, vcc, 0, v1, vcc
	s_cbranch_scc1 .LBB239_2358
; %bb.2352:
	s_and_b32 s18, 0xffff, s22
	s_cmp_gt_i32 s18, 25
	s_mov_b64 s[6:7], 0
	s_cbranch_scc0 .LBB239_2359
; %bb.2353:
	s_cmp_gt_i32 s18, 28
	s_cbranch_scc0 .LBB239_2360
; %bb.2354:
	s_cmp_gt_i32 s18, 43
	;; [unrolled: 3-line block ×3, first 2 shown]
	s_cbranch_scc0 .LBB239_2363
; %bb.2356:
	s_cmp_eq_u32 s18, 46
	s_mov_b64 s[16:17], 0
	s_cbranch_scc0 .LBB239_2364
; %bb.2357:
	global_load_dword v1, v[19:20], off
	s_mov_b64 s[2:3], 0
	s_mov_b64 s[10:11], -1
	s_waitcnt vmcnt(0)
	v_lshlrev_b32_e32 v1, 16, v1
	v_cvt_i32_f32_e32 v13, v1
	s_branch .LBB239_2365
.LBB239_2358:
	s_mov_b64 s[2:3], -1
	s_mov_b64 s[10:11], 0
                                        ; implicit-def: $vgpr13
	s_branch .LBB239_2427
.LBB239_2359:
	s_mov_b64 s[16:17], -1
	s_mov_b64 s[10:11], 0
	s_mov_b64 s[2:3], 0
                                        ; implicit-def: $vgpr13
	s_branch .LBB239_2392
.LBB239_2360:
	s_mov_b64 s[16:17], -1
	s_mov_b64 s[10:11], 0
	s_mov_b64 s[2:3], 0
                                        ; implicit-def: $vgpr13
	s_branch .LBB239_2375
.LBB239_2361:
	s_mov_b64 s[16:17], -1
	s_mov_b64 s[10:11], 0
	s_mov_b64 s[2:3], 0
                                        ; implicit-def: $vgpr13
	s_branch .LBB239_2370
.LBB239_2362:
	s_trap 2
	s_or_b64 s[4:5], s[4:5], exec
	s_cbranch_execz .LBB239_2299
	s_branch .LBB239_2300
.LBB239_2363:
	s_mov_b64 s[16:17], -1
	s_mov_b64 s[10:11], 0
	s_mov_b64 s[2:3], 0
                                        ; implicit-def: $vgpr13
	s_branch .LBB239_2365
.LBB239_2364:
	s_mov_b64 s[2:3], -1
                                        ; implicit-def: $vgpr13
	s_mov_b64 s[10:11], 0
.LBB239_2365:
	s_and_b64 vcc, exec, s[16:17]
	s_cbranch_vccz .LBB239_2369
; %bb.2366:
	s_cmp_eq_u32 s18, 44
	s_cbranch_scc0 .LBB239_2368
; %bb.2367:
	global_load_ubyte v1, v[19:20], off
	s_mov_b64 s[2:3], 0
	s_mov_b64 s[10:11], -1
	s_waitcnt vmcnt(0)
	v_lshlrev_b32_e32 v3, 23, v1
	v_cvt_i32_f32_e32 v3, v3
	v_cmp_ne_u32_e32 vcc, 0, v1
	v_cndmask_b32_e32 v13, 0, v3, vcc
	s_branch .LBB239_2369
.LBB239_2368:
	s_mov_b64 s[2:3], -1
                                        ; implicit-def: $vgpr13
.LBB239_2369:
	s_mov_b64 s[16:17], 0
.LBB239_2370:
	s_and_b64 vcc, exec, s[16:17]
	s_cbranch_vccz .LBB239_2374
; %bb.2371:
	s_cmp_eq_u32 s18, 29
	s_cbranch_scc0 .LBB239_2373
; %bb.2372:
	global_load_dwordx2 v[13:14], v[19:20], off
	s_mov_b64 s[2:3], 0
	s_mov_b64 s[10:11], -1
	s_branch .LBB239_2374
.LBB239_2373:
	s_mov_b64 s[2:3], -1
                                        ; implicit-def: $vgpr13
.LBB239_2374:
	s_mov_b64 s[16:17], 0
.LBB239_2375:
	s_and_b64 vcc, exec, s[16:17]
	s_cbranch_vccz .LBB239_2391
; %bb.2376:
	s_cmp_lt_i32 s18, 27
	s_cbranch_scc1 .LBB239_2379
; %bb.2377:
	s_cmp_gt_i32 s18, 27
	s_cbranch_scc0 .LBB239_2380
; %bb.2378:
	global_load_dword v13, v[19:20], off
	s_mov_b64 s[10:11], 0
	s_branch .LBB239_2381
.LBB239_2379:
	s_mov_b64 s[10:11], -1
                                        ; implicit-def: $vgpr13
	s_branch .LBB239_2384
.LBB239_2380:
	s_mov_b64 s[10:11], -1
                                        ; implicit-def: $vgpr13
.LBB239_2381:
	s_andn2_b64 vcc, exec, s[10:11]
	s_cbranch_vccnz .LBB239_2383
; %bb.2382:
	global_load_ushort v13, v[19:20], off
.LBB239_2383:
	s_mov_b64 s[10:11], 0
.LBB239_2384:
	s_andn2_b64 vcc, exec, s[10:11]
	s_cbranch_vccnz .LBB239_2390
; %bb.2385:
	global_load_ubyte v1, v[19:20], off
	s_movk_i32 s10, 0x7f
	s_mov_b64 s[16:17], 0
	s_waitcnt vmcnt(0)
	v_cmp_lt_i16_e32 vcc, s10, v1
	s_and_saveexec_b64 s[10:11], vcc
	s_xor_b64 s[10:11], exec, s[10:11]
	s_cbranch_execz .LBB239_2402
; %bb.2386:
	s_movk_i32 s16, 0x80
	v_cmp_ne_u16_e32 vcc, s16, v1
	s_and_b64 s[16:17], vcc, exec
	s_andn2_saveexec_b64 s[10:11], s[10:11]
	s_cbranch_execnz .LBB239_2403
.LBB239_2387:
	s_or_b64 exec, exec, s[10:11]
	v_mov_b32_e32 v13, 0
	s_and_saveexec_b64 s[10:11], s[16:17]
	s_cbranch_execz .LBB239_2389
.LBB239_2388:
	v_lshlrev_b32_e32 v3, 24, v1
	v_and_b32_e32 v1, 0xffff, v1
	v_and_b32_e32 v5, 7, v1
	v_ffbh_u32_e32 v11, v5
	v_min_u32_e32 v11, 32, v11
	v_subrev_u32_e32 v13, 28, v11
	v_bfe_u32 v8, v1, 3, 4
	v_lshlrev_b32_e32 v1, v13, v1
	v_sub_u32_e32 v11, 29, v11
	v_and_b32_e32 v1, 7, v1
	v_cmp_eq_u32_e32 vcc, 0, v8
	v_cndmask_b32_e32 v8, v8, v11, vcc
	v_cndmask_b32_e32 v1, v5, v1, vcc
	v_mov_b32_e32 v5, 0x3b800000
	v_lshlrev_b32_e32 v1, 20, v1
	v_and_b32_e32 v3, 0x80000000, v3
	v_lshl_add_u32 v5, v8, 23, v5
	v_or3_b32 v1, v3, v5, v1
	v_cvt_i32_f32_e32 v13, v1
.LBB239_2389:
	s_or_b64 exec, exec, s[10:11]
.LBB239_2390:
	s_mov_b64 s[10:11], -1
.LBB239_2391:
	s_mov_b64 s[16:17], 0
.LBB239_2392:
	s_and_b64 vcc, exec, s[16:17]
	s_cbranch_vccz .LBB239_2423
; %bb.2393:
	s_cmp_gt_i32 s18, 22
	s_cbranch_scc0 .LBB239_2401
; %bb.2394:
	s_cmp_lt_i32 s18, 24
	s_cbranch_scc1 .LBB239_2404
; %bb.2395:
	s_cmp_gt_i32 s18, 24
	s_cbranch_scc0 .LBB239_2405
; %bb.2396:
	global_load_ubyte v1, v[19:20], off
	s_movk_i32 s6, 0x7f
	s_mov_b64 s[10:11], 0
	s_waitcnt vmcnt(0)
	v_cmp_lt_i16_e32 vcc, s6, v1
	s_and_saveexec_b64 s[6:7], vcc
	s_xor_b64 s[6:7], exec, s[6:7]
	s_cbranch_execz .LBB239_2417
; %bb.2397:
	s_movk_i32 s10, 0x80
	v_cmp_ne_u16_e32 vcc, s10, v1
	s_and_b64 s[10:11], vcc, exec
	s_andn2_saveexec_b64 s[6:7], s[6:7]
	s_cbranch_execnz .LBB239_2418
.LBB239_2398:
	s_or_b64 exec, exec, s[6:7]
	v_mov_b32_e32 v13, 0
	s_and_saveexec_b64 s[6:7], s[10:11]
	s_cbranch_execz .LBB239_2400
.LBB239_2399:
	v_lshlrev_b32_e32 v3, 24, v1
	v_and_b32_e32 v1, 0xffff, v1
	v_and_b32_e32 v5, 3, v1
	v_ffbh_u32_e32 v11, v5
	v_min_u32_e32 v11, 32, v11
	v_subrev_u32_e32 v13, 29, v11
	v_bfe_u32 v8, v1, 2, 5
	v_lshlrev_b32_e32 v1, v13, v1
	v_sub_u32_e32 v11, 30, v11
	v_and_b32_e32 v1, 3, v1
	v_cmp_eq_u32_e32 vcc, 0, v8
	v_cndmask_b32_e32 v8, v8, v11, vcc
	v_cndmask_b32_e32 v1, v5, v1, vcc
	v_mov_b32_e32 v5, 0x37800000
	v_lshlrev_b32_e32 v1, 21, v1
	v_and_b32_e32 v3, 0x80000000, v3
	v_lshl_add_u32 v5, v8, 23, v5
	v_or3_b32 v1, v3, v5, v1
	v_cvt_i32_f32_e32 v13, v1
.LBB239_2400:
	s_or_b64 exec, exec, s[6:7]
	s_mov_b64 s[6:7], 0
	s_branch .LBB239_2406
.LBB239_2401:
	s_mov_b64 s[6:7], -1
                                        ; implicit-def: $vgpr13
	s_branch .LBB239_2412
.LBB239_2402:
	s_andn2_saveexec_b64 s[10:11], s[10:11]
	s_cbranch_execz .LBB239_2387
.LBB239_2403:
	v_cmp_ne_u16_e32 vcc, 0, v1
	s_andn2_b64 s[16:17], s[16:17], exec
	s_and_b64 s[24:25], vcc, exec
	s_or_b64 s[16:17], s[16:17], s[24:25]
	s_or_b64 exec, exec, s[10:11]
	v_mov_b32_e32 v13, 0
	s_and_saveexec_b64 s[10:11], s[16:17]
	s_cbranch_execnz .LBB239_2388
	s_branch .LBB239_2389
.LBB239_2404:
	s_mov_b64 s[6:7], -1
                                        ; implicit-def: $vgpr13
	s_branch .LBB239_2409
.LBB239_2405:
	s_mov_b64 s[6:7], -1
                                        ; implicit-def: $vgpr13
.LBB239_2406:
	s_and_b64 vcc, exec, s[6:7]
	s_cbranch_vccz .LBB239_2408
; %bb.2407:
	global_load_ubyte v1, v[19:20], off
	s_mov_b32 s6, 0x7f800000
	s_waitcnt vmcnt(0)
	v_lshlrev_b32_e32 v1, 24, v1
	v_and_b32_e32 v3, 0x7f000000, v1
	v_ffbh_u32_e32 v5, v3
	v_min_u32_e32 v5, 32, v5
	v_sub_u32_e64 v5, v5, 4 clamp
	v_lshlrev_b32_e32 v11, v5, v3
	v_lshlrev_b32_e32 v5, 23, v5
	v_lshrrev_b32_e32 v11, 4, v11
	v_add_u32_e32 v8, 0x1000000, v3
	v_sub_u32_e32 v5, v11, v5
	v_ashrrev_i32_e32 v8, 8, v8
	v_add_u32_e32 v5, 0x3c000000, v5
	v_and_or_b32 v5, v8, s6, v5
	v_cmp_ne_u32_e32 vcc, 0, v3
	v_cndmask_b32_e32 v3, 0, v5, vcc
	s_brev_b32 s6, 1
	v_and_or_b32 v1, v1, s6, v3
	v_cvt_i32_f32_e32 v13, v1
.LBB239_2408:
	s_mov_b64 s[6:7], 0
.LBB239_2409:
	s_andn2_b64 vcc, exec, s[6:7]
	s_cbranch_vccnz .LBB239_2411
; %bb.2410:
	global_load_ubyte v1, v[19:20], off
	s_movk_i32 s6, 0x7f00
	s_brev_b32 s7, 16
	s_waitcnt vmcnt(0)
	v_lshlrev_b16_e32 v3, 8, v1
	v_lshlrev_b32_e32 v1, 25, v1
	v_lshrrev_b32_e32 v5, 4, v1
	v_and_or_b32 v8, v3, s6, 0.5
	v_or_b32_e32 v5, 0x70000000, v5
	v_add_f32_e32 v8, -0.5, v8
	v_mul_f32_e32 v5, 0x7800000, v5
	v_cmp_gt_u32_e32 vcc, s7, v1
	v_bfe_i32 v3, v3, 0, 16
	v_cndmask_b32_e32 v1, v5, v8, vcc
	s_brev_b32 s6, 1
	v_and_or_b32 v1, v3, s6, v1
	v_cvt_i32_f32_e32 v13, v1
.LBB239_2411:
	s_mov_b64 s[6:7], 0
	s_mov_b64 s[10:11], -1
.LBB239_2412:
	s_andn2_b64 vcc, exec, s[6:7]
	s_mov_b64 s[6:7], 0
	s_cbranch_vccnz .LBB239_2423
; %bb.2413:
	s_cmp_gt_i32 s18, 14
	s_cbranch_scc0 .LBB239_2416
; %bb.2414:
	s_cmp_eq_u32 s18, 15
	s_cbranch_scc0 .LBB239_2419
; %bb.2415:
	global_load_ushort v1, v[19:20], off
	s_mov_b64 s[2:3], 0
	s_mov_b64 s[10:11], -1
	s_waitcnt vmcnt(0)
	v_lshlrev_b32_e32 v1, 16, v1
	v_cvt_i32_f32_e32 v13, v1
	s_branch .LBB239_2420
.LBB239_2416:
	s_mov_b64 s[16:17], -1
                                        ; implicit-def: $vgpr13
	s_branch .LBB239_2421
.LBB239_2417:
	s_andn2_saveexec_b64 s[6:7], s[6:7]
	s_cbranch_execz .LBB239_2398
.LBB239_2418:
	v_cmp_ne_u16_e32 vcc, 0, v1
	s_andn2_b64 s[10:11], s[10:11], exec
	s_and_b64 s[16:17], vcc, exec
	s_or_b64 s[10:11], s[10:11], s[16:17]
	s_or_b64 exec, exec, s[6:7]
	v_mov_b32_e32 v13, 0
	s_and_saveexec_b64 s[6:7], s[10:11]
	s_cbranch_execnz .LBB239_2399
	s_branch .LBB239_2400
.LBB239_2419:
	s_mov_b64 s[2:3], -1
                                        ; implicit-def: $vgpr13
.LBB239_2420:
	s_mov_b64 s[16:17], 0
.LBB239_2421:
	s_and_b64 vcc, exec, s[16:17]
	s_cbranch_vccz .LBB239_2423
; %bb.2422:
	s_cmp_lg_u32 s18, 11
	s_mov_b64 s[6:7], -1
	s_cselect_b64 s[2:3], -1, 0
.LBB239_2423:
	s_and_b64 vcc, exec, s[2:3]
	s_cbranch_vccnz .LBB239_2488
; %bb.2424:
	s_andn2_b64 vcc, exec, s[6:7]
	s_cbranch_vccnz .LBB239_2426
.LBB239_2425:
	global_load_ubyte v1, v[19:20], off
	s_mov_b64 s[10:11], -1
	s_waitcnt vmcnt(0)
	v_cmp_ne_u16_e32 vcc, 0, v1
	v_cndmask_b32_e64 v13, 0, 1, vcc
.LBB239_2426:
	s_mov_b64 s[2:3], 0
.LBB239_2427:
	s_and_b64 vcc, exec, s[2:3]
	s_cbranch_vccz .LBB239_2476
; %bb.2428:
	s_and_b32 s6, 0xffff, s22
	s_cmp_lt_i32 s6, 5
	s_cbranch_scc1 .LBB239_2433
; %bb.2429:
	s_cmp_lt_i32 s6, 8
	s_cbranch_scc1 .LBB239_2434
; %bb.2430:
	s_cmp_lt_i32 s6, 9
	s_cbranch_scc1 .LBB239_2435
; %bb.2431:
	s_cmp_gt_i32 s6, 9
	s_cbranch_scc0 .LBB239_2436
; %bb.2432:
	global_load_dwordx2 v[13:14], v[19:20], off
	s_mov_b64 s[2:3], 0
	s_waitcnt vmcnt(0)
	v_cvt_i32_f64_e32 v13, v[13:14]
	s_branch .LBB239_2437
.LBB239_2433:
	s_mov_b64 s[2:3], -1
                                        ; implicit-def: $vgpr13
	s_branch .LBB239_2455
.LBB239_2434:
	s_mov_b64 s[2:3], -1
                                        ; implicit-def: $vgpr13
	s_branch .LBB239_2443
.LBB239_2435:
	s_mov_b64 s[2:3], -1
                                        ; implicit-def: $vgpr13
	s_branch .LBB239_2440
.LBB239_2436:
	s_mov_b64 s[2:3], -1
                                        ; implicit-def: $vgpr13
.LBB239_2437:
	s_andn2_b64 vcc, exec, s[2:3]
	s_cbranch_vccnz .LBB239_2439
; %bb.2438:
	global_load_dword v1, v[19:20], off
	s_waitcnt vmcnt(0)
	v_cvt_i32_f32_e32 v13, v1
.LBB239_2439:
	s_mov_b64 s[2:3], 0
.LBB239_2440:
	s_andn2_b64 vcc, exec, s[2:3]
	s_cbranch_vccnz .LBB239_2442
; %bb.2441:
	global_load_dword v1, v[19:20], off
	s_waitcnt vmcnt(0)
	v_cvt_i16_f16_e32 v13, v1
.LBB239_2442:
	s_mov_b64 s[2:3], 0
.LBB239_2443:
	s_andn2_b64 vcc, exec, s[2:3]
	s_cbranch_vccnz .LBB239_2454
; %bb.2444:
	s_cmp_lt_i32 s6, 6
	s_cbranch_scc1 .LBB239_2447
; %bb.2445:
	s_cmp_gt_i32 s6, 6
	s_cbranch_scc0 .LBB239_2448
; %bb.2446:
	global_load_dwordx2 v[13:14], v[19:20], off
	s_mov_b64 s[2:3], 0
	s_waitcnt vmcnt(0)
	v_cvt_i32_f64_e32 v13, v[13:14]
	s_branch .LBB239_2449
.LBB239_2447:
	s_mov_b64 s[2:3], -1
                                        ; implicit-def: $vgpr13
	s_branch .LBB239_2452
.LBB239_2448:
	s_mov_b64 s[2:3], -1
                                        ; implicit-def: $vgpr13
.LBB239_2449:
	s_andn2_b64 vcc, exec, s[2:3]
	s_cbranch_vccnz .LBB239_2451
; %bb.2450:
	global_load_dword v1, v[19:20], off
	s_waitcnt vmcnt(0)
	v_cvt_i32_f32_e32 v13, v1
.LBB239_2451:
	s_mov_b64 s[2:3], 0
.LBB239_2452:
	s_andn2_b64 vcc, exec, s[2:3]
	s_cbranch_vccnz .LBB239_2454
; %bb.2453:
	global_load_ushort v1, v[19:20], off
	s_waitcnt vmcnt(0)
	v_cvt_i16_f16_e32 v13, v1
.LBB239_2454:
	s_mov_b64 s[2:3], 0
.LBB239_2455:
	s_andn2_b64 vcc, exec, s[2:3]
	s_cbranch_vccnz .LBB239_2475
; %bb.2456:
	s_cmp_lt_i32 s6, 2
	s_cbranch_scc1 .LBB239_2460
; %bb.2457:
	s_cmp_lt_i32 s6, 3
	s_cbranch_scc1 .LBB239_2461
; %bb.2458:
	s_cmp_gt_i32 s6, 3
	s_cbranch_scc0 .LBB239_2462
; %bb.2459:
	global_load_dwordx2 v[13:14], v[19:20], off
	s_mov_b64 s[2:3], 0
	s_branch .LBB239_2463
.LBB239_2460:
	s_mov_b64 s[2:3], -1
                                        ; implicit-def: $vgpr13
	s_branch .LBB239_2469
.LBB239_2461:
	s_mov_b64 s[2:3], -1
                                        ; implicit-def: $vgpr13
	s_branch .LBB239_2466
.LBB239_2462:
	s_mov_b64 s[2:3], -1
                                        ; implicit-def: $vgpr13
.LBB239_2463:
	s_andn2_b64 vcc, exec, s[2:3]
	s_cbranch_vccnz .LBB239_2465
; %bb.2464:
	global_load_dword v13, v[19:20], off
.LBB239_2465:
	s_mov_b64 s[2:3], 0
.LBB239_2466:
	s_andn2_b64 vcc, exec, s[2:3]
	s_cbranch_vccnz .LBB239_2468
; %bb.2467:
	global_load_ushort v13, v[19:20], off
.LBB239_2468:
	s_mov_b64 s[2:3], 0
.LBB239_2469:
	s_andn2_b64 vcc, exec, s[2:3]
	s_cbranch_vccnz .LBB239_2475
; %bb.2470:
	s_cmp_gt_i32 s6, 0
	s_cbranch_scc0 .LBB239_2472
; %bb.2471:
	global_load_sbyte v13, v[19:20], off
	s_mov_b64 s[2:3], 0
	s_branch .LBB239_2473
.LBB239_2472:
	s_mov_b64 s[2:3], -1
                                        ; implicit-def: $vgpr13
.LBB239_2473:
	s_andn2_b64 vcc, exec, s[2:3]
	s_cbranch_vccnz .LBB239_2475
; %bb.2474:
	global_load_ubyte v13, v[19:20], off
.LBB239_2475:
	s_mov_b64 s[10:11], -1
.LBB239_2476:
	s_andn2_b64 vcc, exec, s[10:11]
	s_cbranch_vccnz .LBB239_3036
; %bb.2477:
	v_mov_b32_e32 v1, s1
	v_add_co_u32_e32 v19, vcc, s0, v9
	s_cmp_lt_i32 s21, 11
	v_addc_co_u32_e32 v20, vcc, 0, v1, vcc
	s_cbranch_scc1 .LBB239_2484
; %bb.2478:
	s_cmp_gt_i32 s21, 25
	s_mov_b64 s[2:3], 0
	s_cbranch_scc0 .LBB239_2485
; %bb.2479:
	s_cmp_gt_i32 s21, 28
	s_cbranch_scc0 .LBB239_2486
; %bb.2480:
	s_cmp_gt_i32 s21, 43
	;; [unrolled: 3-line block ×3, first 2 shown]
	s_cbranch_scc0 .LBB239_2489
; %bb.2482:
	s_cmp_eq_u32 s21, 46
	s_mov_b64 s[10:11], 0
	s_cbranch_scc0 .LBB239_2490
; %bb.2483:
	global_load_dword v1, v[19:20], off
	s_mov_b64 s[0:1], 0
	s_mov_b64 s[6:7], -1
	s_waitcnt vmcnt(0)
	v_lshlrev_b32_e32 v1, 16, v1
	v_cvt_i32_f32_e32 v8, v1
	s_branch .LBB239_2491
.LBB239_2484:
	s_mov_b64 s[0:1], -1
	s_mov_b64 s[6:7], 0
                                        ; implicit-def: $vgpr8
	s_branch .LBB239_2553
.LBB239_2485:
	s_mov_b64 s[10:11], -1
	s_mov_b64 s[6:7], 0
	s_mov_b64 s[0:1], 0
                                        ; implicit-def: $vgpr8
	s_branch .LBB239_2518
.LBB239_2486:
	s_mov_b64 s[10:11], -1
	s_mov_b64 s[6:7], 0
	s_mov_b64 s[0:1], 0
                                        ; implicit-def: $vgpr8
	s_branch .LBB239_2501
.LBB239_2487:
	s_mov_b64 s[10:11], -1
	s_mov_b64 s[6:7], 0
	s_mov_b64 s[0:1], 0
                                        ; implicit-def: $vgpr8
	s_branch .LBB239_2496
.LBB239_2488:
	s_trap 2
	s_or_b64 s[4:5], s[4:5], exec
	s_cbranch_execz .LBB239_2425
	s_branch .LBB239_2426
.LBB239_2489:
	s_mov_b64 s[10:11], -1
	s_mov_b64 s[6:7], 0
	s_mov_b64 s[0:1], 0
                                        ; implicit-def: $vgpr8
	s_branch .LBB239_2491
.LBB239_2490:
	s_mov_b64 s[0:1], -1
                                        ; implicit-def: $vgpr8
	s_mov_b64 s[6:7], 0
.LBB239_2491:
	s_and_b64 vcc, exec, s[10:11]
	s_cbranch_vccz .LBB239_2495
; %bb.2492:
	s_cmp_eq_u32 s21, 44
	s_cbranch_scc0 .LBB239_2494
; %bb.2493:
	global_load_ubyte v1, v[19:20], off
	s_mov_b64 s[0:1], 0
	s_mov_b64 s[6:7], -1
	s_waitcnt vmcnt(0)
	v_lshlrev_b32_e32 v3, 23, v1
	v_cvt_i32_f32_e32 v3, v3
	v_cmp_ne_u32_e32 vcc, 0, v1
	v_cndmask_b32_e32 v8, 0, v3, vcc
	s_branch .LBB239_2495
.LBB239_2494:
	s_mov_b64 s[0:1], -1
                                        ; implicit-def: $vgpr8
.LBB239_2495:
	s_mov_b64 s[10:11], 0
.LBB239_2496:
	s_and_b64 vcc, exec, s[10:11]
	s_cbranch_vccz .LBB239_2500
; %bb.2497:
	s_cmp_eq_u32 s21, 29
	s_cbranch_scc0 .LBB239_2499
; %bb.2498:
	global_load_dwordx2 v[8:9], v[19:20], off
	s_mov_b64 s[0:1], 0
	s_mov_b64 s[6:7], -1
	s_branch .LBB239_2500
.LBB239_2499:
	s_mov_b64 s[0:1], -1
                                        ; implicit-def: $vgpr8
.LBB239_2500:
	s_mov_b64 s[10:11], 0
.LBB239_2501:
	s_and_b64 vcc, exec, s[10:11]
	s_cbranch_vccz .LBB239_2517
; %bb.2502:
	s_cmp_lt_i32 s21, 27
	s_cbranch_scc1 .LBB239_2505
; %bb.2503:
	s_cmp_gt_i32 s21, 27
	s_cbranch_scc0 .LBB239_2506
; %bb.2504:
	global_load_dword v8, v[19:20], off
	s_mov_b64 s[6:7], 0
	s_branch .LBB239_2507
.LBB239_2505:
	s_mov_b64 s[6:7], -1
                                        ; implicit-def: $vgpr8
	s_branch .LBB239_2510
.LBB239_2506:
	s_mov_b64 s[6:7], -1
                                        ; implicit-def: $vgpr8
.LBB239_2507:
	s_andn2_b64 vcc, exec, s[6:7]
	s_cbranch_vccnz .LBB239_2509
; %bb.2508:
	global_load_ushort v8, v[19:20], off
.LBB239_2509:
	s_mov_b64 s[6:7], 0
.LBB239_2510:
	s_andn2_b64 vcc, exec, s[6:7]
	s_cbranch_vccnz .LBB239_2516
; %bb.2511:
	global_load_ubyte v1, v[19:20], off
	s_movk_i32 s6, 0x7f
	s_mov_b64 s[10:11], 0
	s_waitcnt vmcnt(0)
	v_cmp_lt_i16_e32 vcc, s6, v1
	s_and_saveexec_b64 s[6:7], vcc
	s_xor_b64 s[6:7], exec, s[6:7]
	s_cbranch_execz .LBB239_2528
; %bb.2512:
	s_movk_i32 s10, 0x80
	v_cmp_ne_u16_e32 vcc, s10, v1
	s_and_b64 s[10:11], vcc, exec
	s_andn2_saveexec_b64 s[6:7], s[6:7]
	s_cbranch_execnz .LBB239_2529
.LBB239_2513:
	s_or_b64 exec, exec, s[6:7]
	v_mov_b32_e32 v8, 0
	s_and_saveexec_b64 s[6:7], s[10:11]
	s_cbranch_execz .LBB239_2515
.LBB239_2514:
	v_lshlrev_b32_e32 v3, 24, v1
	v_and_b32_e32 v1, 0xffff, v1
	v_and_b32_e32 v5, 7, v1
	v_ffbh_u32_e32 v9, v5
	v_min_u32_e32 v9, 32, v9
	v_subrev_u32_e32 v11, 28, v9
	v_bfe_u32 v8, v1, 3, 4
	v_lshlrev_b32_e32 v1, v11, v1
	v_sub_u32_e32 v9, 29, v9
	v_and_b32_e32 v1, 7, v1
	v_cmp_eq_u32_e32 vcc, 0, v8
	v_cndmask_b32_e32 v8, v8, v9, vcc
	v_cndmask_b32_e32 v1, v5, v1, vcc
	v_mov_b32_e32 v5, 0x3b800000
	v_lshlrev_b32_e32 v1, 20, v1
	v_and_b32_e32 v3, 0x80000000, v3
	v_lshl_add_u32 v5, v8, 23, v5
	v_or3_b32 v1, v3, v5, v1
	v_cvt_i32_f32_e32 v8, v1
.LBB239_2515:
	s_or_b64 exec, exec, s[6:7]
.LBB239_2516:
	s_mov_b64 s[6:7], -1
.LBB239_2517:
	s_mov_b64 s[10:11], 0
.LBB239_2518:
	s_and_b64 vcc, exec, s[10:11]
	s_cbranch_vccz .LBB239_2549
; %bb.2519:
	s_cmp_gt_i32 s21, 22
	s_cbranch_scc0 .LBB239_2527
; %bb.2520:
	s_cmp_lt_i32 s21, 24
	s_cbranch_scc1 .LBB239_2530
; %bb.2521:
	s_cmp_gt_i32 s21, 24
	s_cbranch_scc0 .LBB239_2531
; %bb.2522:
	global_load_ubyte v1, v[19:20], off
	s_movk_i32 s2, 0x7f
	s_mov_b64 s[6:7], 0
	s_waitcnt vmcnt(0)
	v_cmp_lt_i16_e32 vcc, s2, v1
	s_and_saveexec_b64 s[2:3], vcc
	s_xor_b64 s[2:3], exec, s[2:3]
	s_cbranch_execz .LBB239_2543
; %bb.2523:
	s_movk_i32 s6, 0x80
	v_cmp_ne_u16_e32 vcc, s6, v1
	s_and_b64 s[6:7], vcc, exec
	s_andn2_saveexec_b64 s[2:3], s[2:3]
	s_cbranch_execnz .LBB239_2544
.LBB239_2524:
	s_or_b64 exec, exec, s[2:3]
	v_mov_b32_e32 v8, 0
	s_and_saveexec_b64 s[2:3], s[6:7]
	s_cbranch_execz .LBB239_2526
.LBB239_2525:
	v_lshlrev_b32_e32 v3, 24, v1
	v_and_b32_e32 v1, 0xffff, v1
	v_and_b32_e32 v5, 3, v1
	v_ffbh_u32_e32 v9, v5
	v_min_u32_e32 v9, 32, v9
	v_subrev_u32_e32 v11, 29, v9
	v_bfe_u32 v8, v1, 2, 5
	v_lshlrev_b32_e32 v1, v11, v1
	v_sub_u32_e32 v9, 30, v9
	v_and_b32_e32 v1, 3, v1
	v_cmp_eq_u32_e32 vcc, 0, v8
	v_cndmask_b32_e32 v8, v8, v9, vcc
	v_cndmask_b32_e32 v1, v5, v1, vcc
	v_mov_b32_e32 v5, 0x37800000
	v_lshlrev_b32_e32 v1, 21, v1
	v_and_b32_e32 v3, 0x80000000, v3
	v_lshl_add_u32 v5, v8, 23, v5
	v_or3_b32 v1, v3, v5, v1
	v_cvt_i32_f32_e32 v8, v1
.LBB239_2526:
	s_or_b64 exec, exec, s[2:3]
	s_mov_b64 s[2:3], 0
	s_branch .LBB239_2532
.LBB239_2527:
	s_mov_b64 s[2:3], -1
                                        ; implicit-def: $vgpr8
	s_branch .LBB239_2538
.LBB239_2528:
	s_andn2_saveexec_b64 s[6:7], s[6:7]
	s_cbranch_execz .LBB239_2513
.LBB239_2529:
	v_cmp_ne_u16_e32 vcc, 0, v1
	s_andn2_b64 s[10:11], s[10:11], exec
	s_and_b64 s[16:17], vcc, exec
	s_or_b64 s[10:11], s[10:11], s[16:17]
	s_or_b64 exec, exec, s[6:7]
	v_mov_b32_e32 v8, 0
	s_and_saveexec_b64 s[6:7], s[10:11]
	s_cbranch_execnz .LBB239_2514
	s_branch .LBB239_2515
.LBB239_2530:
	s_mov_b64 s[2:3], -1
                                        ; implicit-def: $vgpr8
	s_branch .LBB239_2535
.LBB239_2531:
	s_mov_b64 s[2:3], -1
                                        ; implicit-def: $vgpr8
.LBB239_2532:
	s_and_b64 vcc, exec, s[2:3]
	s_cbranch_vccz .LBB239_2534
; %bb.2533:
	global_load_ubyte v1, v[19:20], off
	s_mov_b32 s2, 0x7f800000
	s_waitcnt vmcnt(0)
	v_lshlrev_b32_e32 v1, 24, v1
	v_and_b32_e32 v3, 0x7f000000, v1
	v_ffbh_u32_e32 v5, v3
	v_min_u32_e32 v5, 32, v5
	v_sub_u32_e64 v5, v5, 4 clamp
	v_lshlrev_b32_e32 v9, v5, v3
	v_lshlrev_b32_e32 v5, 23, v5
	v_lshrrev_b32_e32 v9, 4, v9
	v_add_u32_e32 v8, 0x1000000, v3
	v_sub_u32_e32 v5, v9, v5
	v_ashrrev_i32_e32 v8, 8, v8
	v_add_u32_e32 v5, 0x3c000000, v5
	v_and_or_b32 v5, v8, s2, v5
	v_cmp_ne_u32_e32 vcc, 0, v3
	v_cndmask_b32_e32 v3, 0, v5, vcc
	s_brev_b32 s2, 1
	v_and_or_b32 v1, v1, s2, v3
	v_cvt_i32_f32_e32 v8, v1
.LBB239_2534:
	s_mov_b64 s[2:3], 0
.LBB239_2535:
	s_andn2_b64 vcc, exec, s[2:3]
	s_cbranch_vccnz .LBB239_2537
; %bb.2536:
	global_load_ubyte v1, v[19:20], off
	s_movk_i32 s2, 0x7f00
	s_brev_b32 s3, 16
	s_waitcnt vmcnt(0)
	v_lshlrev_b16_e32 v3, 8, v1
	v_lshlrev_b32_e32 v1, 25, v1
	v_lshrrev_b32_e32 v5, 4, v1
	v_and_or_b32 v8, v3, s2, 0.5
	v_or_b32_e32 v5, 0x70000000, v5
	v_add_f32_e32 v8, -0.5, v8
	v_mul_f32_e32 v5, 0x7800000, v5
	v_cmp_gt_u32_e32 vcc, s3, v1
	v_bfe_i32 v3, v3, 0, 16
	v_cndmask_b32_e32 v1, v5, v8, vcc
	s_brev_b32 s2, 1
	v_and_or_b32 v1, v3, s2, v1
	v_cvt_i32_f32_e32 v8, v1
.LBB239_2537:
	s_mov_b64 s[2:3], 0
	s_mov_b64 s[6:7], -1
.LBB239_2538:
	s_andn2_b64 vcc, exec, s[2:3]
	s_mov_b64 s[2:3], 0
	s_cbranch_vccnz .LBB239_2549
; %bb.2539:
	s_cmp_gt_i32 s21, 14
	s_cbranch_scc0 .LBB239_2542
; %bb.2540:
	s_cmp_eq_u32 s21, 15
	s_cbranch_scc0 .LBB239_2545
; %bb.2541:
	global_load_ushort v1, v[19:20], off
	s_mov_b64 s[0:1], 0
	s_mov_b64 s[6:7], -1
	s_waitcnt vmcnt(0)
	v_lshlrev_b32_e32 v1, 16, v1
	v_cvt_i32_f32_e32 v8, v1
	s_branch .LBB239_2546
.LBB239_2542:
	s_mov_b64 s[10:11], -1
                                        ; implicit-def: $vgpr8
	s_branch .LBB239_2547
.LBB239_2543:
	s_andn2_saveexec_b64 s[2:3], s[2:3]
	s_cbranch_execz .LBB239_2524
.LBB239_2544:
	v_cmp_ne_u16_e32 vcc, 0, v1
	s_andn2_b64 s[6:7], s[6:7], exec
	s_and_b64 s[10:11], vcc, exec
	s_or_b64 s[6:7], s[6:7], s[10:11]
	s_or_b64 exec, exec, s[2:3]
	v_mov_b32_e32 v8, 0
	s_and_saveexec_b64 s[2:3], s[6:7]
	s_cbranch_execnz .LBB239_2525
	s_branch .LBB239_2526
.LBB239_2545:
	s_mov_b64 s[0:1], -1
                                        ; implicit-def: $vgpr8
.LBB239_2546:
	s_mov_b64 s[10:11], 0
.LBB239_2547:
	s_and_b64 vcc, exec, s[10:11]
	s_cbranch_vccz .LBB239_2549
; %bb.2548:
	s_cmp_lg_u32 s21, 11
	s_mov_b64 s[2:3], -1
	s_cselect_b64 s[0:1], -1, 0
.LBB239_2549:
	s_and_b64 vcc, exec, s[0:1]
	s_cbranch_vccnz .LBB239_3082
; %bb.2550:
	s_andn2_b64 vcc, exec, s[2:3]
	s_cbranch_vccnz .LBB239_2552
.LBB239_2551:
	global_load_ubyte v1, v[19:20], off
	s_mov_b64 s[6:7], -1
	s_waitcnt vmcnt(0)
	v_cmp_ne_u16_e32 vcc, 0, v1
	v_cndmask_b32_e64 v8, 0, 1, vcc
.LBB239_2552:
	s_mov_b64 s[0:1], 0
.LBB239_2553:
	s_and_b64 vcc, exec, s[0:1]
	s_cbranch_vccz .LBB239_2602
; %bb.2554:
	s_cmp_lt_i32 s21, 5
	s_cbranch_scc1 .LBB239_2559
; %bb.2555:
	s_cmp_lt_i32 s21, 8
	s_cbranch_scc1 .LBB239_2560
	;; [unrolled: 3-line block ×3, first 2 shown]
; %bb.2557:
	s_cmp_gt_i32 s21, 9
	s_cbranch_scc0 .LBB239_2562
; %bb.2558:
	global_load_dwordx2 v[8:9], v[19:20], off
	s_mov_b64 s[0:1], 0
	s_waitcnt vmcnt(0)
	v_cvt_i32_f64_e32 v8, v[8:9]
	s_branch .LBB239_2563
.LBB239_2559:
	s_mov_b64 s[0:1], -1
                                        ; implicit-def: $vgpr8
	s_branch .LBB239_2581
.LBB239_2560:
	s_mov_b64 s[0:1], -1
                                        ; implicit-def: $vgpr8
	s_branch .LBB239_2569
.LBB239_2561:
	s_mov_b64 s[0:1], -1
                                        ; implicit-def: $vgpr8
	s_branch .LBB239_2566
.LBB239_2562:
	s_mov_b64 s[0:1], -1
                                        ; implicit-def: $vgpr8
.LBB239_2563:
	s_andn2_b64 vcc, exec, s[0:1]
	s_cbranch_vccnz .LBB239_2565
; %bb.2564:
	global_load_dword v1, v[19:20], off
	s_waitcnt vmcnt(0)
	v_cvt_i32_f32_e32 v8, v1
.LBB239_2565:
	s_mov_b64 s[0:1], 0
.LBB239_2566:
	s_andn2_b64 vcc, exec, s[0:1]
	s_cbranch_vccnz .LBB239_2568
; %bb.2567:
	global_load_dword v1, v[19:20], off
	s_waitcnt vmcnt(0)
	v_cvt_i16_f16_e32 v8, v1
.LBB239_2568:
	s_mov_b64 s[0:1], 0
.LBB239_2569:
	s_andn2_b64 vcc, exec, s[0:1]
	s_cbranch_vccnz .LBB239_2580
; %bb.2570:
	s_cmp_lt_i32 s21, 6
	s_cbranch_scc1 .LBB239_2573
; %bb.2571:
	s_cmp_gt_i32 s21, 6
	s_cbranch_scc0 .LBB239_2574
; %bb.2572:
	global_load_dwordx2 v[8:9], v[19:20], off
	s_mov_b64 s[0:1], 0
	s_waitcnt vmcnt(0)
	v_cvt_i32_f64_e32 v8, v[8:9]
	s_branch .LBB239_2575
.LBB239_2573:
	s_mov_b64 s[0:1], -1
                                        ; implicit-def: $vgpr8
	s_branch .LBB239_2578
.LBB239_2574:
	s_mov_b64 s[0:1], -1
                                        ; implicit-def: $vgpr8
.LBB239_2575:
	s_andn2_b64 vcc, exec, s[0:1]
	s_cbranch_vccnz .LBB239_2577
; %bb.2576:
	global_load_dword v1, v[19:20], off
	s_waitcnt vmcnt(0)
	v_cvt_i32_f32_e32 v8, v1
.LBB239_2577:
	s_mov_b64 s[0:1], 0
.LBB239_2578:
	s_andn2_b64 vcc, exec, s[0:1]
	s_cbranch_vccnz .LBB239_2580
; %bb.2579:
	global_load_ushort v1, v[19:20], off
	s_waitcnt vmcnt(0)
	v_cvt_i16_f16_e32 v8, v1
.LBB239_2580:
	s_mov_b64 s[0:1], 0
.LBB239_2581:
	s_andn2_b64 vcc, exec, s[0:1]
	s_cbranch_vccnz .LBB239_2601
; %bb.2582:
	s_cmp_lt_i32 s21, 2
	s_cbranch_scc1 .LBB239_2586
; %bb.2583:
	s_cmp_lt_i32 s21, 3
	s_cbranch_scc1 .LBB239_2587
; %bb.2584:
	s_cmp_gt_i32 s21, 3
	s_cbranch_scc0 .LBB239_2588
; %bb.2585:
	global_load_dwordx2 v[8:9], v[19:20], off
	s_mov_b64 s[0:1], 0
	s_branch .LBB239_2589
.LBB239_2586:
	s_mov_b64 s[0:1], -1
                                        ; implicit-def: $vgpr8
	s_branch .LBB239_2595
.LBB239_2587:
	s_mov_b64 s[0:1], -1
                                        ; implicit-def: $vgpr8
	s_branch .LBB239_2592
.LBB239_2588:
	s_mov_b64 s[0:1], -1
                                        ; implicit-def: $vgpr8
.LBB239_2589:
	s_andn2_b64 vcc, exec, s[0:1]
	s_cbranch_vccnz .LBB239_2591
; %bb.2590:
	global_load_dword v8, v[19:20], off
.LBB239_2591:
	s_mov_b64 s[0:1], 0
.LBB239_2592:
	s_andn2_b64 vcc, exec, s[0:1]
	s_cbranch_vccnz .LBB239_2594
; %bb.2593:
	global_load_ushort v8, v[19:20], off
.LBB239_2594:
	s_mov_b64 s[0:1], 0
.LBB239_2595:
	s_andn2_b64 vcc, exec, s[0:1]
	s_cbranch_vccnz .LBB239_2601
; %bb.2596:
	s_cmp_gt_i32 s21, 0
	s_cbranch_scc0 .LBB239_2598
; %bb.2597:
	global_load_sbyte v8, v[19:20], off
	s_mov_b64 s[0:1], 0
	s_branch .LBB239_2599
.LBB239_2598:
	s_mov_b64 s[0:1], -1
                                        ; implicit-def: $vgpr8
.LBB239_2599:
	s_andn2_b64 vcc, exec, s[0:1]
	s_cbranch_vccnz .LBB239_2601
; %bb.2600:
	global_load_ubyte v8, v[19:20], off
.LBB239_2601:
	s_mov_b64 s[6:7], -1
.LBB239_2602:
	s_andn2_b64 vcc, exec, s[6:7]
	s_cbranch_vccnz .LBB239_3036
; %bb.2603:
	v_ashrrev_i16_e32 v1, 15, v7
	v_ashrrev_i32_sdwa v3, v12, sext(v7) dst_sel:DWORD dst_unused:UNUSED_PAD src0_sel:WORD_0 src1_sel:WORD_0
	v_cmp_lt_u16_e32 vcc, 14, v12
	s_bfe_u32 s18, s20, 0x80008
	v_cndmask_b32_e32 v1, v3, v1, vcc
	v_mov_b32_e32 v3, s9
	v_add_co_u32_e32 v5, vcc, s8, v6
	s_cmp_lt_i32 s18, 11
	v_addc_co_u32_e32 v6, vcc, 0, v3, vcc
	s_cbranch_scc1 .LBB239_2681
; %bb.2604:
	s_and_b32 s19, 0xffff, s18
	s_mov_b64 s[10:11], -1
	s_mov_b64 s[2:3], 0
	s_cmp_gt_i32 s19, 25
	s_mov_b64 s[6:7], 0
	s_mov_b64 s[0:1], 0
	s_cbranch_scc0 .LBB239_2637
; %bb.2605:
	s_cmp_gt_i32 s19, 28
	s_cbranch_scc0 .LBB239_2620
; %bb.2606:
	s_cmp_gt_i32 s19, 43
	;; [unrolled: 3-line block ×3, first 2 shown]
	s_cbranch_scc0 .LBB239_2610
; %bb.2608:
	s_mov_b64 s[0:1], -1
	s_mov_b64 s[10:11], 0
	s_cmp_eq_u32 s19, 46
	s_cbranch_scc0 .LBB239_2610
; %bb.2609:
	v_cvt_f32_i32_sdwa v3, sext(v1) dst_sel:DWORD dst_unused:UNUSED_PAD src0_sel:WORD_0
	s_movk_i32 s6, 0x7fff
	s_mov_b64 s[0:1], 0
	v_bfe_u32 v7, v3, 16, 1
	v_add3_u32 v3, v3, v7, s6
	v_lshrrev_b32_e32 v3, 16, v3
	global_store_dword v[5:6], v3, off
	s_mov_b64 s[6:7], -1
.LBB239_2610:
	s_and_b64 vcc, exec, s[10:11]
	s_cbranch_vccz .LBB239_2615
; %bb.2611:
	s_cmp_eq_u32 s19, 44
	s_mov_b64 s[0:1], -1
	s_cbranch_scc0 .LBB239_2615
; %bb.2612:
	v_cvt_f32_i32_sdwa v3, sext(v1) dst_sel:DWORD dst_unused:UNUSED_PAD src0_sel:WORD_0
	s_movk_i32 s0, 0xff
	s_waitcnt vmcnt(0)
	v_mov_b32_e32 v9, 0xff
	v_bfe_u32 v7, v3, 23, 8
	v_cmp_ne_u32_e32 vcc, s0, v7
	s_and_saveexec_b64 s[6:7], vcc
; %bb.2613:
	s_mov_b32 s0, 0x3fffff
	v_lshrrev_b32_e32 v9, 23, v3
	v_and_b32_e32 v11, 0x400000, v3
	v_and_or_b32 v3, v3, s0, v7
	v_cmp_ne_u32_e32 vcc, 0, v11
	v_cmp_ne_u32_e64 s[0:1], 0, v3
	s_and_b64 s[0:1], vcc, s[0:1]
	v_cndmask_b32_e64 v3, 0, 1, s[0:1]
	v_add_u32_e32 v9, v9, v3
; %bb.2614:
	s_or_b64 exec, exec, s[6:7]
	s_mov_b64 s[0:1], 0
	s_mov_b64 s[6:7], -1
	global_store_byte v[5:6], v9, off
.LBB239_2615:
	s_mov_b64 s[10:11], 0
.LBB239_2616:
	s_and_b64 vcc, exec, s[10:11]
	s_cbranch_vccz .LBB239_2619
; %bb.2617:
	s_cmp_eq_u32 s19, 29
	s_mov_b64 s[0:1], -1
	s_cbranch_scc0 .LBB239_2619
; %bb.2618:
	v_bfe_i32 v11, v1, 0, 16
	v_ashrrev_i32_e32 v12, 31, v11
	global_store_dwordx2 v[5:6], v[11:12], off
	s_mov_b64 s[0:1], 0
	s_mov_b64 s[6:7], -1
.LBB239_2619:
	s_mov_b64 s[10:11], 0
.LBB239_2620:
	s_and_b64 vcc, exec, s[10:11]
	s_cbranch_vccz .LBB239_2636
; %bb.2621:
	s_cmp_lt_i32 s19, 27
	s_mov_b64 s[6:7], -1
	s_cbranch_scc1 .LBB239_2627
; %bb.2622:
	s_cmp_gt_i32 s19, 27
	s_cbranch_scc0 .LBB239_2624
; %bb.2623:
	v_bfe_i32 v3, v1, 0, 16
	s_mov_b64 s[6:7], 0
	global_store_dword v[5:6], v3, off
.LBB239_2624:
	s_andn2_b64 vcc, exec, s[6:7]
	s_cbranch_vccnz .LBB239_2626
; %bb.2625:
	global_store_short v[5:6], v1, off
.LBB239_2626:
	s_mov_b64 s[6:7], 0
.LBB239_2627:
	s_andn2_b64 vcc, exec, s[6:7]
	s_cbranch_vccnz .LBB239_2635
; %bb.2628:
	v_cvt_f32_i32_sdwa v3, sext(v1) dst_sel:DWORD dst_unused:UNUSED_PAD src0_sel:WORD_0
	s_mov_b32 s6, 0x43800000
	s_waitcnt vmcnt(0)
	v_mov_b32_e32 v9, 0x80
	v_and_b32_e32 v7, 0x7fffffff, v3
	v_cmp_gt_u32_e32 vcc, s6, v7
	s_and_saveexec_b64 s[6:7], vcc
	s_cbranch_execz .LBB239_2634
; %bb.2629:
	s_mov_b32 s10, 0x3bffffff
	v_cmp_lt_u32_e32 vcc, s10, v7
	s_mov_b64 s[10:11], 0
                                        ; implicit-def: $vgpr7
	s_and_saveexec_b64 s[16:17], vcc
	s_xor_b64 s[16:17], exec, s[16:17]
	s_cbranch_execz .LBB239_3083
; %bb.2630:
	v_bfe_u32 v7, v3, 20, 1
	s_mov_b32 s21, 0x487ffff
	v_add3_u32 v7, v3, v7, s21
	s_mov_b64 s[10:11], exec
	v_lshrrev_b32_e32 v7, 20, v7
	s_andn2_saveexec_b64 s[16:17], s[16:17]
	s_cbranch_execnz .LBB239_3084
.LBB239_2631:
	s_or_b64 exec, exec, s[16:17]
	v_mov_b32_e32 v9, 0
	s_and_saveexec_b64 s[16:17], s[10:11]
.LBB239_2632:
	v_lshrrev_b32_e32 v3, 24, v3
	s_movk_i32 s10, 0x80
	v_and_or_b32 v9, v3, s10, v7
.LBB239_2633:
	s_or_b64 exec, exec, s[16:17]
.LBB239_2634:
	s_or_b64 exec, exec, s[6:7]
	global_store_byte v[5:6], v9, off
.LBB239_2635:
	s_mov_b64 s[6:7], -1
.LBB239_2636:
	s_mov_b64 s[10:11], 0
.LBB239_2637:
	s_and_b64 vcc, exec, s[10:11]
	s_cbranch_vccz .LBB239_2677
; %bb.2638:
	s_cmp_gt_i32 s19, 22
	s_mov_b64 s[2:3], -1
	s_cbranch_scc0 .LBB239_2670
; %bb.2639:
	s_cmp_lt_i32 s19, 24
	s_cbranch_scc1 .LBB239_2659
; %bb.2640:
	s_cmp_gt_i32 s19, 24
	s_cbranch_scc0 .LBB239_2648
; %bb.2641:
	v_cvt_f32_i32_sdwa v3, sext(v1) dst_sel:DWORD dst_unused:UNUSED_PAD src0_sel:WORD_0
	s_mov_b32 s2, 0x47800000
	s_waitcnt vmcnt(0)
	v_mov_b32_e32 v9, 0x80
	v_and_b32_e32 v7, 0x7fffffff, v3
	v_cmp_gt_u32_e32 vcc, s2, v7
	s_and_saveexec_b64 s[2:3], vcc
	s_cbranch_execz .LBB239_2647
; %bb.2642:
	s_mov_b32 s6, 0x37ffffff
	v_cmp_lt_u32_e32 vcc, s6, v7
	s_mov_b64 s[6:7], 0
                                        ; implicit-def: $vgpr7
	s_and_saveexec_b64 s[10:11], vcc
	s_xor_b64 s[10:11], exec, s[10:11]
	s_cbranch_execz .LBB239_3086
; %bb.2643:
	v_bfe_u32 v7, v3, 21, 1
	s_mov_b32 s16, 0x88fffff
	v_add3_u32 v7, v3, v7, s16
	s_mov_b64 s[6:7], exec
	v_lshrrev_b32_e32 v7, 21, v7
	s_andn2_saveexec_b64 s[10:11], s[10:11]
	s_cbranch_execnz .LBB239_3087
.LBB239_2644:
	s_or_b64 exec, exec, s[10:11]
	v_mov_b32_e32 v9, 0
	s_and_saveexec_b64 s[10:11], s[6:7]
.LBB239_2645:
	v_lshrrev_b32_e32 v3, 24, v3
	s_movk_i32 s6, 0x80
	v_and_or_b32 v9, v3, s6, v7
.LBB239_2646:
	s_or_b64 exec, exec, s[10:11]
.LBB239_2647:
	s_or_b64 exec, exec, s[2:3]
	s_mov_b64 s[2:3], 0
	global_store_byte v[5:6], v9, off
.LBB239_2648:
	s_and_b64 vcc, exec, s[2:3]
	s_cbranch_vccz .LBB239_2658
; %bb.2649:
	v_cvt_f32_i32_sdwa v3, sext(v1) dst_sel:DWORD dst_unused:UNUSED_PAD src0_sel:WORD_0
	s_mov_b32 s2, 0x43f00000
                                        ; implicit-def: $vgpr7
	s_waitcnt vmcnt(0)
	v_and_b32_e32 v9, 0x7fffffff, v3
	v_cmp_gt_u32_e32 vcc, s2, v9
	s_and_saveexec_b64 s[2:3], vcc
	s_xor_b64 s[2:3], exec, s[2:3]
	s_cbranch_execz .LBB239_2655
; %bb.2650:
	s_mov_b32 s6, 0x3c7fffff
	v_cmp_lt_u32_e32 vcc, s6, v9
                                        ; implicit-def: $vgpr7
	s_and_saveexec_b64 s[6:7], vcc
	s_xor_b64 s[6:7], exec, s[6:7]
; %bb.2651:
	v_bfe_u32 v7, v3, 20, 1
	s_mov_b32 s10, 0x407ffff
	v_add3_u32 v7, v3, v7, s10
	v_lshrrev_b32_e32 v9, 20, v7
	v_and_b32_e32 v7, 0xff00000, v7
	s_mov_b32 s10, 0x7f00000
	v_mov_b32_e32 v11, 0x7e
	v_cmp_ne_u32_e32 vcc, s10, v7
	v_cndmask_b32_e32 v7, v11, v9, vcc
; %bb.2652:
	s_andn2_saveexec_b64 s[6:7], s[6:7]
; %bb.2653:
	s_mov_b32 s10, 0x46800000
	v_add_f32_e64 v7, |v3|, s10
; %bb.2654:
	s_or_b64 exec, exec, s[6:7]
                                        ; implicit-def: $vgpr9
.LBB239_2655:
	s_andn2_saveexec_b64 s[2:3], s[2:3]
; %bb.2656:
	s_mov_b32 s6, 0x7f800000
	v_mov_b32_e32 v7, 0x7e
	v_mov_b32_e32 v11, 0x7f
	v_cmp_lt_u32_e32 vcc, s6, v9
	v_cndmask_b32_e32 v7, v7, v11, vcc
; %bb.2657:
	s_or_b64 exec, exec, s[2:3]
	v_lshrrev_b32_e32 v3, 24, v3
	s_movk_i32 s2, 0x80
	v_and_or_b32 v3, v3, s2, v7
	global_store_byte v[5:6], v3, off
.LBB239_2658:
	s_mov_b64 s[2:3], 0
.LBB239_2659:
	s_andn2_b64 vcc, exec, s[2:3]
	s_cbranch_vccnz .LBB239_2669
; %bb.2660:
	v_cvt_f32_i32_sdwa v3, sext(v1) dst_sel:DWORD dst_unused:UNUSED_PAD src0_sel:WORD_0
	s_mov_b32 s2, 0x47800000
                                        ; implicit-def: $vgpr7
	s_waitcnt vmcnt(0)
	v_and_b32_e32 v9, 0x7fffffff, v3
	v_cmp_gt_u32_e32 vcc, s2, v9
	s_and_saveexec_b64 s[2:3], vcc
	s_xor_b64 s[2:3], exec, s[2:3]
	s_cbranch_execz .LBB239_2666
; %bb.2661:
	s_mov_b32 s6, 0x387fffff
	v_cmp_lt_u32_e32 vcc, s6, v9
                                        ; implicit-def: $vgpr7
	s_and_saveexec_b64 s[6:7], vcc
	s_xor_b64 s[6:7], exec, s[6:7]
; %bb.2662:
	v_bfe_u32 v7, v3, 21, 1
	s_mov_b32 s10, 0x80fffff
	v_add3_u32 v7, v3, v7, s10
	v_lshrrev_b32_e32 v7, 21, v7
; %bb.2663:
	s_andn2_saveexec_b64 s[6:7], s[6:7]
; %bb.2664:
	s_mov_b32 s10, 0x43000000
	v_add_f32_e64 v7, |v3|, s10
; %bb.2665:
	s_or_b64 exec, exec, s[6:7]
                                        ; implicit-def: $vgpr9
.LBB239_2666:
	s_andn2_saveexec_b64 s[2:3], s[2:3]
; %bb.2667:
	s_mov_b32 s6, 0x7f800000
	v_mov_b32_e32 v7, 0x7c
	v_mov_b32_e32 v11, 0x7f
	v_cmp_lt_u32_e32 vcc, s6, v9
	v_cndmask_b32_e32 v7, v7, v11, vcc
; %bb.2668:
	s_or_b64 exec, exec, s[2:3]
	v_lshrrev_b32_e32 v3, 24, v3
	s_movk_i32 s2, 0x80
	v_and_or_b32 v3, v3, s2, v7
	global_store_byte v[5:6], v3, off
.LBB239_2669:
	s_mov_b64 s[2:3], 0
	s_mov_b64 s[6:7], -1
.LBB239_2670:
	s_andn2_b64 vcc, exec, s[2:3]
	s_mov_b64 s[2:3], 0
	s_cbranch_vccnz .LBB239_2677
; %bb.2671:
	s_cmp_gt_i32 s19, 14
	s_mov_b64 s[10:11], -1
	s_cbranch_scc0 .LBB239_2675
; %bb.2672:
	s_cmp_eq_u32 s19, 15
	s_mov_b64 s[0:1], -1
	s_cbranch_scc0 .LBB239_2674
; %bb.2673:
	v_cvt_f32_i32_sdwa v3, sext(v1) dst_sel:DWORD dst_unused:UNUSED_PAD src0_sel:WORD_0
	s_movk_i32 s2, 0x7fff
	s_mov_b64 s[0:1], 0
	s_mov_b64 s[6:7], -1
	v_bfe_u32 v7, v3, 16, 1
	v_add3_u32 v3, v3, v7, s2
	global_store_short_d16_hi v[5:6], v3, off
.LBB239_2674:
	s_mov_b64 s[10:11], 0
.LBB239_2675:
	s_mov_b64 s[2:3], 0
	s_and_b64 vcc, exec, s[10:11]
	s_cbranch_vccz .LBB239_2677
; %bb.2676:
	s_cmp_lg_u32 s19, 11
	s_mov_b64 s[2:3], -1
	s_cselect_b64 s[0:1], -1, 0
.LBB239_2677:
	s_and_b64 vcc, exec, s[0:1]
	s_cbranch_vccnz .LBB239_3085
; %bb.2678:
	s_andn2_b64 vcc, exec, s[2:3]
	s_cbranch_vccnz .LBB239_2680
.LBB239_2679:
	v_cmp_ne_u16_e32 vcc, 0, v1
	v_cndmask_b32_e64 v3, 0, 1, vcc
	s_mov_b64 s[6:7], -1
	global_store_byte v[5:6], v3, off
.LBB239_2680:
	s_mov_b64 s[0:1], 0
	s_branch .LBB239_2682
.LBB239_2681:
	s_mov_b64 s[0:1], -1
	s_mov_b64 s[6:7], 0
.LBB239_2682:
	s_and_b64 vcc, exec, s[0:1]
	s_cbranch_vccz .LBB239_2721
; %bb.2683:
	s_and_b32 s2, 0xffff, s18
	s_cmp_lt_i32 s2, 5
	s_mov_b64 s[0:1], -1
	s_cbranch_scc1 .LBB239_2704
; %bb.2684:
	s_cmp_lt_i32 s2, 8
	s_cbranch_scc1 .LBB239_2694
; %bb.2685:
	s_cmp_lt_i32 s2, 9
	s_cbranch_scc1 .LBB239_2691
; %bb.2686:
	s_cmp_gt_i32 s2, 9
	s_cbranch_scc0 .LBB239_2688
; %bb.2687:
	v_bfe_i32 v3, v1, 0, 16
	v_cvt_f64_i32_e32 v[19:20], v3
	v_mov_b32_e32 v21, 0
	v_mov_b32_e32 v22, v21
	s_mov_b64 s[0:1], 0
	global_store_dwordx4 v[5:6], v[19:22], off
.LBB239_2688:
	s_andn2_b64 vcc, exec, s[0:1]
	s_cbranch_vccnz .LBB239_2690
; %bb.2689:
	v_cvt_f32_i32_sdwa v11, sext(v1) dst_sel:DWORD dst_unused:UNUSED_PAD src0_sel:WORD_0
	v_mov_b32_e32 v12, 0
	global_store_dwordx2 v[5:6], v[11:12], off
.LBB239_2690:
	s_mov_b64 s[0:1], 0
.LBB239_2691:
	s_andn2_b64 vcc, exec, s[0:1]
	s_cbranch_vccnz .LBB239_2693
; %bb.2692:
	v_cvt_f16_i16_e32 v3, v1
	global_store_dword v[5:6], v3, off
.LBB239_2693:
	s_mov_b64 s[0:1], 0
.LBB239_2694:
	s_andn2_b64 vcc, exec, s[0:1]
	s_cbranch_vccnz .LBB239_2703
; %bb.2695:
	s_cmp_lt_i32 s2, 6
	s_mov_b64 s[0:1], -1
	s_cbranch_scc1 .LBB239_2701
; %bb.2696:
	s_cmp_gt_i32 s2, 6
	s_cbranch_scc0 .LBB239_2698
; %bb.2697:
	v_bfe_i32 v3, v1, 0, 16
	v_cvt_f64_i32_e32 v[11:12], v3
	s_mov_b64 s[0:1], 0
	global_store_dwordx2 v[5:6], v[11:12], off
.LBB239_2698:
	s_andn2_b64 vcc, exec, s[0:1]
	s_cbranch_vccnz .LBB239_2700
; %bb.2699:
	v_cvt_f32_i32_sdwa v3, sext(v1) dst_sel:DWORD dst_unused:UNUSED_PAD src0_sel:WORD_0
	global_store_dword v[5:6], v3, off
.LBB239_2700:
	s_mov_b64 s[0:1], 0
.LBB239_2701:
	s_andn2_b64 vcc, exec, s[0:1]
	s_cbranch_vccnz .LBB239_2703
; %bb.2702:
	v_cvt_f16_i16_e32 v3, v1
	global_store_short v[5:6], v3, off
.LBB239_2703:
	s_mov_b64 s[0:1], 0
.LBB239_2704:
	s_andn2_b64 vcc, exec, s[0:1]
	s_cbranch_vccnz .LBB239_2720
; %bb.2705:
	s_cmp_lt_i32 s2, 2
	s_mov_b64 s[0:1], -1
	s_cbranch_scc1 .LBB239_2715
; %bb.2706:
	s_cmp_lt_i32 s2, 3
	s_cbranch_scc1 .LBB239_2712
; %bb.2707:
	s_cmp_gt_i32 s2, 3
	v_bfe_i32 v11, v1, 0, 16
	s_cbranch_scc0 .LBB239_2709
; %bb.2708:
	v_ashrrev_i32_e32 v12, 31, v11
	global_store_dwordx2 v[5:6], v[11:12], off
	s_mov_b64 s[0:1], 0
.LBB239_2709:
	s_andn2_b64 vcc, exec, s[0:1]
	s_cbranch_vccnz .LBB239_2711
; %bb.2710:
	global_store_dword v[5:6], v11, off
.LBB239_2711:
	s_mov_b64 s[0:1], 0
.LBB239_2712:
	s_andn2_b64 vcc, exec, s[0:1]
	s_cbranch_vccnz .LBB239_2714
; %bb.2713:
	global_store_short v[5:6], v1, off
.LBB239_2714:
	s_mov_b64 s[0:1], 0
.LBB239_2715:
	s_andn2_b64 vcc, exec, s[0:1]
	s_cbranch_vccnz .LBB239_2720
; %bb.2716:
	s_cmp_gt_i32 s2, 0
	s_mov_b64 s[0:1], -1
	s_cbranch_scc0 .LBB239_2718
; %bb.2717:
	global_store_byte v[5:6], v1, off
	s_mov_b64 s[0:1], 0
.LBB239_2718:
	s_andn2_b64 vcc, exec, s[0:1]
	s_cbranch_vccnz .LBB239_2720
; %bb.2719:
	global_store_byte v[5:6], v1, off
.LBB239_2720:
	s_mov_b64 s[6:7], -1
.LBB239_2721:
	s_andn2_b64 vcc, exec, s[6:7]
	s_cbranch_vccnz .LBB239_3036
; %bb.2722:
	s_lshr_b32 s0, s20, 8
	v_ashrrev_i16_e32 v1, 15, v10
	v_ashrrev_i32_sdwa v3, v17, sext(v10) dst_sel:DWORD dst_unused:UNUSED_PAD src0_sel:WORD_0 src1_sel:WORD_0
	v_cmp_lt_u16_e32 vcc, 14, v17
	s_and_b32 s18, s0, 0xff
	v_cndmask_b32_e32 v1, v3, v1, vcc
	v_mov_b32_e32 v5, s9
	v_add_co_u32_e32 v3, vcc, s8, v4
	s_cmp_lt_i32 s18, 11
	v_addc_co_u32_e32 v4, vcc, 0, v5, vcc
	s_cbranch_scc1 .LBB239_2800
; %bb.2723:
	s_and_b32 s19, 0xffff, s18
	s_mov_b64 s[10:11], -1
	s_mov_b64 s[2:3], 0
	s_cmp_gt_i32 s19, 25
	s_mov_b64 s[6:7], 0
	s_mov_b64 s[0:1], 0
	s_cbranch_scc0 .LBB239_2756
; %bb.2724:
	s_cmp_gt_i32 s19, 28
	s_cbranch_scc0 .LBB239_2739
; %bb.2725:
	s_cmp_gt_i32 s19, 43
	;; [unrolled: 3-line block ×3, first 2 shown]
	s_cbranch_scc0 .LBB239_2729
; %bb.2727:
	s_mov_b64 s[0:1], -1
	s_mov_b64 s[10:11], 0
	s_cmp_eq_u32 s19, 46
	s_cbranch_scc0 .LBB239_2729
; %bb.2728:
	v_cvt_f32_i32_sdwa v5, sext(v1) dst_sel:DWORD dst_unused:UNUSED_PAD src0_sel:WORD_0
	s_movk_i32 s6, 0x7fff
	s_mov_b64 s[0:1], 0
	v_bfe_u32 v6, v5, 16, 1
	v_add3_u32 v5, v5, v6, s6
	v_lshrrev_b32_e32 v5, 16, v5
	global_store_dword v[3:4], v5, off
	s_mov_b64 s[6:7], -1
.LBB239_2729:
	s_and_b64 vcc, exec, s[10:11]
	s_cbranch_vccz .LBB239_2734
; %bb.2730:
	s_cmp_eq_u32 s19, 44
	s_mov_b64 s[0:1], -1
	s_cbranch_scc0 .LBB239_2734
; %bb.2731:
	v_cvt_f32_i32_sdwa v5, sext(v1) dst_sel:DWORD dst_unused:UNUSED_PAD src0_sel:WORD_0
	s_movk_i32 s0, 0xff
	v_mov_b32_e32 v7, 0xff
	v_bfe_u32 v6, v5, 23, 8
	v_cmp_ne_u32_e32 vcc, s0, v6
	s_and_saveexec_b64 s[6:7], vcc
	s_cbranch_execz .LBB239_2733
; %bb.2732:
	s_mov_b32 s0, 0x3fffff
	v_lshrrev_b32_e32 v7, 23, v5
	s_waitcnt vmcnt(0)
	v_and_b32_e32 v9, 0x400000, v5
	v_and_or_b32 v5, v5, s0, v6
	v_cmp_ne_u32_e32 vcc, 0, v9
	v_cmp_ne_u32_e64 s[0:1], 0, v5
	s_and_b64 s[0:1], vcc, s[0:1]
	v_cndmask_b32_e64 v5, 0, 1, s[0:1]
	v_add_u32_e32 v7, v7, v5
.LBB239_2733:
	s_or_b64 exec, exec, s[6:7]
	s_mov_b64 s[0:1], 0
	s_mov_b64 s[6:7], -1
	global_store_byte v[3:4], v7, off
.LBB239_2734:
	s_mov_b64 s[10:11], 0
.LBB239_2735:
	s_and_b64 vcc, exec, s[10:11]
	s_cbranch_vccz .LBB239_2738
; %bb.2736:
	s_cmp_eq_u32 s19, 29
	s_mov_b64 s[0:1], -1
	s_cbranch_scc0 .LBB239_2738
; %bb.2737:
	v_bfe_i32 v5, v1, 0, 16
	v_ashrrev_i32_e32 v6, 31, v5
	global_store_dwordx2 v[3:4], v[5:6], off
	s_mov_b64 s[0:1], 0
	s_mov_b64 s[6:7], -1
.LBB239_2738:
	s_mov_b64 s[10:11], 0
.LBB239_2739:
	s_and_b64 vcc, exec, s[10:11]
	s_cbranch_vccz .LBB239_2755
; %bb.2740:
	s_cmp_lt_i32 s19, 27
	s_mov_b64 s[6:7], -1
	s_cbranch_scc1 .LBB239_2746
; %bb.2741:
	s_cmp_gt_i32 s19, 27
	s_cbranch_scc0 .LBB239_2743
; %bb.2742:
	v_bfe_i32 v5, v1, 0, 16
	s_mov_b64 s[6:7], 0
	global_store_dword v[3:4], v5, off
.LBB239_2743:
	s_andn2_b64 vcc, exec, s[6:7]
	s_cbranch_vccnz .LBB239_2745
; %bb.2744:
	global_store_short v[3:4], v1, off
.LBB239_2745:
	s_mov_b64 s[6:7], 0
.LBB239_2746:
	s_andn2_b64 vcc, exec, s[6:7]
	s_cbranch_vccnz .LBB239_2754
; %bb.2747:
	v_cvt_f32_i32_sdwa v5, sext(v1) dst_sel:DWORD dst_unused:UNUSED_PAD src0_sel:WORD_0
	s_mov_b32 s6, 0x43800000
	v_mov_b32_e32 v7, 0x80
	v_and_b32_e32 v6, 0x7fffffff, v5
	v_cmp_gt_u32_e32 vcc, s6, v6
	s_and_saveexec_b64 s[6:7], vcc
	s_cbranch_execz .LBB239_2753
; %bb.2748:
	s_mov_b32 s10, 0x3bffffff
	v_cmp_lt_u32_e32 vcc, s10, v6
	s_mov_b64 s[10:11], 0
                                        ; implicit-def: $vgpr6
	s_and_saveexec_b64 s[16:17], vcc
	s_xor_b64 s[16:17], exec, s[16:17]
	s_cbranch_execz .LBB239_3088
; %bb.2749:
	v_bfe_u32 v6, v5, 20, 1
	s_mov_b32 s20, 0x487ffff
	v_add3_u32 v6, v5, v6, s20
	s_mov_b64 s[10:11], exec
	v_lshrrev_b32_e32 v6, 20, v6
	s_andn2_saveexec_b64 s[16:17], s[16:17]
	s_cbranch_execnz .LBB239_3089
.LBB239_2750:
	s_or_b64 exec, exec, s[16:17]
	v_mov_b32_e32 v7, 0
	s_and_saveexec_b64 s[16:17], s[10:11]
.LBB239_2751:
	v_lshrrev_b32_e32 v5, 24, v5
	s_movk_i32 s10, 0x80
	v_and_or_b32 v7, v5, s10, v6
.LBB239_2752:
	s_or_b64 exec, exec, s[16:17]
.LBB239_2753:
	s_or_b64 exec, exec, s[6:7]
	global_store_byte v[3:4], v7, off
.LBB239_2754:
	s_mov_b64 s[6:7], -1
.LBB239_2755:
	s_mov_b64 s[10:11], 0
.LBB239_2756:
	s_and_b64 vcc, exec, s[10:11]
	s_cbranch_vccz .LBB239_2796
; %bb.2757:
	s_cmp_gt_i32 s19, 22
	s_mov_b64 s[2:3], -1
	s_cbranch_scc0 .LBB239_2789
; %bb.2758:
	s_cmp_lt_i32 s19, 24
	s_cbranch_scc1 .LBB239_2778
; %bb.2759:
	s_cmp_gt_i32 s19, 24
	s_cbranch_scc0 .LBB239_2767
; %bb.2760:
	v_cvt_f32_i32_sdwa v5, sext(v1) dst_sel:DWORD dst_unused:UNUSED_PAD src0_sel:WORD_0
	s_mov_b32 s2, 0x47800000
	v_mov_b32_e32 v7, 0x80
	v_and_b32_e32 v6, 0x7fffffff, v5
	v_cmp_gt_u32_e32 vcc, s2, v6
	s_and_saveexec_b64 s[2:3], vcc
	s_cbranch_execz .LBB239_2766
; %bb.2761:
	s_mov_b32 s6, 0x37ffffff
	v_cmp_lt_u32_e32 vcc, s6, v6
	s_mov_b64 s[6:7], 0
                                        ; implicit-def: $vgpr6
	s_and_saveexec_b64 s[10:11], vcc
	s_xor_b64 s[10:11], exec, s[10:11]
	s_cbranch_execz .LBB239_3091
; %bb.2762:
	v_bfe_u32 v6, v5, 21, 1
	s_mov_b32 s16, 0x88fffff
	v_add3_u32 v6, v5, v6, s16
	s_mov_b64 s[6:7], exec
	v_lshrrev_b32_e32 v6, 21, v6
	s_andn2_saveexec_b64 s[10:11], s[10:11]
	s_cbranch_execnz .LBB239_3092
.LBB239_2763:
	s_or_b64 exec, exec, s[10:11]
	v_mov_b32_e32 v7, 0
	s_and_saveexec_b64 s[10:11], s[6:7]
.LBB239_2764:
	v_lshrrev_b32_e32 v5, 24, v5
	s_movk_i32 s6, 0x80
	v_and_or_b32 v7, v5, s6, v6
.LBB239_2765:
	s_or_b64 exec, exec, s[10:11]
.LBB239_2766:
	s_or_b64 exec, exec, s[2:3]
	s_mov_b64 s[2:3], 0
	global_store_byte v[3:4], v7, off
.LBB239_2767:
	s_and_b64 vcc, exec, s[2:3]
	s_cbranch_vccz .LBB239_2777
; %bb.2768:
	v_cvt_f32_i32_sdwa v5, sext(v1) dst_sel:DWORD dst_unused:UNUSED_PAD src0_sel:WORD_0
	s_mov_b32 s2, 0x43f00000
                                        ; implicit-def: $vgpr6
	v_and_b32_e32 v7, 0x7fffffff, v5
	v_cmp_gt_u32_e32 vcc, s2, v7
	s_and_saveexec_b64 s[2:3], vcc
	s_xor_b64 s[2:3], exec, s[2:3]
	s_cbranch_execz .LBB239_2774
; %bb.2769:
	s_mov_b32 s6, 0x3c7fffff
	v_cmp_lt_u32_e32 vcc, s6, v7
                                        ; implicit-def: $vgpr6
	s_and_saveexec_b64 s[6:7], vcc
	s_xor_b64 s[6:7], exec, s[6:7]
	s_cbranch_execz .LBB239_2771
; %bb.2770:
	v_bfe_u32 v6, v5, 20, 1
	s_mov_b32 s10, 0x407ffff
	v_add3_u32 v6, v5, v6, s10
	v_lshrrev_b32_e32 v7, 20, v6
	v_and_b32_e32 v6, 0xff00000, v6
	s_mov_b32 s10, 0x7f00000
	s_waitcnt vmcnt(0)
	v_mov_b32_e32 v9, 0x7e
	v_cmp_ne_u32_e32 vcc, s10, v6
	v_cndmask_b32_e32 v6, v9, v7, vcc
.LBB239_2771:
	s_andn2_saveexec_b64 s[6:7], s[6:7]
; %bb.2772:
	s_mov_b32 s10, 0x46800000
	v_add_f32_e64 v6, |v5|, s10
; %bb.2773:
	s_or_b64 exec, exec, s[6:7]
                                        ; implicit-def: $vgpr7
.LBB239_2774:
	s_andn2_saveexec_b64 s[2:3], s[2:3]
	s_cbranch_execz .LBB239_2776
; %bb.2775:
	s_mov_b32 s6, 0x7f800000
	v_mov_b32_e32 v6, 0x7e
	s_waitcnt vmcnt(0)
	v_mov_b32_e32 v9, 0x7f
	v_cmp_lt_u32_e32 vcc, s6, v7
	v_cndmask_b32_e32 v6, v6, v9, vcc
.LBB239_2776:
	s_or_b64 exec, exec, s[2:3]
	v_lshrrev_b32_e32 v5, 24, v5
	s_movk_i32 s2, 0x80
	v_and_or_b32 v5, v5, s2, v6
	global_store_byte v[3:4], v5, off
.LBB239_2777:
	s_mov_b64 s[2:3], 0
.LBB239_2778:
	s_andn2_b64 vcc, exec, s[2:3]
	s_cbranch_vccnz .LBB239_2788
; %bb.2779:
	v_cvt_f32_i32_sdwa v5, sext(v1) dst_sel:DWORD dst_unused:UNUSED_PAD src0_sel:WORD_0
	s_mov_b32 s2, 0x47800000
                                        ; implicit-def: $vgpr6
	v_and_b32_e32 v7, 0x7fffffff, v5
	v_cmp_gt_u32_e32 vcc, s2, v7
	s_and_saveexec_b64 s[2:3], vcc
	s_xor_b64 s[2:3], exec, s[2:3]
	s_cbranch_execz .LBB239_2785
; %bb.2780:
	s_mov_b32 s6, 0x387fffff
	v_cmp_lt_u32_e32 vcc, s6, v7
                                        ; implicit-def: $vgpr6
	s_and_saveexec_b64 s[6:7], vcc
	s_xor_b64 s[6:7], exec, s[6:7]
; %bb.2781:
	v_bfe_u32 v6, v5, 21, 1
	s_mov_b32 s10, 0x80fffff
	v_add3_u32 v6, v5, v6, s10
	v_lshrrev_b32_e32 v6, 21, v6
; %bb.2782:
	s_andn2_saveexec_b64 s[6:7], s[6:7]
; %bb.2783:
	s_mov_b32 s10, 0x43000000
	v_add_f32_e64 v6, |v5|, s10
; %bb.2784:
	s_or_b64 exec, exec, s[6:7]
                                        ; implicit-def: $vgpr7
.LBB239_2785:
	s_andn2_saveexec_b64 s[2:3], s[2:3]
	s_cbranch_execz .LBB239_2787
; %bb.2786:
	s_mov_b32 s6, 0x7f800000
	v_mov_b32_e32 v6, 0x7c
	s_waitcnt vmcnt(0)
	v_mov_b32_e32 v9, 0x7f
	v_cmp_lt_u32_e32 vcc, s6, v7
	v_cndmask_b32_e32 v6, v6, v9, vcc
.LBB239_2787:
	s_or_b64 exec, exec, s[2:3]
	v_lshrrev_b32_e32 v5, 24, v5
	s_movk_i32 s2, 0x80
	v_and_or_b32 v5, v5, s2, v6
	global_store_byte v[3:4], v5, off
.LBB239_2788:
	s_mov_b64 s[2:3], 0
	s_mov_b64 s[6:7], -1
.LBB239_2789:
	s_andn2_b64 vcc, exec, s[2:3]
	s_mov_b64 s[2:3], 0
	s_cbranch_vccnz .LBB239_2796
; %bb.2790:
	s_cmp_gt_i32 s19, 14
	s_mov_b64 s[10:11], -1
	s_cbranch_scc0 .LBB239_2794
; %bb.2791:
	s_cmp_eq_u32 s19, 15
	s_mov_b64 s[0:1], -1
	s_cbranch_scc0 .LBB239_2793
; %bb.2792:
	v_cvt_f32_i32_sdwa v5, sext(v1) dst_sel:DWORD dst_unused:UNUSED_PAD src0_sel:WORD_0
	s_movk_i32 s2, 0x7fff
	s_mov_b64 s[0:1], 0
	s_mov_b64 s[6:7], -1
	v_bfe_u32 v6, v5, 16, 1
	v_add3_u32 v5, v5, v6, s2
	global_store_short_d16_hi v[3:4], v5, off
.LBB239_2793:
	s_mov_b64 s[10:11], 0
.LBB239_2794:
	s_mov_b64 s[2:3], 0
	s_and_b64 vcc, exec, s[10:11]
	s_cbranch_vccz .LBB239_2796
; %bb.2795:
	s_cmp_lg_u32 s19, 11
	s_mov_b64 s[2:3], -1
	s_cselect_b64 s[0:1], -1, 0
.LBB239_2796:
	s_and_b64 vcc, exec, s[0:1]
	s_cbranch_vccnz .LBB239_3090
; %bb.2797:
	s_andn2_b64 vcc, exec, s[2:3]
	s_cbranch_vccnz .LBB239_2799
.LBB239_2798:
	v_cmp_ne_u16_e32 vcc, 0, v1
	v_cndmask_b32_e64 v5, 0, 1, vcc
	s_mov_b64 s[6:7], -1
	global_store_byte v[3:4], v5, off
.LBB239_2799:
	s_mov_b64 s[0:1], 0
	s_branch .LBB239_2801
.LBB239_2800:
	s_mov_b64 s[0:1], -1
	s_mov_b64 s[6:7], 0
.LBB239_2801:
	s_and_b64 vcc, exec, s[0:1]
	s_cbranch_vccz .LBB239_2840
; %bb.2802:
	s_and_b32 s2, 0xffff, s18
	s_cmp_lt_i32 s2, 5
	s_mov_b64 s[0:1], -1
	s_cbranch_scc1 .LBB239_2823
; %bb.2803:
	s_cmp_lt_i32 s2, 8
	s_cbranch_scc1 .LBB239_2813
; %bb.2804:
	s_cmp_lt_i32 s2, 9
	s_cbranch_scc1 .LBB239_2810
; %bb.2805:
	s_cmp_gt_i32 s2, 9
	s_cbranch_scc0 .LBB239_2807
; %bb.2806:
	v_bfe_i32 v5, v1, 0, 16
	s_waitcnt vmcnt(0)
	v_cvt_f64_i32_e32 v[9:10], v5
	v_mov_b32_e32 v11, 0
	v_mov_b32_e32 v12, v11
	s_mov_b64 s[0:1], 0
	global_store_dwordx4 v[3:4], v[9:12], off
.LBB239_2807:
	s_andn2_b64 vcc, exec, s[0:1]
	s_cbranch_vccnz .LBB239_2809
; %bb.2808:
	v_cvt_f32_i32_sdwa v5, sext(v1) dst_sel:DWORD dst_unused:UNUSED_PAD src0_sel:WORD_0
	v_mov_b32_e32 v6, 0
	global_store_dwordx2 v[3:4], v[5:6], off
.LBB239_2809:
	s_mov_b64 s[0:1], 0
.LBB239_2810:
	s_andn2_b64 vcc, exec, s[0:1]
	s_cbranch_vccnz .LBB239_2812
; %bb.2811:
	v_cvt_f16_i16_e32 v5, v1
	global_store_dword v[3:4], v5, off
.LBB239_2812:
	s_mov_b64 s[0:1], 0
.LBB239_2813:
	s_andn2_b64 vcc, exec, s[0:1]
	s_cbranch_vccnz .LBB239_2822
; %bb.2814:
	s_cmp_lt_i32 s2, 6
	s_mov_b64 s[0:1], -1
	s_cbranch_scc1 .LBB239_2820
; %bb.2815:
	s_cmp_gt_i32 s2, 6
	s_cbranch_scc0 .LBB239_2817
; %bb.2816:
	v_bfe_i32 v5, v1, 0, 16
	v_cvt_f64_i32_e32 v[5:6], v5
	s_mov_b64 s[0:1], 0
	global_store_dwordx2 v[3:4], v[5:6], off
.LBB239_2817:
	s_andn2_b64 vcc, exec, s[0:1]
	s_cbranch_vccnz .LBB239_2819
; %bb.2818:
	v_cvt_f32_i32_sdwa v5, sext(v1) dst_sel:DWORD dst_unused:UNUSED_PAD src0_sel:WORD_0
	global_store_dword v[3:4], v5, off
.LBB239_2819:
	s_mov_b64 s[0:1], 0
.LBB239_2820:
	s_andn2_b64 vcc, exec, s[0:1]
	s_cbranch_vccnz .LBB239_2822
; %bb.2821:
	v_cvt_f16_i16_e32 v5, v1
	global_store_short v[3:4], v5, off
.LBB239_2822:
	s_mov_b64 s[0:1], 0
.LBB239_2823:
	s_andn2_b64 vcc, exec, s[0:1]
	s_cbranch_vccnz .LBB239_2839
; %bb.2824:
	s_cmp_lt_i32 s2, 2
	s_mov_b64 s[0:1], -1
	s_cbranch_scc1 .LBB239_2834
; %bb.2825:
	s_cmp_lt_i32 s2, 3
	s_cbranch_scc1 .LBB239_2831
; %bb.2826:
	s_cmp_gt_i32 s2, 3
	s_cbranch_scc0 .LBB239_2828
; %bb.2827:
	v_bfe_i32 v5, v1, 0, 16
	v_ashrrev_i32_e32 v6, 31, v5
	global_store_dwordx2 v[3:4], v[5:6], off
	s_mov_b64 s[0:1], 0
.LBB239_2828:
	s_andn2_b64 vcc, exec, s[0:1]
	s_cbranch_vccnz .LBB239_2830
; %bb.2829:
	v_bfe_i32 v5, v1, 0, 16
	global_store_dword v[3:4], v5, off
.LBB239_2830:
	s_mov_b64 s[0:1], 0
.LBB239_2831:
	s_andn2_b64 vcc, exec, s[0:1]
	s_cbranch_vccnz .LBB239_2833
; %bb.2832:
	global_store_short v[3:4], v1, off
.LBB239_2833:
	s_mov_b64 s[0:1], 0
.LBB239_2834:
	s_andn2_b64 vcc, exec, s[0:1]
	s_cbranch_vccnz .LBB239_2839
; %bb.2835:
	s_cmp_gt_i32 s2, 0
	s_mov_b64 s[0:1], -1
	s_cbranch_scc0 .LBB239_2837
; %bb.2836:
	global_store_byte v[3:4], v1, off
	s_mov_b64 s[0:1], 0
.LBB239_2837:
	s_andn2_b64 vcc, exec, s[0:1]
	s_cbranch_vccnz .LBB239_2839
; %bb.2838:
	global_store_byte v[3:4], v1, off
.LBB239_2839:
	s_mov_b64 s[6:7], -1
.LBB239_2840:
	s_andn2_b64 vcc, exec, s[6:7]
	s_cbranch_vccnz .LBB239_3036
; %bb.2841:
	v_ashrrev_i16_e32 v1, 15, v15
	v_ashrrev_i32_sdwa v3, v18, sext(v15) dst_sel:DWORD dst_unused:UNUSED_PAD src0_sel:WORD_0 src1_sel:WORD_0
	v_cmp_lt_u16_e32 vcc, 14, v18
	v_cndmask_b32_e32 v3, v3, v1, vcc
	v_mov_b32_e32 v4, s9
	v_add_co_u32_e32 v1, vcc, s8, v2
	s_cmp_lt_i32 s18, 11
	v_addc_co_u32_e32 v2, vcc, 0, v4, vcc
	s_cbranch_scc1 .LBB239_2919
; %bb.2842:
	s_and_b32 s19, 0xffff, s18
	s_mov_b64 s[10:11], -1
	s_mov_b64 s[2:3], 0
	s_cmp_gt_i32 s19, 25
	s_mov_b64 s[6:7], 0
	s_mov_b64 s[0:1], 0
	s_cbranch_scc0 .LBB239_2875
; %bb.2843:
	s_cmp_gt_i32 s19, 28
	s_cbranch_scc0 .LBB239_2858
; %bb.2844:
	s_cmp_gt_i32 s19, 43
	;; [unrolled: 3-line block ×3, first 2 shown]
	s_cbranch_scc0 .LBB239_2848
; %bb.2846:
	s_mov_b64 s[0:1], -1
	s_mov_b64 s[10:11], 0
	s_cmp_eq_u32 s19, 46
	s_cbranch_scc0 .LBB239_2848
; %bb.2847:
	v_cvt_f32_i32_sdwa v4, sext(v3) dst_sel:DWORD dst_unused:UNUSED_PAD src0_sel:WORD_0
	s_movk_i32 s6, 0x7fff
	s_mov_b64 s[0:1], 0
	v_bfe_u32 v5, v4, 16, 1
	v_add3_u32 v4, v4, v5, s6
	v_lshrrev_b32_e32 v4, 16, v4
	global_store_dword v[1:2], v4, off
	s_mov_b64 s[6:7], -1
.LBB239_2848:
	s_and_b64 vcc, exec, s[10:11]
	s_cbranch_vccz .LBB239_2853
; %bb.2849:
	s_cmp_eq_u32 s19, 44
	s_mov_b64 s[0:1], -1
	s_cbranch_scc0 .LBB239_2853
; %bb.2850:
	v_cvt_f32_i32_sdwa v4, sext(v3) dst_sel:DWORD dst_unused:UNUSED_PAD src0_sel:WORD_0
	s_movk_i32 s0, 0xff
	v_mov_b32_e32 v6, 0xff
	v_bfe_u32 v5, v4, 23, 8
	v_cmp_ne_u32_e32 vcc, s0, v5
	s_and_saveexec_b64 s[6:7], vcc
; %bb.2851:
	s_mov_b32 s0, 0x3fffff
	v_lshrrev_b32_e32 v6, 23, v4
	v_and_b32_e32 v7, 0x400000, v4
	v_and_or_b32 v4, v4, s0, v5
	v_cmp_ne_u32_e32 vcc, 0, v7
	v_cmp_ne_u32_e64 s[0:1], 0, v4
	s_and_b64 s[0:1], vcc, s[0:1]
	v_cndmask_b32_e64 v4, 0, 1, s[0:1]
	v_add_u32_e32 v6, v6, v4
; %bb.2852:
	s_or_b64 exec, exec, s[6:7]
	s_mov_b64 s[0:1], 0
	s_mov_b64 s[6:7], -1
	global_store_byte v[1:2], v6, off
.LBB239_2853:
	s_mov_b64 s[10:11], 0
.LBB239_2854:
	s_and_b64 vcc, exec, s[10:11]
	s_cbranch_vccz .LBB239_2857
; %bb.2855:
	s_cmp_eq_u32 s19, 29
	s_mov_b64 s[0:1], -1
	s_cbranch_scc0 .LBB239_2857
; %bb.2856:
	v_bfe_i32 v4, v3, 0, 16
	v_ashrrev_i32_e32 v5, 31, v4
	global_store_dwordx2 v[1:2], v[4:5], off
	s_mov_b64 s[0:1], 0
	s_mov_b64 s[6:7], -1
.LBB239_2857:
	s_mov_b64 s[10:11], 0
.LBB239_2858:
	s_and_b64 vcc, exec, s[10:11]
	s_cbranch_vccz .LBB239_2874
; %bb.2859:
	s_cmp_lt_i32 s19, 27
	s_mov_b64 s[6:7], -1
	s_cbranch_scc1 .LBB239_2865
; %bb.2860:
	s_cmp_gt_i32 s19, 27
	s_cbranch_scc0 .LBB239_2862
; %bb.2861:
	v_bfe_i32 v4, v3, 0, 16
	s_mov_b64 s[6:7], 0
	global_store_dword v[1:2], v4, off
.LBB239_2862:
	s_andn2_b64 vcc, exec, s[6:7]
	s_cbranch_vccnz .LBB239_2864
; %bb.2863:
	global_store_short v[1:2], v3, off
.LBB239_2864:
	s_mov_b64 s[6:7], 0
.LBB239_2865:
	s_andn2_b64 vcc, exec, s[6:7]
	s_cbranch_vccnz .LBB239_2873
; %bb.2866:
	v_cvt_f32_i32_sdwa v4, sext(v3) dst_sel:DWORD dst_unused:UNUSED_PAD src0_sel:WORD_0
	s_mov_b32 s6, 0x43800000
	v_mov_b32_e32 v6, 0x80
	v_and_b32_e32 v5, 0x7fffffff, v4
	v_cmp_gt_u32_e32 vcc, s6, v5
	s_and_saveexec_b64 s[6:7], vcc
	s_cbranch_execz .LBB239_2872
; %bb.2867:
	s_mov_b32 s10, 0x3bffffff
	v_cmp_lt_u32_e32 vcc, s10, v5
	s_mov_b64 s[10:11], 0
                                        ; implicit-def: $vgpr5
	s_and_saveexec_b64 s[16:17], vcc
	s_xor_b64 s[16:17], exec, s[16:17]
	s_cbranch_execz .LBB239_3093
; %bb.2868:
	v_bfe_u32 v5, v4, 20, 1
	s_mov_b32 s20, 0x487ffff
	v_add3_u32 v5, v4, v5, s20
	s_mov_b64 s[10:11], exec
	v_lshrrev_b32_e32 v5, 20, v5
	s_andn2_saveexec_b64 s[16:17], s[16:17]
	s_cbranch_execnz .LBB239_3094
.LBB239_2869:
	s_or_b64 exec, exec, s[16:17]
	v_mov_b32_e32 v6, 0
	s_and_saveexec_b64 s[16:17], s[10:11]
.LBB239_2870:
	v_lshrrev_b32_e32 v4, 24, v4
	s_movk_i32 s10, 0x80
	v_and_or_b32 v6, v4, s10, v5
.LBB239_2871:
	s_or_b64 exec, exec, s[16:17]
.LBB239_2872:
	s_or_b64 exec, exec, s[6:7]
	global_store_byte v[1:2], v6, off
.LBB239_2873:
	s_mov_b64 s[6:7], -1
.LBB239_2874:
	s_mov_b64 s[10:11], 0
.LBB239_2875:
	s_and_b64 vcc, exec, s[10:11]
	s_cbranch_vccz .LBB239_2915
; %bb.2876:
	s_cmp_gt_i32 s19, 22
	s_mov_b64 s[2:3], -1
	s_cbranch_scc0 .LBB239_2908
; %bb.2877:
	s_cmp_lt_i32 s19, 24
	s_cbranch_scc1 .LBB239_2897
; %bb.2878:
	s_cmp_gt_i32 s19, 24
	s_cbranch_scc0 .LBB239_2886
; %bb.2879:
	v_cvt_f32_i32_sdwa v4, sext(v3) dst_sel:DWORD dst_unused:UNUSED_PAD src0_sel:WORD_0
	s_mov_b32 s2, 0x47800000
	v_mov_b32_e32 v6, 0x80
	v_and_b32_e32 v5, 0x7fffffff, v4
	v_cmp_gt_u32_e32 vcc, s2, v5
	s_and_saveexec_b64 s[2:3], vcc
	s_cbranch_execz .LBB239_2885
; %bb.2880:
	s_mov_b32 s6, 0x37ffffff
	v_cmp_lt_u32_e32 vcc, s6, v5
	s_mov_b64 s[6:7], 0
                                        ; implicit-def: $vgpr5
	s_and_saveexec_b64 s[10:11], vcc
	s_xor_b64 s[10:11], exec, s[10:11]
	s_cbranch_execz .LBB239_3096
; %bb.2881:
	v_bfe_u32 v5, v4, 21, 1
	s_mov_b32 s16, 0x88fffff
	v_add3_u32 v5, v4, v5, s16
	s_mov_b64 s[6:7], exec
	v_lshrrev_b32_e32 v5, 21, v5
	s_andn2_saveexec_b64 s[10:11], s[10:11]
	s_cbranch_execnz .LBB239_3097
.LBB239_2882:
	s_or_b64 exec, exec, s[10:11]
	v_mov_b32_e32 v6, 0
	s_and_saveexec_b64 s[10:11], s[6:7]
.LBB239_2883:
	v_lshrrev_b32_e32 v4, 24, v4
	s_movk_i32 s6, 0x80
	v_and_or_b32 v6, v4, s6, v5
.LBB239_2884:
	s_or_b64 exec, exec, s[10:11]
.LBB239_2885:
	s_or_b64 exec, exec, s[2:3]
	s_mov_b64 s[2:3], 0
	global_store_byte v[1:2], v6, off
.LBB239_2886:
	s_and_b64 vcc, exec, s[2:3]
	s_cbranch_vccz .LBB239_2896
; %bb.2887:
	v_cvt_f32_i32_sdwa v4, sext(v3) dst_sel:DWORD dst_unused:UNUSED_PAD src0_sel:WORD_0
	s_mov_b32 s2, 0x43f00000
                                        ; implicit-def: $vgpr5
	v_and_b32_e32 v6, 0x7fffffff, v4
	v_cmp_gt_u32_e32 vcc, s2, v6
	s_and_saveexec_b64 s[2:3], vcc
	s_xor_b64 s[2:3], exec, s[2:3]
	s_cbranch_execz .LBB239_2893
; %bb.2888:
	s_mov_b32 s6, 0x3c7fffff
	v_cmp_lt_u32_e32 vcc, s6, v6
                                        ; implicit-def: $vgpr5
	s_and_saveexec_b64 s[6:7], vcc
	s_xor_b64 s[6:7], exec, s[6:7]
; %bb.2889:
	v_bfe_u32 v5, v4, 20, 1
	s_mov_b32 s10, 0x407ffff
	v_add3_u32 v5, v4, v5, s10
	v_lshrrev_b32_e32 v6, 20, v5
	v_and_b32_e32 v5, 0xff00000, v5
	s_mov_b32 s10, 0x7f00000
	v_mov_b32_e32 v7, 0x7e
	v_cmp_ne_u32_e32 vcc, s10, v5
	v_cndmask_b32_e32 v5, v7, v6, vcc
; %bb.2890:
	s_andn2_saveexec_b64 s[6:7], s[6:7]
; %bb.2891:
	s_mov_b32 s10, 0x46800000
	v_add_f32_e64 v5, |v4|, s10
; %bb.2892:
	s_or_b64 exec, exec, s[6:7]
                                        ; implicit-def: $vgpr6
.LBB239_2893:
	s_andn2_saveexec_b64 s[2:3], s[2:3]
; %bb.2894:
	s_mov_b32 s6, 0x7f800000
	v_mov_b32_e32 v5, 0x7e
	v_mov_b32_e32 v7, 0x7f
	v_cmp_lt_u32_e32 vcc, s6, v6
	v_cndmask_b32_e32 v5, v5, v7, vcc
; %bb.2895:
	s_or_b64 exec, exec, s[2:3]
	v_lshrrev_b32_e32 v4, 24, v4
	s_movk_i32 s2, 0x80
	v_and_or_b32 v4, v4, s2, v5
	global_store_byte v[1:2], v4, off
.LBB239_2896:
	s_mov_b64 s[2:3], 0
.LBB239_2897:
	s_andn2_b64 vcc, exec, s[2:3]
	s_cbranch_vccnz .LBB239_2907
; %bb.2898:
	v_cvt_f32_i32_sdwa v4, sext(v3) dst_sel:DWORD dst_unused:UNUSED_PAD src0_sel:WORD_0
	s_mov_b32 s2, 0x47800000
                                        ; implicit-def: $vgpr5
	v_and_b32_e32 v6, 0x7fffffff, v4
	v_cmp_gt_u32_e32 vcc, s2, v6
	s_and_saveexec_b64 s[2:3], vcc
	s_xor_b64 s[2:3], exec, s[2:3]
	s_cbranch_execz .LBB239_2904
; %bb.2899:
	s_mov_b32 s6, 0x387fffff
	v_cmp_lt_u32_e32 vcc, s6, v6
                                        ; implicit-def: $vgpr5
	s_and_saveexec_b64 s[6:7], vcc
	s_xor_b64 s[6:7], exec, s[6:7]
; %bb.2900:
	v_bfe_u32 v5, v4, 21, 1
	s_mov_b32 s10, 0x80fffff
	v_add3_u32 v5, v4, v5, s10
	v_lshrrev_b32_e32 v5, 21, v5
; %bb.2901:
	s_andn2_saveexec_b64 s[6:7], s[6:7]
; %bb.2902:
	s_mov_b32 s10, 0x43000000
	v_add_f32_e64 v5, |v4|, s10
; %bb.2903:
	s_or_b64 exec, exec, s[6:7]
                                        ; implicit-def: $vgpr6
.LBB239_2904:
	s_andn2_saveexec_b64 s[2:3], s[2:3]
; %bb.2905:
	s_mov_b32 s6, 0x7f800000
	v_mov_b32_e32 v5, 0x7c
	v_mov_b32_e32 v7, 0x7f
	v_cmp_lt_u32_e32 vcc, s6, v6
	v_cndmask_b32_e32 v5, v5, v7, vcc
; %bb.2906:
	s_or_b64 exec, exec, s[2:3]
	v_lshrrev_b32_e32 v4, 24, v4
	s_movk_i32 s2, 0x80
	v_and_or_b32 v4, v4, s2, v5
	global_store_byte v[1:2], v4, off
.LBB239_2907:
	s_mov_b64 s[2:3], 0
	s_mov_b64 s[6:7], -1
.LBB239_2908:
	s_andn2_b64 vcc, exec, s[2:3]
	s_mov_b64 s[2:3], 0
	s_cbranch_vccnz .LBB239_2915
; %bb.2909:
	s_cmp_gt_i32 s19, 14
	s_mov_b64 s[10:11], -1
	s_cbranch_scc0 .LBB239_2913
; %bb.2910:
	s_cmp_eq_u32 s19, 15
	s_mov_b64 s[0:1], -1
	s_cbranch_scc0 .LBB239_2912
; %bb.2911:
	v_cvt_f32_i32_sdwa v4, sext(v3) dst_sel:DWORD dst_unused:UNUSED_PAD src0_sel:WORD_0
	s_movk_i32 s2, 0x7fff
	s_mov_b64 s[0:1], 0
	s_mov_b64 s[6:7], -1
	v_bfe_u32 v5, v4, 16, 1
	v_add3_u32 v4, v4, v5, s2
	global_store_short_d16_hi v[1:2], v4, off
.LBB239_2912:
	s_mov_b64 s[10:11], 0
.LBB239_2913:
	s_mov_b64 s[2:3], 0
	s_and_b64 vcc, exec, s[10:11]
	s_cbranch_vccz .LBB239_2915
; %bb.2914:
	s_cmp_lg_u32 s19, 11
	s_mov_b64 s[2:3], -1
	s_cselect_b64 s[0:1], -1, 0
.LBB239_2915:
	s_and_b64 vcc, exec, s[0:1]
	s_cbranch_vccnz .LBB239_3095
; %bb.2916:
	s_andn2_b64 vcc, exec, s[2:3]
	s_cbranch_vccnz .LBB239_2918
.LBB239_2917:
	v_cmp_ne_u16_e32 vcc, 0, v3
	v_cndmask_b32_e64 v4, 0, 1, vcc
	s_mov_b64 s[6:7], -1
	global_store_byte v[1:2], v4, off
.LBB239_2918:
	s_mov_b64 s[0:1], 0
	s_branch .LBB239_2920
.LBB239_2919:
	s_mov_b64 s[0:1], -1
	s_mov_b64 s[6:7], 0
.LBB239_2920:
	s_and_b64 vcc, exec, s[0:1]
	s_cbranch_vccz .LBB239_2959
; %bb.2921:
	s_and_b32 s2, 0xffff, s18
	s_cmp_lt_i32 s2, 5
	s_mov_b64 s[0:1], -1
	s_cbranch_scc1 .LBB239_2942
; %bb.2922:
	s_cmp_lt_i32 s2, 8
	s_cbranch_scc1 .LBB239_2932
; %bb.2923:
	s_cmp_lt_i32 s2, 9
	s_cbranch_scc1 .LBB239_2929
; %bb.2924:
	s_cmp_gt_i32 s2, 9
	s_cbranch_scc0 .LBB239_2926
; %bb.2925:
	v_bfe_i32 v4, v3, 0, 16
	v_cvt_f64_i32_e32 v[4:5], v4
	v_mov_b32_e32 v6, 0
	v_mov_b32_e32 v7, v6
	s_mov_b64 s[0:1], 0
	global_store_dwordx4 v[1:2], v[4:7], off
.LBB239_2926:
	s_andn2_b64 vcc, exec, s[0:1]
	s_cbranch_vccnz .LBB239_2928
; %bb.2927:
	v_cvt_f32_i32_sdwa v4, sext(v3) dst_sel:DWORD dst_unused:UNUSED_PAD src0_sel:WORD_0
	v_mov_b32_e32 v5, 0
	global_store_dwordx2 v[1:2], v[4:5], off
.LBB239_2928:
	s_mov_b64 s[0:1], 0
.LBB239_2929:
	s_andn2_b64 vcc, exec, s[0:1]
	s_cbranch_vccnz .LBB239_2931
; %bb.2930:
	v_cvt_f16_i16_e32 v4, v3
	global_store_dword v[1:2], v4, off
.LBB239_2931:
	s_mov_b64 s[0:1], 0
.LBB239_2932:
	s_andn2_b64 vcc, exec, s[0:1]
	s_cbranch_vccnz .LBB239_2941
; %bb.2933:
	s_cmp_lt_i32 s2, 6
	s_mov_b64 s[0:1], -1
	s_cbranch_scc1 .LBB239_2939
; %bb.2934:
	s_cmp_gt_i32 s2, 6
	s_cbranch_scc0 .LBB239_2936
; %bb.2935:
	v_bfe_i32 v4, v3, 0, 16
	v_cvt_f64_i32_e32 v[4:5], v4
	s_mov_b64 s[0:1], 0
	global_store_dwordx2 v[1:2], v[4:5], off
.LBB239_2936:
	s_andn2_b64 vcc, exec, s[0:1]
	s_cbranch_vccnz .LBB239_2938
; %bb.2937:
	v_cvt_f32_i32_sdwa v4, sext(v3) dst_sel:DWORD dst_unused:UNUSED_PAD src0_sel:WORD_0
	global_store_dword v[1:2], v4, off
.LBB239_2938:
	s_mov_b64 s[0:1], 0
.LBB239_2939:
	s_andn2_b64 vcc, exec, s[0:1]
	s_cbranch_vccnz .LBB239_2941
; %bb.2940:
	v_cvt_f16_i16_e32 v4, v3
	global_store_short v[1:2], v4, off
.LBB239_2941:
	s_mov_b64 s[0:1], 0
.LBB239_2942:
	s_andn2_b64 vcc, exec, s[0:1]
	s_cbranch_vccnz .LBB239_2958
; %bb.2943:
	s_cmp_lt_i32 s2, 2
	s_mov_b64 s[0:1], -1
	s_cbranch_scc1 .LBB239_2953
; %bb.2944:
	s_cmp_lt_i32 s2, 3
	s_cbranch_scc1 .LBB239_2950
; %bb.2945:
	s_cmp_gt_i32 s2, 3
	s_cbranch_scc0 .LBB239_2947
; %bb.2946:
	v_bfe_i32 v4, v3, 0, 16
	v_ashrrev_i32_e32 v5, 31, v4
	global_store_dwordx2 v[1:2], v[4:5], off
	s_mov_b64 s[0:1], 0
.LBB239_2947:
	s_andn2_b64 vcc, exec, s[0:1]
	s_cbranch_vccnz .LBB239_2949
; %bb.2948:
	v_bfe_i32 v4, v3, 0, 16
	global_store_dword v[1:2], v4, off
.LBB239_2949:
	s_mov_b64 s[0:1], 0
.LBB239_2950:
	s_andn2_b64 vcc, exec, s[0:1]
	s_cbranch_vccnz .LBB239_2952
; %bb.2951:
	global_store_short v[1:2], v3, off
.LBB239_2952:
	s_mov_b64 s[0:1], 0
.LBB239_2953:
	s_andn2_b64 vcc, exec, s[0:1]
	s_cbranch_vccnz .LBB239_2958
; %bb.2954:
	s_cmp_gt_i32 s2, 0
	s_mov_b64 s[0:1], -1
	s_cbranch_scc0 .LBB239_2956
; %bb.2955:
	global_store_byte v[1:2], v3, off
	s_mov_b64 s[0:1], 0
.LBB239_2956:
	s_andn2_b64 vcc, exec, s[0:1]
	s_cbranch_vccnz .LBB239_2958
; %bb.2957:
	global_store_byte v[1:2], v3, off
.LBB239_2958:
	s_mov_b64 s[6:7], -1
.LBB239_2959:
	s_andn2_b64 vcc, exec, s[6:7]
	s_cbranch_vccnz .LBB239_3036
; %bb.2960:
	s_waitcnt vmcnt(0)
	v_ashrrev_i16_e32 v1, 15, v13
	v_ashrrev_i32_sdwa v2, v8, sext(v13) dst_sel:DWORD dst_unused:UNUSED_PAD src0_sel:WORD_0 src1_sel:WORD_0
	v_cmp_lt_u16_e32 vcc, 14, v8
	v_cndmask_b32_e32 v4, v2, v1, vcc
	v_mov_b32_e32 v1, s9
	v_add_co_u32_e32 v0, vcc, s8, v0
	s_cmp_lt_i32 s18, 11
	v_addc_co_u32_e32 v1, vcc, 0, v1, vcc
	s_cbranch_scc1 .LBB239_3081
; %bb.2961:
	s_and_b32 s16, 0xffff, s18
	s_mov_b64 s[6:7], -1
	s_mov_b64 s[2:3], 0
	s_cmp_gt_i32 s16, 25
	s_mov_b64 s[0:1], 0
	s_cbranch_scc0 .LBB239_2994
; %bb.2962:
	s_cmp_gt_i32 s16, 28
	s_cbranch_scc0 .LBB239_2978
; %bb.2963:
	s_cmp_gt_i32 s16, 43
	;; [unrolled: 3-line block ×3, first 2 shown]
	s_cbranch_scc0 .LBB239_2968
; %bb.2965:
	s_cmp_eq_u32 s16, 46
	s_mov_b64 s[0:1], -1
	s_cbranch_scc0 .LBB239_2967
; %bb.2966:
	v_cvt_f32_i32_sdwa v2, sext(v4) dst_sel:DWORD dst_unused:UNUSED_PAD src0_sel:WORD_0
	s_movk_i32 s0, 0x7fff
	v_bfe_u32 v3, v2, 16, 1
	v_add3_u32 v2, v2, v3, s0
	v_lshrrev_b32_e32 v2, 16, v2
	global_store_dword v[0:1], v2, off
	s_mov_b64 s[0:1], 0
.LBB239_2967:
	s_mov_b64 s[6:7], 0
.LBB239_2968:
	s_and_b64 vcc, exec, s[6:7]
	s_cbranch_vccz .LBB239_2973
; %bb.2969:
	s_cmp_eq_u32 s16, 44
	s_mov_b64 s[0:1], -1
	s_cbranch_scc0 .LBB239_2973
; %bb.2970:
	v_cvt_f32_i32_sdwa v2, sext(v4) dst_sel:DWORD dst_unused:UNUSED_PAD src0_sel:WORD_0
	s_movk_i32 s0, 0xff
	v_mov_b32_e32 v5, 0xff
	v_bfe_u32 v3, v2, 23, 8
	v_cmp_ne_u32_e32 vcc, s0, v3
	s_and_saveexec_b64 s[6:7], vcc
; %bb.2971:
	s_mov_b32 s0, 0x3fffff
	v_lshrrev_b32_e32 v5, 23, v2
	v_and_b32_e32 v6, 0x400000, v2
	v_and_or_b32 v2, v2, s0, v3
	v_cmp_ne_u32_e32 vcc, 0, v6
	v_cmp_ne_u32_e64 s[0:1], 0, v2
	s_and_b64 s[0:1], vcc, s[0:1]
	v_cndmask_b32_e64 v2, 0, 1, s[0:1]
	v_add_u32_e32 v5, v5, v2
; %bb.2972:
	s_or_b64 exec, exec, s[6:7]
	s_mov_b64 s[0:1], 0
	global_store_byte v[0:1], v5, off
.LBB239_2973:
	s_mov_b64 s[6:7], 0
.LBB239_2974:
	s_and_b64 vcc, exec, s[6:7]
	s_cbranch_vccz .LBB239_2977
; %bb.2975:
	s_cmp_eq_u32 s16, 29
	s_mov_b64 s[0:1], -1
	s_cbranch_scc0 .LBB239_2977
; %bb.2976:
	v_bfe_i32 v2, v4, 0, 16
	v_ashrrev_i32_e32 v3, 31, v2
	global_store_dwordx2 v[0:1], v[2:3], off
	s_mov_b64 s[0:1], 0
.LBB239_2977:
	s_mov_b64 s[6:7], 0
.LBB239_2978:
	s_and_b64 vcc, exec, s[6:7]
	s_cbranch_vccz .LBB239_2993
; %bb.2979:
	s_cmp_lt_i32 s16, 27
	s_mov_b64 s[6:7], -1
	s_cbranch_scc1 .LBB239_2985
; %bb.2980:
	s_cmp_gt_i32 s16, 27
	s_cbranch_scc0 .LBB239_2982
; %bb.2981:
	v_bfe_i32 v2, v4, 0, 16
	global_store_dword v[0:1], v2, off
	s_mov_b64 s[6:7], 0
.LBB239_2982:
	s_andn2_b64 vcc, exec, s[6:7]
	s_cbranch_vccnz .LBB239_2984
; %bb.2983:
	global_store_short v[0:1], v4, off
.LBB239_2984:
	s_mov_b64 s[6:7], 0
.LBB239_2985:
	s_andn2_b64 vcc, exec, s[6:7]
	s_cbranch_vccnz .LBB239_2993
; %bb.2986:
	v_cvt_f32_i32_sdwa v2, sext(v4) dst_sel:DWORD dst_unused:UNUSED_PAD src0_sel:WORD_0
	s_mov_b32 s6, 0x43800000
	v_mov_b32_e32 v5, 0x80
	v_and_b32_e32 v3, 0x7fffffff, v2
	v_cmp_gt_u32_e32 vcc, s6, v3
	s_and_saveexec_b64 s[6:7], vcc
	s_cbranch_execz .LBB239_2992
; %bb.2987:
	s_mov_b32 s8, 0x3bffffff
	v_cmp_lt_u32_e32 vcc, s8, v3
	s_mov_b64 s[8:9], 0
                                        ; implicit-def: $vgpr3
	s_and_saveexec_b64 s[10:11], vcc
	s_xor_b64 s[10:11], exec, s[10:11]
	s_cbranch_execz .LBB239_3098
; %bb.2988:
	v_bfe_u32 v3, v2, 20, 1
	s_mov_b32 s17, 0x487ffff
	v_add3_u32 v3, v2, v3, s17
	s_mov_b64 s[8:9], exec
	v_lshrrev_b32_e32 v3, 20, v3
	s_andn2_saveexec_b64 s[10:11], s[10:11]
	s_cbranch_execnz .LBB239_3099
.LBB239_2989:
	s_or_b64 exec, exec, s[10:11]
	v_mov_b32_e32 v5, 0
	s_and_saveexec_b64 s[10:11], s[8:9]
.LBB239_2990:
	v_lshrrev_b32_e32 v2, 24, v2
	s_movk_i32 s8, 0x80
	v_and_or_b32 v5, v2, s8, v3
.LBB239_2991:
	s_or_b64 exec, exec, s[10:11]
.LBB239_2992:
	s_or_b64 exec, exec, s[6:7]
	global_store_byte v[0:1], v5, off
.LBB239_2993:
	s_mov_b64 s[6:7], 0
.LBB239_2994:
	s_and_b64 vcc, exec, s[6:7]
	s_cbranch_vccz .LBB239_3034
; %bb.2995:
	s_cmp_gt_i32 s16, 22
	s_mov_b64 s[2:3], -1
	s_cbranch_scc0 .LBB239_3027
; %bb.2996:
	s_cmp_lt_i32 s16, 24
	s_cbranch_scc1 .LBB239_3016
; %bb.2997:
	s_cmp_gt_i32 s16, 24
	s_cbranch_scc0 .LBB239_3005
; %bb.2998:
	v_cvt_f32_i32_sdwa v2, sext(v4) dst_sel:DWORD dst_unused:UNUSED_PAD src0_sel:WORD_0
	s_mov_b32 s2, 0x47800000
	v_mov_b32_e32 v5, 0x80
	v_and_b32_e32 v3, 0x7fffffff, v2
	v_cmp_gt_u32_e32 vcc, s2, v3
	s_and_saveexec_b64 s[2:3], vcc
	s_cbranch_execz .LBB239_3004
; %bb.2999:
	s_mov_b32 s6, 0x37ffffff
	v_cmp_lt_u32_e32 vcc, s6, v3
	s_mov_b64 s[6:7], 0
                                        ; implicit-def: $vgpr3
	s_and_saveexec_b64 s[8:9], vcc
	s_xor_b64 s[8:9], exec, s[8:9]
	s_cbranch_execz .LBB239_3101
; %bb.3000:
	v_bfe_u32 v3, v2, 21, 1
	s_mov_b32 s10, 0x88fffff
	v_add3_u32 v3, v2, v3, s10
	s_mov_b64 s[6:7], exec
	v_lshrrev_b32_e32 v3, 21, v3
	s_andn2_saveexec_b64 s[8:9], s[8:9]
	s_cbranch_execnz .LBB239_3102
.LBB239_3001:
	s_or_b64 exec, exec, s[8:9]
	v_mov_b32_e32 v5, 0
	s_and_saveexec_b64 s[8:9], s[6:7]
.LBB239_3002:
	v_lshrrev_b32_e32 v2, 24, v2
	s_movk_i32 s6, 0x80
	v_and_or_b32 v5, v2, s6, v3
.LBB239_3003:
	s_or_b64 exec, exec, s[8:9]
.LBB239_3004:
	s_or_b64 exec, exec, s[2:3]
	s_mov_b64 s[2:3], 0
	global_store_byte v[0:1], v5, off
.LBB239_3005:
	s_and_b64 vcc, exec, s[2:3]
	s_cbranch_vccz .LBB239_3015
; %bb.3006:
	v_cvt_f32_i32_sdwa v2, sext(v4) dst_sel:DWORD dst_unused:UNUSED_PAD src0_sel:WORD_0
	s_mov_b32 s2, 0x43f00000
                                        ; implicit-def: $vgpr3
	v_and_b32_e32 v5, 0x7fffffff, v2
	v_cmp_gt_u32_e32 vcc, s2, v5
	s_and_saveexec_b64 s[2:3], vcc
	s_xor_b64 s[2:3], exec, s[2:3]
	s_cbranch_execz .LBB239_3012
; %bb.3007:
	s_mov_b32 s6, 0x3c7fffff
	v_cmp_lt_u32_e32 vcc, s6, v5
                                        ; implicit-def: $vgpr3
	s_and_saveexec_b64 s[6:7], vcc
	s_xor_b64 s[6:7], exec, s[6:7]
; %bb.3008:
	v_bfe_u32 v3, v2, 20, 1
	s_mov_b32 s8, 0x407ffff
	v_add3_u32 v3, v2, v3, s8
	v_lshrrev_b32_e32 v5, 20, v3
	v_and_b32_e32 v3, 0xff00000, v3
	s_mov_b32 s8, 0x7f00000
	v_mov_b32_e32 v6, 0x7e
	v_cmp_ne_u32_e32 vcc, s8, v3
	v_cndmask_b32_e32 v3, v6, v5, vcc
; %bb.3009:
	s_andn2_saveexec_b64 s[6:7], s[6:7]
; %bb.3010:
	s_mov_b32 s8, 0x46800000
	v_add_f32_e64 v3, |v2|, s8
; %bb.3011:
	s_or_b64 exec, exec, s[6:7]
                                        ; implicit-def: $vgpr5
.LBB239_3012:
	s_andn2_saveexec_b64 s[2:3], s[2:3]
; %bb.3013:
	s_mov_b32 s6, 0x7f800000
	v_mov_b32_e32 v3, 0x7e
	v_mov_b32_e32 v6, 0x7f
	v_cmp_lt_u32_e32 vcc, s6, v5
	v_cndmask_b32_e32 v3, v3, v6, vcc
; %bb.3014:
	s_or_b64 exec, exec, s[2:3]
	v_lshrrev_b32_e32 v2, 24, v2
	s_movk_i32 s2, 0x80
	v_and_or_b32 v2, v2, s2, v3
	global_store_byte v[0:1], v2, off
.LBB239_3015:
	s_mov_b64 s[2:3], 0
.LBB239_3016:
	s_andn2_b64 vcc, exec, s[2:3]
	s_cbranch_vccnz .LBB239_3026
; %bb.3017:
	v_cvt_f32_i32_sdwa v2, sext(v4) dst_sel:DWORD dst_unused:UNUSED_PAD src0_sel:WORD_0
	s_mov_b32 s2, 0x47800000
                                        ; implicit-def: $vgpr3
	v_and_b32_e32 v5, 0x7fffffff, v2
	v_cmp_gt_u32_e32 vcc, s2, v5
	s_and_saveexec_b64 s[2:3], vcc
	s_xor_b64 s[2:3], exec, s[2:3]
	s_cbranch_execz .LBB239_3023
; %bb.3018:
	s_mov_b32 s6, 0x387fffff
	v_cmp_lt_u32_e32 vcc, s6, v5
                                        ; implicit-def: $vgpr3
	s_and_saveexec_b64 s[6:7], vcc
	s_xor_b64 s[6:7], exec, s[6:7]
; %bb.3019:
	v_bfe_u32 v3, v2, 21, 1
	s_mov_b32 s8, 0x80fffff
	v_add3_u32 v3, v2, v3, s8
	v_lshrrev_b32_e32 v3, 21, v3
; %bb.3020:
	s_andn2_saveexec_b64 s[6:7], s[6:7]
; %bb.3021:
	s_mov_b32 s8, 0x43000000
	v_add_f32_e64 v3, |v2|, s8
; %bb.3022:
	s_or_b64 exec, exec, s[6:7]
                                        ; implicit-def: $vgpr5
.LBB239_3023:
	s_andn2_saveexec_b64 s[2:3], s[2:3]
; %bb.3024:
	s_mov_b32 s6, 0x7f800000
	v_mov_b32_e32 v3, 0x7c
	v_mov_b32_e32 v6, 0x7f
	v_cmp_lt_u32_e32 vcc, s6, v5
	v_cndmask_b32_e32 v3, v3, v6, vcc
; %bb.3025:
	s_or_b64 exec, exec, s[2:3]
	v_lshrrev_b32_e32 v2, 24, v2
	s_movk_i32 s2, 0x80
	v_and_or_b32 v2, v2, s2, v3
	global_store_byte v[0:1], v2, off
.LBB239_3026:
	s_mov_b64 s[2:3], 0
.LBB239_3027:
	s_andn2_b64 vcc, exec, s[2:3]
	s_mov_b64 s[2:3], 0
	s_cbranch_vccnz .LBB239_3034
; %bb.3028:
	s_cmp_gt_i32 s16, 14
	s_mov_b64 s[6:7], -1
	s_cbranch_scc0 .LBB239_3032
; %bb.3029:
	s_cmp_eq_u32 s16, 15
	s_mov_b64 s[0:1], -1
	s_cbranch_scc0 .LBB239_3031
; %bb.3030:
	v_cvt_f32_i32_sdwa v2, sext(v4) dst_sel:DWORD dst_unused:UNUSED_PAD src0_sel:WORD_0
	s_movk_i32 s0, 0x7fff
	v_bfe_u32 v3, v2, 16, 1
	v_add3_u32 v2, v2, v3, s0
	global_store_short_d16_hi v[0:1], v2, off
	s_mov_b64 s[0:1], 0
.LBB239_3031:
	s_mov_b64 s[6:7], 0
.LBB239_3032:
	s_and_b64 vcc, exec, s[6:7]
	s_cbranch_vccz .LBB239_3034
; %bb.3033:
	s_cmp_lg_u32 s16, 11
	s_mov_b64 s[2:3], -1
	s_cselect_b64 s[0:1], -1, 0
.LBB239_3034:
	s_and_b64 vcc, exec, s[0:1]
	s_cbranch_vccnz .LBB239_3100
.LBB239_3035:
	s_mov_b64 s[0:1], 0
	s_branch .LBB239_3037
.LBB239_3036:
	s_mov_b64 s[0:1], 0
	s_mov_b64 s[2:3], 0
                                        ; implicit-def: $vgpr0_vgpr1
                                        ; implicit-def: $sgpr18
                                        ; implicit-def: $vgpr4
.LBB239_3037:
	s_and_b64 s[6:7], s[2:3], exec
	s_andn2_b64 s[2:3], s[12:13], exec
	s_and_b64 s[4:5], s[4:5], exec
	s_and_b64 s[0:1], s[0:1], exec
	s_or_b64 s[12:13], s[2:3], s[4:5]
.LBB239_3038:
	s_or_b64 exec, exec, s[14:15]
	s_and_saveexec_b64 s[2:3], s[12:13]
	s_cbranch_execz .LBB239_3041
; %bb.3039:
	; divergent unreachable
	s_or_b64 exec, exec, s[2:3]
	s_and_saveexec_b64 s[2:3], s[6:7]
	s_xor_b64 s[2:3], exec, s[2:3]
	s_cbranch_execnz .LBB239_3042
.LBB239_3040:
	s_or_b64 exec, exec, s[2:3]
	s_and_saveexec_b64 s[2:3], s[0:1]
	s_cbranch_execnz .LBB239_3043
	s_branch .LBB239_3080
.LBB239_3041:
	s_or_b64 exec, exec, s[2:3]
	s_and_saveexec_b64 s[2:3], s[6:7]
	s_xor_b64 s[2:3], exec, s[2:3]
	s_cbranch_execz .LBB239_3040
.LBB239_3042:
	s_waitcnt vmcnt(0)
	v_cmp_ne_u16_e32 vcc, 0, v4
	v_cndmask_b32_e64 v2, 0, 1, vcc
	global_store_byte v[0:1], v2, off
	s_or_b64 exec, exec, s[2:3]
	s_and_saveexec_b64 s[2:3], s[0:1]
	s_cbranch_execz .LBB239_3080
.LBB239_3043:
	s_sext_i32_i16 s2, s18
	s_cmp_lt_i32 s2, 5
	s_mov_b64 s[0:1], -1
	s_cbranch_scc1 .LBB239_3064
; %bb.3044:
	s_cmp_lt_i32 s2, 8
	s_cbranch_scc1 .LBB239_3054
; %bb.3045:
	s_cmp_lt_i32 s2, 9
	s_cbranch_scc1 .LBB239_3051
; %bb.3046:
	s_cmp_gt_i32 s2, 9
	s_cbranch_scc0 .LBB239_3048
; %bb.3047:
	s_waitcnt vmcnt(0)
	v_bfe_i32 v2, v4, 0, 16
	v_cvt_f64_i32_e32 v[5:6], v2
	v_mov_b32_e32 v7, 0
	v_mov_b32_e32 v8, v7
	s_mov_b64 s[0:1], 0
	global_store_dwordx4 v[0:1], v[5:8], off
.LBB239_3048:
	s_andn2_b64 vcc, exec, s[0:1]
	s_cbranch_vccnz .LBB239_3050
; %bb.3049:
	s_waitcnt vmcnt(0)
	v_cvt_f32_i32_sdwa v2, sext(v4) dst_sel:DWORD dst_unused:UNUSED_PAD src0_sel:WORD_0
	v_mov_b32_e32 v3, 0
	global_store_dwordx2 v[0:1], v[2:3], off
.LBB239_3050:
	s_mov_b64 s[0:1], 0
.LBB239_3051:
	s_andn2_b64 vcc, exec, s[0:1]
	s_cbranch_vccnz .LBB239_3053
; %bb.3052:
	s_waitcnt vmcnt(0)
	v_cvt_f16_i16_e32 v2, v4
	global_store_dword v[0:1], v2, off
.LBB239_3053:
	s_mov_b64 s[0:1], 0
.LBB239_3054:
	s_andn2_b64 vcc, exec, s[0:1]
	s_cbranch_vccnz .LBB239_3063
; %bb.3055:
	s_sext_i32_i16 s2, s18
	s_cmp_lt_i32 s2, 6
	s_mov_b64 s[0:1], -1
	s_cbranch_scc1 .LBB239_3061
; %bb.3056:
	s_cmp_gt_i32 s2, 6
	s_cbranch_scc0 .LBB239_3058
; %bb.3057:
	s_waitcnt vmcnt(0)
	v_bfe_i32 v2, v4, 0, 16
	v_cvt_f64_i32_e32 v[2:3], v2
	s_mov_b64 s[0:1], 0
	global_store_dwordx2 v[0:1], v[2:3], off
.LBB239_3058:
	s_andn2_b64 vcc, exec, s[0:1]
	s_cbranch_vccnz .LBB239_3060
; %bb.3059:
	s_waitcnt vmcnt(0)
	v_cvt_f32_i32_sdwa v2, sext(v4) dst_sel:DWORD dst_unused:UNUSED_PAD src0_sel:WORD_0
	global_store_dword v[0:1], v2, off
.LBB239_3060:
	s_mov_b64 s[0:1], 0
.LBB239_3061:
	s_andn2_b64 vcc, exec, s[0:1]
	s_cbranch_vccnz .LBB239_3063
; %bb.3062:
	s_waitcnt vmcnt(0)
	v_cvt_f16_i16_e32 v2, v4
	global_store_short v[0:1], v2, off
.LBB239_3063:
	s_mov_b64 s[0:1], 0
.LBB239_3064:
	s_andn2_b64 vcc, exec, s[0:1]
	s_cbranch_vccnz .LBB239_3080
; %bb.3065:
	s_sext_i32_i16 s2, s18
	s_cmp_lt_i32 s2, 2
	s_mov_b64 s[0:1], -1
	s_cbranch_scc1 .LBB239_3075
; %bb.3066:
	s_cmp_lt_i32 s2, 3
	s_cbranch_scc1 .LBB239_3072
; %bb.3067:
	s_cmp_gt_i32 s2, 3
	s_waitcnt vmcnt(0)
	v_bfe_i32 v2, v4, 0, 16
	s_cbranch_scc0 .LBB239_3069
; %bb.3068:
	v_ashrrev_i32_e32 v3, 31, v2
	global_store_dwordx2 v[0:1], v[2:3], off
	s_mov_b64 s[0:1], 0
.LBB239_3069:
	s_andn2_b64 vcc, exec, s[0:1]
	s_cbranch_vccnz .LBB239_3071
; %bb.3070:
	global_store_dword v[0:1], v2, off
.LBB239_3071:
	s_mov_b64 s[0:1], 0
.LBB239_3072:
	s_andn2_b64 vcc, exec, s[0:1]
	s_cbranch_vccnz .LBB239_3074
; %bb.3073:
	s_waitcnt vmcnt(0)
	global_store_short v[0:1], v4, off
.LBB239_3074:
	s_mov_b64 s[0:1], 0
.LBB239_3075:
	s_andn2_b64 vcc, exec, s[0:1]
	s_cbranch_vccnz .LBB239_3080
; %bb.3076:
	s_sext_i32_i16 s0, s18
	s_cmp_gt_i32 s0, 0
	s_mov_b64 s[0:1], -1
	s_cbranch_scc0 .LBB239_3078
; %bb.3077:
	s_waitcnt vmcnt(0)
	global_store_byte v[0:1], v4, off
	s_mov_b64 s[0:1], 0
.LBB239_3078:
	s_andn2_b64 vcc, exec, s[0:1]
	s_cbranch_vccnz .LBB239_3080
; %bb.3079:
	s_waitcnt vmcnt(0)
	global_store_byte v[0:1], v4, off
	s_endpgm
.LBB239_3080:
	s_endpgm
.LBB239_3081:
	s_mov_b64 s[2:3], 0
	s_mov_b64 s[0:1], -1
	s_branch .LBB239_3037
.LBB239_3082:
	s_trap 2
	s_or_b64 s[4:5], s[4:5], exec
	s_cbranch_execz .LBB239_2551
	s_branch .LBB239_2552
.LBB239_3083:
	s_andn2_saveexec_b64 s[16:17], s[16:17]
	s_cbranch_execz .LBB239_2631
.LBB239_3084:
	s_mov_b32 s21, 0x46000000
	v_add_f32_e64 v7, |v3|, s21
	v_and_b32_e32 v7, 0xff, v7
	v_cmp_ne_u32_e32 vcc, 0, v7
	s_andn2_b64 s[10:11], s[10:11], exec
	s_and_b64 s[22:23], vcc, exec
	s_or_b64 s[10:11], s[10:11], s[22:23]
	s_or_b64 exec, exec, s[16:17]
	v_mov_b32_e32 v9, 0
	s_and_saveexec_b64 s[16:17], s[10:11]
	s_cbranch_execnz .LBB239_2632
	s_branch .LBB239_2633
.LBB239_3085:
	s_trap 2
	s_or_b64 s[4:5], s[4:5], exec
	s_cbranch_execz .LBB239_2679
	s_branch .LBB239_2680
.LBB239_3086:
	s_andn2_saveexec_b64 s[10:11], s[10:11]
	s_cbranch_execz .LBB239_2644
.LBB239_3087:
	s_mov_b32 s16, 0x42800000
	v_add_f32_e64 v7, |v3|, s16
	v_and_b32_e32 v7, 0xff, v7
	v_cmp_ne_u32_e32 vcc, 0, v7
	s_andn2_b64 s[6:7], s[6:7], exec
	s_and_b64 s[16:17], vcc, exec
	s_or_b64 s[6:7], s[6:7], s[16:17]
	s_or_b64 exec, exec, s[10:11]
	v_mov_b32_e32 v9, 0
	s_and_saveexec_b64 s[10:11], s[6:7]
	s_cbranch_execnz .LBB239_2645
	s_branch .LBB239_2646
.LBB239_3088:
	s_andn2_saveexec_b64 s[16:17], s[16:17]
	s_cbranch_execz .LBB239_2750
.LBB239_3089:
	s_mov_b32 s20, 0x46000000
	v_add_f32_e64 v6, |v5|, s20
	v_and_b32_e32 v6, 0xff, v6
	v_cmp_ne_u32_e32 vcc, 0, v6
	s_andn2_b64 s[10:11], s[10:11], exec
	s_and_b64 s[20:21], vcc, exec
	s_or_b64 s[10:11], s[10:11], s[20:21]
	s_or_b64 exec, exec, s[16:17]
	v_mov_b32_e32 v7, 0
	s_and_saveexec_b64 s[16:17], s[10:11]
	s_cbranch_execnz .LBB239_2751
	s_branch .LBB239_2752
.LBB239_3090:
	s_trap 2
	s_or_b64 s[4:5], s[4:5], exec
	s_cbranch_execz .LBB239_2798
	s_branch .LBB239_2799
.LBB239_3091:
	s_andn2_saveexec_b64 s[10:11], s[10:11]
	s_cbranch_execz .LBB239_2763
.LBB239_3092:
	s_mov_b32 s16, 0x42800000
	v_add_f32_e64 v6, |v5|, s16
	v_and_b32_e32 v6, 0xff, v6
	v_cmp_ne_u32_e32 vcc, 0, v6
	s_andn2_b64 s[6:7], s[6:7], exec
	s_and_b64 s[16:17], vcc, exec
	s_or_b64 s[6:7], s[6:7], s[16:17]
	s_or_b64 exec, exec, s[10:11]
	v_mov_b32_e32 v7, 0
	s_and_saveexec_b64 s[10:11], s[6:7]
	s_cbranch_execnz .LBB239_2764
	s_branch .LBB239_2765
.LBB239_3093:
	s_andn2_saveexec_b64 s[16:17], s[16:17]
	s_cbranch_execz .LBB239_2869
.LBB239_3094:
	s_mov_b32 s20, 0x46000000
	v_add_f32_e64 v5, |v4|, s20
	v_and_b32_e32 v5, 0xff, v5
	v_cmp_ne_u32_e32 vcc, 0, v5
	s_andn2_b64 s[10:11], s[10:11], exec
	s_and_b64 s[20:21], vcc, exec
	s_or_b64 s[10:11], s[10:11], s[20:21]
	s_or_b64 exec, exec, s[16:17]
	v_mov_b32_e32 v6, 0
	s_and_saveexec_b64 s[16:17], s[10:11]
	s_cbranch_execnz .LBB239_2870
	s_branch .LBB239_2871
.LBB239_3095:
	s_trap 2
	s_or_b64 s[4:5], s[4:5], exec
	s_cbranch_execz .LBB239_2917
	s_branch .LBB239_2918
.LBB239_3096:
	s_andn2_saveexec_b64 s[10:11], s[10:11]
	s_cbranch_execz .LBB239_2882
.LBB239_3097:
	s_mov_b32 s16, 0x42800000
	v_add_f32_e64 v5, |v4|, s16
	v_and_b32_e32 v5, 0xff, v5
	v_cmp_ne_u32_e32 vcc, 0, v5
	s_andn2_b64 s[6:7], s[6:7], exec
	s_and_b64 s[16:17], vcc, exec
	s_or_b64 s[6:7], s[6:7], s[16:17]
	s_or_b64 exec, exec, s[10:11]
	v_mov_b32_e32 v6, 0
	s_and_saveexec_b64 s[10:11], s[6:7]
	s_cbranch_execnz .LBB239_2883
	s_branch .LBB239_2884
.LBB239_3098:
	s_andn2_saveexec_b64 s[10:11], s[10:11]
	s_cbranch_execz .LBB239_2989
.LBB239_3099:
	s_mov_b32 s17, 0x46000000
	v_add_f32_e64 v3, |v2|, s17
	v_and_b32_e32 v3, 0xff, v3
	v_cmp_ne_u32_e32 vcc, 0, v3
	s_andn2_b64 s[8:9], s[8:9], exec
	s_and_b64 s[20:21], vcc, exec
	s_or_b64 s[8:9], s[8:9], s[20:21]
	s_or_b64 exec, exec, s[10:11]
	v_mov_b32_e32 v5, 0
	s_and_saveexec_b64 s[10:11], s[8:9]
	s_cbranch_execnz .LBB239_2990
	s_branch .LBB239_2991
.LBB239_3100:
	s_mov_b64 s[2:3], 0
	s_or_b64 s[4:5], s[4:5], exec
	s_trap 2
	s_branch .LBB239_3035
.LBB239_3101:
	s_andn2_saveexec_b64 s[8:9], s[8:9]
	s_cbranch_execz .LBB239_3001
.LBB239_3102:
	s_mov_b32 s10, 0x42800000
	v_add_f32_e64 v3, |v2|, s10
	v_and_b32_e32 v3, 0xff, v3
	v_cmp_ne_u32_e32 vcc, 0, v3
	s_andn2_b64 s[6:7], s[6:7], exec
	s_and_b64 s[10:11], vcc, exec
	s_or_b64 s[6:7], s[6:7], s[10:11]
	s_or_b64 exec, exec, s[8:9]
	v_mov_b32_e32 v5, 0
	s_and_saveexec_b64 s[8:9], s[6:7]
	s_cbranch_execnz .LBB239_3002
	s_branch .LBB239_3003
	.section	.rodata,"a",@progbits
	.p2align	6, 0x0
	.amdhsa_kernel _ZN2at6native32elementwise_kernel_manual_unrollILi128ELi4EZNS0_15gpu_kernel_implINS0_13BinaryFunctorIsssZZZNS0_18rshift_kernel_cudaERNS_18TensorIteratorBaseEENKUlvE_clEvENKUlvE3_clEvEUlssE_EEEEvS5_RKT_EUlibE0_EEviT1_
		.amdhsa_group_segment_fixed_size 0
		.amdhsa_private_segment_fixed_size 0
		.amdhsa_kernarg_size 432
		.amdhsa_user_sgpr_count 6
		.amdhsa_user_sgpr_private_segment_buffer 1
		.amdhsa_user_sgpr_dispatch_ptr 0
		.amdhsa_user_sgpr_queue_ptr 0
		.amdhsa_user_sgpr_kernarg_segment_ptr 1
		.amdhsa_user_sgpr_dispatch_id 0
		.amdhsa_user_sgpr_flat_scratch_init 0
		.amdhsa_user_sgpr_private_segment_size 0
		.amdhsa_uses_dynamic_stack 0
		.amdhsa_system_sgpr_private_segment_wavefront_offset 0
		.amdhsa_system_sgpr_workgroup_id_x 1
		.amdhsa_system_sgpr_workgroup_id_y 0
		.amdhsa_system_sgpr_workgroup_id_z 0
		.amdhsa_system_sgpr_workgroup_info 0
		.amdhsa_system_vgpr_workitem_id 0
		.amdhsa_next_free_vgpr 23
		.amdhsa_next_free_sgpr 80
		.amdhsa_reserve_vcc 1
		.amdhsa_reserve_flat_scratch 0
		.amdhsa_float_round_mode_32 0
		.amdhsa_float_round_mode_16_64 0
		.amdhsa_float_denorm_mode_32 3
		.amdhsa_float_denorm_mode_16_64 3
		.amdhsa_dx10_clamp 1
		.amdhsa_ieee_mode 1
		.amdhsa_fp16_overflow 0
		.amdhsa_exception_fp_ieee_invalid_op 0
		.amdhsa_exception_fp_denorm_src 0
		.amdhsa_exception_fp_ieee_div_zero 0
		.amdhsa_exception_fp_ieee_overflow 0
		.amdhsa_exception_fp_ieee_underflow 0
		.amdhsa_exception_fp_ieee_inexact 0
		.amdhsa_exception_int_div_zero 0
	.end_amdhsa_kernel
	.section	.text._ZN2at6native32elementwise_kernel_manual_unrollILi128ELi4EZNS0_15gpu_kernel_implINS0_13BinaryFunctorIsssZZZNS0_18rshift_kernel_cudaERNS_18TensorIteratorBaseEENKUlvE_clEvENKUlvE3_clEvEUlssE_EEEEvS5_RKT_EUlibE0_EEviT1_,"axG",@progbits,_ZN2at6native32elementwise_kernel_manual_unrollILi128ELi4EZNS0_15gpu_kernel_implINS0_13BinaryFunctorIsssZZZNS0_18rshift_kernel_cudaERNS_18TensorIteratorBaseEENKUlvE_clEvENKUlvE3_clEvEUlssE_EEEEvS5_RKT_EUlibE0_EEviT1_,comdat
.Lfunc_end239:
	.size	_ZN2at6native32elementwise_kernel_manual_unrollILi128ELi4EZNS0_15gpu_kernel_implINS0_13BinaryFunctorIsssZZZNS0_18rshift_kernel_cudaERNS_18TensorIteratorBaseEENKUlvE_clEvENKUlvE3_clEvEUlssE_EEEEvS5_RKT_EUlibE0_EEviT1_, .Lfunc_end239-_ZN2at6native32elementwise_kernel_manual_unrollILi128ELi4EZNS0_15gpu_kernel_implINS0_13BinaryFunctorIsssZZZNS0_18rshift_kernel_cudaERNS_18TensorIteratorBaseEENKUlvE_clEvENKUlvE3_clEvEUlssE_EEEEvS5_RKT_EUlibE0_EEviT1_
                                        ; -- End function
	.set _ZN2at6native32elementwise_kernel_manual_unrollILi128ELi4EZNS0_15gpu_kernel_implINS0_13BinaryFunctorIsssZZZNS0_18rshift_kernel_cudaERNS_18TensorIteratorBaseEENKUlvE_clEvENKUlvE3_clEvEUlssE_EEEEvS5_RKT_EUlibE0_EEviT1_.num_vgpr, 23
	.set _ZN2at6native32elementwise_kernel_manual_unrollILi128ELi4EZNS0_15gpu_kernel_implINS0_13BinaryFunctorIsssZZZNS0_18rshift_kernel_cudaERNS_18TensorIteratorBaseEENKUlvE_clEvENKUlvE3_clEvEUlssE_EEEEvS5_RKT_EUlibE0_EEviT1_.num_agpr, 0
	.set _ZN2at6native32elementwise_kernel_manual_unrollILi128ELi4EZNS0_15gpu_kernel_implINS0_13BinaryFunctorIsssZZZNS0_18rshift_kernel_cudaERNS_18TensorIteratorBaseEENKUlvE_clEvENKUlvE3_clEvEUlssE_EEEEvS5_RKT_EUlibE0_EEviT1_.numbered_sgpr, 80
	.set _ZN2at6native32elementwise_kernel_manual_unrollILi128ELi4EZNS0_15gpu_kernel_implINS0_13BinaryFunctorIsssZZZNS0_18rshift_kernel_cudaERNS_18TensorIteratorBaseEENKUlvE_clEvENKUlvE3_clEvEUlssE_EEEEvS5_RKT_EUlibE0_EEviT1_.num_named_barrier, 0
	.set _ZN2at6native32elementwise_kernel_manual_unrollILi128ELi4EZNS0_15gpu_kernel_implINS0_13BinaryFunctorIsssZZZNS0_18rshift_kernel_cudaERNS_18TensorIteratorBaseEENKUlvE_clEvENKUlvE3_clEvEUlssE_EEEEvS5_RKT_EUlibE0_EEviT1_.private_seg_size, 0
	.set _ZN2at6native32elementwise_kernel_manual_unrollILi128ELi4EZNS0_15gpu_kernel_implINS0_13BinaryFunctorIsssZZZNS0_18rshift_kernel_cudaERNS_18TensorIteratorBaseEENKUlvE_clEvENKUlvE3_clEvEUlssE_EEEEvS5_RKT_EUlibE0_EEviT1_.uses_vcc, 1
	.set _ZN2at6native32elementwise_kernel_manual_unrollILi128ELi4EZNS0_15gpu_kernel_implINS0_13BinaryFunctorIsssZZZNS0_18rshift_kernel_cudaERNS_18TensorIteratorBaseEENKUlvE_clEvENKUlvE3_clEvEUlssE_EEEEvS5_RKT_EUlibE0_EEviT1_.uses_flat_scratch, 0
	.set _ZN2at6native32elementwise_kernel_manual_unrollILi128ELi4EZNS0_15gpu_kernel_implINS0_13BinaryFunctorIsssZZZNS0_18rshift_kernel_cudaERNS_18TensorIteratorBaseEENKUlvE_clEvENKUlvE3_clEvEUlssE_EEEEvS5_RKT_EUlibE0_EEviT1_.has_dyn_sized_stack, 0
	.set _ZN2at6native32elementwise_kernel_manual_unrollILi128ELi4EZNS0_15gpu_kernel_implINS0_13BinaryFunctorIsssZZZNS0_18rshift_kernel_cudaERNS_18TensorIteratorBaseEENKUlvE_clEvENKUlvE3_clEvEUlssE_EEEEvS5_RKT_EUlibE0_EEviT1_.has_recursion, 0
	.set _ZN2at6native32elementwise_kernel_manual_unrollILi128ELi4EZNS0_15gpu_kernel_implINS0_13BinaryFunctorIsssZZZNS0_18rshift_kernel_cudaERNS_18TensorIteratorBaseEENKUlvE_clEvENKUlvE3_clEvEUlssE_EEEEvS5_RKT_EUlibE0_EEviT1_.has_indirect_call, 0
	.section	.AMDGPU.csdata,"",@progbits
; Kernel info:
; codeLenInByte = 48392
; TotalNumSgprs: 84
; NumVgprs: 23
; ScratchSize: 0
; MemoryBound: 1
; FloatMode: 240
; IeeeMode: 1
; LDSByteSize: 0 bytes/workgroup (compile time only)
; SGPRBlocks: 10
; VGPRBlocks: 5
; NumSGPRsForWavesPerEU: 84
; NumVGPRsForWavesPerEU: 23
; Occupancy: 9
; WaveLimiterHint : 1
; COMPUTE_PGM_RSRC2:SCRATCH_EN: 0
; COMPUTE_PGM_RSRC2:USER_SGPR: 6
; COMPUTE_PGM_RSRC2:TRAP_HANDLER: 0
; COMPUTE_PGM_RSRC2:TGID_X_EN: 1
; COMPUTE_PGM_RSRC2:TGID_Y_EN: 0
; COMPUTE_PGM_RSRC2:TGID_Z_EN: 0
; COMPUTE_PGM_RSRC2:TIDIG_COMP_CNT: 0
	.section	.AMDGPU.gpr_maximums,"",@progbits
	.set amdgpu.max_num_vgpr, 0
	.set amdgpu.max_num_agpr, 0
	.set amdgpu.max_num_sgpr, 0
	.section	.AMDGPU.csdata,"",@progbits
	.type	__hip_cuid_a272cc6522064b91,@object ; @__hip_cuid_a272cc6522064b91
	.section	.bss,"aw",@nobits
	.globl	__hip_cuid_a272cc6522064b91
__hip_cuid_a272cc6522064b91:
	.byte	0                               ; 0x0
	.size	__hip_cuid_a272cc6522064b91, 1

	.ident	"AMD clang version 22.0.0git (https://github.com/RadeonOpenCompute/llvm-project roc-7.2.4 26084 f58b06dce1f9c15707c5f808fd002e18c2accf7e)"
	.section	".note.GNU-stack","",@progbits
	.addrsig
	.addrsig_sym __hip_cuid_a272cc6522064b91
	.amdgpu_metadata
---
amdhsa.kernels:
  - .args:
      - .offset:         0
        .size:           4
        .value_kind:     by_value
      - .offset:         4
        .size:           2
        .value_kind:     by_value
      - .offset:         8
        .size:           16
        .value_kind:     by_value
    .group_segment_fixed_size: 0
    .kernarg_segment_align: 8
    .kernarg_segment_size: 24
    .language:       OpenCL C
    .language_version:
      - 2
      - 0
    .max_flat_workgroup_size: 256
    .name:           _ZN2at6native29vectorized_elementwise_kernelILi16ENS0_13AUnaryFunctorIhhhZZZNS0_18lshift_kernel_cudaERNS_18TensorIteratorBaseEENKUlvE_clEvENKUlvE_clEvEUlhhE_EESt5arrayIPcLm2EEEEviT0_T1_
    .private_segment_fixed_size: 0
    .sgpr_count:     64
    .sgpr_spill_count: 0
    .symbol:         _ZN2at6native29vectorized_elementwise_kernelILi16ENS0_13AUnaryFunctorIhhhZZZNS0_18lshift_kernel_cudaERNS_18TensorIteratorBaseEENKUlvE_clEvENKUlvE_clEvEUlhhE_EESt5arrayIPcLm2EEEEviT0_T1_.kd
    .uniform_work_group_size: 1
    .uses_dynamic_stack: false
    .vgpr_count:     23
    .vgpr_spill_count: 0
    .wavefront_size: 64
  - .args:
      - .offset:         0
        .size:           4
        .value_kind:     by_value
      - .offset:         4
        .size:           2
        .value_kind:     by_value
      - .offset:         8
        .size:           16
        .value_kind:     by_value
    .group_segment_fixed_size: 0
    .kernarg_segment_align: 8
    .kernarg_segment_size: 24
    .language:       OpenCL C
    .language_version:
      - 2
      - 0
    .max_flat_workgroup_size: 256
    .name:           _ZN2at6native29vectorized_elementwise_kernelILi8ENS0_13AUnaryFunctorIhhhZZZNS0_18lshift_kernel_cudaERNS_18TensorIteratorBaseEENKUlvE_clEvENKUlvE_clEvEUlhhE_EESt5arrayIPcLm2EEEEviT0_T1_
    .private_segment_fixed_size: 0
    .sgpr_count:     64
    .sgpr_spill_count: 0
    .symbol:         _ZN2at6native29vectorized_elementwise_kernelILi8ENS0_13AUnaryFunctorIhhhZZZNS0_18lshift_kernel_cudaERNS_18TensorIteratorBaseEENKUlvE_clEvENKUlvE_clEvEUlhhE_EESt5arrayIPcLm2EEEEviT0_T1_.kd
    .uniform_work_group_size: 1
    .uses_dynamic_stack: false
    .vgpr_count:     28
    .vgpr_spill_count: 0
    .wavefront_size: 64
  - .args:
      - .offset:         0
        .size:           4
        .value_kind:     by_value
      - .offset:         4
        .size:           2
        .value_kind:     by_value
      - .offset:         8
        .size:           16
        .value_kind:     by_value
    .group_segment_fixed_size: 0
    .kernarg_segment_align: 8
    .kernarg_segment_size: 24
    .language:       OpenCL C
    .language_version:
      - 2
      - 0
    .max_flat_workgroup_size: 256
    .name:           _ZN2at6native29vectorized_elementwise_kernelILi4ENS0_13AUnaryFunctorIhhhZZZNS0_18lshift_kernel_cudaERNS_18TensorIteratorBaseEENKUlvE_clEvENKUlvE_clEvEUlhhE_EESt5arrayIPcLm2EEEEviT0_T1_
    .private_segment_fixed_size: 0
    .sgpr_count:     64
    .sgpr_spill_count: 0
    .symbol:         _ZN2at6native29vectorized_elementwise_kernelILi4ENS0_13AUnaryFunctorIhhhZZZNS0_18lshift_kernel_cudaERNS_18TensorIteratorBaseEENKUlvE_clEvENKUlvE_clEvEUlhhE_EESt5arrayIPcLm2EEEEviT0_T1_.kd
    .uniform_work_group_size: 1
    .uses_dynamic_stack: false
    .vgpr_count:     22
    .vgpr_spill_count: 0
    .wavefront_size: 64
  - .args:
      - .offset:         0
        .size:           4
        .value_kind:     by_value
      - .offset:         4
        .size:           2
        .value_kind:     by_value
      - .offset:         8
        .size:           16
        .value_kind:     by_value
    .group_segment_fixed_size: 0
    .kernarg_segment_align: 8
    .kernarg_segment_size: 24
    .language:       OpenCL C
    .language_version:
      - 2
      - 0
    .max_flat_workgroup_size: 256
    .name:           _ZN2at6native29vectorized_elementwise_kernelILi2ENS0_13AUnaryFunctorIhhhZZZNS0_18lshift_kernel_cudaERNS_18TensorIteratorBaseEENKUlvE_clEvENKUlvE_clEvEUlhhE_EESt5arrayIPcLm2EEEEviT0_T1_
    .private_segment_fixed_size: 0
    .sgpr_count:     64
    .sgpr_spill_count: 0
    .symbol:         _ZN2at6native29vectorized_elementwise_kernelILi2ENS0_13AUnaryFunctorIhhhZZZNS0_18lshift_kernel_cudaERNS_18TensorIteratorBaseEENKUlvE_clEvENKUlvE_clEvEUlhhE_EESt5arrayIPcLm2EEEEviT0_T1_.kd
    .uniform_work_group_size: 1
    .uses_dynamic_stack: false
    .vgpr_count:     22
    .vgpr_spill_count: 0
    .wavefront_size: 64
  - .args:
      - .offset:         0
        .size:           4
        .value_kind:     by_value
      - .offset:         4
        .size:           2
        .value_kind:     by_value
      - .offset:         8
        .size:           16
        .value_kind:     by_value
      - .offset:         24
        .size:           1
        .value_kind:     by_value
      - .offset:         25
        .size:           1
        .value_kind:     by_value
      - .offset:         26
        .size:           1
        .value_kind:     by_value
      - .offset:         27
        .size:           1
        .value_kind:     by_value
    .group_segment_fixed_size: 0
    .kernarg_segment_align: 8
    .kernarg_segment_size: 28
    .language:       OpenCL C
    .language_version:
      - 2
      - 0
    .max_flat_workgroup_size: 256
    .name:           _ZN2at6native27unrolled_elementwise_kernelINS0_13AUnaryFunctorIhhhZZZNS0_18lshift_kernel_cudaERNS_18TensorIteratorBaseEENKUlvE_clEvENKUlvE_clEvEUlhhE_EESt5arrayIPcLm2EELi4E23TrivialOffsetCalculatorILi1EjESD_NS0_6memory15LoadWithoutCastENSE_16StoreWithoutCastEEEviT_T0_T2_T3_T4_T5_
    .private_segment_fixed_size: 0
    .sgpr_count:     20
    .sgpr_spill_count: 0
    .symbol:         _ZN2at6native27unrolled_elementwise_kernelINS0_13AUnaryFunctorIhhhZZZNS0_18lshift_kernel_cudaERNS_18TensorIteratorBaseEENKUlvE_clEvENKUlvE_clEvEUlhhE_EESt5arrayIPcLm2EELi4E23TrivialOffsetCalculatorILi1EjESD_NS0_6memory15LoadWithoutCastENSE_16StoreWithoutCastEEEviT_T0_T2_T3_T4_T5_.kd
    .uniform_work_group_size: 1
    .uses_dynamic_stack: false
    .vgpr_count:     10
    .vgpr_spill_count: 0
    .wavefront_size: 64
  - .args:
      - .offset:         0
        .size:           4
        .value_kind:     by_value
      - .offset:         8
        .size:           352
        .value_kind:     by_value
    .group_segment_fixed_size: 0
    .kernarg_segment_align: 8
    .kernarg_segment_size: 360
    .language:       OpenCL C
    .language_version:
      - 2
      - 0
    .max_flat_workgroup_size: 128
    .name:           _ZN2at6native32elementwise_kernel_manual_unrollILi128ELi8EZNS0_22gpu_kernel_impl_nocastINS0_13AUnaryFunctorIhhhZZZNS0_18lshift_kernel_cudaERNS_18TensorIteratorBaseEENKUlvE_clEvENKUlvE_clEvEUlhhE_EEEEvS5_RKT_EUlibE_EEviT1_
    .private_segment_fixed_size: 0
    .sgpr_count:     67
    .sgpr_spill_count: 0
    .symbol:         _ZN2at6native32elementwise_kernel_manual_unrollILi128ELi8EZNS0_22gpu_kernel_impl_nocastINS0_13AUnaryFunctorIhhhZZZNS0_18lshift_kernel_cudaERNS_18TensorIteratorBaseEENKUlvE_clEvENKUlvE_clEvEUlhhE_EEEEvS5_RKT_EUlibE_EEviT1_.kd
    .uniform_work_group_size: 1
    .uses_dynamic_stack: false
    .vgpr_count:     26
    .vgpr_spill_count: 0
    .wavefront_size: 64
  - .args:
      - .offset:         0
        .size:           4
        .value_kind:     by_value
      - .offset:         8
        .size:           32
        .value_kind:     by_value
    .group_segment_fixed_size: 0
    .kernarg_segment_align: 8
    .kernarg_segment_size: 40
    .language:       OpenCL C
    .language_version:
      - 2
      - 0
    .max_flat_workgroup_size: 128
    .name:           _ZN2at6native32elementwise_kernel_manual_unrollILi128ELi4EZNS0_15gpu_kernel_implINS0_13AUnaryFunctorIhhhZZZNS0_18lshift_kernel_cudaERNS_18TensorIteratorBaseEENKUlvE_clEvENKUlvE_clEvEUlhhE_EEEEvS5_RKT_EUlibE_EEviT1_
    .private_segment_fixed_size: 0
    .sgpr_count:     50
    .sgpr_spill_count: 0
    .symbol:         _ZN2at6native32elementwise_kernel_manual_unrollILi128ELi4EZNS0_15gpu_kernel_implINS0_13AUnaryFunctorIhhhZZZNS0_18lshift_kernel_cudaERNS_18TensorIteratorBaseEENKUlvE_clEvENKUlvE_clEvEUlhhE_EEEEvS5_RKT_EUlibE_EEviT1_.kd
    .uniform_work_group_size: 1
    .uses_dynamic_stack: false
    .vgpr_count:     13
    .vgpr_spill_count: 0
    .wavefront_size: 64
  - .args:
      - .offset:         0
        .size:           4
        .value_kind:     by_value
      - .offset:         8
        .size:           352
        .value_kind:     by_value
    .group_segment_fixed_size: 0
    .kernarg_segment_align: 8
    .kernarg_segment_size: 360
    .language:       OpenCL C
    .language_version:
      - 2
      - 0
    .max_flat_workgroup_size: 128
    .name:           _ZN2at6native32elementwise_kernel_manual_unrollILi128ELi4EZNS0_15gpu_kernel_implINS0_13AUnaryFunctorIhhhZZZNS0_18lshift_kernel_cudaERNS_18TensorIteratorBaseEENKUlvE_clEvENKUlvE_clEvEUlhhE_EEEEvS5_RKT_EUlibE0_EEviT1_
    .private_segment_fixed_size: 0
    .sgpr_count:     82
    .sgpr_spill_count: 0
    .symbol:         _ZN2at6native32elementwise_kernel_manual_unrollILi128ELi4EZNS0_15gpu_kernel_implINS0_13AUnaryFunctorIhhhZZZNS0_18lshift_kernel_cudaERNS_18TensorIteratorBaseEENKUlvE_clEvENKUlvE_clEvEUlhhE_EEEEvS5_RKT_EUlibE0_EEviT1_.kd
    .uniform_work_group_size: 1
    .uses_dynamic_stack: false
    .vgpr_count:     18
    .vgpr_spill_count: 0
    .wavefront_size: 64
  - .args:
      - .offset:         0
        .size:           4
        .value_kind:     by_value
      - .offset:         4
        .size:           2
        .value_kind:     by_value
      - .offset:         8
        .size:           16
        .value_kind:     by_value
    .group_segment_fixed_size: 0
    .kernarg_segment_align: 8
    .kernarg_segment_size: 24
    .language:       OpenCL C
    .language_version:
      - 2
      - 0
    .max_flat_workgroup_size: 256
    .name:           _ZN2at6native29vectorized_elementwise_kernelILi16ENS0_13BUnaryFunctorIhhhZZZNS0_18lshift_kernel_cudaERNS_18TensorIteratorBaseEENKUlvE_clEvENKUlvE_clEvEUlhhE_EESt5arrayIPcLm2EEEEviT0_T1_
    .private_segment_fixed_size: 0
    .sgpr_count:     47
    .sgpr_spill_count: 0
    .symbol:         _ZN2at6native29vectorized_elementwise_kernelILi16ENS0_13BUnaryFunctorIhhhZZZNS0_18lshift_kernel_cudaERNS_18TensorIteratorBaseEENKUlvE_clEvENKUlvE_clEvEUlhhE_EESt5arrayIPcLm2EEEEviT0_T1_.kd
    .uniform_work_group_size: 1
    .uses_dynamic_stack: false
    .vgpr_count:     21
    .vgpr_spill_count: 0
    .wavefront_size: 64
  - .args:
      - .offset:         0
        .size:           4
        .value_kind:     by_value
      - .offset:         4
        .size:           2
        .value_kind:     by_value
      - .offset:         8
        .size:           16
        .value_kind:     by_value
    .group_segment_fixed_size: 0
    .kernarg_segment_align: 8
    .kernarg_segment_size: 24
    .language:       OpenCL C
    .language_version:
      - 2
      - 0
    .max_flat_workgroup_size: 256
    .name:           _ZN2at6native29vectorized_elementwise_kernelILi8ENS0_13BUnaryFunctorIhhhZZZNS0_18lshift_kernel_cudaERNS_18TensorIteratorBaseEENKUlvE_clEvENKUlvE_clEvEUlhhE_EESt5arrayIPcLm2EEEEviT0_T1_
    .private_segment_fixed_size: 0
    .sgpr_count:     47
    .sgpr_spill_count: 0
    .symbol:         _ZN2at6native29vectorized_elementwise_kernelILi8ENS0_13BUnaryFunctorIhhhZZZNS0_18lshift_kernel_cudaERNS_18TensorIteratorBaseEENKUlvE_clEvENKUlvE_clEvEUlhhE_EESt5arrayIPcLm2EEEEviT0_T1_.kd
    .uniform_work_group_size: 1
    .uses_dynamic_stack: false
    .vgpr_count:     21
    .vgpr_spill_count: 0
    .wavefront_size: 64
  - .args:
      - .offset:         0
        .size:           4
        .value_kind:     by_value
      - .offset:         4
        .size:           2
        .value_kind:     by_value
      - .offset:         8
        .size:           16
        .value_kind:     by_value
    .group_segment_fixed_size: 0
    .kernarg_segment_align: 8
    .kernarg_segment_size: 24
    .language:       OpenCL C
    .language_version:
      - 2
      - 0
    .max_flat_workgroup_size: 256
    .name:           _ZN2at6native29vectorized_elementwise_kernelILi4ENS0_13BUnaryFunctorIhhhZZZNS0_18lshift_kernel_cudaERNS_18TensorIteratorBaseEENKUlvE_clEvENKUlvE_clEvEUlhhE_EESt5arrayIPcLm2EEEEviT0_T1_
    .private_segment_fixed_size: 0
    .sgpr_count:     47
    .sgpr_spill_count: 0
    .symbol:         _ZN2at6native29vectorized_elementwise_kernelILi4ENS0_13BUnaryFunctorIhhhZZZNS0_18lshift_kernel_cudaERNS_18TensorIteratorBaseEENKUlvE_clEvENKUlvE_clEvEUlhhE_EESt5arrayIPcLm2EEEEviT0_T1_.kd
    .uniform_work_group_size: 1
    .uses_dynamic_stack: false
    .vgpr_count:     21
    .vgpr_spill_count: 0
    .wavefront_size: 64
  - .args:
      - .offset:         0
        .size:           4
        .value_kind:     by_value
      - .offset:         4
        .size:           2
        .value_kind:     by_value
      - .offset:         8
        .size:           16
        .value_kind:     by_value
    .group_segment_fixed_size: 0
    .kernarg_segment_align: 8
    .kernarg_segment_size: 24
    .language:       OpenCL C
    .language_version:
      - 2
      - 0
    .max_flat_workgroup_size: 256
    .name:           _ZN2at6native29vectorized_elementwise_kernelILi2ENS0_13BUnaryFunctorIhhhZZZNS0_18lshift_kernel_cudaERNS_18TensorIteratorBaseEENKUlvE_clEvENKUlvE_clEvEUlhhE_EESt5arrayIPcLm2EEEEviT0_T1_
    .private_segment_fixed_size: 0
    .sgpr_count:     47
    .sgpr_spill_count: 0
    .symbol:         _ZN2at6native29vectorized_elementwise_kernelILi2ENS0_13BUnaryFunctorIhhhZZZNS0_18lshift_kernel_cudaERNS_18TensorIteratorBaseEENKUlvE_clEvENKUlvE_clEvEUlhhE_EESt5arrayIPcLm2EEEEviT0_T1_.kd
    .uniform_work_group_size: 1
    .uses_dynamic_stack: false
    .vgpr_count:     21
    .vgpr_spill_count: 0
    .wavefront_size: 64
  - .args:
      - .offset:         0
        .size:           4
        .value_kind:     by_value
      - .offset:         4
        .size:           2
        .value_kind:     by_value
      - .offset:         8
        .size:           16
        .value_kind:     by_value
      - .offset:         24
        .size:           1
        .value_kind:     by_value
      - .offset:         25
        .size:           1
        .value_kind:     by_value
      - .offset:         26
        .size:           1
        .value_kind:     by_value
      - .offset:         27
        .size:           1
        .value_kind:     by_value
    .group_segment_fixed_size: 0
    .kernarg_segment_align: 8
    .kernarg_segment_size: 28
    .language:       OpenCL C
    .language_version:
      - 2
      - 0
    .max_flat_workgroup_size: 256
    .name:           _ZN2at6native27unrolled_elementwise_kernelINS0_13BUnaryFunctorIhhhZZZNS0_18lshift_kernel_cudaERNS_18TensorIteratorBaseEENKUlvE_clEvENKUlvE_clEvEUlhhE_EESt5arrayIPcLm2EELi4E23TrivialOffsetCalculatorILi1EjESD_NS0_6memory15LoadWithoutCastENSE_16StoreWithoutCastEEEviT_T0_T2_T3_T4_T5_
    .private_segment_fixed_size: 0
    .sgpr_count:     20
    .sgpr_spill_count: 0
    .symbol:         _ZN2at6native27unrolled_elementwise_kernelINS0_13BUnaryFunctorIhhhZZZNS0_18lshift_kernel_cudaERNS_18TensorIteratorBaseEENKUlvE_clEvENKUlvE_clEvEUlhhE_EESt5arrayIPcLm2EELi4E23TrivialOffsetCalculatorILi1EjESD_NS0_6memory15LoadWithoutCastENSE_16StoreWithoutCastEEEviT_T0_T2_T3_T4_T5_.kd
    .uniform_work_group_size: 1
    .uses_dynamic_stack: false
    .vgpr_count:     9
    .vgpr_spill_count: 0
    .wavefront_size: 64
  - .args:
      - .offset:         0
        .size:           4
        .value_kind:     by_value
      - .offset:         8
        .size:           352
        .value_kind:     by_value
    .group_segment_fixed_size: 0
    .kernarg_segment_align: 8
    .kernarg_segment_size: 360
    .language:       OpenCL C
    .language_version:
      - 2
      - 0
    .max_flat_workgroup_size: 128
    .name:           _ZN2at6native32elementwise_kernel_manual_unrollILi128ELi8EZNS0_22gpu_kernel_impl_nocastINS0_13BUnaryFunctorIhhhZZZNS0_18lshift_kernel_cudaERNS_18TensorIteratorBaseEENKUlvE_clEvENKUlvE_clEvEUlhhE_EEEEvS5_RKT_EUlibE_EEviT1_
    .private_segment_fixed_size: 0
    .sgpr_count:     69
    .sgpr_spill_count: 0
    .symbol:         _ZN2at6native32elementwise_kernel_manual_unrollILi128ELi8EZNS0_22gpu_kernel_impl_nocastINS0_13BUnaryFunctorIhhhZZZNS0_18lshift_kernel_cudaERNS_18TensorIteratorBaseEENKUlvE_clEvENKUlvE_clEvEUlhhE_EEEEvS5_RKT_EUlibE_EEviT1_.kd
    .uniform_work_group_size: 1
    .uses_dynamic_stack: false
    .vgpr_count:     26
    .vgpr_spill_count: 0
    .wavefront_size: 64
  - .args:
      - .offset:         0
        .size:           4
        .value_kind:     by_value
      - .offset:         8
        .size:           32
        .value_kind:     by_value
    .group_segment_fixed_size: 0
    .kernarg_segment_align: 8
    .kernarg_segment_size: 40
    .language:       OpenCL C
    .language_version:
      - 2
      - 0
    .max_flat_workgroup_size: 128
    .name:           _ZN2at6native32elementwise_kernel_manual_unrollILi128ELi4EZNS0_15gpu_kernel_implINS0_13BUnaryFunctorIhhhZZZNS0_18lshift_kernel_cudaERNS_18TensorIteratorBaseEENKUlvE_clEvENKUlvE_clEvEUlhhE_EEEEvS5_RKT_EUlibE_EEviT1_
    .private_segment_fixed_size: 0
    .sgpr_count:     54
    .sgpr_spill_count: 0
    .symbol:         _ZN2at6native32elementwise_kernel_manual_unrollILi128ELi4EZNS0_15gpu_kernel_implINS0_13BUnaryFunctorIhhhZZZNS0_18lshift_kernel_cudaERNS_18TensorIteratorBaseEENKUlvE_clEvENKUlvE_clEvEUlhhE_EEEEvS5_RKT_EUlibE_EEviT1_.kd
    .uniform_work_group_size: 1
    .uses_dynamic_stack: false
    .vgpr_count:     12
    .vgpr_spill_count: 0
    .wavefront_size: 64
  - .args:
      - .offset:         0
        .size:           4
        .value_kind:     by_value
      - .offset:         8
        .size:           352
        .value_kind:     by_value
    .group_segment_fixed_size: 0
    .kernarg_segment_align: 8
    .kernarg_segment_size: 360
    .language:       OpenCL C
    .language_version:
      - 2
      - 0
    .max_flat_workgroup_size: 128
    .name:           _ZN2at6native32elementwise_kernel_manual_unrollILi128ELi4EZNS0_15gpu_kernel_implINS0_13BUnaryFunctorIhhhZZZNS0_18lshift_kernel_cudaERNS_18TensorIteratorBaseEENKUlvE_clEvENKUlvE_clEvEUlhhE_EEEEvS5_RKT_EUlibE0_EEviT1_
    .private_segment_fixed_size: 0
    .sgpr_count:     85
    .sgpr_spill_count: 0
    .symbol:         _ZN2at6native32elementwise_kernel_manual_unrollILi128ELi4EZNS0_15gpu_kernel_implINS0_13BUnaryFunctorIhhhZZZNS0_18lshift_kernel_cudaERNS_18TensorIteratorBaseEENKUlvE_clEvENKUlvE_clEvEUlhhE_EEEEvS5_RKT_EUlibE0_EEviT1_.kd
    .uniform_work_group_size: 1
    .uses_dynamic_stack: false
    .vgpr_count:     18
    .vgpr_spill_count: 0
    .wavefront_size: 64
  - .args:
      - .offset:         0
        .size:           4
        .value_kind:     by_value
      - .offset:         4
        .size:           1
        .value_kind:     by_value
      - .offset:         8
        .size:           24
        .value_kind:     by_value
    .group_segment_fixed_size: 0
    .kernarg_segment_align: 8
    .kernarg_segment_size: 32
    .language:       OpenCL C
    .language_version:
      - 2
      - 0
    .max_flat_workgroup_size: 256
    .name:           _ZN2at6native29vectorized_elementwise_kernelILi16ENS0_13BinaryFunctorIhhhZZZNS0_18lshift_kernel_cudaERNS_18TensorIteratorBaseEENKUlvE_clEvENKUlvE_clEvEUlhhE_EESt5arrayIPcLm3EEEEviT0_T1_
    .private_segment_fixed_size: 0
    .sgpr_count:     64
    .sgpr_spill_count: 0
    .symbol:         _ZN2at6native29vectorized_elementwise_kernelILi16ENS0_13BinaryFunctorIhhhZZZNS0_18lshift_kernel_cudaERNS_18TensorIteratorBaseEENKUlvE_clEvENKUlvE_clEvEUlhhE_EESt5arrayIPcLm3EEEEviT0_T1_.kd
    .uniform_work_group_size: 1
    .uses_dynamic_stack: false
    .vgpr_count:     39
    .vgpr_spill_count: 0
    .wavefront_size: 64
  - .args:
      - .offset:         0
        .size:           4
        .value_kind:     by_value
      - .offset:         4
        .size:           1
        .value_kind:     by_value
      - .offset:         8
        .size:           24
        .value_kind:     by_value
    .group_segment_fixed_size: 0
    .kernarg_segment_align: 8
    .kernarg_segment_size: 32
    .language:       OpenCL C
    .language_version:
      - 2
      - 0
    .max_flat_workgroup_size: 256
    .name:           _ZN2at6native29vectorized_elementwise_kernelILi8ENS0_13BinaryFunctorIhhhZZZNS0_18lshift_kernel_cudaERNS_18TensorIteratorBaseEENKUlvE_clEvENKUlvE_clEvEUlhhE_EESt5arrayIPcLm3EEEEviT0_T1_
    .private_segment_fixed_size: 0
    .sgpr_count:     64
    .sgpr_spill_count: 0
    .symbol:         _ZN2at6native29vectorized_elementwise_kernelILi8ENS0_13BinaryFunctorIhhhZZZNS0_18lshift_kernel_cudaERNS_18TensorIteratorBaseEENKUlvE_clEvENKUlvE_clEvEUlhhE_EESt5arrayIPcLm3EEEEviT0_T1_.kd
    .uniform_work_group_size: 1
    .uses_dynamic_stack: false
    .vgpr_count:     39
    .vgpr_spill_count: 0
    .wavefront_size: 64
  - .args:
      - .offset:         0
        .size:           4
        .value_kind:     by_value
      - .offset:         4
        .size:           1
        .value_kind:     by_value
      - .offset:         8
        .size:           24
        .value_kind:     by_value
    .group_segment_fixed_size: 0
    .kernarg_segment_align: 8
    .kernarg_segment_size: 32
    .language:       OpenCL C
    .language_version:
      - 2
      - 0
    .max_flat_workgroup_size: 256
    .name:           _ZN2at6native29vectorized_elementwise_kernelILi4ENS0_13BinaryFunctorIhhhZZZNS0_18lshift_kernel_cudaERNS_18TensorIteratorBaseEENKUlvE_clEvENKUlvE_clEvEUlhhE_EESt5arrayIPcLm3EEEEviT0_T1_
    .private_segment_fixed_size: 0
    .sgpr_count:     64
    .sgpr_spill_count: 0
    .symbol:         _ZN2at6native29vectorized_elementwise_kernelILi4ENS0_13BinaryFunctorIhhhZZZNS0_18lshift_kernel_cudaERNS_18TensorIteratorBaseEENKUlvE_clEvENKUlvE_clEvEUlhhE_EESt5arrayIPcLm3EEEEviT0_T1_.kd
    .uniform_work_group_size: 1
    .uses_dynamic_stack: false
    .vgpr_count:     39
    .vgpr_spill_count: 0
    .wavefront_size: 64
  - .args:
      - .offset:         0
        .size:           4
        .value_kind:     by_value
      - .offset:         4
        .size:           1
        .value_kind:     by_value
      - .offset:         8
        .size:           24
        .value_kind:     by_value
    .group_segment_fixed_size: 0
    .kernarg_segment_align: 8
    .kernarg_segment_size: 32
    .language:       OpenCL C
    .language_version:
      - 2
      - 0
    .max_flat_workgroup_size: 256
    .name:           _ZN2at6native29vectorized_elementwise_kernelILi2ENS0_13BinaryFunctorIhhhZZZNS0_18lshift_kernel_cudaERNS_18TensorIteratorBaseEENKUlvE_clEvENKUlvE_clEvEUlhhE_EESt5arrayIPcLm3EEEEviT0_T1_
    .private_segment_fixed_size: 0
    .sgpr_count:     64
    .sgpr_spill_count: 0
    .symbol:         _ZN2at6native29vectorized_elementwise_kernelILi2ENS0_13BinaryFunctorIhhhZZZNS0_18lshift_kernel_cudaERNS_18TensorIteratorBaseEENKUlvE_clEvENKUlvE_clEvEUlhhE_EESt5arrayIPcLm3EEEEviT0_T1_.kd
    .uniform_work_group_size: 1
    .uses_dynamic_stack: false
    .vgpr_count:     39
    .vgpr_spill_count: 0
    .wavefront_size: 64
  - .args:
      - .offset:         0
        .size:           4
        .value_kind:     by_value
      - .offset:         4
        .size:           1
        .value_kind:     by_value
      - .offset:         8
        .size:           24
        .value_kind:     by_value
      - .offset:         32
        .size:           1
        .value_kind:     by_value
      - .offset:         33
        .size:           1
        .value_kind:     by_value
      - .offset:         34
        .size:           1
        .value_kind:     by_value
      - .offset:         35
        .size:           1
        .value_kind:     by_value
    .group_segment_fixed_size: 0
    .kernarg_segment_align: 8
    .kernarg_segment_size: 36
    .language:       OpenCL C
    .language_version:
      - 2
      - 0
    .max_flat_workgroup_size: 256
    .name:           _ZN2at6native27unrolled_elementwise_kernelINS0_13BinaryFunctorIhhhZZZNS0_18lshift_kernel_cudaERNS_18TensorIteratorBaseEENKUlvE_clEvENKUlvE_clEvEUlhhE_EESt5arrayIPcLm3EELi4E23TrivialOffsetCalculatorILi2EjESC_ILi1EjENS0_6memory15LoadWithoutCastENSF_16StoreWithoutCastEEEviT_T0_T2_T3_T4_T5_
    .private_segment_fixed_size: 0
    .sgpr_count:     22
    .sgpr_spill_count: 0
    .symbol:         _ZN2at6native27unrolled_elementwise_kernelINS0_13BinaryFunctorIhhhZZZNS0_18lshift_kernel_cudaERNS_18TensorIteratorBaseEENKUlvE_clEvENKUlvE_clEvEUlhhE_EESt5arrayIPcLm3EELi4E23TrivialOffsetCalculatorILi2EjESC_ILi1EjENS0_6memory15LoadWithoutCastENSF_16StoreWithoutCastEEEviT_T0_T2_T3_T4_T5_.kd
    .uniform_work_group_size: 1
    .uses_dynamic_stack: false
    .vgpr_count:     12
    .vgpr_spill_count: 0
    .wavefront_size: 64
  - .args:
      - .offset:         0
        .size:           4
        .value_kind:     by_value
      - .offset:         8
        .size:           424
        .value_kind:     by_value
    .group_segment_fixed_size: 0
    .kernarg_segment_align: 8
    .kernarg_segment_size: 432
    .language:       OpenCL C
    .language_version:
      - 2
      - 0
    .max_flat_workgroup_size: 128
    .name:           _ZN2at6native32elementwise_kernel_manual_unrollILi128ELi8EZNS0_22gpu_kernel_impl_nocastINS0_13BinaryFunctorIhhhZZZNS0_18lshift_kernel_cudaERNS_18TensorIteratorBaseEENKUlvE_clEvENKUlvE_clEvEUlhhE_EEEEvS5_RKT_EUlibE_EEviT1_
    .private_segment_fixed_size: 0
    .sgpr_count:     54
    .sgpr_spill_count: 0
    .symbol:         _ZN2at6native32elementwise_kernel_manual_unrollILi128ELi8EZNS0_22gpu_kernel_impl_nocastINS0_13BinaryFunctorIhhhZZZNS0_18lshift_kernel_cudaERNS_18TensorIteratorBaseEENKUlvE_clEvENKUlvE_clEvEUlhhE_EEEEvS5_RKT_EUlibE_EEviT1_.kd
    .uniform_work_group_size: 1
    .uses_dynamic_stack: false
    .vgpr_count:     42
    .vgpr_spill_count: 0
    .wavefront_size: 64
  - .args:
      - .offset:         0
        .size:           4
        .value_kind:     by_value
      - .offset:         8
        .size:           40
        .value_kind:     by_value
    .group_segment_fixed_size: 0
    .kernarg_segment_align: 8
    .kernarg_segment_size: 48
    .language:       OpenCL C
    .language_version:
      - 2
      - 0
    .max_flat_workgroup_size: 128
    .name:           _ZN2at6native32elementwise_kernel_manual_unrollILi128ELi4EZNS0_15gpu_kernel_implINS0_13BinaryFunctorIhhhZZZNS0_18lshift_kernel_cudaERNS_18TensorIteratorBaseEENKUlvE_clEvENKUlvE_clEvEUlhhE_EEEEvS5_RKT_EUlibE_EEviT1_
    .private_segment_fixed_size: 0
    .sgpr_count:     60
    .sgpr_spill_count: 0
    .symbol:         _ZN2at6native32elementwise_kernel_manual_unrollILi128ELi4EZNS0_15gpu_kernel_implINS0_13BinaryFunctorIhhhZZZNS0_18lshift_kernel_cudaERNS_18TensorIteratorBaseEENKUlvE_clEvENKUlvE_clEvEUlhhE_EEEEvS5_RKT_EUlibE_EEviT1_.kd
    .uniform_work_group_size: 1
    .uses_dynamic_stack: false
    .vgpr_count:     16
    .vgpr_spill_count: 0
    .wavefront_size: 64
  - .args:
      - .offset:         0
        .size:           4
        .value_kind:     by_value
      - .offset:         8
        .size:           424
        .value_kind:     by_value
    .group_segment_fixed_size: 0
    .kernarg_segment_align: 8
    .kernarg_segment_size: 432
    .language:       OpenCL C
    .language_version:
      - 2
      - 0
    .max_flat_workgroup_size: 128
    .name:           _ZN2at6native32elementwise_kernel_manual_unrollILi128ELi4EZNS0_15gpu_kernel_implINS0_13BinaryFunctorIhhhZZZNS0_18lshift_kernel_cudaERNS_18TensorIteratorBaseEENKUlvE_clEvENKUlvE_clEvEUlhhE_EEEEvS5_RKT_EUlibE0_EEviT1_
    .private_segment_fixed_size: 0
    .sgpr_count:     84
    .sgpr_spill_count: 0
    .symbol:         _ZN2at6native32elementwise_kernel_manual_unrollILi128ELi4EZNS0_15gpu_kernel_implINS0_13BinaryFunctorIhhhZZZNS0_18lshift_kernel_cudaERNS_18TensorIteratorBaseEENKUlvE_clEvENKUlvE_clEvEUlhhE_EEEEvS5_RKT_EUlibE0_EEviT1_.kd
    .uniform_work_group_size: 1
    .uses_dynamic_stack: false
    .vgpr_count:     23
    .vgpr_spill_count: 0
    .wavefront_size: 64
  - .args:
      - .offset:         0
        .size:           4
        .value_kind:     by_value
      - .offset:         4
        .size:           2
        .value_kind:     by_value
      - .offset:         8
        .size:           16
        .value_kind:     by_value
    .group_segment_fixed_size: 0
    .kernarg_segment_align: 8
    .kernarg_segment_size: 24
    .language:       OpenCL C
    .language_version:
      - 2
      - 0
    .max_flat_workgroup_size: 256
    .name:           _ZN2at6native29vectorized_elementwise_kernelILi16ENS0_13AUnaryFunctorIaaaZZZNS0_18lshift_kernel_cudaERNS_18TensorIteratorBaseEENKUlvE_clEvENKUlvE0_clEvEUlaaE_EESt5arrayIPcLm2EEEEviT0_T1_
    .private_segment_fixed_size: 0
    .sgpr_count:     43
    .sgpr_spill_count: 0
    .symbol:         _ZN2at6native29vectorized_elementwise_kernelILi16ENS0_13AUnaryFunctorIaaaZZZNS0_18lshift_kernel_cudaERNS_18TensorIteratorBaseEENKUlvE_clEvENKUlvE0_clEvEUlaaE_EESt5arrayIPcLm2EEEEviT0_T1_.kd
    .uniform_work_group_size: 1
    .uses_dynamic_stack: false
    .vgpr_count:     23
    .vgpr_spill_count: 0
    .wavefront_size: 64
  - .args:
      - .offset:         0
        .size:           4
        .value_kind:     by_value
      - .offset:         4
        .size:           2
        .value_kind:     by_value
      - .offset:         8
        .size:           16
        .value_kind:     by_value
    .group_segment_fixed_size: 0
    .kernarg_segment_align: 8
    .kernarg_segment_size: 24
    .language:       OpenCL C
    .language_version:
      - 2
      - 0
    .max_flat_workgroup_size: 256
    .name:           _ZN2at6native29vectorized_elementwise_kernelILi8ENS0_13AUnaryFunctorIaaaZZZNS0_18lshift_kernel_cudaERNS_18TensorIteratorBaseEENKUlvE_clEvENKUlvE0_clEvEUlaaE_EESt5arrayIPcLm2EEEEviT0_T1_
    .private_segment_fixed_size: 0
    .sgpr_count:     43
    .sgpr_spill_count: 0
    .symbol:         _ZN2at6native29vectorized_elementwise_kernelILi8ENS0_13AUnaryFunctorIaaaZZZNS0_18lshift_kernel_cudaERNS_18TensorIteratorBaseEENKUlvE_clEvENKUlvE0_clEvEUlaaE_EESt5arrayIPcLm2EEEEviT0_T1_.kd
    .uniform_work_group_size: 1
    .uses_dynamic_stack: false
    .vgpr_count:     28
    .vgpr_spill_count: 0
    .wavefront_size: 64
  - .args:
      - .offset:         0
        .size:           4
        .value_kind:     by_value
      - .offset:         4
        .size:           2
        .value_kind:     by_value
      - .offset:         8
        .size:           16
        .value_kind:     by_value
    .group_segment_fixed_size: 0
    .kernarg_segment_align: 8
    .kernarg_segment_size: 24
    .language:       OpenCL C
    .language_version:
      - 2
      - 0
    .max_flat_workgroup_size: 256
    .name:           _ZN2at6native29vectorized_elementwise_kernelILi4ENS0_13AUnaryFunctorIaaaZZZNS0_18lshift_kernel_cudaERNS_18TensorIteratorBaseEENKUlvE_clEvENKUlvE0_clEvEUlaaE_EESt5arrayIPcLm2EEEEviT0_T1_
    .private_segment_fixed_size: 0
    .sgpr_count:     43
    .sgpr_spill_count: 0
    .symbol:         _ZN2at6native29vectorized_elementwise_kernelILi4ENS0_13AUnaryFunctorIaaaZZZNS0_18lshift_kernel_cudaERNS_18TensorIteratorBaseEENKUlvE_clEvENKUlvE0_clEvEUlaaE_EESt5arrayIPcLm2EEEEviT0_T1_.kd
    .uniform_work_group_size: 1
    .uses_dynamic_stack: false
    .vgpr_count:     23
    .vgpr_spill_count: 0
    .wavefront_size: 64
  - .args:
      - .offset:         0
        .size:           4
        .value_kind:     by_value
      - .offset:         4
        .size:           2
        .value_kind:     by_value
      - .offset:         8
        .size:           16
        .value_kind:     by_value
    .group_segment_fixed_size: 0
    .kernarg_segment_align: 8
    .kernarg_segment_size: 24
    .language:       OpenCL C
    .language_version:
      - 2
      - 0
    .max_flat_workgroup_size: 256
    .name:           _ZN2at6native29vectorized_elementwise_kernelILi2ENS0_13AUnaryFunctorIaaaZZZNS0_18lshift_kernel_cudaERNS_18TensorIteratorBaseEENKUlvE_clEvENKUlvE0_clEvEUlaaE_EESt5arrayIPcLm2EEEEviT0_T1_
    .private_segment_fixed_size: 0
    .sgpr_count:     43
    .sgpr_spill_count: 0
    .symbol:         _ZN2at6native29vectorized_elementwise_kernelILi2ENS0_13AUnaryFunctorIaaaZZZNS0_18lshift_kernel_cudaERNS_18TensorIteratorBaseEENKUlvE_clEvENKUlvE0_clEvEUlaaE_EESt5arrayIPcLm2EEEEviT0_T1_.kd
    .uniform_work_group_size: 1
    .uses_dynamic_stack: false
    .vgpr_count:     23
    .vgpr_spill_count: 0
    .wavefront_size: 64
  - .args:
      - .offset:         0
        .size:           4
        .value_kind:     by_value
      - .offset:         4
        .size:           2
        .value_kind:     by_value
      - .offset:         8
        .size:           16
        .value_kind:     by_value
      - .offset:         24
        .size:           1
        .value_kind:     by_value
      - .offset:         25
        .size:           1
        .value_kind:     by_value
      - .offset:         26
        .size:           1
        .value_kind:     by_value
      - .offset:         27
        .size:           1
        .value_kind:     by_value
    .group_segment_fixed_size: 0
    .kernarg_segment_align: 8
    .kernarg_segment_size: 28
    .language:       OpenCL C
    .language_version:
      - 2
      - 0
    .max_flat_workgroup_size: 256
    .name:           _ZN2at6native27unrolled_elementwise_kernelINS0_13AUnaryFunctorIaaaZZZNS0_18lshift_kernel_cudaERNS_18TensorIteratorBaseEENKUlvE_clEvENKUlvE0_clEvEUlaaE_EESt5arrayIPcLm2EELi4E23TrivialOffsetCalculatorILi1EjESD_NS0_6memory15LoadWithoutCastENSE_16StoreWithoutCastEEEviT_T0_T2_T3_T4_T5_
    .private_segment_fixed_size: 0
    .sgpr_count:     20
    .sgpr_spill_count: 0
    .symbol:         _ZN2at6native27unrolled_elementwise_kernelINS0_13AUnaryFunctorIaaaZZZNS0_18lshift_kernel_cudaERNS_18TensorIteratorBaseEENKUlvE_clEvENKUlvE0_clEvEUlaaE_EESt5arrayIPcLm2EELi4E23TrivialOffsetCalculatorILi1EjESD_NS0_6memory15LoadWithoutCastENSE_16StoreWithoutCastEEEviT_T0_T2_T3_T4_T5_.kd
    .uniform_work_group_size: 1
    .uses_dynamic_stack: false
    .vgpr_count:     11
    .vgpr_spill_count: 0
    .wavefront_size: 64
  - .args:
      - .offset:         0
        .size:           4
        .value_kind:     by_value
      - .offset:         8
        .size:           352
        .value_kind:     by_value
    .group_segment_fixed_size: 0
    .kernarg_segment_align: 8
    .kernarg_segment_size: 360
    .language:       OpenCL C
    .language_version:
      - 2
      - 0
    .max_flat_workgroup_size: 128
    .name:           _ZN2at6native32elementwise_kernel_manual_unrollILi128ELi8EZNS0_22gpu_kernel_impl_nocastINS0_13AUnaryFunctorIaaaZZZNS0_18lshift_kernel_cudaERNS_18TensorIteratorBaseEENKUlvE_clEvENKUlvE0_clEvEUlaaE_EEEEvS5_RKT_EUlibE_EEviT1_
    .private_segment_fixed_size: 0
    .sgpr_count:     67
    .sgpr_spill_count: 0
    .symbol:         _ZN2at6native32elementwise_kernel_manual_unrollILi128ELi8EZNS0_22gpu_kernel_impl_nocastINS0_13AUnaryFunctorIaaaZZZNS0_18lshift_kernel_cudaERNS_18TensorIteratorBaseEENKUlvE_clEvENKUlvE0_clEvEUlaaE_EEEEvS5_RKT_EUlibE_EEviT1_.kd
    .uniform_work_group_size: 1
    .uses_dynamic_stack: false
    .vgpr_count:     26
    .vgpr_spill_count: 0
    .wavefront_size: 64
  - .args:
      - .offset:         0
        .size:           4
        .value_kind:     by_value
      - .offset:         8
        .size:           32
        .value_kind:     by_value
    .group_segment_fixed_size: 0
    .kernarg_segment_align: 8
    .kernarg_segment_size: 40
    .language:       OpenCL C
    .language_version:
      - 2
      - 0
    .max_flat_workgroup_size: 128
    .name:           _ZN2at6native32elementwise_kernel_manual_unrollILi128ELi4EZNS0_15gpu_kernel_implINS0_13AUnaryFunctorIaaaZZZNS0_18lshift_kernel_cudaERNS_18TensorIteratorBaseEENKUlvE_clEvENKUlvE0_clEvEUlaaE_EEEEvS5_RKT_EUlibE_EEviT1_
    .private_segment_fixed_size: 0
    .sgpr_count:     50
    .sgpr_spill_count: 0
    .symbol:         _ZN2at6native32elementwise_kernel_manual_unrollILi128ELi4EZNS0_15gpu_kernel_implINS0_13AUnaryFunctorIaaaZZZNS0_18lshift_kernel_cudaERNS_18TensorIteratorBaseEENKUlvE_clEvENKUlvE0_clEvEUlaaE_EEEEvS5_RKT_EUlibE_EEviT1_.kd
    .uniform_work_group_size: 1
    .uses_dynamic_stack: false
    .vgpr_count:     14
    .vgpr_spill_count: 0
    .wavefront_size: 64
  - .args:
      - .offset:         0
        .size:           4
        .value_kind:     by_value
      - .offset:         8
        .size:           352
        .value_kind:     by_value
    .group_segment_fixed_size: 0
    .kernarg_segment_align: 8
    .kernarg_segment_size: 360
    .language:       OpenCL C
    .language_version:
      - 2
      - 0
    .max_flat_workgroup_size: 128
    .name:           _ZN2at6native32elementwise_kernel_manual_unrollILi128ELi4EZNS0_15gpu_kernel_implINS0_13AUnaryFunctorIaaaZZZNS0_18lshift_kernel_cudaERNS_18TensorIteratorBaseEENKUlvE_clEvENKUlvE0_clEvEUlaaE_EEEEvS5_RKT_EUlibE0_EEviT1_
    .private_segment_fixed_size: 0
    .sgpr_count:     82
    .sgpr_spill_count: 0
    .symbol:         _ZN2at6native32elementwise_kernel_manual_unrollILi128ELi4EZNS0_15gpu_kernel_implINS0_13AUnaryFunctorIaaaZZZNS0_18lshift_kernel_cudaERNS_18TensorIteratorBaseEENKUlvE_clEvENKUlvE0_clEvEUlaaE_EEEEvS5_RKT_EUlibE0_EEviT1_.kd
    .uniform_work_group_size: 1
    .uses_dynamic_stack: false
    .vgpr_count:     18
    .vgpr_spill_count: 0
    .wavefront_size: 64
  - .args:
      - .offset:         0
        .size:           4
        .value_kind:     by_value
      - .offset:         4
        .size:           2
        .value_kind:     by_value
      - .offset:         8
        .size:           16
        .value_kind:     by_value
    .group_segment_fixed_size: 0
    .kernarg_segment_align: 8
    .kernarg_segment_size: 24
    .language:       OpenCL C
    .language_version:
      - 2
      - 0
    .max_flat_workgroup_size: 256
    .name:           _ZN2at6native29vectorized_elementwise_kernelILi16ENS0_13BUnaryFunctorIaaaZZZNS0_18lshift_kernel_cudaERNS_18TensorIteratorBaseEENKUlvE_clEvENKUlvE0_clEvEUlaaE_EESt5arrayIPcLm2EEEEviT0_T1_
    .private_segment_fixed_size: 0
    .sgpr_count:     45
    .sgpr_spill_count: 0
    .symbol:         _ZN2at6native29vectorized_elementwise_kernelILi16ENS0_13BUnaryFunctorIaaaZZZNS0_18lshift_kernel_cudaERNS_18TensorIteratorBaseEENKUlvE_clEvENKUlvE0_clEvEUlaaE_EESt5arrayIPcLm2EEEEviT0_T1_.kd
    .uniform_work_group_size: 1
    .uses_dynamic_stack: false
    .vgpr_count:     22
    .vgpr_spill_count: 0
    .wavefront_size: 64
  - .args:
      - .offset:         0
        .size:           4
        .value_kind:     by_value
      - .offset:         4
        .size:           2
        .value_kind:     by_value
      - .offset:         8
        .size:           16
        .value_kind:     by_value
    .group_segment_fixed_size: 0
    .kernarg_segment_align: 8
    .kernarg_segment_size: 24
    .language:       OpenCL C
    .language_version:
      - 2
      - 0
    .max_flat_workgroup_size: 256
    .name:           _ZN2at6native29vectorized_elementwise_kernelILi8ENS0_13BUnaryFunctorIaaaZZZNS0_18lshift_kernel_cudaERNS_18TensorIteratorBaseEENKUlvE_clEvENKUlvE0_clEvEUlaaE_EESt5arrayIPcLm2EEEEviT0_T1_
    .private_segment_fixed_size: 0
    .sgpr_count:     45
    .sgpr_spill_count: 0
    .symbol:         _ZN2at6native29vectorized_elementwise_kernelILi8ENS0_13BUnaryFunctorIaaaZZZNS0_18lshift_kernel_cudaERNS_18TensorIteratorBaseEENKUlvE_clEvENKUlvE0_clEvEUlaaE_EESt5arrayIPcLm2EEEEviT0_T1_.kd
    .uniform_work_group_size: 1
    .uses_dynamic_stack: false
    .vgpr_count:     22
    .vgpr_spill_count: 0
    .wavefront_size: 64
  - .args:
      - .offset:         0
        .size:           4
        .value_kind:     by_value
      - .offset:         4
        .size:           2
        .value_kind:     by_value
      - .offset:         8
        .size:           16
        .value_kind:     by_value
    .group_segment_fixed_size: 0
    .kernarg_segment_align: 8
    .kernarg_segment_size: 24
    .language:       OpenCL C
    .language_version:
      - 2
      - 0
    .max_flat_workgroup_size: 256
    .name:           _ZN2at6native29vectorized_elementwise_kernelILi4ENS0_13BUnaryFunctorIaaaZZZNS0_18lshift_kernel_cudaERNS_18TensorIteratorBaseEENKUlvE_clEvENKUlvE0_clEvEUlaaE_EESt5arrayIPcLm2EEEEviT0_T1_
    .private_segment_fixed_size: 0
    .sgpr_count:     45
    .sgpr_spill_count: 0
    .symbol:         _ZN2at6native29vectorized_elementwise_kernelILi4ENS0_13BUnaryFunctorIaaaZZZNS0_18lshift_kernel_cudaERNS_18TensorIteratorBaseEENKUlvE_clEvENKUlvE0_clEvEUlaaE_EESt5arrayIPcLm2EEEEviT0_T1_.kd
    .uniform_work_group_size: 1
    .uses_dynamic_stack: false
    .vgpr_count:     22
    .vgpr_spill_count: 0
    .wavefront_size: 64
  - .args:
      - .offset:         0
        .size:           4
        .value_kind:     by_value
      - .offset:         4
        .size:           2
        .value_kind:     by_value
      - .offset:         8
        .size:           16
        .value_kind:     by_value
    .group_segment_fixed_size: 0
    .kernarg_segment_align: 8
    .kernarg_segment_size: 24
    .language:       OpenCL C
    .language_version:
      - 2
      - 0
    .max_flat_workgroup_size: 256
    .name:           _ZN2at6native29vectorized_elementwise_kernelILi2ENS0_13BUnaryFunctorIaaaZZZNS0_18lshift_kernel_cudaERNS_18TensorIteratorBaseEENKUlvE_clEvENKUlvE0_clEvEUlaaE_EESt5arrayIPcLm2EEEEviT0_T1_
    .private_segment_fixed_size: 0
    .sgpr_count:     45
    .sgpr_spill_count: 0
    .symbol:         _ZN2at6native29vectorized_elementwise_kernelILi2ENS0_13BUnaryFunctorIaaaZZZNS0_18lshift_kernel_cudaERNS_18TensorIteratorBaseEENKUlvE_clEvENKUlvE0_clEvEUlaaE_EESt5arrayIPcLm2EEEEviT0_T1_.kd
    .uniform_work_group_size: 1
    .uses_dynamic_stack: false
    .vgpr_count:     22
    .vgpr_spill_count: 0
    .wavefront_size: 64
  - .args:
      - .offset:         0
        .size:           4
        .value_kind:     by_value
      - .offset:         4
        .size:           2
        .value_kind:     by_value
      - .offset:         8
        .size:           16
        .value_kind:     by_value
      - .offset:         24
        .size:           1
        .value_kind:     by_value
      - .offset:         25
        .size:           1
        .value_kind:     by_value
      - .offset:         26
        .size:           1
        .value_kind:     by_value
      - .offset:         27
        .size:           1
        .value_kind:     by_value
    .group_segment_fixed_size: 0
    .kernarg_segment_align: 8
    .kernarg_segment_size: 28
    .language:       OpenCL C
    .language_version:
      - 2
      - 0
    .max_flat_workgroup_size: 256
    .name:           _ZN2at6native27unrolled_elementwise_kernelINS0_13BUnaryFunctorIaaaZZZNS0_18lshift_kernel_cudaERNS_18TensorIteratorBaseEENKUlvE_clEvENKUlvE0_clEvEUlaaE_EESt5arrayIPcLm2EELi4E23TrivialOffsetCalculatorILi1EjESD_NS0_6memory15LoadWithoutCastENSE_16StoreWithoutCastEEEviT_T0_T2_T3_T4_T5_
    .private_segment_fixed_size: 0
    .sgpr_count:     20
    .sgpr_spill_count: 0
    .symbol:         _ZN2at6native27unrolled_elementwise_kernelINS0_13BUnaryFunctorIaaaZZZNS0_18lshift_kernel_cudaERNS_18TensorIteratorBaseEENKUlvE_clEvENKUlvE0_clEvEUlaaE_EESt5arrayIPcLm2EELi4E23TrivialOffsetCalculatorILi1EjESD_NS0_6memory15LoadWithoutCastENSE_16StoreWithoutCastEEEviT_T0_T2_T3_T4_T5_.kd
    .uniform_work_group_size: 1
    .uses_dynamic_stack: false
    .vgpr_count:     10
    .vgpr_spill_count: 0
    .wavefront_size: 64
  - .args:
      - .offset:         0
        .size:           4
        .value_kind:     by_value
      - .offset:         8
        .size:           352
        .value_kind:     by_value
    .group_segment_fixed_size: 0
    .kernarg_segment_align: 8
    .kernarg_segment_size: 360
    .language:       OpenCL C
    .language_version:
      - 2
      - 0
    .max_flat_workgroup_size: 128
    .name:           _ZN2at6native32elementwise_kernel_manual_unrollILi128ELi8EZNS0_22gpu_kernel_impl_nocastINS0_13BUnaryFunctorIaaaZZZNS0_18lshift_kernel_cudaERNS_18TensorIteratorBaseEENKUlvE_clEvENKUlvE0_clEvEUlaaE_EEEEvS5_RKT_EUlibE_EEviT1_
    .private_segment_fixed_size: 0
    .sgpr_count:     69
    .sgpr_spill_count: 0
    .symbol:         _ZN2at6native32elementwise_kernel_manual_unrollILi128ELi8EZNS0_22gpu_kernel_impl_nocastINS0_13BUnaryFunctorIaaaZZZNS0_18lshift_kernel_cudaERNS_18TensorIteratorBaseEENKUlvE_clEvENKUlvE0_clEvEUlaaE_EEEEvS5_RKT_EUlibE_EEviT1_.kd
    .uniform_work_group_size: 1
    .uses_dynamic_stack: false
    .vgpr_count:     26
    .vgpr_spill_count: 0
    .wavefront_size: 64
  - .args:
      - .offset:         0
        .size:           4
        .value_kind:     by_value
      - .offset:         8
        .size:           32
        .value_kind:     by_value
    .group_segment_fixed_size: 0
    .kernarg_segment_align: 8
    .kernarg_segment_size: 40
    .language:       OpenCL C
    .language_version:
      - 2
      - 0
    .max_flat_workgroup_size: 128
    .name:           _ZN2at6native32elementwise_kernel_manual_unrollILi128ELi4EZNS0_15gpu_kernel_implINS0_13BUnaryFunctorIaaaZZZNS0_18lshift_kernel_cudaERNS_18TensorIteratorBaseEENKUlvE_clEvENKUlvE0_clEvEUlaaE_EEEEvS5_RKT_EUlibE_EEviT1_
    .private_segment_fixed_size: 0
    .sgpr_count:     54
    .sgpr_spill_count: 0
    .symbol:         _ZN2at6native32elementwise_kernel_manual_unrollILi128ELi4EZNS0_15gpu_kernel_implINS0_13BUnaryFunctorIaaaZZZNS0_18lshift_kernel_cudaERNS_18TensorIteratorBaseEENKUlvE_clEvENKUlvE0_clEvEUlaaE_EEEEvS5_RKT_EUlibE_EEviT1_.kd
    .uniform_work_group_size: 1
    .uses_dynamic_stack: false
    .vgpr_count:     12
    .vgpr_spill_count: 0
    .wavefront_size: 64
  - .args:
      - .offset:         0
        .size:           4
        .value_kind:     by_value
      - .offset:         8
        .size:           352
        .value_kind:     by_value
    .group_segment_fixed_size: 0
    .kernarg_segment_align: 8
    .kernarg_segment_size: 360
    .language:       OpenCL C
    .language_version:
      - 2
      - 0
    .max_flat_workgroup_size: 128
    .name:           _ZN2at6native32elementwise_kernel_manual_unrollILi128ELi4EZNS0_15gpu_kernel_implINS0_13BUnaryFunctorIaaaZZZNS0_18lshift_kernel_cudaERNS_18TensorIteratorBaseEENKUlvE_clEvENKUlvE0_clEvEUlaaE_EEEEvS5_RKT_EUlibE0_EEviT1_
    .private_segment_fixed_size: 0
    .sgpr_count:     85
    .sgpr_spill_count: 0
    .symbol:         _ZN2at6native32elementwise_kernel_manual_unrollILi128ELi4EZNS0_15gpu_kernel_implINS0_13BUnaryFunctorIaaaZZZNS0_18lshift_kernel_cudaERNS_18TensorIteratorBaseEENKUlvE_clEvENKUlvE0_clEvEUlaaE_EEEEvS5_RKT_EUlibE0_EEviT1_.kd
    .uniform_work_group_size: 1
    .uses_dynamic_stack: false
    .vgpr_count:     18
    .vgpr_spill_count: 0
    .wavefront_size: 64
  - .args:
      - .offset:         0
        .size:           4
        .value_kind:     by_value
      - .offset:         4
        .size:           1
        .value_kind:     by_value
      - .offset:         8
        .size:           24
        .value_kind:     by_value
    .group_segment_fixed_size: 0
    .kernarg_segment_align: 8
    .kernarg_segment_size: 32
    .language:       OpenCL C
    .language_version:
      - 2
      - 0
    .max_flat_workgroup_size: 256
    .name:           _ZN2at6native29vectorized_elementwise_kernelILi16ENS0_13BinaryFunctorIaaaZZZNS0_18lshift_kernel_cudaERNS_18TensorIteratorBaseEENKUlvE_clEvENKUlvE0_clEvEUlaaE_EESt5arrayIPcLm3EEEEviT0_T1_
    .private_segment_fixed_size: 0
    .sgpr_count:     43
    .sgpr_spill_count: 0
    .symbol:         _ZN2at6native29vectorized_elementwise_kernelILi16ENS0_13BinaryFunctorIaaaZZZNS0_18lshift_kernel_cudaERNS_18TensorIteratorBaseEENKUlvE_clEvENKUlvE0_clEvEUlaaE_EESt5arrayIPcLm3EEEEviT0_T1_.kd
    .uniform_work_group_size: 1
    .uses_dynamic_stack: false
    .vgpr_count:     40
    .vgpr_spill_count: 0
    .wavefront_size: 64
  - .args:
      - .offset:         0
        .size:           4
        .value_kind:     by_value
      - .offset:         4
        .size:           1
        .value_kind:     by_value
      - .offset:         8
        .size:           24
        .value_kind:     by_value
    .group_segment_fixed_size: 0
    .kernarg_segment_align: 8
    .kernarg_segment_size: 32
    .language:       OpenCL C
    .language_version:
      - 2
      - 0
    .max_flat_workgroup_size: 256
    .name:           _ZN2at6native29vectorized_elementwise_kernelILi8ENS0_13BinaryFunctorIaaaZZZNS0_18lshift_kernel_cudaERNS_18TensorIteratorBaseEENKUlvE_clEvENKUlvE0_clEvEUlaaE_EESt5arrayIPcLm3EEEEviT0_T1_
    .private_segment_fixed_size: 0
    .sgpr_count:     43
    .sgpr_spill_count: 0
    .symbol:         _ZN2at6native29vectorized_elementwise_kernelILi8ENS0_13BinaryFunctorIaaaZZZNS0_18lshift_kernel_cudaERNS_18TensorIteratorBaseEENKUlvE_clEvENKUlvE0_clEvEUlaaE_EESt5arrayIPcLm3EEEEviT0_T1_.kd
    .uniform_work_group_size: 1
    .uses_dynamic_stack: false
    .vgpr_count:     40
    .vgpr_spill_count: 0
    .wavefront_size: 64
  - .args:
      - .offset:         0
        .size:           4
        .value_kind:     by_value
      - .offset:         4
        .size:           1
        .value_kind:     by_value
      - .offset:         8
        .size:           24
        .value_kind:     by_value
    .group_segment_fixed_size: 0
    .kernarg_segment_align: 8
    .kernarg_segment_size: 32
    .language:       OpenCL C
    .language_version:
      - 2
      - 0
    .max_flat_workgroup_size: 256
    .name:           _ZN2at6native29vectorized_elementwise_kernelILi4ENS0_13BinaryFunctorIaaaZZZNS0_18lshift_kernel_cudaERNS_18TensorIteratorBaseEENKUlvE_clEvENKUlvE0_clEvEUlaaE_EESt5arrayIPcLm3EEEEviT0_T1_
    .private_segment_fixed_size: 0
    .sgpr_count:     43
    .sgpr_spill_count: 0
    .symbol:         _ZN2at6native29vectorized_elementwise_kernelILi4ENS0_13BinaryFunctorIaaaZZZNS0_18lshift_kernel_cudaERNS_18TensorIteratorBaseEENKUlvE_clEvENKUlvE0_clEvEUlaaE_EESt5arrayIPcLm3EEEEviT0_T1_.kd
    .uniform_work_group_size: 1
    .uses_dynamic_stack: false
    .vgpr_count:     40
    .vgpr_spill_count: 0
    .wavefront_size: 64
  - .args:
      - .offset:         0
        .size:           4
        .value_kind:     by_value
      - .offset:         4
        .size:           1
        .value_kind:     by_value
      - .offset:         8
        .size:           24
        .value_kind:     by_value
    .group_segment_fixed_size: 0
    .kernarg_segment_align: 8
    .kernarg_segment_size: 32
    .language:       OpenCL C
    .language_version:
      - 2
      - 0
    .max_flat_workgroup_size: 256
    .name:           _ZN2at6native29vectorized_elementwise_kernelILi2ENS0_13BinaryFunctorIaaaZZZNS0_18lshift_kernel_cudaERNS_18TensorIteratorBaseEENKUlvE_clEvENKUlvE0_clEvEUlaaE_EESt5arrayIPcLm3EEEEviT0_T1_
    .private_segment_fixed_size: 0
    .sgpr_count:     43
    .sgpr_spill_count: 0
    .symbol:         _ZN2at6native29vectorized_elementwise_kernelILi2ENS0_13BinaryFunctorIaaaZZZNS0_18lshift_kernel_cudaERNS_18TensorIteratorBaseEENKUlvE_clEvENKUlvE0_clEvEUlaaE_EESt5arrayIPcLm3EEEEviT0_T1_.kd
    .uniform_work_group_size: 1
    .uses_dynamic_stack: false
    .vgpr_count:     40
    .vgpr_spill_count: 0
    .wavefront_size: 64
  - .args:
      - .offset:         0
        .size:           4
        .value_kind:     by_value
      - .offset:         4
        .size:           1
        .value_kind:     by_value
      - .offset:         8
        .size:           24
        .value_kind:     by_value
      - .offset:         32
        .size:           1
        .value_kind:     by_value
      - .offset:         33
        .size:           1
        .value_kind:     by_value
      - .offset:         34
        .size:           1
        .value_kind:     by_value
      - .offset:         35
        .size:           1
        .value_kind:     by_value
    .group_segment_fixed_size: 0
    .kernarg_segment_align: 8
    .kernarg_segment_size: 36
    .language:       OpenCL C
    .language_version:
      - 2
      - 0
    .max_flat_workgroup_size: 256
    .name:           _ZN2at6native27unrolled_elementwise_kernelINS0_13BinaryFunctorIaaaZZZNS0_18lshift_kernel_cudaERNS_18TensorIteratorBaseEENKUlvE_clEvENKUlvE0_clEvEUlaaE_EESt5arrayIPcLm3EELi4E23TrivialOffsetCalculatorILi2EjESC_ILi1EjENS0_6memory15LoadWithoutCastENSF_16StoreWithoutCastEEEviT_T0_T2_T3_T4_T5_
    .private_segment_fixed_size: 0
    .sgpr_count:     22
    .sgpr_spill_count: 0
    .symbol:         _ZN2at6native27unrolled_elementwise_kernelINS0_13BinaryFunctorIaaaZZZNS0_18lshift_kernel_cudaERNS_18TensorIteratorBaseEENKUlvE_clEvENKUlvE0_clEvEUlaaE_EESt5arrayIPcLm3EELi4E23TrivialOffsetCalculatorILi2EjESC_ILi1EjENS0_6memory15LoadWithoutCastENSF_16StoreWithoutCastEEEviT_T0_T2_T3_T4_T5_.kd
    .uniform_work_group_size: 1
    .uses_dynamic_stack: false
    .vgpr_count:     13
    .vgpr_spill_count: 0
    .wavefront_size: 64
  - .args:
      - .offset:         0
        .size:           4
        .value_kind:     by_value
      - .offset:         8
        .size:           424
        .value_kind:     by_value
    .group_segment_fixed_size: 0
    .kernarg_segment_align: 8
    .kernarg_segment_size: 432
    .language:       OpenCL C
    .language_version:
      - 2
      - 0
    .max_flat_workgroup_size: 128
    .name:           _ZN2at6native32elementwise_kernel_manual_unrollILi128ELi8EZNS0_22gpu_kernel_impl_nocastINS0_13BinaryFunctorIaaaZZZNS0_18lshift_kernel_cudaERNS_18TensorIteratorBaseEENKUlvE_clEvENKUlvE0_clEvEUlaaE_EEEEvS5_RKT_EUlibE_EEviT1_
    .private_segment_fixed_size: 0
    .sgpr_count:     54
    .sgpr_spill_count: 0
    .symbol:         _ZN2at6native32elementwise_kernel_manual_unrollILi128ELi8EZNS0_22gpu_kernel_impl_nocastINS0_13BinaryFunctorIaaaZZZNS0_18lshift_kernel_cudaERNS_18TensorIteratorBaseEENKUlvE_clEvENKUlvE0_clEvEUlaaE_EEEEvS5_RKT_EUlibE_EEviT1_.kd
    .uniform_work_group_size: 1
    .uses_dynamic_stack: false
    .vgpr_count:     42
    .vgpr_spill_count: 0
    .wavefront_size: 64
  - .args:
      - .offset:         0
        .size:           4
        .value_kind:     by_value
      - .offset:         8
        .size:           40
        .value_kind:     by_value
    .group_segment_fixed_size: 0
    .kernarg_segment_align: 8
    .kernarg_segment_size: 48
    .language:       OpenCL C
    .language_version:
      - 2
      - 0
    .max_flat_workgroup_size: 128
    .name:           _ZN2at6native32elementwise_kernel_manual_unrollILi128ELi4EZNS0_15gpu_kernel_implINS0_13BinaryFunctorIaaaZZZNS0_18lshift_kernel_cudaERNS_18TensorIteratorBaseEENKUlvE_clEvENKUlvE0_clEvEUlaaE_EEEEvS5_RKT_EUlibE_EEviT1_
    .private_segment_fixed_size: 0
    .sgpr_count:     60
    .sgpr_spill_count: 0
    .symbol:         _ZN2at6native32elementwise_kernel_manual_unrollILi128ELi4EZNS0_15gpu_kernel_implINS0_13BinaryFunctorIaaaZZZNS0_18lshift_kernel_cudaERNS_18TensorIteratorBaseEENKUlvE_clEvENKUlvE0_clEvEUlaaE_EEEEvS5_RKT_EUlibE_EEviT1_.kd
    .uniform_work_group_size: 1
    .uses_dynamic_stack: false
    .vgpr_count:     16
    .vgpr_spill_count: 0
    .wavefront_size: 64
  - .args:
      - .offset:         0
        .size:           4
        .value_kind:     by_value
      - .offset:         8
        .size:           424
        .value_kind:     by_value
    .group_segment_fixed_size: 0
    .kernarg_segment_align: 8
    .kernarg_segment_size: 432
    .language:       OpenCL C
    .language_version:
      - 2
      - 0
    .max_flat_workgroup_size: 128
    .name:           _ZN2at6native32elementwise_kernel_manual_unrollILi128ELi4EZNS0_15gpu_kernel_implINS0_13BinaryFunctorIaaaZZZNS0_18lshift_kernel_cudaERNS_18TensorIteratorBaseEENKUlvE_clEvENKUlvE0_clEvEUlaaE_EEEEvS5_RKT_EUlibE0_EEviT1_
    .private_segment_fixed_size: 0
    .sgpr_count:     84
    .sgpr_spill_count: 0
    .symbol:         _ZN2at6native32elementwise_kernel_manual_unrollILi128ELi4EZNS0_15gpu_kernel_implINS0_13BinaryFunctorIaaaZZZNS0_18lshift_kernel_cudaERNS_18TensorIteratorBaseEENKUlvE_clEvENKUlvE0_clEvEUlaaE_EEEEvS5_RKT_EUlibE0_EEviT1_.kd
    .uniform_work_group_size: 1
    .uses_dynamic_stack: false
    .vgpr_count:     23
    .vgpr_spill_count: 0
    .wavefront_size: 64
  - .args:
      - .offset:         0
        .size:           4
        .value_kind:     by_value
      - .offset:         4
        .size:           8
        .value_kind:     by_value
      - .offset:         16
        .size:           16
        .value_kind:     by_value
    .group_segment_fixed_size: 0
    .kernarg_segment_align: 8
    .kernarg_segment_size: 32
    .language:       OpenCL C
    .language_version:
      - 2
      - 0
    .max_flat_workgroup_size: 256
    .name:           _ZN2at6native29vectorized_elementwise_kernelILi16ENS0_13AUnaryFunctorIiiiZZZNS0_18lshift_kernel_cudaERNS_18TensorIteratorBaseEENKUlvE_clEvENKUlvE1_clEvEUliiE_EESt5arrayIPcLm2EEEEviT0_T1_
    .private_segment_fixed_size: 0
    .sgpr_count:     20
    .sgpr_spill_count: 0
    .symbol:         _ZN2at6native29vectorized_elementwise_kernelILi16ENS0_13AUnaryFunctorIiiiZZZNS0_18lshift_kernel_cudaERNS_18TensorIteratorBaseEENKUlvE_clEvENKUlvE1_clEvEUliiE_EESt5arrayIPcLm2EEEEviT0_T1_.kd
    .uniform_work_group_size: 1
    .uses_dynamic_stack: false
    .vgpr_count:     10
    .vgpr_spill_count: 0
    .wavefront_size: 64
  - .args:
      - .offset:         0
        .size:           4
        .value_kind:     by_value
      - .offset:         4
        .size:           8
        .value_kind:     by_value
      - .offset:         16
        .size:           16
        .value_kind:     by_value
    .group_segment_fixed_size: 0
    .kernarg_segment_align: 8
    .kernarg_segment_size: 32
    .language:       OpenCL C
    .language_version:
      - 2
      - 0
    .max_flat_workgroup_size: 256
    .name:           _ZN2at6native29vectorized_elementwise_kernelILi8ENS0_13AUnaryFunctorIiiiZZZNS0_18lshift_kernel_cudaERNS_18TensorIteratorBaseEENKUlvE_clEvENKUlvE1_clEvEUliiE_EESt5arrayIPcLm2EEEEviT0_T1_
    .private_segment_fixed_size: 0
    .sgpr_count:     20
    .sgpr_spill_count: 0
    .symbol:         _ZN2at6native29vectorized_elementwise_kernelILi8ENS0_13AUnaryFunctorIiiiZZZNS0_18lshift_kernel_cudaERNS_18TensorIteratorBaseEENKUlvE_clEvENKUlvE1_clEvEUliiE_EESt5arrayIPcLm2EEEEviT0_T1_.kd
    .uniform_work_group_size: 1
    .uses_dynamic_stack: false
    .vgpr_count:     10
    .vgpr_spill_count: 0
    .wavefront_size: 64
  - .args:
      - .offset:         0
        .size:           4
        .value_kind:     by_value
      - .offset:         4
        .size:           8
        .value_kind:     by_value
      - .offset:         16
        .size:           16
        .value_kind:     by_value
    .group_segment_fixed_size: 0
    .kernarg_segment_align: 8
    .kernarg_segment_size: 32
    .language:       OpenCL C
    .language_version:
      - 2
      - 0
    .max_flat_workgroup_size: 256
    .name:           _ZN2at6native29vectorized_elementwise_kernelILi4ENS0_13AUnaryFunctorIiiiZZZNS0_18lshift_kernel_cudaERNS_18TensorIteratorBaseEENKUlvE_clEvENKUlvE1_clEvEUliiE_EESt5arrayIPcLm2EEEEviT0_T1_
    .private_segment_fixed_size: 0
    .sgpr_count:     20
    .sgpr_spill_count: 0
    .symbol:         _ZN2at6native29vectorized_elementwise_kernelILi4ENS0_13AUnaryFunctorIiiiZZZNS0_18lshift_kernel_cudaERNS_18TensorIteratorBaseEENKUlvE_clEvENKUlvE1_clEvEUliiE_EESt5arrayIPcLm2EEEEviT0_T1_.kd
    .uniform_work_group_size: 1
    .uses_dynamic_stack: false
    .vgpr_count:     10
    .vgpr_spill_count: 0
    .wavefront_size: 64
  - .args:
      - .offset:         0
        .size:           4
        .value_kind:     by_value
      - .offset:         4
        .size:           8
        .value_kind:     by_value
      - .offset:         16
        .size:           16
        .value_kind:     by_value
    .group_segment_fixed_size: 0
    .kernarg_segment_align: 8
    .kernarg_segment_size: 32
    .language:       OpenCL C
    .language_version:
      - 2
      - 0
    .max_flat_workgroup_size: 256
    .name:           _ZN2at6native29vectorized_elementwise_kernelILi2ENS0_13AUnaryFunctorIiiiZZZNS0_18lshift_kernel_cudaERNS_18TensorIteratorBaseEENKUlvE_clEvENKUlvE1_clEvEUliiE_EESt5arrayIPcLm2EEEEviT0_T1_
    .private_segment_fixed_size: 0
    .sgpr_count:     20
    .sgpr_spill_count: 0
    .symbol:         _ZN2at6native29vectorized_elementwise_kernelILi2ENS0_13AUnaryFunctorIiiiZZZNS0_18lshift_kernel_cudaERNS_18TensorIteratorBaseEENKUlvE_clEvENKUlvE1_clEvEUliiE_EESt5arrayIPcLm2EEEEviT0_T1_.kd
    .uniform_work_group_size: 1
    .uses_dynamic_stack: false
    .vgpr_count:     10
    .vgpr_spill_count: 0
    .wavefront_size: 64
  - .args:
      - .offset:         0
        .size:           4
        .value_kind:     by_value
      - .offset:         4
        .size:           8
        .value_kind:     by_value
      - .offset:         16
        .size:           16
        .value_kind:     by_value
      - .offset:         32
        .size:           1
        .value_kind:     by_value
      - .offset:         33
        .size:           1
        .value_kind:     by_value
      - .offset:         34
        .size:           1
        .value_kind:     by_value
      - .offset:         35
        .size:           1
        .value_kind:     by_value
    .group_segment_fixed_size: 0
    .kernarg_segment_align: 8
    .kernarg_segment_size: 36
    .language:       OpenCL C
    .language_version:
      - 2
      - 0
    .max_flat_workgroup_size: 256
    .name:           _ZN2at6native27unrolled_elementwise_kernelINS0_13AUnaryFunctorIiiiZZZNS0_18lshift_kernel_cudaERNS_18TensorIteratorBaseEENKUlvE_clEvENKUlvE1_clEvEUliiE_EESt5arrayIPcLm2EELi4E23TrivialOffsetCalculatorILi1EjESD_NS0_6memory15LoadWithoutCastENSE_16StoreWithoutCastEEEviT_T0_T2_T3_T4_T5_
    .private_segment_fixed_size: 0
    .sgpr_count:     21
    .sgpr_spill_count: 0
    .symbol:         _ZN2at6native27unrolled_elementwise_kernelINS0_13AUnaryFunctorIiiiZZZNS0_18lshift_kernel_cudaERNS_18TensorIteratorBaseEENKUlvE_clEvENKUlvE1_clEvEUliiE_EESt5arrayIPcLm2EELi4E23TrivialOffsetCalculatorILi1EjESD_NS0_6memory15LoadWithoutCastENSE_16StoreWithoutCastEEEviT_T0_T2_T3_T4_T5_.kd
    .uniform_work_group_size: 1
    .uses_dynamic_stack: false
    .vgpr_count:     9
    .vgpr_spill_count: 0
    .wavefront_size: 64
  - .args:
      - .offset:         0
        .size:           4
        .value_kind:     by_value
      - .offset:         8
        .size:           352
        .value_kind:     by_value
    .group_segment_fixed_size: 0
    .kernarg_segment_align: 8
    .kernarg_segment_size: 360
    .language:       OpenCL C
    .language_version:
      - 2
      - 0
    .max_flat_workgroup_size: 128
    .name:           _ZN2at6native32elementwise_kernel_manual_unrollILi128ELi4EZNS0_22gpu_kernel_impl_nocastINS0_13AUnaryFunctorIiiiZZZNS0_18lshift_kernel_cudaERNS_18TensorIteratorBaseEENKUlvE_clEvENKUlvE1_clEvEUliiE_EEEEvS5_RKT_EUlibE_EEviT1_
    .private_segment_fixed_size: 0
    .sgpr_count:     65
    .sgpr_spill_count: 0
    .symbol:         _ZN2at6native32elementwise_kernel_manual_unrollILi128ELi4EZNS0_22gpu_kernel_impl_nocastINS0_13AUnaryFunctorIiiiZZZNS0_18lshift_kernel_cudaERNS_18TensorIteratorBaseEENKUlvE_clEvENKUlvE1_clEvEUliiE_EEEEvS5_RKT_EUlibE_EEviT1_.kd
    .uniform_work_group_size: 1
    .uses_dynamic_stack: false
    .vgpr_count:     18
    .vgpr_spill_count: 0
    .wavefront_size: 64
  - .args:
      - .offset:         0
        .size:           4
        .value_kind:     by_value
      - .offset:         8
        .size:           40
        .value_kind:     by_value
    .group_segment_fixed_size: 0
    .kernarg_segment_align: 8
    .kernarg_segment_size: 48
    .language:       OpenCL C
    .language_version:
      - 2
      - 0
    .max_flat_workgroup_size: 128
    .name:           _ZN2at6native32elementwise_kernel_manual_unrollILi128ELi4EZNS0_15gpu_kernel_implINS0_13AUnaryFunctorIiiiZZZNS0_18lshift_kernel_cudaERNS_18TensorIteratorBaseEENKUlvE_clEvENKUlvE1_clEvEUliiE_EEEEvS5_RKT_EUlibE_EEviT1_
    .private_segment_fixed_size: 0
    .sgpr_count:     50
    .sgpr_spill_count: 0
    .symbol:         _ZN2at6native32elementwise_kernel_manual_unrollILi128ELi4EZNS0_15gpu_kernel_implINS0_13AUnaryFunctorIiiiZZZNS0_18lshift_kernel_cudaERNS_18TensorIteratorBaseEENKUlvE_clEvENKUlvE1_clEvEUliiE_EEEEvS5_RKT_EUlibE_EEviT1_.kd
    .uniform_work_group_size: 1
    .uses_dynamic_stack: false
    .vgpr_count:     12
    .vgpr_spill_count: 0
    .wavefront_size: 64
  - .args:
      - .offset:         0
        .size:           4
        .value_kind:     by_value
      - .offset:         8
        .size:           360
        .value_kind:     by_value
    .group_segment_fixed_size: 0
    .kernarg_segment_align: 8
    .kernarg_segment_size: 368
    .language:       OpenCL C
    .language_version:
      - 2
      - 0
    .max_flat_workgroup_size: 128
    .name:           _ZN2at6native32elementwise_kernel_manual_unrollILi128ELi4EZNS0_15gpu_kernel_implINS0_13AUnaryFunctorIiiiZZZNS0_18lshift_kernel_cudaERNS_18TensorIteratorBaseEENKUlvE_clEvENKUlvE1_clEvEUliiE_EEEEvS5_RKT_EUlibE0_EEviT1_
    .private_segment_fixed_size: 0
    .sgpr_count:     83
    .sgpr_spill_count: 0
    .symbol:         _ZN2at6native32elementwise_kernel_manual_unrollILi128ELi4EZNS0_15gpu_kernel_implINS0_13AUnaryFunctorIiiiZZZNS0_18lshift_kernel_cudaERNS_18TensorIteratorBaseEENKUlvE_clEvENKUlvE1_clEvEUliiE_EEEEvS5_RKT_EUlibE0_EEviT1_.kd
    .uniform_work_group_size: 1
    .uses_dynamic_stack: false
    .vgpr_count:     18
    .vgpr_spill_count: 0
    .wavefront_size: 64
  - .args:
      - .offset:         0
        .size:           4
        .value_kind:     by_value
      - .offset:         4
        .size:           8
        .value_kind:     by_value
      - .offset:         16
        .size:           16
        .value_kind:     by_value
    .group_segment_fixed_size: 0
    .kernarg_segment_align: 8
    .kernarg_segment_size: 32
    .language:       OpenCL C
    .language_version:
      - 2
      - 0
    .max_flat_workgroup_size: 256
    .name:           _ZN2at6native29vectorized_elementwise_kernelILi16ENS0_13BUnaryFunctorIiiiZZZNS0_18lshift_kernel_cudaERNS_18TensorIteratorBaseEENKUlvE_clEvENKUlvE1_clEvEUliiE_EESt5arrayIPcLm2EEEEviT0_T1_
    .private_segment_fixed_size: 0
    .sgpr_count:     20
    .sgpr_spill_count: 0
    .symbol:         _ZN2at6native29vectorized_elementwise_kernelILi16ENS0_13BUnaryFunctorIiiiZZZNS0_18lshift_kernel_cudaERNS_18TensorIteratorBaseEENKUlvE_clEvENKUlvE1_clEvEUliiE_EESt5arrayIPcLm2EEEEviT0_T1_.kd
    .uniform_work_group_size: 1
    .uses_dynamic_stack: false
    .vgpr_count:     9
    .vgpr_spill_count: 0
    .wavefront_size: 64
  - .args:
      - .offset:         0
        .size:           4
        .value_kind:     by_value
      - .offset:         4
        .size:           8
        .value_kind:     by_value
      - .offset:         16
        .size:           16
        .value_kind:     by_value
    .group_segment_fixed_size: 0
    .kernarg_segment_align: 8
    .kernarg_segment_size: 32
    .language:       OpenCL C
    .language_version:
      - 2
      - 0
    .max_flat_workgroup_size: 256
    .name:           _ZN2at6native29vectorized_elementwise_kernelILi8ENS0_13BUnaryFunctorIiiiZZZNS0_18lshift_kernel_cudaERNS_18TensorIteratorBaseEENKUlvE_clEvENKUlvE1_clEvEUliiE_EESt5arrayIPcLm2EEEEviT0_T1_
    .private_segment_fixed_size: 0
    .sgpr_count:     20
    .sgpr_spill_count: 0
    .symbol:         _ZN2at6native29vectorized_elementwise_kernelILi8ENS0_13BUnaryFunctorIiiiZZZNS0_18lshift_kernel_cudaERNS_18TensorIteratorBaseEENKUlvE_clEvENKUlvE1_clEvEUliiE_EESt5arrayIPcLm2EEEEviT0_T1_.kd
    .uniform_work_group_size: 1
    .uses_dynamic_stack: false
    .vgpr_count:     9
    .vgpr_spill_count: 0
    .wavefront_size: 64
  - .args:
      - .offset:         0
        .size:           4
        .value_kind:     by_value
      - .offset:         4
        .size:           8
        .value_kind:     by_value
      - .offset:         16
        .size:           16
        .value_kind:     by_value
    .group_segment_fixed_size: 0
    .kernarg_segment_align: 8
    .kernarg_segment_size: 32
    .language:       OpenCL C
    .language_version:
      - 2
      - 0
    .max_flat_workgroup_size: 256
    .name:           _ZN2at6native29vectorized_elementwise_kernelILi4ENS0_13BUnaryFunctorIiiiZZZNS0_18lshift_kernel_cudaERNS_18TensorIteratorBaseEENKUlvE_clEvENKUlvE1_clEvEUliiE_EESt5arrayIPcLm2EEEEviT0_T1_
    .private_segment_fixed_size: 0
    .sgpr_count:     20
    .sgpr_spill_count: 0
    .symbol:         _ZN2at6native29vectorized_elementwise_kernelILi4ENS0_13BUnaryFunctorIiiiZZZNS0_18lshift_kernel_cudaERNS_18TensorIteratorBaseEENKUlvE_clEvENKUlvE1_clEvEUliiE_EESt5arrayIPcLm2EEEEviT0_T1_.kd
    .uniform_work_group_size: 1
    .uses_dynamic_stack: false
    .vgpr_count:     9
    .vgpr_spill_count: 0
    .wavefront_size: 64
  - .args:
      - .offset:         0
        .size:           4
        .value_kind:     by_value
      - .offset:         4
        .size:           8
        .value_kind:     by_value
      - .offset:         16
        .size:           16
        .value_kind:     by_value
    .group_segment_fixed_size: 0
    .kernarg_segment_align: 8
    .kernarg_segment_size: 32
    .language:       OpenCL C
    .language_version:
      - 2
      - 0
    .max_flat_workgroup_size: 256
    .name:           _ZN2at6native29vectorized_elementwise_kernelILi2ENS0_13BUnaryFunctorIiiiZZZNS0_18lshift_kernel_cudaERNS_18TensorIteratorBaseEENKUlvE_clEvENKUlvE1_clEvEUliiE_EESt5arrayIPcLm2EEEEviT0_T1_
    .private_segment_fixed_size: 0
    .sgpr_count:     20
    .sgpr_spill_count: 0
    .symbol:         _ZN2at6native29vectorized_elementwise_kernelILi2ENS0_13BUnaryFunctorIiiiZZZNS0_18lshift_kernel_cudaERNS_18TensorIteratorBaseEENKUlvE_clEvENKUlvE1_clEvEUliiE_EESt5arrayIPcLm2EEEEviT0_T1_.kd
    .uniform_work_group_size: 1
    .uses_dynamic_stack: false
    .vgpr_count:     9
    .vgpr_spill_count: 0
    .wavefront_size: 64
  - .args:
      - .offset:         0
        .size:           4
        .value_kind:     by_value
      - .offset:         4
        .size:           8
        .value_kind:     by_value
      - .offset:         16
        .size:           16
        .value_kind:     by_value
      - .offset:         32
        .size:           1
        .value_kind:     by_value
      - .offset:         33
        .size:           1
        .value_kind:     by_value
      - .offset:         34
        .size:           1
        .value_kind:     by_value
      - .offset:         35
        .size:           1
        .value_kind:     by_value
    .group_segment_fixed_size: 0
    .kernarg_segment_align: 8
    .kernarg_segment_size: 36
    .language:       OpenCL C
    .language_version:
      - 2
      - 0
    .max_flat_workgroup_size: 256
    .name:           _ZN2at6native27unrolled_elementwise_kernelINS0_13BUnaryFunctorIiiiZZZNS0_18lshift_kernel_cudaERNS_18TensorIteratorBaseEENKUlvE_clEvENKUlvE1_clEvEUliiE_EESt5arrayIPcLm2EELi4E23TrivialOffsetCalculatorILi1EjESD_NS0_6memory15LoadWithoutCastENSE_16StoreWithoutCastEEEviT_T0_T2_T3_T4_T5_
    .private_segment_fixed_size: 0
    .sgpr_count:     21
    .sgpr_spill_count: 0
    .symbol:         _ZN2at6native27unrolled_elementwise_kernelINS0_13BUnaryFunctorIiiiZZZNS0_18lshift_kernel_cudaERNS_18TensorIteratorBaseEENKUlvE_clEvENKUlvE1_clEvEUliiE_EESt5arrayIPcLm2EELi4E23TrivialOffsetCalculatorILi1EjESD_NS0_6memory15LoadWithoutCastENSE_16StoreWithoutCastEEEviT_T0_T2_T3_T4_T5_.kd
    .uniform_work_group_size: 1
    .uses_dynamic_stack: false
    .vgpr_count:     9
    .vgpr_spill_count: 0
    .wavefront_size: 64
  - .args:
      - .offset:         0
        .size:           4
        .value_kind:     by_value
      - .offset:         8
        .size:           352
        .value_kind:     by_value
    .group_segment_fixed_size: 0
    .kernarg_segment_align: 8
    .kernarg_segment_size: 360
    .language:       OpenCL C
    .language_version:
      - 2
      - 0
    .max_flat_workgroup_size: 128
    .name:           _ZN2at6native32elementwise_kernel_manual_unrollILi128ELi4EZNS0_22gpu_kernel_impl_nocastINS0_13BUnaryFunctorIiiiZZZNS0_18lshift_kernel_cudaERNS_18TensorIteratorBaseEENKUlvE_clEvENKUlvE1_clEvEUliiE_EEEEvS5_RKT_EUlibE_EEviT1_
    .private_segment_fixed_size: 0
    .sgpr_count:     67
    .sgpr_spill_count: 0
    .symbol:         _ZN2at6native32elementwise_kernel_manual_unrollILi128ELi4EZNS0_22gpu_kernel_impl_nocastINS0_13BUnaryFunctorIiiiZZZNS0_18lshift_kernel_cudaERNS_18TensorIteratorBaseEENKUlvE_clEvENKUlvE1_clEvEUliiE_EEEEvS5_RKT_EUlibE_EEviT1_.kd
    .uniform_work_group_size: 1
    .uses_dynamic_stack: false
    .vgpr_count:     18
    .vgpr_spill_count: 0
    .wavefront_size: 64
  - .args:
      - .offset:         0
        .size:           4
        .value_kind:     by_value
      - .offset:         8
        .size:           40
        .value_kind:     by_value
    .group_segment_fixed_size: 0
    .kernarg_segment_align: 8
    .kernarg_segment_size: 48
    .language:       OpenCL C
    .language_version:
      - 2
      - 0
    .max_flat_workgroup_size: 128
    .name:           _ZN2at6native32elementwise_kernel_manual_unrollILi128ELi4EZNS0_15gpu_kernel_implINS0_13BUnaryFunctorIiiiZZZNS0_18lshift_kernel_cudaERNS_18TensorIteratorBaseEENKUlvE_clEvENKUlvE1_clEvEUliiE_EEEEvS5_RKT_EUlibE_EEviT1_
    .private_segment_fixed_size: 0
    .sgpr_count:     52
    .sgpr_spill_count: 0
    .symbol:         _ZN2at6native32elementwise_kernel_manual_unrollILi128ELi4EZNS0_15gpu_kernel_implINS0_13BUnaryFunctorIiiiZZZNS0_18lshift_kernel_cudaERNS_18TensorIteratorBaseEENKUlvE_clEvENKUlvE1_clEvEUliiE_EEEEvS5_RKT_EUlibE_EEviT1_.kd
    .uniform_work_group_size: 1
    .uses_dynamic_stack: false
    .vgpr_count:     12
    .vgpr_spill_count: 0
    .wavefront_size: 64
  - .args:
      - .offset:         0
        .size:           4
        .value_kind:     by_value
      - .offset:         8
        .size:           360
        .value_kind:     by_value
    .group_segment_fixed_size: 0
    .kernarg_segment_align: 8
    .kernarg_segment_size: 368
    .language:       OpenCL C
    .language_version:
      - 2
      - 0
    .max_flat_workgroup_size: 128
    .name:           _ZN2at6native32elementwise_kernel_manual_unrollILi128ELi4EZNS0_15gpu_kernel_implINS0_13BUnaryFunctorIiiiZZZNS0_18lshift_kernel_cudaERNS_18TensorIteratorBaseEENKUlvE_clEvENKUlvE1_clEvEUliiE_EEEEvS5_RKT_EUlibE0_EEviT1_
    .private_segment_fixed_size: 0
    .sgpr_count:     85
    .sgpr_spill_count: 0
    .symbol:         _ZN2at6native32elementwise_kernel_manual_unrollILi128ELi4EZNS0_15gpu_kernel_implINS0_13BUnaryFunctorIiiiZZZNS0_18lshift_kernel_cudaERNS_18TensorIteratorBaseEENKUlvE_clEvENKUlvE1_clEvEUliiE_EEEEvS5_RKT_EUlibE0_EEviT1_.kd
    .uniform_work_group_size: 1
    .uses_dynamic_stack: false
    .vgpr_count:     18
    .vgpr_spill_count: 0
    .wavefront_size: 64
  - .args:
      - .offset:         0
        .size:           4
        .value_kind:     by_value
      - .offset:         4
        .size:           1
        .value_kind:     by_value
      - .offset:         8
        .size:           24
        .value_kind:     by_value
    .group_segment_fixed_size: 0
    .kernarg_segment_align: 8
    .kernarg_segment_size: 32
    .language:       OpenCL C
    .language_version:
      - 2
      - 0
    .max_flat_workgroup_size: 256
    .name:           _ZN2at6native29vectorized_elementwise_kernelILi16ENS0_13BinaryFunctorIiiiZZZNS0_18lshift_kernel_cudaERNS_18TensorIteratorBaseEENKUlvE_clEvENKUlvE1_clEvEUliiE_EESt5arrayIPcLm3EEEEviT0_T1_
    .private_segment_fixed_size: 0
    .sgpr_count:     19
    .sgpr_spill_count: 0
    .symbol:         _ZN2at6native29vectorized_elementwise_kernelILi16ENS0_13BinaryFunctorIiiiZZZNS0_18lshift_kernel_cudaERNS_18TensorIteratorBaseEENKUlvE_clEvENKUlvE1_clEvEUliiE_EESt5arrayIPcLm3EEEEviT0_T1_.kd
    .uniform_work_group_size: 1
    .uses_dynamic_stack: false
    .vgpr_count:     15
    .vgpr_spill_count: 0
    .wavefront_size: 64
  - .args:
      - .offset:         0
        .size:           4
        .value_kind:     by_value
      - .offset:         4
        .size:           1
        .value_kind:     by_value
      - .offset:         8
        .size:           24
        .value_kind:     by_value
    .group_segment_fixed_size: 0
    .kernarg_segment_align: 8
    .kernarg_segment_size: 32
    .language:       OpenCL C
    .language_version:
      - 2
      - 0
    .max_flat_workgroup_size: 256
    .name:           _ZN2at6native29vectorized_elementwise_kernelILi8ENS0_13BinaryFunctorIiiiZZZNS0_18lshift_kernel_cudaERNS_18TensorIteratorBaseEENKUlvE_clEvENKUlvE1_clEvEUliiE_EESt5arrayIPcLm3EEEEviT0_T1_
    .private_segment_fixed_size: 0
    .sgpr_count:     19
    .sgpr_spill_count: 0
    .symbol:         _ZN2at6native29vectorized_elementwise_kernelILi8ENS0_13BinaryFunctorIiiiZZZNS0_18lshift_kernel_cudaERNS_18TensorIteratorBaseEENKUlvE_clEvENKUlvE1_clEvEUliiE_EESt5arrayIPcLm3EEEEviT0_T1_.kd
    .uniform_work_group_size: 1
    .uses_dynamic_stack: false
    .vgpr_count:     15
    .vgpr_spill_count: 0
    .wavefront_size: 64
  - .args:
      - .offset:         0
        .size:           4
        .value_kind:     by_value
      - .offset:         4
        .size:           1
        .value_kind:     by_value
      - .offset:         8
        .size:           24
        .value_kind:     by_value
    .group_segment_fixed_size: 0
    .kernarg_segment_align: 8
    .kernarg_segment_size: 32
    .language:       OpenCL C
    .language_version:
      - 2
      - 0
    .max_flat_workgroup_size: 256
    .name:           _ZN2at6native29vectorized_elementwise_kernelILi4ENS0_13BinaryFunctorIiiiZZZNS0_18lshift_kernel_cudaERNS_18TensorIteratorBaseEENKUlvE_clEvENKUlvE1_clEvEUliiE_EESt5arrayIPcLm3EEEEviT0_T1_
    .private_segment_fixed_size: 0
    .sgpr_count:     19
    .sgpr_spill_count: 0
    .symbol:         _ZN2at6native29vectorized_elementwise_kernelILi4ENS0_13BinaryFunctorIiiiZZZNS0_18lshift_kernel_cudaERNS_18TensorIteratorBaseEENKUlvE_clEvENKUlvE1_clEvEUliiE_EESt5arrayIPcLm3EEEEviT0_T1_.kd
    .uniform_work_group_size: 1
    .uses_dynamic_stack: false
    .vgpr_count:     15
    .vgpr_spill_count: 0
    .wavefront_size: 64
  - .args:
      - .offset:         0
        .size:           4
        .value_kind:     by_value
      - .offset:         4
        .size:           1
        .value_kind:     by_value
      - .offset:         8
        .size:           24
        .value_kind:     by_value
    .group_segment_fixed_size: 0
    .kernarg_segment_align: 8
    .kernarg_segment_size: 32
    .language:       OpenCL C
    .language_version:
      - 2
      - 0
    .max_flat_workgroup_size: 256
    .name:           _ZN2at6native29vectorized_elementwise_kernelILi2ENS0_13BinaryFunctorIiiiZZZNS0_18lshift_kernel_cudaERNS_18TensorIteratorBaseEENKUlvE_clEvENKUlvE1_clEvEUliiE_EESt5arrayIPcLm3EEEEviT0_T1_
    .private_segment_fixed_size: 0
    .sgpr_count:     19
    .sgpr_spill_count: 0
    .symbol:         _ZN2at6native29vectorized_elementwise_kernelILi2ENS0_13BinaryFunctorIiiiZZZNS0_18lshift_kernel_cudaERNS_18TensorIteratorBaseEENKUlvE_clEvENKUlvE1_clEvEUliiE_EESt5arrayIPcLm3EEEEviT0_T1_.kd
    .uniform_work_group_size: 1
    .uses_dynamic_stack: false
    .vgpr_count:     15
    .vgpr_spill_count: 0
    .wavefront_size: 64
  - .args:
      - .offset:         0
        .size:           4
        .value_kind:     by_value
      - .offset:         4
        .size:           1
        .value_kind:     by_value
      - .offset:         8
        .size:           24
        .value_kind:     by_value
      - .offset:         32
        .size:           1
        .value_kind:     by_value
      - .offset:         33
        .size:           1
        .value_kind:     by_value
      - .offset:         34
        .size:           1
        .value_kind:     by_value
      - .offset:         35
        .size:           1
        .value_kind:     by_value
    .group_segment_fixed_size: 0
    .kernarg_segment_align: 8
    .kernarg_segment_size: 36
    .language:       OpenCL C
    .language_version:
      - 2
      - 0
    .max_flat_workgroup_size: 256
    .name:           _ZN2at6native27unrolled_elementwise_kernelINS0_13BinaryFunctorIiiiZZZNS0_18lshift_kernel_cudaERNS_18TensorIteratorBaseEENKUlvE_clEvENKUlvE1_clEvEUliiE_EESt5arrayIPcLm3EELi4E23TrivialOffsetCalculatorILi2EjESC_ILi1EjENS0_6memory15LoadWithoutCastENSF_16StoreWithoutCastEEEviT_T0_T2_T3_T4_T5_
    .private_segment_fixed_size: 0
    .sgpr_count:     22
    .sgpr_spill_count: 0
    .symbol:         _ZN2at6native27unrolled_elementwise_kernelINS0_13BinaryFunctorIiiiZZZNS0_18lshift_kernel_cudaERNS_18TensorIteratorBaseEENKUlvE_clEvENKUlvE1_clEvEUliiE_EESt5arrayIPcLm3EELi4E23TrivialOffsetCalculatorILi2EjESC_ILi1EjENS0_6memory15LoadWithoutCastENSF_16StoreWithoutCastEEEviT_T0_T2_T3_T4_T5_.kd
    .uniform_work_group_size: 1
    .uses_dynamic_stack: false
    .vgpr_count:     16
    .vgpr_spill_count: 0
    .wavefront_size: 64
  - .args:
      - .offset:         0
        .size:           4
        .value_kind:     by_value
      - .offset:         8
        .size:           424
        .value_kind:     by_value
    .group_segment_fixed_size: 0
    .kernarg_segment_align: 8
    .kernarg_segment_size: 432
    .language:       OpenCL C
    .language_version:
      - 2
      - 0
    .max_flat_workgroup_size: 128
    .name:           _ZN2at6native32elementwise_kernel_manual_unrollILi128ELi4EZNS0_22gpu_kernel_impl_nocastINS0_13BinaryFunctorIiiiZZZNS0_18lshift_kernel_cudaERNS_18TensorIteratorBaseEENKUlvE_clEvENKUlvE1_clEvEUliiE_EEEEvS5_RKT_EUlibE_EEviT1_
    .private_segment_fixed_size: 0
    .sgpr_count:     54
    .sgpr_spill_count: 0
    .symbol:         _ZN2at6native32elementwise_kernel_manual_unrollILi128ELi4EZNS0_22gpu_kernel_impl_nocastINS0_13BinaryFunctorIiiiZZZNS0_18lshift_kernel_cudaERNS_18TensorIteratorBaseEENKUlvE_clEvENKUlvE1_clEvEUliiE_EEEEvS5_RKT_EUlibE_EEviT1_.kd
    .uniform_work_group_size: 1
    .uses_dynamic_stack: false
    .vgpr_count:     22
    .vgpr_spill_count: 0
    .wavefront_size: 64
  - .args:
      - .offset:         0
        .size:           4
        .value_kind:     by_value
      - .offset:         8
        .size:           40
        .value_kind:     by_value
    .group_segment_fixed_size: 0
    .kernarg_segment_align: 8
    .kernarg_segment_size: 48
    .language:       OpenCL C
    .language_version:
      - 2
      - 0
    .max_flat_workgroup_size: 128
    .name:           _ZN2at6native32elementwise_kernel_manual_unrollILi128ELi4EZNS0_15gpu_kernel_implINS0_13BinaryFunctorIiiiZZZNS0_18lshift_kernel_cudaERNS_18TensorIteratorBaseEENKUlvE_clEvENKUlvE1_clEvEUliiE_EEEEvS5_RKT_EUlibE_EEviT1_
    .private_segment_fixed_size: 0
    .sgpr_count:     60
    .sgpr_spill_count: 0
    .symbol:         _ZN2at6native32elementwise_kernel_manual_unrollILi128ELi4EZNS0_15gpu_kernel_implINS0_13BinaryFunctorIiiiZZZNS0_18lshift_kernel_cudaERNS_18TensorIteratorBaseEENKUlvE_clEvENKUlvE1_clEvEUliiE_EEEEvS5_RKT_EUlibE_EEviT1_.kd
    .uniform_work_group_size: 1
    .uses_dynamic_stack: false
    .vgpr_count:     16
    .vgpr_spill_count: 0
    .wavefront_size: 64
  - .args:
      - .offset:         0
        .size:           4
        .value_kind:     by_value
      - .offset:         8
        .size:           424
        .value_kind:     by_value
    .group_segment_fixed_size: 0
    .kernarg_segment_align: 8
    .kernarg_segment_size: 432
    .language:       OpenCL C
    .language_version:
      - 2
      - 0
    .max_flat_workgroup_size: 128
    .name:           _ZN2at6native32elementwise_kernel_manual_unrollILi128ELi4EZNS0_15gpu_kernel_implINS0_13BinaryFunctorIiiiZZZNS0_18lshift_kernel_cudaERNS_18TensorIteratorBaseEENKUlvE_clEvENKUlvE1_clEvEUliiE_EEEEvS5_RKT_EUlibE0_EEviT1_
    .private_segment_fixed_size: 0
    .sgpr_count:     84
    .sgpr_spill_count: 0
    .symbol:         _ZN2at6native32elementwise_kernel_manual_unrollILi128ELi4EZNS0_15gpu_kernel_implINS0_13BinaryFunctorIiiiZZZNS0_18lshift_kernel_cudaERNS_18TensorIteratorBaseEENKUlvE_clEvENKUlvE1_clEvEUliiE_EEEEvS5_RKT_EUlibE0_EEviT1_.kd
    .uniform_work_group_size: 1
    .uses_dynamic_stack: false
    .vgpr_count:     24
    .vgpr_spill_count: 0
    .wavefront_size: 64
  - .args:
      - .offset:         0
        .size:           4
        .value_kind:     by_value
      - .offset:         8
        .size:           16
        .value_kind:     by_value
      - .offset:         24
        .size:           16
        .value_kind:     by_value
    .group_segment_fixed_size: 0
    .kernarg_segment_align: 8
    .kernarg_segment_size: 40
    .language:       OpenCL C
    .language_version:
      - 2
      - 0
    .max_flat_workgroup_size: 256
    .name:           _ZN2at6native29vectorized_elementwise_kernelILi16ENS0_13AUnaryFunctorIlllZZZNS0_18lshift_kernel_cudaERNS_18TensorIteratorBaseEENKUlvE_clEvENKUlvE2_clEvEUlllE_EESt5arrayIPcLm2EEEEviT0_T1_
    .private_segment_fixed_size: 0
    .sgpr_count:     17
    .sgpr_spill_count: 0
    .symbol:         _ZN2at6native29vectorized_elementwise_kernelILi16ENS0_13AUnaryFunctorIlllZZZNS0_18lshift_kernel_cudaERNS_18TensorIteratorBaseEENKUlvE_clEvENKUlvE2_clEvEUlllE_EESt5arrayIPcLm2EEEEviT0_T1_.kd
    .uniform_work_group_size: 1
    .uses_dynamic_stack: false
    .vgpr_count:     16
    .vgpr_spill_count: 0
    .wavefront_size: 64
  - .args:
      - .offset:         0
        .size:           4
        .value_kind:     by_value
      - .offset:         8
        .size:           16
        .value_kind:     by_value
      - .offset:         24
        .size:           16
        .value_kind:     by_value
    .group_segment_fixed_size: 0
    .kernarg_segment_align: 8
    .kernarg_segment_size: 40
    .language:       OpenCL C
    .language_version:
      - 2
      - 0
    .max_flat_workgroup_size: 256
    .name:           _ZN2at6native29vectorized_elementwise_kernelILi8ENS0_13AUnaryFunctorIlllZZZNS0_18lshift_kernel_cudaERNS_18TensorIteratorBaseEENKUlvE_clEvENKUlvE2_clEvEUlllE_EESt5arrayIPcLm2EEEEviT0_T1_
    .private_segment_fixed_size: 0
    .sgpr_count:     17
    .sgpr_spill_count: 0
    .symbol:         _ZN2at6native29vectorized_elementwise_kernelILi8ENS0_13AUnaryFunctorIlllZZZNS0_18lshift_kernel_cudaERNS_18TensorIteratorBaseEENKUlvE_clEvENKUlvE2_clEvEUlllE_EESt5arrayIPcLm2EEEEviT0_T1_.kd
    .uniform_work_group_size: 1
    .uses_dynamic_stack: false
    .vgpr_count:     16
    .vgpr_spill_count: 0
    .wavefront_size: 64
  - .args:
      - .offset:         0
        .size:           4
        .value_kind:     by_value
      - .offset:         8
        .size:           16
        .value_kind:     by_value
      - .offset:         24
        .size:           16
        .value_kind:     by_value
    .group_segment_fixed_size: 0
    .kernarg_segment_align: 8
    .kernarg_segment_size: 40
    .language:       OpenCL C
    .language_version:
      - 2
      - 0
    .max_flat_workgroup_size: 256
    .name:           _ZN2at6native29vectorized_elementwise_kernelILi4ENS0_13AUnaryFunctorIlllZZZNS0_18lshift_kernel_cudaERNS_18TensorIteratorBaseEENKUlvE_clEvENKUlvE2_clEvEUlllE_EESt5arrayIPcLm2EEEEviT0_T1_
    .private_segment_fixed_size: 0
    .sgpr_count:     17
    .sgpr_spill_count: 0
    .symbol:         _ZN2at6native29vectorized_elementwise_kernelILi4ENS0_13AUnaryFunctorIlllZZZNS0_18lshift_kernel_cudaERNS_18TensorIteratorBaseEENKUlvE_clEvENKUlvE2_clEvEUlllE_EESt5arrayIPcLm2EEEEviT0_T1_.kd
    .uniform_work_group_size: 1
    .uses_dynamic_stack: false
    .vgpr_count:     16
    .vgpr_spill_count: 0
    .wavefront_size: 64
  - .args:
      - .offset:         0
        .size:           4
        .value_kind:     by_value
      - .offset:         8
        .size:           16
        .value_kind:     by_value
      - .offset:         24
        .size:           16
        .value_kind:     by_value
    .group_segment_fixed_size: 0
    .kernarg_segment_align: 8
    .kernarg_segment_size: 40
    .language:       OpenCL C
    .language_version:
      - 2
      - 0
    .max_flat_workgroup_size: 256
    .name:           _ZN2at6native29vectorized_elementwise_kernelILi2ENS0_13AUnaryFunctorIlllZZZNS0_18lshift_kernel_cudaERNS_18TensorIteratorBaseEENKUlvE_clEvENKUlvE2_clEvEUlllE_EESt5arrayIPcLm2EEEEviT0_T1_
    .private_segment_fixed_size: 0
    .sgpr_count:     17
    .sgpr_spill_count: 0
    .symbol:         _ZN2at6native29vectorized_elementwise_kernelILi2ENS0_13AUnaryFunctorIlllZZZNS0_18lshift_kernel_cudaERNS_18TensorIteratorBaseEENKUlvE_clEvENKUlvE2_clEvEUlllE_EESt5arrayIPcLm2EEEEviT0_T1_.kd
    .uniform_work_group_size: 1
    .uses_dynamic_stack: false
    .vgpr_count:     16
    .vgpr_spill_count: 0
    .wavefront_size: 64
  - .args:
      - .offset:         0
        .size:           4
        .value_kind:     by_value
      - .offset:         8
        .size:           16
        .value_kind:     by_value
      - .offset:         24
        .size:           16
        .value_kind:     by_value
      - .offset:         40
        .size:           1
        .value_kind:     by_value
      - .offset:         41
        .size:           1
        .value_kind:     by_value
      - .offset:         42
        .size:           1
        .value_kind:     by_value
      - .offset:         43
        .size:           1
        .value_kind:     by_value
    .group_segment_fixed_size: 0
    .kernarg_segment_align: 8
    .kernarg_segment_size: 44
    .language:       OpenCL C
    .language_version:
      - 2
      - 0
    .max_flat_workgroup_size: 256
    .name:           _ZN2at6native27unrolled_elementwise_kernelINS0_13AUnaryFunctorIlllZZZNS0_18lshift_kernel_cudaERNS_18TensorIteratorBaseEENKUlvE_clEvENKUlvE2_clEvEUlllE_EESt5arrayIPcLm2EELi4E23TrivialOffsetCalculatorILi1EjESD_NS0_6memory15LoadWithoutCastENSE_16StoreWithoutCastEEEviT_T0_T2_T3_T4_T5_
    .private_segment_fixed_size: 0
    .sgpr_count:     18
    .sgpr_spill_count: 0
    .symbol:         _ZN2at6native27unrolled_elementwise_kernelINS0_13AUnaryFunctorIlllZZZNS0_18lshift_kernel_cudaERNS_18TensorIteratorBaseEENKUlvE_clEvENKUlvE2_clEvEUlllE_EESt5arrayIPcLm2EELi4E23TrivialOffsetCalculatorILi1EjESD_NS0_6memory15LoadWithoutCastENSE_16StoreWithoutCastEEEviT_T0_T2_T3_T4_T5_.kd
    .uniform_work_group_size: 1
    .uses_dynamic_stack: false
    .vgpr_count:     16
    .vgpr_spill_count: 0
    .wavefront_size: 64
  - .args:
      - .offset:         0
        .size:           4
        .value_kind:     by_value
      - .offset:         8
        .size:           360
        .value_kind:     by_value
    .group_segment_fixed_size: 0
    .kernarg_segment_align: 8
    .kernarg_segment_size: 368
    .language:       OpenCL C
    .language_version:
      - 2
      - 0
    .max_flat_workgroup_size: 128
    .name:           _ZN2at6native32elementwise_kernel_manual_unrollILi128ELi4EZNS0_22gpu_kernel_impl_nocastINS0_13AUnaryFunctorIlllZZZNS0_18lshift_kernel_cudaERNS_18TensorIteratorBaseEENKUlvE_clEvENKUlvE2_clEvEUlllE_EEEEvS5_RKT_EUlibE_EEviT1_
    .private_segment_fixed_size: 0
    .sgpr_count:     66
    .sgpr_spill_count: 0
    .symbol:         _ZN2at6native32elementwise_kernel_manual_unrollILi128ELi4EZNS0_22gpu_kernel_impl_nocastINS0_13AUnaryFunctorIlllZZZNS0_18lshift_kernel_cudaERNS_18TensorIteratorBaseEENKUlvE_clEvENKUlvE2_clEvEUlllE_EEEEvS5_RKT_EUlibE_EEviT1_.kd
    .uniform_work_group_size: 1
    .uses_dynamic_stack: false
    .vgpr_count:     20
    .vgpr_spill_count: 0
    .wavefront_size: 64
  - .args:
      - .offset:         0
        .size:           4
        .value_kind:     by_value
      - .offset:         8
        .size:           48
        .value_kind:     by_value
    .group_segment_fixed_size: 0
    .kernarg_segment_align: 8
    .kernarg_segment_size: 56
    .language:       OpenCL C
    .language_version:
      - 2
      - 0
    .max_flat_workgroup_size: 128
    .name:           _ZN2at6native32elementwise_kernel_manual_unrollILi128ELi4EZNS0_15gpu_kernel_implINS0_13AUnaryFunctorIlllZZZNS0_18lshift_kernel_cudaERNS_18TensorIteratorBaseEENKUlvE_clEvENKUlvE2_clEvEUlllE_EEEEvS5_RKT_EUlibE_EEviT1_
    .private_segment_fixed_size: 0
    .sgpr_count:     52
    .sgpr_spill_count: 0
    .symbol:         _ZN2at6native32elementwise_kernel_manual_unrollILi128ELi4EZNS0_15gpu_kernel_implINS0_13AUnaryFunctorIlllZZZNS0_18lshift_kernel_cudaERNS_18TensorIteratorBaseEENKUlvE_clEvENKUlvE2_clEvEUlllE_EEEEvS5_RKT_EUlibE_EEviT1_.kd
    .uniform_work_group_size: 1
    .uses_dynamic_stack: false
    .vgpr_count:     15
    .vgpr_spill_count: 0
    .wavefront_size: 64
  - .args:
      - .offset:         0
        .size:           4
        .value_kind:     by_value
      - .offset:         8
        .size:           368
        .value_kind:     by_value
    .group_segment_fixed_size: 0
    .kernarg_segment_align: 8
    .kernarg_segment_size: 376
    .language:       OpenCL C
    .language_version:
      - 2
      - 0
    .max_flat_workgroup_size: 128
    .name:           _ZN2at6native32elementwise_kernel_manual_unrollILi128ELi4EZNS0_15gpu_kernel_implINS0_13AUnaryFunctorIlllZZZNS0_18lshift_kernel_cudaERNS_18TensorIteratorBaseEENKUlvE_clEvENKUlvE2_clEvEUlllE_EEEEvS5_RKT_EUlibE0_EEviT1_
    .private_segment_fixed_size: 0
    .sgpr_count:     84
    .sgpr_spill_count: 0
    .symbol:         _ZN2at6native32elementwise_kernel_manual_unrollILi128ELi4EZNS0_15gpu_kernel_implINS0_13AUnaryFunctorIlllZZZNS0_18lshift_kernel_cudaERNS_18TensorIteratorBaseEENKUlvE_clEvENKUlvE2_clEvEUlllE_EEEEvS5_RKT_EUlibE0_EEviT1_.kd
    .uniform_work_group_size: 1
    .uses_dynamic_stack: false
    .vgpr_count:     21
    .vgpr_spill_count: 0
    .wavefront_size: 64
  - .args:
      - .offset:         0
        .size:           4
        .value_kind:     by_value
      - .offset:         8
        .size:           16
        .value_kind:     by_value
      - .offset:         24
        .size:           16
        .value_kind:     by_value
    .group_segment_fixed_size: 0
    .kernarg_segment_align: 8
    .kernarg_segment_size: 40
    .language:       OpenCL C
    .language_version:
      - 2
      - 0
    .max_flat_workgroup_size: 256
    .name:           _ZN2at6native29vectorized_elementwise_kernelILi16ENS0_13BUnaryFunctorIlllZZZNS0_18lshift_kernel_cudaERNS_18TensorIteratorBaseEENKUlvE_clEvENKUlvE2_clEvEUlllE_EESt5arrayIPcLm2EEEEviT0_T1_
    .private_segment_fixed_size: 0
    .sgpr_count:     20
    .sgpr_spill_count: 0
    .symbol:         _ZN2at6native29vectorized_elementwise_kernelILi16ENS0_13BUnaryFunctorIlllZZZNS0_18lshift_kernel_cudaERNS_18TensorIteratorBaseEENKUlvE_clEvENKUlvE2_clEvEUlllE_EESt5arrayIPcLm2EEEEviT0_T1_.kd
    .uniform_work_group_size: 1
    .uses_dynamic_stack: false
    .vgpr_count:     16
    .vgpr_spill_count: 0
    .wavefront_size: 64
  - .args:
      - .offset:         0
        .size:           4
        .value_kind:     by_value
      - .offset:         8
        .size:           16
        .value_kind:     by_value
      - .offset:         24
        .size:           16
        .value_kind:     by_value
    .group_segment_fixed_size: 0
    .kernarg_segment_align: 8
    .kernarg_segment_size: 40
    .language:       OpenCL C
    .language_version:
      - 2
      - 0
    .max_flat_workgroup_size: 256
    .name:           _ZN2at6native29vectorized_elementwise_kernelILi8ENS0_13BUnaryFunctorIlllZZZNS0_18lshift_kernel_cudaERNS_18TensorIteratorBaseEENKUlvE_clEvENKUlvE2_clEvEUlllE_EESt5arrayIPcLm2EEEEviT0_T1_
    .private_segment_fixed_size: 0
    .sgpr_count:     20
    .sgpr_spill_count: 0
    .symbol:         _ZN2at6native29vectorized_elementwise_kernelILi8ENS0_13BUnaryFunctorIlllZZZNS0_18lshift_kernel_cudaERNS_18TensorIteratorBaseEENKUlvE_clEvENKUlvE2_clEvEUlllE_EESt5arrayIPcLm2EEEEviT0_T1_.kd
    .uniform_work_group_size: 1
    .uses_dynamic_stack: false
    .vgpr_count:     16
    .vgpr_spill_count: 0
    .wavefront_size: 64
  - .args:
      - .offset:         0
        .size:           4
        .value_kind:     by_value
      - .offset:         8
        .size:           16
        .value_kind:     by_value
      - .offset:         24
        .size:           16
        .value_kind:     by_value
    .group_segment_fixed_size: 0
    .kernarg_segment_align: 8
    .kernarg_segment_size: 40
    .language:       OpenCL C
    .language_version:
      - 2
      - 0
    .max_flat_workgroup_size: 256
    .name:           _ZN2at6native29vectorized_elementwise_kernelILi4ENS0_13BUnaryFunctorIlllZZZNS0_18lshift_kernel_cudaERNS_18TensorIteratorBaseEENKUlvE_clEvENKUlvE2_clEvEUlllE_EESt5arrayIPcLm2EEEEviT0_T1_
    .private_segment_fixed_size: 0
    .sgpr_count:     20
    .sgpr_spill_count: 0
    .symbol:         _ZN2at6native29vectorized_elementwise_kernelILi4ENS0_13BUnaryFunctorIlllZZZNS0_18lshift_kernel_cudaERNS_18TensorIteratorBaseEENKUlvE_clEvENKUlvE2_clEvEUlllE_EESt5arrayIPcLm2EEEEviT0_T1_.kd
    .uniform_work_group_size: 1
    .uses_dynamic_stack: false
    .vgpr_count:     16
    .vgpr_spill_count: 0
    .wavefront_size: 64
  - .args:
      - .offset:         0
        .size:           4
        .value_kind:     by_value
      - .offset:         8
        .size:           16
        .value_kind:     by_value
      - .offset:         24
        .size:           16
        .value_kind:     by_value
    .group_segment_fixed_size: 0
    .kernarg_segment_align: 8
    .kernarg_segment_size: 40
    .language:       OpenCL C
    .language_version:
      - 2
      - 0
    .max_flat_workgroup_size: 256
    .name:           _ZN2at6native29vectorized_elementwise_kernelILi2ENS0_13BUnaryFunctorIlllZZZNS0_18lshift_kernel_cudaERNS_18TensorIteratorBaseEENKUlvE_clEvENKUlvE2_clEvEUlllE_EESt5arrayIPcLm2EEEEviT0_T1_
    .private_segment_fixed_size: 0
    .sgpr_count:     20
    .sgpr_spill_count: 0
    .symbol:         _ZN2at6native29vectorized_elementwise_kernelILi2ENS0_13BUnaryFunctorIlllZZZNS0_18lshift_kernel_cudaERNS_18TensorIteratorBaseEENKUlvE_clEvENKUlvE2_clEvEUlllE_EESt5arrayIPcLm2EEEEviT0_T1_.kd
    .uniform_work_group_size: 1
    .uses_dynamic_stack: false
    .vgpr_count:     16
    .vgpr_spill_count: 0
    .wavefront_size: 64
  - .args:
      - .offset:         0
        .size:           4
        .value_kind:     by_value
      - .offset:         8
        .size:           16
        .value_kind:     by_value
      - .offset:         24
        .size:           16
        .value_kind:     by_value
      - .offset:         40
        .size:           1
        .value_kind:     by_value
      - .offset:         41
        .size:           1
        .value_kind:     by_value
      - .offset:         42
        .size:           1
        .value_kind:     by_value
      - .offset:         43
        .size:           1
        .value_kind:     by_value
    .group_segment_fixed_size: 0
    .kernarg_segment_align: 8
    .kernarg_segment_size: 44
    .language:       OpenCL C
    .language_version:
      - 2
      - 0
    .max_flat_workgroup_size: 256
    .name:           _ZN2at6native27unrolled_elementwise_kernelINS0_13BUnaryFunctorIlllZZZNS0_18lshift_kernel_cudaERNS_18TensorIteratorBaseEENKUlvE_clEvENKUlvE2_clEvEUlllE_EESt5arrayIPcLm2EELi4E23TrivialOffsetCalculatorILi1EjESD_NS0_6memory15LoadWithoutCastENSE_16StoreWithoutCastEEEviT_T0_T2_T3_T4_T5_
    .private_segment_fixed_size: 0
    .sgpr_count:     18
    .sgpr_spill_count: 0
    .symbol:         _ZN2at6native27unrolled_elementwise_kernelINS0_13BUnaryFunctorIlllZZZNS0_18lshift_kernel_cudaERNS_18TensorIteratorBaseEENKUlvE_clEvENKUlvE2_clEvEUlllE_EESt5arrayIPcLm2EELi4E23TrivialOffsetCalculatorILi1EjESD_NS0_6memory15LoadWithoutCastENSE_16StoreWithoutCastEEEviT_T0_T2_T3_T4_T5_.kd
    .uniform_work_group_size: 1
    .uses_dynamic_stack: false
    .vgpr_count:     16
    .vgpr_spill_count: 0
    .wavefront_size: 64
  - .args:
      - .offset:         0
        .size:           4
        .value_kind:     by_value
      - .offset:         8
        .size:           360
        .value_kind:     by_value
    .group_segment_fixed_size: 0
    .kernarg_segment_align: 8
    .kernarg_segment_size: 368
    .language:       OpenCL C
    .language_version:
      - 2
      - 0
    .max_flat_workgroup_size: 128
    .name:           _ZN2at6native32elementwise_kernel_manual_unrollILi128ELi4EZNS0_22gpu_kernel_impl_nocastINS0_13BUnaryFunctorIlllZZZNS0_18lshift_kernel_cudaERNS_18TensorIteratorBaseEENKUlvE_clEvENKUlvE2_clEvEUlllE_EEEEvS5_RKT_EUlibE_EEviT1_
    .private_segment_fixed_size: 0
    .sgpr_count:     67
    .sgpr_spill_count: 0
    .symbol:         _ZN2at6native32elementwise_kernel_manual_unrollILi128ELi4EZNS0_22gpu_kernel_impl_nocastINS0_13BUnaryFunctorIlllZZZNS0_18lshift_kernel_cudaERNS_18TensorIteratorBaseEENKUlvE_clEvENKUlvE2_clEvEUlllE_EEEEvS5_RKT_EUlibE_EEviT1_.kd
    .uniform_work_group_size: 1
    .uses_dynamic_stack: false
    .vgpr_count:     20
    .vgpr_spill_count: 0
    .wavefront_size: 64
  - .args:
      - .offset:         0
        .size:           4
        .value_kind:     by_value
      - .offset:         8
        .size:           48
        .value_kind:     by_value
    .group_segment_fixed_size: 0
    .kernarg_segment_align: 8
    .kernarg_segment_size: 56
    .language:       OpenCL C
    .language_version:
      - 2
      - 0
    .max_flat_workgroup_size: 128
    .name:           _ZN2at6native32elementwise_kernel_manual_unrollILi128ELi4EZNS0_15gpu_kernel_implINS0_13BUnaryFunctorIlllZZZNS0_18lshift_kernel_cudaERNS_18TensorIteratorBaseEENKUlvE_clEvENKUlvE2_clEvEUlllE_EEEEvS5_RKT_EUlibE_EEviT1_
    .private_segment_fixed_size: 0
    .sgpr_count:     54
    .sgpr_spill_count: 0
    .symbol:         _ZN2at6native32elementwise_kernel_manual_unrollILi128ELi4EZNS0_15gpu_kernel_implINS0_13BUnaryFunctorIlllZZZNS0_18lshift_kernel_cudaERNS_18TensorIteratorBaseEENKUlvE_clEvENKUlvE2_clEvEUlllE_EEEEvS5_RKT_EUlibE_EEviT1_.kd
    .uniform_work_group_size: 1
    .uses_dynamic_stack: false
    .vgpr_count:     15
    .vgpr_spill_count: 0
    .wavefront_size: 64
  - .args:
      - .offset:         0
        .size:           4
        .value_kind:     by_value
      - .offset:         8
        .size:           368
        .value_kind:     by_value
    .group_segment_fixed_size: 0
    .kernarg_segment_align: 8
    .kernarg_segment_size: 376
    .language:       OpenCL C
    .language_version:
      - 2
      - 0
    .max_flat_workgroup_size: 128
    .name:           _ZN2at6native32elementwise_kernel_manual_unrollILi128ELi4EZNS0_15gpu_kernel_implINS0_13BUnaryFunctorIlllZZZNS0_18lshift_kernel_cudaERNS_18TensorIteratorBaseEENKUlvE_clEvENKUlvE2_clEvEUlllE_EEEEvS5_RKT_EUlibE0_EEviT1_
    .private_segment_fixed_size: 0
    .sgpr_count:     85
    .sgpr_spill_count: 0
    .symbol:         _ZN2at6native32elementwise_kernel_manual_unrollILi128ELi4EZNS0_15gpu_kernel_implINS0_13BUnaryFunctorIlllZZZNS0_18lshift_kernel_cudaERNS_18TensorIteratorBaseEENKUlvE_clEvENKUlvE2_clEvEUlllE_EEEEvS5_RKT_EUlibE0_EEviT1_.kd
    .uniform_work_group_size: 1
    .uses_dynamic_stack: false
    .vgpr_count:     21
    .vgpr_spill_count: 0
    .wavefront_size: 64
  - .args:
      - .offset:         0
        .size:           4
        .value_kind:     by_value
      - .offset:         4
        .size:           1
        .value_kind:     by_value
      - .offset:         8
        .size:           24
        .value_kind:     by_value
    .group_segment_fixed_size: 0
    .kernarg_segment_align: 8
    .kernarg_segment_size: 32
    .language:       OpenCL C
    .language_version:
      - 2
      - 0
    .max_flat_workgroup_size: 256
    .name:           _ZN2at6native29vectorized_elementwise_kernelILi16ENS0_13BinaryFunctorIlllZZZNS0_18lshift_kernel_cudaERNS_18TensorIteratorBaseEENKUlvE_clEvENKUlvE2_clEvEUlllE_EESt5arrayIPcLm3EEEEviT0_T1_
    .private_segment_fixed_size: 0
    .sgpr_count:     20
    .sgpr_spill_count: 0
    .symbol:         _ZN2at6native29vectorized_elementwise_kernelILi16ENS0_13BinaryFunctorIlllZZZNS0_18lshift_kernel_cudaERNS_18TensorIteratorBaseEENKUlvE_clEvENKUlvE2_clEvEUlllE_EESt5arrayIPcLm3EEEEviT0_T1_.kd
    .uniform_work_group_size: 1
    .uses_dynamic_stack: false
    .vgpr_count:     23
    .vgpr_spill_count: 0
    .wavefront_size: 64
  - .args:
      - .offset:         0
        .size:           4
        .value_kind:     by_value
      - .offset:         4
        .size:           1
        .value_kind:     by_value
      - .offset:         8
        .size:           24
        .value_kind:     by_value
    .group_segment_fixed_size: 0
    .kernarg_segment_align: 8
    .kernarg_segment_size: 32
    .language:       OpenCL C
    .language_version:
      - 2
      - 0
    .max_flat_workgroup_size: 256
    .name:           _ZN2at6native29vectorized_elementwise_kernelILi8ENS0_13BinaryFunctorIlllZZZNS0_18lshift_kernel_cudaERNS_18TensorIteratorBaseEENKUlvE_clEvENKUlvE2_clEvEUlllE_EESt5arrayIPcLm3EEEEviT0_T1_
    .private_segment_fixed_size: 0
    .sgpr_count:     20
    .sgpr_spill_count: 0
    .symbol:         _ZN2at6native29vectorized_elementwise_kernelILi8ENS0_13BinaryFunctorIlllZZZNS0_18lshift_kernel_cudaERNS_18TensorIteratorBaseEENKUlvE_clEvENKUlvE2_clEvEUlllE_EESt5arrayIPcLm3EEEEviT0_T1_.kd
    .uniform_work_group_size: 1
    .uses_dynamic_stack: false
    .vgpr_count:     23
    .vgpr_spill_count: 0
    .wavefront_size: 64
  - .args:
      - .offset:         0
        .size:           4
        .value_kind:     by_value
      - .offset:         4
        .size:           1
        .value_kind:     by_value
      - .offset:         8
        .size:           24
        .value_kind:     by_value
    .group_segment_fixed_size: 0
    .kernarg_segment_align: 8
    .kernarg_segment_size: 32
    .language:       OpenCL C
    .language_version:
      - 2
      - 0
    .max_flat_workgroup_size: 256
    .name:           _ZN2at6native29vectorized_elementwise_kernelILi4ENS0_13BinaryFunctorIlllZZZNS0_18lshift_kernel_cudaERNS_18TensorIteratorBaseEENKUlvE_clEvENKUlvE2_clEvEUlllE_EESt5arrayIPcLm3EEEEviT0_T1_
    .private_segment_fixed_size: 0
    .sgpr_count:     20
    .sgpr_spill_count: 0
    .symbol:         _ZN2at6native29vectorized_elementwise_kernelILi4ENS0_13BinaryFunctorIlllZZZNS0_18lshift_kernel_cudaERNS_18TensorIteratorBaseEENKUlvE_clEvENKUlvE2_clEvEUlllE_EESt5arrayIPcLm3EEEEviT0_T1_.kd
    .uniform_work_group_size: 1
    .uses_dynamic_stack: false
    .vgpr_count:     23
    .vgpr_spill_count: 0
    .wavefront_size: 64
  - .args:
      - .offset:         0
        .size:           4
        .value_kind:     by_value
      - .offset:         4
        .size:           1
        .value_kind:     by_value
      - .offset:         8
        .size:           24
        .value_kind:     by_value
    .group_segment_fixed_size: 0
    .kernarg_segment_align: 8
    .kernarg_segment_size: 32
    .language:       OpenCL C
    .language_version:
      - 2
      - 0
    .max_flat_workgroup_size: 256
    .name:           _ZN2at6native29vectorized_elementwise_kernelILi2ENS0_13BinaryFunctorIlllZZZNS0_18lshift_kernel_cudaERNS_18TensorIteratorBaseEENKUlvE_clEvENKUlvE2_clEvEUlllE_EESt5arrayIPcLm3EEEEviT0_T1_
    .private_segment_fixed_size: 0
    .sgpr_count:     20
    .sgpr_spill_count: 0
    .symbol:         _ZN2at6native29vectorized_elementwise_kernelILi2ENS0_13BinaryFunctorIlllZZZNS0_18lshift_kernel_cudaERNS_18TensorIteratorBaseEENKUlvE_clEvENKUlvE2_clEvEUlllE_EESt5arrayIPcLm3EEEEviT0_T1_.kd
    .uniform_work_group_size: 1
    .uses_dynamic_stack: false
    .vgpr_count:     23
    .vgpr_spill_count: 0
    .wavefront_size: 64
  - .args:
      - .offset:         0
        .size:           4
        .value_kind:     by_value
      - .offset:         4
        .size:           1
        .value_kind:     by_value
      - .offset:         8
        .size:           24
        .value_kind:     by_value
      - .offset:         32
        .size:           1
        .value_kind:     by_value
      - .offset:         33
        .size:           1
        .value_kind:     by_value
      - .offset:         34
        .size:           1
        .value_kind:     by_value
      - .offset:         35
        .size:           1
        .value_kind:     by_value
    .group_segment_fixed_size: 0
    .kernarg_segment_align: 8
    .kernarg_segment_size: 36
    .language:       OpenCL C
    .language_version:
      - 2
      - 0
    .max_flat_workgroup_size: 256
    .name:           _ZN2at6native27unrolled_elementwise_kernelINS0_13BinaryFunctorIlllZZZNS0_18lshift_kernel_cudaERNS_18TensorIteratorBaseEENKUlvE_clEvENKUlvE2_clEvEUlllE_EESt5arrayIPcLm3EELi4E23TrivialOffsetCalculatorILi2EjESC_ILi1EjENS0_6memory15LoadWithoutCastENSF_16StoreWithoutCastEEEviT_T0_T2_T3_T4_T5_
    .private_segment_fixed_size: 0
    .sgpr_count:     16
    .sgpr_spill_count: 0
    .symbol:         _ZN2at6native27unrolled_elementwise_kernelINS0_13BinaryFunctorIlllZZZNS0_18lshift_kernel_cudaERNS_18TensorIteratorBaseEENKUlvE_clEvENKUlvE2_clEvEUlllE_EESt5arrayIPcLm3EELi4E23TrivialOffsetCalculatorILi2EjESC_ILi1EjENS0_6memory15LoadWithoutCastENSF_16StoreWithoutCastEEEviT_T0_T2_T3_T4_T5_.kd
    .uniform_work_group_size: 1
    .uses_dynamic_stack: false
    .vgpr_count:     23
    .vgpr_spill_count: 0
    .wavefront_size: 64
  - .args:
      - .offset:         0
        .size:           4
        .value_kind:     by_value
      - .offset:         8
        .size:           424
        .value_kind:     by_value
    .group_segment_fixed_size: 0
    .kernarg_segment_align: 8
    .kernarg_segment_size: 432
    .language:       OpenCL C
    .language_version:
      - 2
      - 0
    .max_flat_workgroup_size: 128
    .name:           _ZN2at6native32elementwise_kernel_manual_unrollILi128ELi4EZNS0_22gpu_kernel_impl_nocastINS0_13BinaryFunctorIlllZZZNS0_18lshift_kernel_cudaERNS_18TensorIteratorBaseEENKUlvE_clEvENKUlvE2_clEvEUlllE_EEEEvS5_RKT_EUlibE_EEviT1_
    .private_segment_fixed_size: 0
    .sgpr_count:     54
    .sgpr_spill_count: 0
    .symbol:         _ZN2at6native32elementwise_kernel_manual_unrollILi128ELi4EZNS0_22gpu_kernel_impl_nocastINS0_13BinaryFunctorIlllZZZNS0_18lshift_kernel_cudaERNS_18TensorIteratorBaseEENKUlvE_clEvENKUlvE2_clEvEUlllE_EEEEvS5_RKT_EUlibE_EEviT1_.kd
    .uniform_work_group_size: 1
    .uses_dynamic_stack: false
    .vgpr_count:     24
    .vgpr_spill_count: 0
    .wavefront_size: 64
  - .args:
      - .offset:         0
        .size:           4
        .value_kind:     by_value
      - .offset:         8
        .size:           40
        .value_kind:     by_value
    .group_segment_fixed_size: 0
    .kernarg_segment_align: 8
    .kernarg_segment_size: 48
    .language:       OpenCL C
    .language_version:
      - 2
      - 0
    .max_flat_workgroup_size: 128
    .name:           _ZN2at6native32elementwise_kernel_manual_unrollILi128ELi4EZNS0_15gpu_kernel_implINS0_13BinaryFunctorIlllZZZNS0_18lshift_kernel_cudaERNS_18TensorIteratorBaseEENKUlvE_clEvENKUlvE2_clEvEUlllE_EEEEvS5_RKT_EUlibE_EEviT1_
    .private_segment_fixed_size: 0
    .sgpr_count:     60
    .sgpr_spill_count: 0
    .symbol:         _ZN2at6native32elementwise_kernel_manual_unrollILi128ELi4EZNS0_15gpu_kernel_implINS0_13BinaryFunctorIlllZZZNS0_18lshift_kernel_cudaERNS_18TensorIteratorBaseEENKUlvE_clEvENKUlvE2_clEvEUlllE_EEEEvS5_RKT_EUlibE_EEviT1_.kd
    .uniform_work_group_size: 1
    .uses_dynamic_stack: false
    .vgpr_count:     23
    .vgpr_spill_count: 0
    .wavefront_size: 64
  - .args:
      - .offset:         0
        .size:           4
        .value_kind:     by_value
      - .offset:         8
        .size:           424
        .value_kind:     by_value
    .group_segment_fixed_size: 0
    .kernarg_segment_align: 8
    .kernarg_segment_size: 432
    .language:       OpenCL C
    .language_version:
      - 2
      - 0
    .max_flat_workgroup_size: 128
    .name:           _ZN2at6native32elementwise_kernel_manual_unrollILi128ELi4EZNS0_15gpu_kernel_implINS0_13BinaryFunctorIlllZZZNS0_18lshift_kernel_cudaERNS_18TensorIteratorBaseEENKUlvE_clEvENKUlvE2_clEvEUlllE_EEEEvS5_RKT_EUlibE0_EEviT1_
    .private_segment_fixed_size: 0
    .sgpr_count:     84
    .sgpr_spill_count: 0
    .symbol:         _ZN2at6native32elementwise_kernel_manual_unrollILi128ELi4EZNS0_15gpu_kernel_implINS0_13BinaryFunctorIlllZZZNS0_18lshift_kernel_cudaERNS_18TensorIteratorBaseEENKUlvE_clEvENKUlvE2_clEvEUlllE_EEEEvS5_RKT_EUlibE0_EEviT1_.kd
    .uniform_work_group_size: 1
    .uses_dynamic_stack: false
    .vgpr_count:     31
    .vgpr_spill_count: 0
    .wavefront_size: 64
  - .args:
      - .offset:         0
        .size:           4
        .value_kind:     by_value
      - .offset:         4
        .size:           4
        .value_kind:     by_value
      - .offset:         8
        .size:           16
        .value_kind:     by_value
    .group_segment_fixed_size: 0
    .kernarg_segment_align: 8
    .kernarg_segment_size: 24
    .language:       OpenCL C
    .language_version:
      - 2
      - 0
    .max_flat_workgroup_size: 256
    .name:           _ZN2at6native29vectorized_elementwise_kernelILi16ENS0_13AUnaryFunctorIsssZZZNS0_18lshift_kernel_cudaERNS_18TensorIteratorBaseEENKUlvE_clEvENKUlvE3_clEvEUlssE_EESt5arrayIPcLm2EEEEviT0_T1_
    .private_segment_fixed_size: 0
    .sgpr_count:     16
    .sgpr_spill_count: 0
    .symbol:         _ZN2at6native29vectorized_elementwise_kernelILi16ENS0_13AUnaryFunctorIsssZZZNS0_18lshift_kernel_cudaERNS_18TensorIteratorBaseEENKUlvE_clEvENKUlvE3_clEvEUlssE_EESt5arrayIPcLm2EEEEviT0_T1_.kd
    .uniform_work_group_size: 1
    .uses_dynamic_stack: false
    .vgpr_count:     15
    .vgpr_spill_count: 0
    .wavefront_size: 64
  - .args:
      - .offset:         0
        .size:           4
        .value_kind:     by_value
      - .offset:         4
        .size:           4
        .value_kind:     by_value
      - .offset:         8
        .size:           16
        .value_kind:     by_value
    .group_segment_fixed_size: 0
    .kernarg_segment_align: 8
    .kernarg_segment_size: 24
    .language:       OpenCL C
    .language_version:
      - 2
      - 0
    .max_flat_workgroup_size: 256
    .name:           _ZN2at6native29vectorized_elementwise_kernelILi8ENS0_13AUnaryFunctorIsssZZZNS0_18lshift_kernel_cudaERNS_18TensorIteratorBaseEENKUlvE_clEvENKUlvE3_clEvEUlssE_EESt5arrayIPcLm2EEEEviT0_T1_
    .private_segment_fixed_size: 0
    .sgpr_count:     16
    .sgpr_spill_count: 0
    .symbol:         _ZN2at6native29vectorized_elementwise_kernelILi8ENS0_13AUnaryFunctorIsssZZZNS0_18lshift_kernel_cudaERNS_18TensorIteratorBaseEENKUlvE_clEvENKUlvE3_clEvEUlssE_EESt5arrayIPcLm2EEEEviT0_T1_.kd
    .uniform_work_group_size: 1
    .uses_dynamic_stack: false
    .vgpr_count:     15
    .vgpr_spill_count: 0
    .wavefront_size: 64
  - .args:
      - .offset:         0
        .size:           4
        .value_kind:     by_value
      - .offset:         4
        .size:           4
        .value_kind:     by_value
      - .offset:         8
        .size:           16
        .value_kind:     by_value
    .group_segment_fixed_size: 0
    .kernarg_segment_align: 8
    .kernarg_segment_size: 24
    .language:       OpenCL C
    .language_version:
      - 2
      - 0
    .max_flat_workgroup_size: 256
    .name:           _ZN2at6native29vectorized_elementwise_kernelILi4ENS0_13AUnaryFunctorIsssZZZNS0_18lshift_kernel_cudaERNS_18TensorIteratorBaseEENKUlvE_clEvENKUlvE3_clEvEUlssE_EESt5arrayIPcLm2EEEEviT0_T1_
    .private_segment_fixed_size: 0
    .sgpr_count:     16
    .sgpr_spill_count: 0
    .symbol:         _ZN2at6native29vectorized_elementwise_kernelILi4ENS0_13AUnaryFunctorIsssZZZNS0_18lshift_kernel_cudaERNS_18TensorIteratorBaseEENKUlvE_clEvENKUlvE3_clEvEUlssE_EESt5arrayIPcLm2EEEEviT0_T1_.kd
    .uniform_work_group_size: 1
    .uses_dynamic_stack: false
    .vgpr_count:     18
    .vgpr_spill_count: 0
    .wavefront_size: 64
  - .args:
      - .offset:         0
        .size:           4
        .value_kind:     by_value
      - .offset:         4
        .size:           4
        .value_kind:     by_value
      - .offset:         8
        .size:           16
        .value_kind:     by_value
    .group_segment_fixed_size: 0
    .kernarg_segment_align: 8
    .kernarg_segment_size: 24
    .language:       OpenCL C
    .language_version:
      - 2
      - 0
    .max_flat_workgroup_size: 256
    .name:           _ZN2at6native29vectorized_elementwise_kernelILi2ENS0_13AUnaryFunctorIsssZZZNS0_18lshift_kernel_cudaERNS_18TensorIteratorBaseEENKUlvE_clEvENKUlvE3_clEvEUlssE_EESt5arrayIPcLm2EEEEviT0_T1_
    .private_segment_fixed_size: 0
    .sgpr_count:     16
    .sgpr_spill_count: 0
    .symbol:         _ZN2at6native29vectorized_elementwise_kernelILi2ENS0_13AUnaryFunctorIsssZZZNS0_18lshift_kernel_cudaERNS_18TensorIteratorBaseEENKUlvE_clEvENKUlvE3_clEvEUlssE_EESt5arrayIPcLm2EEEEviT0_T1_.kd
    .uniform_work_group_size: 1
    .uses_dynamic_stack: false
    .vgpr_count:     18
    .vgpr_spill_count: 0
    .wavefront_size: 64
  - .args:
      - .offset:         0
        .size:           4
        .value_kind:     by_value
      - .offset:         4
        .size:           4
        .value_kind:     by_value
      - .offset:         8
        .size:           16
        .value_kind:     by_value
      - .offset:         24
        .size:           1
        .value_kind:     by_value
      - .offset:         25
        .size:           1
        .value_kind:     by_value
      - .offset:         26
        .size:           1
        .value_kind:     by_value
      - .offset:         27
        .size:           1
        .value_kind:     by_value
    .group_segment_fixed_size: 0
    .kernarg_segment_align: 8
    .kernarg_segment_size: 28
    .language:       OpenCL C
    .language_version:
      - 2
      - 0
    .max_flat_workgroup_size: 256
    .name:           _ZN2at6native27unrolled_elementwise_kernelINS0_13AUnaryFunctorIsssZZZNS0_18lshift_kernel_cudaERNS_18TensorIteratorBaseEENKUlvE_clEvENKUlvE3_clEvEUlssE_EESt5arrayIPcLm2EELi4E23TrivialOffsetCalculatorILi1EjESD_NS0_6memory15LoadWithoutCastENSE_16StoreWithoutCastEEEviT_T0_T2_T3_T4_T5_
    .private_segment_fixed_size: 0
    .sgpr_count:     16
    .sgpr_spill_count: 0
    .symbol:         _ZN2at6native27unrolled_elementwise_kernelINS0_13AUnaryFunctorIsssZZZNS0_18lshift_kernel_cudaERNS_18TensorIteratorBaseEENKUlvE_clEvENKUlvE3_clEvEUlssE_EESt5arrayIPcLm2EELi4E23TrivialOffsetCalculatorILi1EjESD_NS0_6memory15LoadWithoutCastENSE_16StoreWithoutCastEEEviT_T0_T2_T3_T4_T5_.kd
    .uniform_work_group_size: 1
    .uses_dynamic_stack: false
    .vgpr_count:     9
    .vgpr_spill_count: 0
    .wavefront_size: 64
  - .args:
      - .offset:         0
        .size:           4
        .value_kind:     by_value
      - .offset:         8
        .size:           352
        .value_kind:     by_value
    .group_segment_fixed_size: 0
    .kernarg_segment_align: 8
    .kernarg_segment_size: 360
    .language:       OpenCL C
    .language_version:
      - 2
      - 0
    .max_flat_workgroup_size: 128
    .name:           _ZN2at6native32elementwise_kernel_manual_unrollILi128ELi8EZNS0_22gpu_kernel_impl_nocastINS0_13AUnaryFunctorIsssZZZNS0_18lshift_kernel_cudaERNS_18TensorIteratorBaseEENKUlvE_clEvENKUlvE3_clEvEUlssE_EEEEvS5_RKT_EUlibE_EEviT1_
    .private_segment_fixed_size: 0
    .sgpr_count:     67
    .sgpr_spill_count: 0
    .symbol:         _ZN2at6native32elementwise_kernel_manual_unrollILi128ELi8EZNS0_22gpu_kernel_impl_nocastINS0_13AUnaryFunctorIsssZZZNS0_18lshift_kernel_cudaERNS_18TensorIteratorBaseEENKUlvE_clEvENKUlvE3_clEvEUlssE_EEEEvS5_RKT_EUlibE_EEviT1_.kd
    .uniform_work_group_size: 1
    .uses_dynamic_stack: false
    .vgpr_count:     26
    .vgpr_spill_count: 0
    .wavefront_size: 64
  - .args:
      - .offset:         0
        .size:           4
        .value_kind:     by_value
      - .offset:         8
        .size:           32
        .value_kind:     by_value
    .group_segment_fixed_size: 0
    .kernarg_segment_align: 8
    .kernarg_segment_size: 40
    .language:       OpenCL C
    .language_version:
      - 2
      - 0
    .max_flat_workgroup_size: 128
    .name:           _ZN2at6native32elementwise_kernel_manual_unrollILi128ELi4EZNS0_15gpu_kernel_implINS0_13AUnaryFunctorIsssZZZNS0_18lshift_kernel_cudaERNS_18TensorIteratorBaseEENKUlvE_clEvENKUlvE3_clEvEUlssE_EEEEvS5_RKT_EUlibE_EEviT1_
    .private_segment_fixed_size: 0
    .sgpr_count:     50
    .sgpr_spill_count: 0
    .symbol:         _ZN2at6native32elementwise_kernel_manual_unrollILi128ELi4EZNS0_15gpu_kernel_implINS0_13AUnaryFunctorIsssZZZNS0_18lshift_kernel_cudaERNS_18TensorIteratorBaseEENKUlvE_clEvENKUlvE3_clEvEUlssE_EEEEvS5_RKT_EUlibE_EEviT1_.kd
    .uniform_work_group_size: 1
    .uses_dynamic_stack: false
    .vgpr_count:     12
    .vgpr_spill_count: 0
    .wavefront_size: 64
  - .args:
      - .offset:         0
        .size:           4
        .value_kind:     by_value
      - .offset:         8
        .size:           352
        .value_kind:     by_value
    .group_segment_fixed_size: 0
    .kernarg_segment_align: 8
    .kernarg_segment_size: 360
    .language:       OpenCL C
    .language_version:
      - 2
      - 0
    .max_flat_workgroup_size: 128
    .name:           _ZN2at6native32elementwise_kernel_manual_unrollILi128ELi4EZNS0_15gpu_kernel_implINS0_13AUnaryFunctorIsssZZZNS0_18lshift_kernel_cudaERNS_18TensorIteratorBaseEENKUlvE_clEvENKUlvE3_clEvEUlssE_EEEEvS5_RKT_EUlibE0_EEviT1_
    .private_segment_fixed_size: 0
    .sgpr_count:     83
    .sgpr_spill_count: 0
    .symbol:         _ZN2at6native32elementwise_kernel_manual_unrollILi128ELi4EZNS0_15gpu_kernel_implINS0_13AUnaryFunctorIsssZZZNS0_18lshift_kernel_cudaERNS_18TensorIteratorBaseEENKUlvE_clEvENKUlvE3_clEvEUlssE_EEEEvS5_RKT_EUlibE0_EEviT1_.kd
    .uniform_work_group_size: 1
    .uses_dynamic_stack: false
    .vgpr_count:     18
    .vgpr_spill_count: 0
    .wavefront_size: 64
  - .args:
      - .offset:         0
        .size:           4
        .value_kind:     by_value
      - .offset:         4
        .size:           4
        .value_kind:     by_value
      - .offset:         8
        .size:           16
        .value_kind:     by_value
    .group_segment_fixed_size: 0
    .kernarg_segment_align: 8
    .kernarg_segment_size: 24
    .language:       OpenCL C
    .language_version:
      - 2
      - 0
    .max_flat_workgroup_size: 256
    .name:           _ZN2at6native29vectorized_elementwise_kernelILi16ENS0_13BUnaryFunctorIsssZZZNS0_18lshift_kernel_cudaERNS_18TensorIteratorBaseEENKUlvE_clEvENKUlvE3_clEvEUlssE_EESt5arrayIPcLm2EEEEviT0_T1_
    .private_segment_fixed_size: 0
    .sgpr_count:     18
    .sgpr_spill_count: 0
    .symbol:         _ZN2at6native29vectorized_elementwise_kernelILi16ENS0_13BUnaryFunctorIsssZZZNS0_18lshift_kernel_cudaERNS_18TensorIteratorBaseEENKUlvE_clEvENKUlvE3_clEvEUlssE_EESt5arrayIPcLm2EEEEviT0_T1_.kd
    .uniform_work_group_size: 1
    .uses_dynamic_stack: false
    .vgpr_count:     13
    .vgpr_spill_count: 0
    .wavefront_size: 64
  - .args:
      - .offset:         0
        .size:           4
        .value_kind:     by_value
      - .offset:         4
        .size:           4
        .value_kind:     by_value
      - .offset:         8
        .size:           16
        .value_kind:     by_value
    .group_segment_fixed_size: 0
    .kernarg_segment_align: 8
    .kernarg_segment_size: 24
    .language:       OpenCL C
    .language_version:
      - 2
      - 0
    .max_flat_workgroup_size: 256
    .name:           _ZN2at6native29vectorized_elementwise_kernelILi8ENS0_13BUnaryFunctorIsssZZZNS0_18lshift_kernel_cudaERNS_18TensorIteratorBaseEENKUlvE_clEvENKUlvE3_clEvEUlssE_EESt5arrayIPcLm2EEEEviT0_T1_
    .private_segment_fixed_size: 0
    .sgpr_count:     18
    .sgpr_spill_count: 0
    .symbol:         _ZN2at6native29vectorized_elementwise_kernelILi8ENS0_13BUnaryFunctorIsssZZZNS0_18lshift_kernel_cudaERNS_18TensorIteratorBaseEENKUlvE_clEvENKUlvE3_clEvEUlssE_EESt5arrayIPcLm2EEEEviT0_T1_.kd
    .uniform_work_group_size: 1
    .uses_dynamic_stack: false
    .vgpr_count:     13
    .vgpr_spill_count: 0
    .wavefront_size: 64
  - .args:
      - .offset:         0
        .size:           4
        .value_kind:     by_value
      - .offset:         4
        .size:           4
        .value_kind:     by_value
      - .offset:         8
        .size:           16
        .value_kind:     by_value
    .group_segment_fixed_size: 0
    .kernarg_segment_align: 8
    .kernarg_segment_size: 24
    .language:       OpenCL C
    .language_version:
      - 2
      - 0
    .max_flat_workgroup_size: 256
    .name:           _ZN2at6native29vectorized_elementwise_kernelILi4ENS0_13BUnaryFunctorIsssZZZNS0_18lshift_kernel_cudaERNS_18TensorIteratorBaseEENKUlvE_clEvENKUlvE3_clEvEUlssE_EESt5arrayIPcLm2EEEEviT0_T1_
    .private_segment_fixed_size: 0
    .sgpr_count:     18
    .sgpr_spill_count: 0
    .symbol:         _ZN2at6native29vectorized_elementwise_kernelILi4ENS0_13BUnaryFunctorIsssZZZNS0_18lshift_kernel_cudaERNS_18TensorIteratorBaseEENKUlvE_clEvENKUlvE3_clEvEUlssE_EESt5arrayIPcLm2EEEEviT0_T1_.kd
    .uniform_work_group_size: 1
    .uses_dynamic_stack: false
    .vgpr_count:     13
    .vgpr_spill_count: 0
    .wavefront_size: 64
  - .args:
      - .offset:         0
        .size:           4
        .value_kind:     by_value
      - .offset:         4
        .size:           4
        .value_kind:     by_value
      - .offset:         8
        .size:           16
        .value_kind:     by_value
    .group_segment_fixed_size: 0
    .kernarg_segment_align: 8
    .kernarg_segment_size: 24
    .language:       OpenCL C
    .language_version:
      - 2
      - 0
    .max_flat_workgroup_size: 256
    .name:           _ZN2at6native29vectorized_elementwise_kernelILi2ENS0_13BUnaryFunctorIsssZZZNS0_18lshift_kernel_cudaERNS_18TensorIteratorBaseEENKUlvE_clEvENKUlvE3_clEvEUlssE_EESt5arrayIPcLm2EEEEviT0_T1_
    .private_segment_fixed_size: 0
    .sgpr_count:     18
    .sgpr_spill_count: 0
    .symbol:         _ZN2at6native29vectorized_elementwise_kernelILi2ENS0_13BUnaryFunctorIsssZZZNS0_18lshift_kernel_cudaERNS_18TensorIteratorBaseEENKUlvE_clEvENKUlvE3_clEvEUlssE_EESt5arrayIPcLm2EEEEviT0_T1_.kd
    .uniform_work_group_size: 1
    .uses_dynamic_stack: false
    .vgpr_count:     13
    .vgpr_spill_count: 0
    .wavefront_size: 64
  - .args:
      - .offset:         0
        .size:           4
        .value_kind:     by_value
      - .offset:         4
        .size:           4
        .value_kind:     by_value
      - .offset:         8
        .size:           16
        .value_kind:     by_value
      - .offset:         24
        .size:           1
        .value_kind:     by_value
      - .offset:         25
        .size:           1
        .value_kind:     by_value
      - .offset:         26
        .size:           1
        .value_kind:     by_value
      - .offset:         27
        .size:           1
        .value_kind:     by_value
    .group_segment_fixed_size: 0
    .kernarg_segment_align: 8
    .kernarg_segment_size: 28
    .language:       OpenCL C
    .language_version:
      - 2
      - 0
    .max_flat_workgroup_size: 256
    .name:           _ZN2at6native27unrolled_elementwise_kernelINS0_13BUnaryFunctorIsssZZZNS0_18lshift_kernel_cudaERNS_18TensorIteratorBaseEENKUlvE_clEvENKUlvE3_clEvEUlssE_EESt5arrayIPcLm2EELi4E23TrivialOffsetCalculatorILi1EjESD_NS0_6memory15LoadWithoutCastENSE_16StoreWithoutCastEEEviT_T0_T2_T3_T4_T5_
    .private_segment_fixed_size: 0
    .sgpr_count:     16
    .sgpr_spill_count: 0
    .symbol:         _ZN2at6native27unrolled_elementwise_kernelINS0_13BUnaryFunctorIsssZZZNS0_18lshift_kernel_cudaERNS_18TensorIteratorBaseEENKUlvE_clEvENKUlvE3_clEvEUlssE_EESt5arrayIPcLm2EELi4E23TrivialOffsetCalculatorILi1EjESD_NS0_6memory15LoadWithoutCastENSE_16StoreWithoutCastEEEviT_T0_T2_T3_T4_T5_.kd
    .uniform_work_group_size: 1
    .uses_dynamic_stack: false
    .vgpr_count:     9
    .vgpr_spill_count: 0
    .wavefront_size: 64
  - .args:
      - .offset:         0
        .size:           4
        .value_kind:     by_value
      - .offset:         8
        .size:           352
        .value_kind:     by_value
    .group_segment_fixed_size: 0
    .kernarg_segment_align: 8
    .kernarg_segment_size: 360
    .language:       OpenCL C
    .language_version:
      - 2
      - 0
    .max_flat_workgroup_size: 128
    .name:           _ZN2at6native32elementwise_kernel_manual_unrollILi128ELi8EZNS0_22gpu_kernel_impl_nocastINS0_13BUnaryFunctorIsssZZZNS0_18lshift_kernel_cudaERNS_18TensorIteratorBaseEENKUlvE_clEvENKUlvE3_clEvEUlssE_EEEEvS5_RKT_EUlibE_EEviT1_
    .private_segment_fixed_size: 0
    .sgpr_count:     69
    .sgpr_spill_count: 0
    .symbol:         _ZN2at6native32elementwise_kernel_manual_unrollILi128ELi8EZNS0_22gpu_kernel_impl_nocastINS0_13BUnaryFunctorIsssZZZNS0_18lshift_kernel_cudaERNS_18TensorIteratorBaseEENKUlvE_clEvENKUlvE3_clEvEUlssE_EEEEvS5_RKT_EUlibE_EEviT1_.kd
    .uniform_work_group_size: 1
    .uses_dynamic_stack: false
    .vgpr_count:     26
    .vgpr_spill_count: 0
    .wavefront_size: 64
  - .args:
      - .offset:         0
        .size:           4
        .value_kind:     by_value
      - .offset:         8
        .size:           32
        .value_kind:     by_value
    .group_segment_fixed_size: 0
    .kernarg_segment_align: 8
    .kernarg_segment_size: 40
    .language:       OpenCL C
    .language_version:
      - 2
      - 0
    .max_flat_workgroup_size: 128
    .name:           _ZN2at6native32elementwise_kernel_manual_unrollILi128ELi4EZNS0_15gpu_kernel_implINS0_13BUnaryFunctorIsssZZZNS0_18lshift_kernel_cudaERNS_18TensorIteratorBaseEENKUlvE_clEvENKUlvE3_clEvEUlssE_EEEEvS5_RKT_EUlibE_EEviT1_
    .private_segment_fixed_size: 0
    .sgpr_count:     54
    .sgpr_spill_count: 0
    .symbol:         _ZN2at6native32elementwise_kernel_manual_unrollILi128ELi4EZNS0_15gpu_kernel_implINS0_13BUnaryFunctorIsssZZZNS0_18lshift_kernel_cudaERNS_18TensorIteratorBaseEENKUlvE_clEvENKUlvE3_clEvEUlssE_EEEEvS5_RKT_EUlibE_EEviT1_.kd
    .uniform_work_group_size: 1
    .uses_dynamic_stack: false
    .vgpr_count:     12
    .vgpr_spill_count: 0
    .wavefront_size: 64
  - .args:
      - .offset:         0
        .size:           4
        .value_kind:     by_value
      - .offset:         8
        .size:           352
        .value_kind:     by_value
    .group_segment_fixed_size: 0
    .kernarg_segment_align: 8
    .kernarg_segment_size: 360
    .language:       OpenCL C
    .language_version:
      - 2
      - 0
    .max_flat_workgroup_size: 128
    .name:           _ZN2at6native32elementwise_kernel_manual_unrollILi128ELi4EZNS0_15gpu_kernel_implINS0_13BUnaryFunctorIsssZZZNS0_18lshift_kernel_cudaERNS_18TensorIteratorBaseEENKUlvE_clEvENKUlvE3_clEvEUlssE_EEEEvS5_RKT_EUlibE0_EEviT1_
    .private_segment_fixed_size: 0
    .sgpr_count:     85
    .sgpr_spill_count: 0
    .symbol:         _ZN2at6native32elementwise_kernel_manual_unrollILi128ELi4EZNS0_15gpu_kernel_implINS0_13BUnaryFunctorIsssZZZNS0_18lshift_kernel_cudaERNS_18TensorIteratorBaseEENKUlvE_clEvENKUlvE3_clEvEUlssE_EEEEvS5_RKT_EUlibE0_EEviT1_.kd
    .uniform_work_group_size: 1
    .uses_dynamic_stack: false
    .vgpr_count:     18
    .vgpr_spill_count: 0
    .wavefront_size: 64
  - .args:
      - .offset:         0
        .size:           4
        .value_kind:     by_value
      - .offset:         4
        .size:           1
        .value_kind:     by_value
      - .offset:         8
        .size:           24
        .value_kind:     by_value
    .group_segment_fixed_size: 0
    .kernarg_segment_align: 8
    .kernarg_segment_size: 32
    .language:       OpenCL C
    .language_version:
      - 2
      - 0
    .max_flat_workgroup_size: 256
    .name:           _ZN2at6native29vectorized_elementwise_kernelILi16ENS0_13BinaryFunctorIsssZZZNS0_18lshift_kernel_cudaERNS_18TensorIteratorBaseEENKUlvE_clEvENKUlvE3_clEvEUlssE_EESt5arrayIPcLm3EEEEviT0_T1_
    .private_segment_fixed_size: 0
    .sgpr_count:     20
    .sgpr_spill_count: 0
    .symbol:         _ZN2at6native29vectorized_elementwise_kernelILi16ENS0_13BinaryFunctorIsssZZZNS0_18lshift_kernel_cudaERNS_18TensorIteratorBaseEENKUlvE_clEvENKUlvE3_clEvEUlssE_EESt5arrayIPcLm3EEEEviT0_T1_.kd
    .uniform_work_group_size: 1
    .uses_dynamic_stack: false
    .vgpr_count:     24
    .vgpr_spill_count: 0
    .wavefront_size: 64
  - .args:
      - .offset:         0
        .size:           4
        .value_kind:     by_value
      - .offset:         4
        .size:           1
        .value_kind:     by_value
      - .offset:         8
        .size:           24
        .value_kind:     by_value
    .group_segment_fixed_size: 0
    .kernarg_segment_align: 8
    .kernarg_segment_size: 32
    .language:       OpenCL C
    .language_version:
      - 2
      - 0
    .max_flat_workgroup_size: 256
    .name:           _ZN2at6native29vectorized_elementwise_kernelILi8ENS0_13BinaryFunctorIsssZZZNS0_18lshift_kernel_cudaERNS_18TensorIteratorBaseEENKUlvE_clEvENKUlvE3_clEvEUlssE_EESt5arrayIPcLm3EEEEviT0_T1_
    .private_segment_fixed_size: 0
    .sgpr_count:     20
    .sgpr_spill_count: 0
    .symbol:         _ZN2at6native29vectorized_elementwise_kernelILi8ENS0_13BinaryFunctorIsssZZZNS0_18lshift_kernel_cudaERNS_18TensorIteratorBaseEENKUlvE_clEvENKUlvE3_clEvEUlssE_EESt5arrayIPcLm3EEEEviT0_T1_.kd
    .uniform_work_group_size: 1
    .uses_dynamic_stack: false
    .vgpr_count:     24
    .vgpr_spill_count: 0
    .wavefront_size: 64
  - .args:
      - .offset:         0
        .size:           4
        .value_kind:     by_value
      - .offset:         4
        .size:           1
        .value_kind:     by_value
      - .offset:         8
        .size:           24
        .value_kind:     by_value
    .group_segment_fixed_size: 0
    .kernarg_segment_align: 8
    .kernarg_segment_size: 32
    .language:       OpenCL C
    .language_version:
      - 2
      - 0
    .max_flat_workgroup_size: 256
    .name:           _ZN2at6native29vectorized_elementwise_kernelILi4ENS0_13BinaryFunctorIsssZZZNS0_18lshift_kernel_cudaERNS_18TensorIteratorBaseEENKUlvE_clEvENKUlvE3_clEvEUlssE_EESt5arrayIPcLm3EEEEviT0_T1_
    .private_segment_fixed_size: 0
    .sgpr_count:     20
    .sgpr_spill_count: 0
    .symbol:         _ZN2at6native29vectorized_elementwise_kernelILi4ENS0_13BinaryFunctorIsssZZZNS0_18lshift_kernel_cudaERNS_18TensorIteratorBaseEENKUlvE_clEvENKUlvE3_clEvEUlssE_EESt5arrayIPcLm3EEEEviT0_T1_.kd
    .uniform_work_group_size: 1
    .uses_dynamic_stack: false
    .vgpr_count:     24
    .vgpr_spill_count: 0
    .wavefront_size: 64
  - .args:
      - .offset:         0
        .size:           4
        .value_kind:     by_value
      - .offset:         4
        .size:           1
        .value_kind:     by_value
      - .offset:         8
        .size:           24
        .value_kind:     by_value
    .group_segment_fixed_size: 0
    .kernarg_segment_align: 8
    .kernarg_segment_size: 32
    .language:       OpenCL C
    .language_version:
      - 2
      - 0
    .max_flat_workgroup_size: 256
    .name:           _ZN2at6native29vectorized_elementwise_kernelILi2ENS0_13BinaryFunctorIsssZZZNS0_18lshift_kernel_cudaERNS_18TensorIteratorBaseEENKUlvE_clEvENKUlvE3_clEvEUlssE_EESt5arrayIPcLm3EEEEviT0_T1_
    .private_segment_fixed_size: 0
    .sgpr_count:     20
    .sgpr_spill_count: 0
    .symbol:         _ZN2at6native29vectorized_elementwise_kernelILi2ENS0_13BinaryFunctorIsssZZZNS0_18lshift_kernel_cudaERNS_18TensorIteratorBaseEENKUlvE_clEvENKUlvE3_clEvEUlssE_EESt5arrayIPcLm3EEEEviT0_T1_.kd
    .uniform_work_group_size: 1
    .uses_dynamic_stack: false
    .vgpr_count:     24
    .vgpr_spill_count: 0
    .wavefront_size: 64
  - .args:
      - .offset:         0
        .size:           4
        .value_kind:     by_value
      - .offset:         4
        .size:           1
        .value_kind:     by_value
      - .offset:         8
        .size:           24
        .value_kind:     by_value
      - .offset:         32
        .size:           1
        .value_kind:     by_value
      - .offset:         33
        .size:           1
        .value_kind:     by_value
      - .offset:         34
        .size:           1
        .value_kind:     by_value
      - .offset:         35
        .size:           1
        .value_kind:     by_value
    .group_segment_fixed_size: 0
    .kernarg_segment_align: 8
    .kernarg_segment_size: 36
    .language:       OpenCL C
    .language_version:
      - 2
      - 0
    .max_flat_workgroup_size: 256
    .name:           _ZN2at6native27unrolled_elementwise_kernelINS0_13BinaryFunctorIsssZZZNS0_18lshift_kernel_cudaERNS_18TensorIteratorBaseEENKUlvE_clEvENKUlvE3_clEvEUlssE_EESt5arrayIPcLm3EELi4E23TrivialOffsetCalculatorILi2EjESC_ILi1EjENS0_6memory15LoadWithoutCastENSF_16StoreWithoutCastEEEviT_T0_T2_T3_T4_T5_
    .private_segment_fixed_size: 0
    .sgpr_count:     16
    .sgpr_spill_count: 0
    .symbol:         _ZN2at6native27unrolled_elementwise_kernelINS0_13BinaryFunctorIsssZZZNS0_18lshift_kernel_cudaERNS_18TensorIteratorBaseEENKUlvE_clEvENKUlvE3_clEvEUlssE_EESt5arrayIPcLm3EELi4E23TrivialOffsetCalculatorILi2EjESC_ILi1EjENS0_6memory15LoadWithoutCastENSF_16StoreWithoutCastEEEviT_T0_T2_T3_T4_T5_.kd
    .uniform_work_group_size: 1
    .uses_dynamic_stack: false
    .vgpr_count:     15
    .vgpr_spill_count: 0
    .wavefront_size: 64
  - .args:
      - .offset:         0
        .size:           4
        .value_kind:     by_value
      - .offset:         8
        .size:           424
        .value_kind:     by_value
    .group_segment_fixed_size: 0
    .kernarg_segment_align: 8
    .kernarg_segment_size: 432
    .language:       OpenCL C
    .language_version:
      - 2
      - 0
    .max_flat_workgroup_size: 128
    .name:           _ZN2at6native32elementwise_kernel_manual_unrollILi128ELi8EZNS0_22gpu_kernel_impl_nocastINS0_13BinaryFunctorIsssZZZNS0_18lshift_kernel_cudaERNS_18TensorIteratorBaseEENKUlvE_clEvENKUlvE3_clEvEUlssE_EEEEvS5_RKT_EUlibE_EEviT1_
    .private_segment_fixed_size: 0
    .sgpr_count:     54
    .sgpr_spill_count: 0
    .symbol:         _ZN2at6native32elementwise_kernel_manual_unrollILi128ELi8EZNS0_22gpu_kernel_impl_nocastINS0_13BinaryFunctorIsssZZZNS0_18lshift_kernel_cudaERNS_18TensorIteratorBaseEENKUlvE_clEvENKUlvE3_clEvEUlssE_EEEEvS5_RKT_EUlibE_EEviT1_.kd
    .uniform_work_group_size: 1
    .uses_dynamic_stack: false
    .vgpr_count:     42
    .vgpr_spill_count: 0
    .wavefront_size: 64
  - .args:
      - .offset:         0
        .size:           4
        .value_kind:     by_value
      - .offset:         8
        .size:           40
        .value_kind:     by_value
    .group_segment_fixed_size: 0
    .kernarg_segment_align: 8
    .kernarg_segment_size: 48
    .language:       OpenCL C
    .language_version:
      - 2
      - 0
    .max_flat_workgroup_size: 128
    .name:           _ZN2at6native32elementwise_kernel_manual_unrollILi128ELi4EZNS0_15gpu_kernel_implINS0_13BinaryFunctorIsssZZZNS0_18lshift_kernel_cudaERNS_18TensorIteratorBaseEENKUlvE_clEvENKUlvE3_clEvEUlssE_EEEEvS5_RKT_EUlibE_EEviT1_
    .private_segment_fixed_size: 0
    .sgpr_count:     60
    .sgpr_spill_count: 0
    .symbol:         _ZN2at6native32elementwise_kernel_manual_unrollILi128ELi4EZNS0_15gpu_kernel_implINS0_13BinaryFunctorIsssZZZNS0_18lshift_kernel_cudaERNS_18TensorIteratorBaseEENKUlvE_clEvENKUlvE3_clEvEUlssE_EEEEvS5_RKT_EUlibE_EEviT1_.kd
    .uniform_work_group_size: 1
    .uses_dynamic_stack: false
    .vgpr_count:     16
    .vgpr_spill_count: 0
    .wavefront_size: 64
  - .args:
      - .offset:         0
        .size:           4
        .value_kind:     by_value
      - .offset:         8
        .size:           424
        .value_kind:     by_value
    .group_segment_fixed_size: 0
    .kernarg_segment_align: 8
    .kernarg_segment_size: 432
    .language:       OpenCL C
    .language_version:
      - 2
      - 0
    .max_flat_workgroup_size: 128
    .name:           _ZN2at6native32elementwise_kernel_manual_unrollILi128ELi4EZNS0_15gpu_kernel_implINS0_13BinaryFunctorIsssZZZNS0_18lshift_kernel_cudaERNS_18TensorIteratorBaseEENKUlvE_clEvENKUlvE3_clEvEUlssE_EEEEvS5_RKT_EUlibE0_EEviT1_
    .private_segment_fixed_size: 0
    .sgpr_count:     84
    .sgpr_spill_count: 0
    .symbol:         _ZN2at6native32elementwise_kernel_manual_unrollILi128ELi4EZNS0_15gpu_kernel_implINS0_13BinaryFunctorIsssZZZNS0_18lshift_kernel_cudaERNS_18TensorIteratorBaseEENKUlvE_clEvENKUlvE3_clEvEUlssE_EEEEvS5_RKT_EUlibE0_EEviT1_.kd
    .uniform_work_group_size: 1
    .uses_dynamic_stack: false
    .vgpr_count:     23
    .vgpr_spill_count: 0
    .wavefront_size: 64
  - .args:
      - .offset:         0
        .size:           4
        .value_kind:     by_value
      - .offset:         4
        .size:           2
        .value_kind:     by_value
      - .offset:         8
        .size:           16
        .value_kind:     by_value
    .group_segment_fixed_size: 0
    .kernarg_segment_align: 8
    .kernarg_segment_size: 24
    .language:       OpenCL C
    .language_version:
      - 2
      - 0
    .max_flat_workgroup_size: 256
    .name:           _ZN2at6native29vectorized_elementwise_kernelILi16ENS0_13AUnaryFunctorIhhhZZZNS0_18rshift_kernel_cudaERNS_18TensorIteratorBaseEENKUlvE_clEvENKUlvE_clEvEUlhhE_EESt5arrayIPcLm2EEEEviT0_T1_
    .private_segment_fixed_size: 0
    .sgpr_count:     64
    .sgpr_spill_count: 0
    .symbol:         _ZN2at6native29vectorized_elementwise_kernelILi16ENS0_13AUnaryFunctorIhhhZZZNS0_18rshift_kernel_cudaERNS_18TensorIteratorBaseEENKUlvE_clEvENKUlvE_clEvEUlhhE_EESt5arrayIPcLm2EEEEviT0_T1_.kd
    .uniform_work_group_size: 1
    .uses_dynamic_stack: false
    .vgpr_count:     22
    .vgpr_spill_count: 0
    .wavefront_size: 64
  - .args:
      - .offset:         0
        .size:           4
        .value_kind:     by_value
      - .offset:         4
        .size:           2
        .value_kind:     by_value
      - .offset:         8
        .size:           16
        .value_kind:     by_value
    .group_segment_fixed_size: 0
    .kernarg_segment_align: 8
    .kernarg_segment_size: 24
    .language:       OpenCL C
    .language_version:
      - 2
      - 0
    .max_flat_workgroup_size: 256
    .name:           _ZN2at6native29vectorized_elementwise_kernelILi8ENS0_13AUnaryFunctorIhhhZZZNS0_18rshift_kernel_cudaERNS_18TensorIteratorBaseEENKUlvE_clEvENKUlvE_clEvEUlhhE_EESt5arrayIPcLm2EEEEviT0_T1_
    .private_segment_fixed_size: 0
    .sgpr_count:     64
    .sgpr_spill_count: 0
    .symbol:         _ZN2at6native29vectorized_elementwise_kernelILi8ENS0_13AUnaryFunctorIhhhZZZNS0_18rshift_kernel_cudaERNS_18TensorIteratorBaseEENKUlvE_clEvENKUlvE_clEvEUlhhE_EESt5arrayIPcLm2EEEEviT0_T1_.kd
    .uniform_work_group_size: 1
    .uses_dynamic_stack: false
    .vgpr_count:     22
    .vgpr_spill_count: 0
    .wavefront_size: 64
  - .args:
      - .offset:         0
        .size:           4
        .value_kind:     by_value
      - .offset:         4
        .size:           2
        .value_kind:     by_value
      - .offset:         8
        .size:           16
        .value_kind:     by_value
    .group_segment_fixed_size: 0
    .kernarg_segment_align: 8
    .kernarg_segment_size: 24
    .language:       OpenCL C
    .language_version:
      - 2
      - 0
    .max_flat_workgroup_size: 256
    .name:           _ZN2at6native29vectorized_elementwise_kernelILi4ENS0_13AUnaryFunctorIhhhZZZNS0_18rshift_kernel_cudaERNS_18TensorIteratorBaseEENKUlvE_clEvENKUlvE_clEvEUlhhE_EESt5arrayIPcLm2EEEEviT0_T1_
    .private_segment_fixed_size: 0
    .sgpr_count:     64
    .sgpr_spill_count: 0
    .symbol:         _ZN2at6native29vectorized_elementwise_kernelILi4ENS0_13AUnaryFunctorIhhhZZZNS0_18rshift_kernel_cudaERNS_18TensorIteratorBaseEENKUlvE_clEvENKUlvE_clEvEUlhhE_EESt5arrayIPcLm2EEEEviT0_T1_.kd
    .uniform_work_group_size: 1
    .uses_dynamic_stack: false
    .vgpr_count:     22
    .vgpr_spill_count: 0
    .wavefront_size: 64
  - .args:
      - .offset:         0
        .size:           4
        .value_kind:     by_value
      - .offset:         4
        .size:           2
        .value_kind:     by_value
      - .offset:         8
        .size:           16
        .value_kind:     by_value
    .group_segment_fixed_size: 0
    .kernarg_segment_align: 8
    .kernarg_segment_size: 24
    .language:       OpenCL C
    .language_version:
      - 2
      - 0
    .max_flat_workgroup_size: 256
    .name:           _ZN2at6native29vectorized_elementwise_kernelILi2ENS0_13AUnaryFunctorIhhhZZZNS0_18rshift_kernel_cudaERNS_18TensorIteratorBaseEENKUlvE_clEvENKUlvE_clEvEUlhhE_EESt5arrayIPcLm2EEEEviT0_T1_
    .private_segment_fixed_size: 0
    .sgpr_count:     64
    .sgpr_spill_count: 0
    .symbol:         _ZN2at6native29vectorized_elementwise_kernelILi2ENS0_13AUnaryFunctorIhhhZZZNS0_18rshift_kernel_cudaERNS_18TensorIteratorBaseEENKUlvE_clEvENKUlvE_clEvEUlhhE_EESt5arrayIPcLm2EEEEviT0_T1_.kd
    .uniform_work_group_size: 1
    .uses_dynamic_stack: false
    .vgpr_count:     22
    .vgpr_spill_count: 0
    .wavefront_size: 64
  - .args:
      - .offset:         0
        .size:           4
        .value_kind:     by_value
      - .offset:         4
        .size:           2
        .value_kind:     by_value
      - .offset:         8
        .size:           16
        .value_kind:     by_value
      - .offset:         24
        .size:           1
        .value_kind:     by_value
      - .offset:         25
        .size:           1
        .value_kind:     by_value
      - .offset:         26
        .size:           1
        .value_kind:     by_value
      - .offset:         27
        .size:           1
        .value_kind:     by_value
    .group_segment_fixed_size: 0
    .kernarg_segment_align: 8
    .kernarg_segment_size: 28
    .language:       OpenCL C
    .language_version:
      - 2
      - 0
    .max_flat_workgroup_size: 256
    .name:           _ZN2at6native27unrolled_elementwise_kernelINS0_13AUnaryFunctorIhhhZZZNS0_18rshift_kernel_cudaERNS_18TensorIteratorBaseEENKUlvE_clEvENKUlvE_clEvEUlhhE_EESt5arrayIPcLm2EELi4E23TrivialOffsetCalculatorILi1EjESD_NS0_6memory15LoadWithoutCastENSE_16StoreWithoutCastEEEviT_T0_T2_T3_T4_T5_
    .private_segment_fixed_size: 0
    .sgpr_count:     20
    .sgpr_spill_count: 0
    .symbol:         _ZN2at6native27unrolled_elementwise_kernelINS0_13AUnaryFunctorIhhhZZZNS0_18rshift_kernel_cudaERNS_18TensorIteratorBaseEENKUlvE_clEvENKUlvE_clEvEUlhhE_EESt5arrayIPcLm2EELi4E23TrivialOffsetCalculatorILi1EjESD_NS0_6memory15LoadWithoutCastENSE_16StoreWithoutCastEEEviT_T0_T2_T3_T4_T5_.kd
    .uniform_work_group_size: 1
    .uses_dynamic_stack: false
    .vgpr_count:     11
    .vgpr_spill_count: 0
    .wavefront_size: 64
  - .args:
      - .offset:         0
        .size:           4
        .value_kind:     by_value
      - .offset:         8
        .size:           352
        .value_kind:     by_value
    .group_segment_fixed_size: 0
    .kernarg_segment_align: 8
    .kernarg_segment_size: 360
    .language:       OpenCL C
    .language_version:
      - 2
      - 0
    .max_flat_workgroup_size: 128
    .name:           _ZN2at6native32elementwise_kernel_manual_unrollILi128ELi8EZNS0_22gpu_kernel_impl_nocastINS0_13AUnaryFunctorIhhhZZZNS0_18rshift_kernel_cudaERNS_18TensorIteratorBaseEENKUlvE_clEvENKUlvE_clEvEUlhhE_EEEEvS5_RKT_EUlibE_EEviT1_
    .private_segment_fixed_size: 0
    .sgpr_count:     67
    .sgpr_spill_count: 0
    .symbol:         _ZN2at6native32elementwise_kernel_manual_unrollILi128ELi8EZNS0_22gpu_kernel_impl_nocastINS0_13AUnaryFunctorIhhhZZZNS0_18rshift_kernel_cudaERNS_18TensorIteratorBaseEENKUlvE_clEvENKUlvE_clEvEUlhhE_EEEEvS5_RKT_EUlibE_EEviT1_.kd
    .uniform_work_group_size: 1
    .uses_dynamic_stack: false
    .vgpr_count:     26
    .vgpr_spill_count: 0
    .wavefront_size: 64
  - .args:
      - .offset:         0
        .size:           4
        .value_kind:     by_value
      - .offset:         8
        .size:           32
        .value_kind:     by_value
    .group_segment_fixed_size: 0
    .kernarg_segment_align: 8
    .kernarg_segment_size: 40
    .language:       OpenCL C
    .language_version:
      - 2
      - 0
    .max_flat_workgroup_size: 128
    .name:           _ZN2at6native32elementwise_kernel_manual_unrollILi128ELi4EZNS0_15gpu_kernel_implINS0_13AUnaryFunctorIhhhZZZNS0_18rshift_kernel_cudaERNS_18TensorIteratorBaseEENKUlvE_clEvENKUlvE_clEvEUlhhE_EEEEvS5_RKT_EUlibE_EEviT1_
    .private_segment_fixed_size: 0
    .sgpr_count:     52
    .sgpr_spill_count: 0
    .symbol:         _ZN2at6native32elementwise_kernel_manual_unrollILi128ELi4EZNS0_15gpu_kernel_implINS0_13AUnaryFunctorIhhhZZZNS0_18rshift_kernel_cudaERNS_18TensorIteratorBaseEENKUlvE_clEvENKUlvE_clEvEUlhhE_EEEEvS5_RKT_EUlibE_EEviT1_.kd
    .uniform_work_group_size: 1
    .uses_dynamic_stack: false
    .vgpr_count:     12
    .vgpr_spill_count: 0
    .wavefront_size: 64
  - .args:
      - .offset:         0
        .size:           4
        .value_kind:     by_value
      - .offset:         8
        .size:           352
        .value_kind:     by_value
    .group_segment_fixed_size: 0
    .kernarg_segment_align: 8
    .kernarg_segment_size: 360
    .language:       OpenCL C
    .language_version:
      - 2
      - 0
    .max_flat_workgroup_size: 128
    .name:           _ZN2at6native32elementwise_kernel_manual_unrollILi128ELi4EZNS0_15gpu_kernel_implINS0_13AUnaryFunctorIhhhZZZNS0_18rshift_kernel_cudaERNS_18TensorIteratorBaseEENKUlvE_clEvENKUlvE_clEvEUlhhE_EEEEvS5_RKT_EUlibE0_EEviT1_
    .private_segment_fixed_size: 0
    .sgpr_count:     83
    .sgpr_spill_count: 0
    .symbol:         _ZN2at6native32elementwise_kernel_manual_unrollILi128ELi4EZNS0_15gpu_kernel_implINS0_13AUnaryFunctorIhhhZZZNS0_18rshift_kernel_cudaERNS_18TensorIteratorBaseEENKUlvE_clEvENKUlvE_clEvEUlhhE_EEEEvS5_RKT_EUlibE0_EEviT1_.kd
    .uniform_work_group_size: 1
    .uses_dynamic_stack: false
    .vgpr_count:     18
    .vgpr_spill_count: 0
    .wavefront_size: 64
  - .args:
      - .offset:         0
        .size:           4
        .value_kind:     by_value
      - .offset:         4
        .size:           2
        .value_kind:     by_value
      - .offset:         8
        .size:           16
        .value_kind:     by_value
    .group_segment_fixed_size: 0
    .kernarg_segment_align: 8
    .kernarg_segment_size: 24
    .language:       OpenCL C
    .language_version:
      - 2
      - 0
    .max_flat_workgroup_size: 256
    .name:           _ZN2at6native29vectorized_elementwise_kernelILi16ENS0_13BUnaryFunctorIhhhZZZNS0_18rshift_kernel_cudaERNS_18TensorIteratorBaseEENKUlvE_clEvENKUlvE_clEvEUlhhE_EESt5arrayIPcLm2EEEEviT0_T1_
    .private_segment_fixed_size: 0
    .sgpr_count:     44
    .sgpr_spill_count: 0
    .symbol:         _ZN2at6native29vectorized_elementwise_kernelILi16ENS0_13BUnaryFunctorIhhhZZZNS0_18rshift_kernel_cudaERNS_18TensorIteratorBaseEENKUlvE_clEvENKUlvE_clEvEUlhhE_EESt5arrayIPcLm2EEEEviT0_T1_.kd
    .uniform_work_group_size: 1
    .uses_dynamic_stack: false
    .vgpr_count:     21
    .vgpr_spill_count: 0
    .wavefront_size: 64
  - .args:
      - .offset:         0
        .size:           4
        .value_kind:     by_value
      - .offset:         4
        .size:           2
        .value_kind:     by_value
      - .offset:         8
        .size:           16
        .value_kind:     by_value
    .group_segment_fixed_size: 0
    .kernarg_segment_align: 8
    .kernarg_segment_size: 24
    .language:       OpenCL C
    .language_version:
      - 2
      - 0
    .max_flat_workgroup_size: 256
    .name:           _ZN2at6native29vectorized_elementwise_kernelILi8ENS0_13BUnaryFunctorIhhhZZZNS0_18rshift_kernel_cudaERNS_18TensorIteratorBaseEENKUlvE_clEvENKUlvE_clEvEUlhhE_EESt5arrayIPcLm2EEEEviT0_T1_
    .private_segment_fixed_size: 0
    .sgpr_count:     44
    .sgpr_spill_count: 0
    .symbol:         _ZN2at6native29vectorized_elementwise_kernelILi8ENS0_13BUnaryFunctorIhhhZZZNS0_18rshift_kernel_cudaERNS_18TensorIteratorBaseEENKUlvE_clEvENKUlvE_clEvEUlhhE_EESt5arrayIPcLm2EEEEviT0_T1_.kd
    .uniform_work_group_size: 1
    .uses_dynamic_stack: false
    .vgpr_count:     21
    .vgpr_spill_count: 0
    .wavefront_size: 64
  - .args:
      - .offset:         0
        .size:           4
        .value_kind:     by_value
      - .offset:         4
        .size:           2
        .value_kind:     by_value
      - .offset:         8
        .size:           16
        .value_kind:     by_value
    .group_segment_fixed_size: 0
    .kernarg_segment_align: 8
    .kernarg_segment_size: 24
    .language:       OpenCL C
    .language_version:
      - 2
      - 0
    .max_flat_workgroup_size: 256
    .name:           _ZN2at6native29vectorized_elementwise_kernelILi4ENS0_13BUnaryFunctorIhhhZZZNS0_18rshift_kernel_cudaERNS_18TensorIteratorBaseEENKUlvE_clEvENKUlvE_clEvEUlhhE_EESt5arrayIPcLm2EEEEviT0_T1_
    .private_segment_fixed_size: 0
    .sgpr_count:     44
    .sgpr_spill_count: 0
    .symbol:         _ZN2at6native29vectorized_elementwise_kernelILi4ENS0_13BUnaryFunctorIhhhZZZNS0_18rshift_kernel_cudaERNS_18TensorIteratorBaseEENKUlvE_clEvENKUlvE_clEvEUlhhE_EESt5arrayIPcLm2EEEEviT0_T1_.kd
    .uniform_work_group_size: 1
    .uses_dynamic_stack: false
    .vgpr_count:     21
    .vgpr_spill_count: 0
    .wavefront_size: 64
  - .args:
      - .offset:         0
        .size:           4
        .value_kind:     by_value
      - .offset:         4
        .size:           2
        .value_kind:     by_value
      - .offset:         8
        .size:           16
        .value_kind:     by_value
    .group_segment_fixed_size: 0
    .kernarg_segment_align: 8
    .kernarg_segment_size: 24
    .language:       OpenCL C
    .language_version:
      - 2
      - 0
    .max_flat_workgroup_size: 256
    .name:           _ZN2at6native29vectorized_elementwise_kernelILi2ENS0_13BUnaryFunctorIhhhZZZNS0_18rshift_kernel_cudaERNS_18TensorIteratorBaseEENKUlvE_clEvENKUlvE_clEvEUlhhE_EESt5arrayIPcLm2EEEEviT0_T1_
    .private_segment_fixed_size: 0
    .sgpr_count:     44
    .sgpr_spill_count: 0
    .symbol:         _ZN2at6native29vectorized_elementwise_kernelILi2ENS0_13BUnaryFunctorIhhhZZZNS0_18rshift_kernel_cudaERNS_18TensorIteratorBaseEENKUlvE_clEvENKUlvE_clEvEUlhhE_EESt5arrayIPcLm2EEEEviT0_T1_.kd
    .uniform_work_group_size: 1
    .uses_dynamic_stack: false
    .vgpr_count:     21
    .vgpr_spill_count: 0
    .wavefront_size: 64
  - .args:
      - .offset:         0
        .size:           4
        .value_kind:     by_value
      - .offset:         4
        .size:           2
        .value_kind:     by_value
      - .offset:         8
        .size:           16
        .value_kind:     by_value
      - .offset:         24
        .size:           1
        .value_kind:     by_value
      - .offset:         25
        .size:           1
        .value_kind:     by_value
      - .offset:         26
        .size:           1
        .value_kind:     by_value
      - .offset:         27
        .size:           1
        .value_kind:     by_value
    .group_segment_fixed_size: 0
    .kernarg_segment_align: 8
    .kernarg_segment_size: 28
    .language:       OpenCL C
    .language_version:
      - 2
      - 0
    .max_flat_workgroup_size: 256
    .name:           _ZN2at6native27unrolled_elementwise_kernelINS0_13BUnaryFunctorIhhhZZZNS0_18rshift_kernel_cudaERNS_18TensorIteratorBaseEENKUlvE_clEvENKUlvE_clEvEUlhhE_EESt5arrayIPcLm2EELi4E23TrivialOffsetCalculatorILi1EjESD_NS0_6memory15LoadWithoutCastENSE_16StoreWithoutCastEEEviT_T0_T2_T3_T4_T5_
    .private_segment_fixed_size: 0
    .sgpr_count:     20
    .sgpr_spill_count: 0
    .symbol:         _ZN2at6native27unrolled_elementwise_kernelINS0_13BUnaryFunctorIhhhZZZNS0_18rshift_kernel_cudaERNS_18TensorIteratorBaseEENKUlvE_clEvENKUlvE_clEvEUlhhE_EESt5arrayIPcLm2EELi4E23TrivialOffsetCalculatorILi1EjESD_NS0_6memory15LoadWithoutCastENSE_16StoreWithoutCastEEEviT_T0_T2_T3_T4_T5_.kd
    .uniform_work_group_size: 1
    .uses_dynamic_stack: false
    .vgpr_count:     9
    .vgpr_spill_count: 0
    .wavefront_size: 64
  - .args:
      - .offset:         0
        .size:           4
        .value_kind:     by_value
      - .offset:         8
        .size:           352
        .value_kind:     by_value
    .group_segment_fixed_size: 0
    .kernarg_segment_align: 8
    .kernarg_segment_size: 360
    .language:       OpenCL C
    .language_version:
      - 2
      - 0
    .max_flat_workgroup_size: 128
    .name:           _ZN2at6native32elementwise_kernel_manual_unrollILi128ELi8EZNS0_22gpu_kernel_impl_nocastINS0_13BUnaryFunctorIhhhZZZNS0_18rshift_kernel_cudaERNS_18TensorIteratorBaseEENKUlvE_clEvENKUlvE_clEvEUlhhE_EEEEvS5_RKT_EUlibE_EEviT1_
    .private_segment_fixed_size: 0
    .sgpr_count:     69
    .sgpr_spill_count: 0
    .symbol:         _ZN2at6native32elementwise_kernel_manual_unrollILi128ELi8EZNS0_22gpu_kernel_impl_nocastINS0_13BUnaryFunctorIhhhZZZNS0_18rshift_kernel_cudaERNS_18TensorIteratorBaseEENKUlvE_clEvENKUlvE_clEvEUlhhE_EEEEvS5_RKT_EUlibE_EEviT1_.kd
    .uniform_work_group_size: 1
    .uses_dynamic_stack: false
    .vgpr_count:     26
    .vgpr_spill_count: 0
    .wavefront_size: 64
  - .args:
      - .offset:         0
        .size:           4
        .value_kind:     by_value
      - .offset:         8
        .size:           32
        .value_kind:     by_value
    .group_segment_fixed_size: 0
    .kernarg_segment_align: 8
    .kernarg_segment_size: 40
    .language:       OpenCL C
    .language_version:
      - 2
      - 0
    .max_flat_workgroup_size: 128
    .name:           _ZN2at6native32elementwise_kernel_manual_unrollILi128ELi4EZNS0_15gpu_kernel_implINS0_13BUnaryFunctorIhhhZZZNS0_18rshift_kernel_cudaERNS_18TensorIteratorBaseEENKUlvE_clEvENKUlvE_clEvEUlhhE_EEEEvS5_RKT_EUlibE_EEviT1_
    .private_segment_fixed_size: 0
    .sgpr_count:     54
    .sgpr_spill_count: 0
    .symbol:         _ZN2at6native32elementwise_kernel_manual_unrollILi128ELi4EZNS0_15gpu_kernel_implINS0_13BUnaryFunctorIhhhZZZNS0_18rshift_kernel_cudaERNS_18TensorIteratorBaseEENKUlvE_clEvENKUlvE_clEvEUlhhE_EEEEvS5_RKT_EUlibE_EEviT1_.kd
    .uniform_work_group_size: 1
    .uses_dynamic_stack: false
    .vgpr_count:     12
    .vgpr_spill_count: 0
    .wavefront_size: 64
  - .args:
      - .offset:         0
        .size:           4
        .value_kind:     by_value
      - .offset:         8
        .size:           352
        .value_kind:     by_value
    .group_segment_fixed_size: 0
    .kernarg_segment_align: 8
    .kernarg_segment_size: 360
    .language:       OpenCL C
    .language_version:
      - 2
      - 0
    .max_flat_workgroup_size: 128
    .name:           _ZN2at6native32elementwise_kernel_manual_unrollILi128ELi4EZNS0_15gpu_kernel_implINS0_13BUnaryFunctorIhhhZZZNS0_18rshift_kernel_cudaERNS_18TensorIteratorBaseEENKUlvE_clEvENKUlvE_clEvEUlhhE_EEEEvS5_RKT_EUlibE0_EEviT1_
    .private_segment_fixed_size: 0
    .sgpr_count:     85
    .sgpr_spill_count: 0
    .symbol:         _ZN2at6native32elementwise_kernel_manual_unrollILi128ELi4EZNS0_15gpu_kernel_implINS0_13BUnaryFunctorIhhhZZZNS0_18rshift_kernel_cudaERNS_18TensorIteratorBaseEENKUlvE_clEvENKUlvE_clEvEUlhhE_EEEEvS5_RKT_EUlibE0_EEviT1_.kd
    .uniform_work_group_size: 1
    .uses_dynamic_stack: false
    .vgpr_count:     18
    .vgpr_spill_count: 0
    .wavefront_size: 64
  - .args:
      - .offset:         0
        .size:           4
        .value_kind:     by_value
      - .offset:         4
        .size:           1
        .value_kind:     by_value
      - .offset:         8
        .size:           24
        .value_kind:     by_value
    .group_segment_fixed_size: 0
    .kernarg_segment_align: 8
    .kernarg_segment_size: 32
    .language:       OpenCL C
    .language_version:
      - 2
      - 0
    .max_flat_workgroup_size: 256
    .name:           _ZN2at6native29vectorized_elementwise_kernelILi16ENS0_13BinaryFunctorIhhhZZZNS0_18rshift_kernel_cudaERNS_18TensorIteratorBaseEENKUlvE_clEvENKUlvE_clEvEUlhhE_EESt5arrayIPcLm3EEEEviT0_T1_
    .private_segment_fixed_size: 0
    .sgpr_count:     64
    .sgpr_spill_count: 0
    .symbol:         _ZN2at6native29vectorized_elementwise_kernelILi16ENS0_13BinaryFunctorIhhhZZZNS0_18rshift_kernel_cudaERNS_18TensorIteratorBaseEENKUlvE_clEvENKUlvE_clEvEUlhhE_EESt5arrayIPcLm3EEEEviT0_T1_.kd
    .uniform_work_group_size: 1
    .uses_dynamic_stack: false
    .vgpr_count:     39
    .vgpr_spill_count: 0
    .wavefront_size: 64
  - .args:
      - .offset:         0
        .size:           4
        .value_kind:     by_value
      - .offset:         4
        .size:           1
        .value_kind:     by_value
      - .offset:         8
        .size:           24
        .value_kind:     by_value
    .group_segment_fixed_size: 0
    .kernarg_segment_align: 8
    .kernarg_segment_size: 32
    .language:       OpenCL C
    .language_version:
      - 2
      - 0
    .max_flat_workgroup_size: 256
    .name:           _ZN2at6native29vectorized_elementwise_kernelILi8ENS0_13BinaryFunctorIhhhZZZNS0_18rshift_kernel_cudaERNS_18TensorIteratorBaseEENKUlvE_clEvENKUlvE_clEvEUlhhE_EESt5arrayIPcLm3EEEEviT0_T1_
    .private_segment_fixed_size: 0
    .sgpr_count:     64
    .sgpr_spill_count: 0
    .symbol:         _ZN2at6native29vectorized_elementwise_kernelILi8ENS0_13BinaryFunctorIhhhZZZNS0_18rshift_kernel_cudaERNS_18TensorIteratorBaseEENKUlvE_clEvENKUlvE_clEvEUlhhE_EESt5arrayIPcLm3EEEEviT0_T1_.kd
    .uniform_work_group_size: 1
    .uses_dynamic_stack: false
    .vgpr_count:     39
    .vgpr_spill_count: 0
    .wavefront_size: 64
  - .args:
      - .offset:         0
        .size:           4
        .value_kind:     by_value
      - .offset:         4
        .size:           1
        .value_kind:     by_value
      - .offset:         8
        .size:           24
        .value_kind:     by_value
    .group_segment_fixed_size: 0
    .kernarg_segment_align: 8
    .kernarg_segment_size: 32
    .language:       OpenCL C
    .language_version:
      - 2
      - 0
    .max_flat_workgroup_size: 256
    .name:           _ZN2at6native29vectorized_elementwise_kernelILi4ENS0_13BinaryFunctorIhhhZZZNS0_18rshift_kernel_cudaERNS_18TensorIteratorBaseEENKUlvE_clEvENKUlvE_clEvEUlhhE_EESt5arrayIPcLm3EEEEviT0_T1_
    .private_segment_fixed_size: 0
    .sgpr_count:     64
    .sgpr_spill_count: 0
    .symbol:         _ZN2at6native29vectorized_elementwise_kernelILi4ENS0_13BinaryFunctorIhhhZZZNS0_18rshift_kernel_cudaERNS_18TensorIteratorBaseEENKUlvE_clEvENKUlvE_clEvEUlhhE_EESt5arrayIPcLm3EEEEviT0_T1_.kd
    .uniform_work_group_size: 1
    .uses_dynamic_stack: false
    .vgpr_count:     39
    .vgpr_spill_count: 0
    .wavefront_size: 64
  - .args:
      - .offset:         0
        .size:           4
        .value_kind:     by_value
      - .offset:         4
        .size:           1
        .value_kind:     by_value
      - .offset:         8
        .size:           24
        .value_kind:     by_value
    .group_segment_fixed_size: 0
    .kernarg_segment_align: 8
    .kernarg_segment_size: 32
    .language:       OpenCL C
    .language_version:
      - 2
      - 0
    .max_flat_workgroup_size: 256
    .name:           _ZN2at6native29vectorized_elementwise_kernelILi2ENS0_13BinaryFunctorIhhhZZZNS0_18rshift_kernel_cudaERNS_18TensorIteratorBaseEENKUlvE_clEvENKUlvE_clEvEUlhhE_EESt5arrayIPcLm3EEEEviT0_T1_
    .private_segment_fixed_size: 0
    .sgpr_count:     64
    .sgpr_spill_count: 0
    .symbol:         _ZN2at6native29vectorized_elementwise_kernelILi2ENS0_13BinaryFunctorIhhhZZZNS0_18rshift_kernel_cudaERNS_18TensorIteratorBaseEENKUlvE_clEvENKUlvE_clEvEUlhhE_EESt5arrayIPcLm3EEEEviT0_T1_.kd
    .uniform_work_group_size: 1
    .uses_dynamic_stack: false
    .vgpr_count:     39
    .vgpr_spill_count: 0
    .wavefront_size: 64
  - .args:
      - .offset:         0
        .size:           4
        .value_kind:     by_value
      - .offset:         4
        .size:           1
        .value_kind:     by_value
      - .offset:         8
        .size:           24
        .value_kind:     by_value
      - .offset:         32
        .size:           1
        .value_kind:     by_value
      - .offset:         33
        .size:           1
        .value_kind:     by_value
      - .offset:         34
        .size:           1
        .value_kind:     by_value
      - .offset:         35
        .size:           1
        .value_kind:     by_value
    .group_segment_fixed_size: 0
    .kernarg_segment_align: 8
    .kernarg_segment_size: 36
    .language:       OpenCL C
    .language_version:
      - 2
      - 0
    .max_flat_workgroup_size: 256
    .name:           _ZN2at6native27unrolled_elementwise_kernelINS0_13BinaryFunctorIhhhZZZNS0_18rshift_kernel_cudaERNS_18TensorIteratorBaseEENKUlvE_clEvENKUlvE_clEvEUlhhE_EESt5arrayIPcLm3EELi4E23TrivialOffsetCalculatorILi2EjESC_ILi1EjENS0_6memory15LoadWithoutCastENSF_16StoreWithoutCastEEEviT_T0_T2_T3_T4_T5_
    .private_segment_fixed_size: 0
    .sgpr_count:     22
    .sgpr_spill_count: 0
    .symbol:         _ZN2at6native27unrolled_elementwise_kernelINS0_13BinaryFunctorIhhhZZZNS0_18rshift_kernel_cudaERNS_18TensorIteratorBaseEENKUlvE_clEvENKUlvE_clEvEUlhhE_EESt5arrayIPcLm3EELi4E23TrivialOffsetCalculatorILi2EjESC_ILi1EjENS0_6memory15LoadWithoutCastENSF_16StoreWithoutCastEEEviT_T0_T2_T3_T4_T5_.kd
    .uniform_work_group_size: 1
    .uses_dynamic_stack: false
    .vgpr_count:     12
    .vgpr_spill_count: 0
    .wavefront_size: 64
  - .args:
      - .offset:         0
        .size:           4
        .value_kind:     by_value
      - .offset:         8
        .size:           424
        .value_kind:     by_value
    .group_segment_fixed_size: 0
    .kernarg_segment_align: 8
    .kernarg_segment_size: 432
    .language:       OpenCL C
    .language_version:
      - 2
      - 0
    .max_flat_workgroup_size: 128
    .name:           _ZN2at6native32elementwise_kernel_manual_unrollILi128ELi8EZNS0_22gpu_kernel_impl_nocastINS0_13BinaryFunctorIhhhZZZNS0_18rshift_kernel_cudaERNS_18TensorIteratorBaseEENKUlvE_clEvENKUlvE_clEvEUlhhE_EEEEvS5_RKT_EUlibE_EEviT1_
    .private_segment_fixed_size: 0
    .sgpr_count:     54
    .sgpr_spill_count: 0
    .symbol:         _ZN2at6native32elementwise_kernel_manual_unrollILi128ELi8EZNS0_22gpu_kernel_impl_nocastINS0_13BinaryFunctorIhhhZZZNS0_18rshift_kernel_cudaERNS_18TensorIteratorBaseEENKUlvE_clEvENKUlvE_clEvEUlhhE_EEEEvS5_RKT_EUlibE_EEviT1_.kd
    .uniform_work_group_size: 1
    .uses_dynamic_stack: false
    .vgpr_count:     42
    .vgpr_spill_count: 0
    .wavefront_size: 64
  - .args:
      - .offset:         0
        .size:           4
        .value_kind:     by_value
      - .offset:         8
        .size:           40
        .value_kind:     by_value
    .group_segment_fixed_size: 0
    .kernarg_segment_align: 8
    .kernarg_segment_size: 48
    .language:       OpenCL C
    .language_version:
      - 2
      - 0
    .max_flat_workgroup_size: 128
    .name:           _ZN2at6native32elementwise_kernel_manual_unrollILi128ELi4EZNS0_15gpu_kernel_implINS0_13BinaryFunctorIhhhZZZNS0_18rshift_kernel_cudaERNS_18TensorIteratorBaseEENKUlvE_clEvENKUlvE_clEvEUlhhE_EEEEvS5_RKT_EUlibE_EEviT1_
    .private_segment_fixed_size: 0
    .sgpr_count:     60
    .sgpr_spill_count: 0
    .symbol:         _ZN2at6native32elementwise_kernel_manual_unrollILi128ELi4EZNS0_15gpu_kernel_implINS0_13BinaryFunctorIhhhZZZNS0_18rshift_kernel_cudaERNS_18TensorIteratorBaseEENKUlvE_clEvENKUlvE_clEvEUlhhE_EEEEvS5_RKT_EUlibE_EEviT1_.kd
    .uniform_work_group_size: 1
    .uses_dynamic_stack: false
    .vgpr_count:     16
    .vgpr_spill_count: 0
    .wavefront_size: 64
  - .args:
      - .offset:         0
        .size:           4
        .value_kind:     by_value
      - .offset:         8
        .size:           424
        .value_kind:     by_value
    .group_segment_fixed_size: 0
    .kernarg_segment_align: 8
    .kernarg_segment_size: 432
    .language:       OpenCL C
    .language_version:
      - 2
      - 0
    .max_flat_workgroup_size: 128
    .name:           _ZN2at6native32elementwise_kernel_manual_unrollILi128ELi4EZNS0_15gpu_kernel_implINS0_13BinaryFunctorIhhhZZZNS0_18rshift_kernel_cudaERNS_18TensorIteratorBaseEENKUlvE_clEvENKUlvE_clEvEUlhhE_EEEEvS5_RKT_EUlibE0_EEviT1_
    .private_segment_fixed_size: 0
    .sgpr_count:     84
    .sgpr_spill_count: 0
    .symbol:         _ZN2at6native32elementwise_kernel_manual_unrollILi128ELi4EZNS0_15gpu_kernel_implINS0_13BinaryFunctorIhhhZZZNS0_18rshift_kernel_cudaERNS_18TensorIteratorBaseEENKUlvE_clEvENKUlvE_clEvEUlhhE_EEEEvS5_RKT_EUlibE0_EEviT1_.kd
    .uniform_work_group_size: 1
    .uses_dynamic_stack: false
    .vgpr_count:     23
    .vgpr_spill_count: 0
    .wavefront_size: 64
  - .args:
      - .offset:         0
        .size:           4
        .value_kind:     by_value
      - .offset:         4
        .size:           2
        .value_kind:     by_value
      - .offset:         8
        .size:           16
        .value_kind:     by_value
    .group_segment_fixed_size: 0
    .kernarg_segment_align: 8
    .kernarg_segment_size: 24
    .language:       OpenCL C
    .language_version:
      - 2
      - 0
    .max_flat_workgroup_size: 256
    .name:           _ZN2at6native29vectorized_elementwise_kernelILi16ENS0_13AUnaryFunctorIaaaZZZNS0_18rshift_kernel_cudaERNS_18TensorIteratorBaseEENKUlvE_clEvENKUlvE0_clEvEUlaaE_EESt5arrayIPcLm2EEEEviT0_T1_
    .private_segment_fixed_size: 0
    .sgpr_count:     43
    .sgpr_spill_count: 0
    .symbol:         _ZN2at6native29vectorized_elementwise_kernelILi16ENS0_13AUnaryFunctorIaaaZZZNS0_18rshift_kernel_cudaERNS_18TensorIteratorBaseEENKUlvE_clEvENKUlvE0_clEvEUlaaE_EESt5arrayIPcLm2EEEEviT0_T1_.kd
    .uniform_work_group_size: 1
    .uses_dynamic_stack: false
    .vgpr_count:     23
    .vgpr_spill_count: 0
    .wavefront_size: 64
  - .args:
      - .offset:         0
        .size:           4
        .value_kind:     by_value
      - .offset:         4
        .size:           2
        .value_kind:     by_value
      - .offset:         8
        .size:           16
        .value_kind:     by_value
    .group_segment_fixed_size: 0
    .kernarg_segment_align: 8
    .kernarg_segment_size: 24
    .language:       OpenCL C
    .language_version:
      - 2
      - 0
    .max_flat_workgroup_size: 256
    .name:           _ZN2at6native29vectorized_elementwise_kernelILi8ENS0_13AUnaryFunctorIaaaZZZNS0_18rshift_kernel_cudaERNS_18TensorIteratorBaseEENKUlvE_clEvENKUlvE0_clEvEUlaaE_EESt5arrayIPcLm2EEEEviT0_T1_
    .private_segment_fixed_size: 0
    .sgpr_count:     43
    .sgpr_spill_count: 0
    .symbol:         _ZN2at6native29vectorized_elementwise_kernelILi8ENS0_13AUnaryFunctorIaaaZZZNS0_18rshift_kernel_cudaERNS_18TensorIteratorBaseEENKUlvE_clEvENKUlvE0_clEvEUlaaE_EESt5arrayIPcLm2EEEEviT0_T1_.kd
    .uniform_work_group_size: 1
    .uses_dynamic_stack: false
    .vgpr_count:     26
    .vgpr_spill_count: 0
    .wavefront_size: 64
  - .args:
      - .offset:         0
        .size:           4
        .value_kind:     by_value
      - .offset:         4
        .size:           2
        .value_kind:     by_value
      - .offset:         8
        .size:           16
        .value_kind:     by_value
    .group_segment_fixed_size: 0
    .kernarg_segment_align: 8
    .kernarg_segment_size: 24
    .language:       OpenCL C
    .language_version:
      - 2
      - 0
    .max_flat_workgroup_size: 256
    .name:           _ZN2at6native29vectorized_elementwise_kernelILi4ENS0_13AUnaryFunctorIaaaZZZNS0_18rshift_kernel_cudaERNS_18TensorIteratorBaseEENKUlvE_clEvENKUlvE0_clEvEUlaaE_EESt5arrayIPcLm2EEEEviT0_T1_
    .private_segment_fixed_size: 0
    .sgpr_count:     45
    .sgpr_spill_count: 0
    .symbol:         _ZN2at6native29vectorized_elementwise_kernelILi4ENS0_13AUnaryFunctorIaaaZZZNS0_18rshift_kernel_cudaERNS_18TensorIteratorBaseEENKUlvE_clEvENKUlvE0_clEvEUlaaE_EESt5arrayIPcLm2EEEEviT0_T1_.kd
    .uniform_work_group_size: 1
    .uses_dynamic_stack: false
    .vgpr_count:     23
    .vgpr_spill_count: 0
    .wavefront_size: 64
  - .args:
      - .offset:         0
        .size:           4
        .value_kind:     by_value
      - .offset:         4
        .size:           2
        .value_kind:     by_value
      - .offset:         8
        .size:           16
        .value_kind:     by_value
    .group_segment_fixed_size: 0
    .kernarg_segment_align: 8
    .kernarg_segment_size: 24
    .language:       OpenCL C
    .language_version:
      - 2
      - 0
    .max_flat_workgroup_size: 256
    .name:           _ZN2at6native29vectorized_elementwise_kernelILi2ENS0_13AUnaryFunctorIaaaZZZNS0_18rshift_kernel_cudaERNS_18TensorIteratorBaseEENKUlvE_clEvENKUlvE0_clEvEUlaaE_EESt5arrayIPcLm2EEEEviT0_T1_
    .private_segment_fixed_size: 0
    .sgpr_count:     45
    .sgpr_spill_count: 0
    .symbol:         _ZN2at6native29vectorized_elementwise_kernelILi2ENS0_13AUnaryFunctorIaaaZZZNS0_18rshift_kernel_cudaERNS_18TensorIteratorBaseEENKUlvE_clEvENKUlvE0_clEvEUlaaE_EESt5arrayIPcLm2EEEEviT0_T1_.kd
    .uniform_work_group_size: 1
    .uses_dynamic_stack: false
    .vgpr_count:     23
    .vgpr_spill_count: 0
    .wavefront_size: 64
  - .args:
      - .offset:         0
        .size:           4
        .value_kind:     by_value
      - .offset:         4
        .size:           2
        .value_kind:     by_value
      - .offset:         8
        .size:           16
        .value_kind:     by_value
      - .offset:         24
        .size:           1
        .value_kind:     by_value
      - .offset:         25
        .size:           1
        .value_kind:     by_value
      - .offset:         26
        .size:           1
        .value_kind:     by_value
      - .offset:         27
        .size:           1
        .value_kind:     by_value
    .group_segment_fixed_size: 0
    .kernarg_segment_align: 8
    .kernarg_segment_size: 28
    .language:       OpenCL C
    .language_version:
      - 2
      - 0
    .max_flat_workgroup_size: 256
    .name:           _ZN2at6native27unrolled_elementwise_kernelINS0_13AUnaryFunctorIaaaZZZNS0_18rshift_kernel_cudaERNS_18TensorIteratorBaseEENKUlvE_clEvENKUlvE0_clEvEUlaaE_EESt5arrayIPcLm2EELi4E23TrivialOffsetCalculatorILi1EjESD_NS0_6memory15LoadWithoutCastENSE_16StoreWithoutCastEEEviT_T0_T2_T3_T4_T5_
    .private_segment_fixed_size: 0
    .sgpr_count:     20
    .sgpr_spill_count: 0
    .symbol:         _ZN2at6native27unrolled_elementwise_kernelINS0_13AUnaryFunctorIaaaZZZNS0_18rshift_kernel_cudaERNS_18TensorIteratorBaseEENKUlvE_clEvENKUlvE0_clEvEUlaaE_EESt5arrayIPcLm2EELi4E23TrivialOffsetCalculatorILi1EjESD_NS0_6memory15LoadWithoutCastENSE_16StoreWithoutCastEEEviT_T0_T2_T3_T4_T5_.kd
    .uniform_work_group_size: 1
    .uses_dynamic_stack: false
    .vgpr_count:     11
    .vgpr_spill_count: 0
    .wavefront_size: 64
  - .args:
      - .offset:         0
        .size:           4
        .value_kind:     by_value
      - .offset:         8
        .size:           352
        .value_kind:     by_value
    .group_segment_fixed_size: 0
    .kernarg_segment_align: 8
    .kernarg_segment_size: 360
    .language:       OpenCL C
    .language_version:
      - 2
      - 0
    .max_flat_workgroup_size: 128
    .name:           _ZN2at6native32elementwise_kernel_manual_unrollILi128ELi8EZNS0_22gpu_kernel_impl_nocastINS0_13AUnaryFunctorIaaaZZZNS0_18rshift_kernel_cudaERNS_18TensorIteratorBaseEENKUlvE_clEvENKUlvE0_clEvEUlaaE_EEEEvS5_RKT_EUlibE_EEviT1_
    .private_segment_fixed_size: 0
    .sgpr_count:     68
    .sgpr_spill_count: 0
    .symbol:         _ZN2at6native32elementwise_kernel_manual_unrollILi128ELi8EZNS0_22gpu_kernel_impl_nocastINS0_13AUnaryFunctorIaaaZZZNS0_18rshift_kernel_cudaERNS_18TensorIteratorBaseEENKUlvE_clEvENKUlvE0_clEvEUlaaE_EEEEvS5_RKT_EUlibE_EEviT1_.kd
    .uniform_work_group_size: 1
    .uses_dynamic_stack: false
    .vgpr_count:     26
    .vgpr_spill_count: 0
    .wavefront_size: 64
  - .args:
      - .offset:         0
        .size:           4
        .value_kind:     by_value
      - .offset:         8
        .size:           32
        .value_kind:     by_value
    .group_segment_fixed_size: 0
    .kernarg_segment_align: 8
    .kernarg_segment_size: 40
    .language:       OpenCL C
    .language_version:
      - 2
      - 0
    .max_flat_workgroup_size: 128
    .name:           _ZN2at6native32elementwise_kernel_manual_unrollILi128ELi4EZNS0_15gpu_kernel_implINS0_13AUnaryFunctorIaaaZZZNS0_18rshift_kernel_cudaERNS_18TensorIteratorBaseEENKUlvE_clEvENKUlvE0_clEvEUlaaE_EEEEvS5_RKT_EUlibE_EEviT1_
    .private_segment_fixed_size: 0
    .sgpr_count:     50
    .sgpr_spill_count: 0
    .symbol:         _ZN2at6native32elementwise_kernel_manual_unrollILi128ELi4EZNS0_15gpu_kernel_implINS0_13AUnaryFunctorIaaaZZZNS0_18rshift_kernel_cudaERNS_18TensorIteratorBaseEENKUlvE_clEvENKUlvE0_clEvEUlaaE_EEEEvS5_RKT_EUlibE_EEviT1_.kd
    .uniform_work_group_size: 1
    .uses_dynamic_stack: false
    .vgpr_count:     14
    .vgpr_spill_count: 0
    .wavefront_size: 64
  - .args:
      - .offset:         0
        .size:           4
        .value_kind:     by_value
      - .offset:         8
        .size:           352
        .value_kind:     by_value
    .group_segment_fixed_size: 0
    .kernarg_segment_align: 8
    .kernarg_segment_size: 360
    .language:       OpenCL C
    .language_version:
      - 2
      - 0
    .max_flat_workgroup_size: 128
    .name:           _ZN2at6native32elementwise_kernel_manual_unrollILi128ELi4EZNS0_15gpu_kernel_implINS0_13AUnaryFunctorIaaaZZZNS0_18rshift_kernel_cudaERNS_18TensorIteratorBaseEENKUlvE_clEvENKUlvE0_clEvEUlaaE_EEEEvS5_RKT_EUlibE0_EEviT1_
    .private_segment_fixed_size: 0
    .sgpr_count:     83
    .sgpr_spill_count: 0
    .symbol:         _ZN2at6native32elementwise_kernel_manual_unrollILi128ELi4EZNS0_15gpu_kernel_implINS0_13AUnaryFunctorIaaaZZZNS0_18rshift_kernel_cudaERNS_18TensorIteratorBaseEENKUlvE_clEvENKUlvE0_clEvEUlaaE_EEEEvS5_RKT_EUlibE0_EEviT1_.kd
    .uniform_work_group_size: 1
    .uses_dynamic_stack: false
    .vgpr_count:     18
    .vgpr_spill_count: 0
    .wavefront_size: 64
  - .args:
      - .offset:         0
        .size:           4
        .value_kind:     by_value
      - .offset:         4
        .size:           2
        .value_kind:     by_value
      - .offset:         8
        .size:           16
        .value_kind:     by_value
    .group_segment_fixed_size: 0
    .kernarg_segment_align: 8
    .kernarg_segment_size: 24
    .language:       OpenCL C
    .language_version:
      - 2
      - 0
    .max_flat_workgroup_size: 256
    .name:           _ZN2at6native29vectorized_elementwise_kernelILi16ENS0_13BUnaryFunctorIaaaZZZNS0_18rshift_kernel_cudaERNS_18TensorIteratorBaseEENKUlvE_clEvENKUlvE0_clEvEUlaaE_EESt5arrayIPcLm2EEEEviT0_T1_
    .private_segment_fixed_size: 0
    .sgpr_count:     44
    .sgpr_spill_count: 0
    .symbol:         _ZN2at6native29vectorized_elementwise_kernelILi16ENS0_13BUnaryFunctorIaaaZZZNS0_18rshift_kernel_cudaERNS_18TensorIteratorBaseEENKUlvE_clEvENKUlvE0_clEvEUlaaE_EESt5arrayIPcLm2EEEEviT0_T1_.kd
    .uniform_work_group_size: 1
    .uses_dynamic_stack: false
    .vgpr_count:     25
    .vgpr_spill_count: 0
    .wavefront_size: 64
  - .args:
      - .offset:         0
        .size:           4
        .value_kind:     by_value
      - .offset:         4
        .size:           2
        .value_kind:     by_value
      - .offset:         8
        .size:           16
        .value_kind:     by_value
    .group_segment_fixed_size: 0
    .kernarg_segment_align: 8
    .kernarg_segment_size: 24
    .language:       OpenCL C
    .language_version:
      - 2
      - 0
    .max_flat_workgroup_size: 256
    .name:           _ZN2at6native29vectorized_elementwise_kernelILi8ENS0_13BUnaryFunctorIaaaZZZNS0_18rshift_kernel_cudaERNS_18TensorIteratorBaseEENKUlvE_clEvENKUlvE0_clEvEUlaaE_EESt5arrayIPcLm2EEEEviT0_T1_
    .private_segment_fixed_size: 0
    .sgpr_count:     44
    .sgpr_spill_count: 0
    .symbol:         _ZN2at6native29vectorized_elementwise_kernelILi8ENS0_13BUnaryFunctorIaaaZZZNS0_18rshift_kernel_cudaERNS_18TensorIteratorBaseEENKUlvE_clEvENKUlvE0_clEvEUlaaE_EESt5arrayIPcLm2EEEEviT0_T1_.kd
    .uniform_work_group_size: 1
    .uses_dynamic_stack: false
    .vgpr_count:     34
    .vgpr_spill_count: 0
    .wavefront_size: 64
  - .args:
      - .offset:         0
        .size:           4
        .value_kind:     by_value
      - .offset:         4
        .size:           2
        .value_kind:     by_value
      - .offset:         8
        .size:           16
        .value_kind:     by_value
    .group_segment_fixed_size: 0
    .kernarg_segment_align: 8
    .kernarg_segment_size: 24
    .language:       OpenCL C
    .language_version:
      - 2
      - 0
    .max_flat_workgroup_size: 256
    .name:           _ZN2at6native29vectorized_elementwise_kernelILi4ENS0_13BUnaryFunctorIaaaZZZNS0_18rshift_kernel_cudaERNS_18TensorIteratorBaseEENKUlvE_clEvENKUlvE0_clEvEUlaaE_EESt5arrayIPcLm2EEEEviT0_T1_
    .private_segment_fixed_size: 0
    .sgpr_count:     44
    .sgpr_spill_count: 0
    .symbol:         _ZN2at6native29vectorized_elementwise_kernelILi4ENS0_13BUnaryFunctorIaaaZZZNS0_18rshift_kernel_cudaERNS_18TensorIteratorBaseEENKUlvE_clEvENKUlvE0_clEvEUlaaE_EESt5arrayIPcLm2EEEEviT0_T1_.kd
    .uniform_work_group_size: 1
    .uses_dynamic_stack: false
    .vgpr_count:     21
    .vgpr_spill_count: 0
    .wavefront_size: 64
  - .args:
      - .offset:         0
        .size:           4
        .value_kind:     by_value
      - .offset:         4
        .size:           2
        .value_kind:     by_value
      - .offset:         8
        .size:           16
        .value_kind:     by_value
    .group_segment_fixed_size: 0
    .kernarg_segment_align: 8
    .kernarg_segment_size: 24
    .language:       OpenCL C
    .language_version:
      - 2
      - 0
    .max_flat_workgroup_size: 256
    .name:           _ZN2at6native29vectorized_elementwise_kernelILi2ENS0_13BUnaryFunctorIaaaZZZNS0_18rshift_kernel_cudaERNS_18TensorIteratorBaseEENKUlvE_clEvENKUlvE0_clEvEUlaaE_EESt5arrayIPcLm2EEEEviT0_T1_
    .private_segment_fixed_size: 0
    .sgpr_count:     44
    .sgpr_spill_count: 0
    .symbol:         _ZN2at6native29vectorized_elementwise_kernelILi2ENS0_13BUnaryFunctorIaaaZZZNS0_18rshift_kernel_cudaERNS_18TensorIteratorBaseEENKUlvE_clEvENKUlvE0_clEvEUlaaE_EESt5arrayIPcLm2EEEEviT0_T1_.kd
    .uniform_work_group_size: 1
    .uses_dynamic_stack: false
    .vgpr_count:     21
    .vgpr_spill_count: 0
    .wavefront_size: 64
  - .args:
      - .offset:         0
        .size:           4
        .value_kind:     by_value
      - .offset:         4
        .size:           2
        .value_kind:     by_value
      - .offset:         8
        .size:           16
        .value_kind:     by_value
      - .offset:         24
        .size:           1
        .value_kind:     by_value
      - .offset:         25
        .size:           1
        .value_kind:     by_value
      - .offset:         26
        .size:           1
        .value_kind:     by_value
      - .offset:         27
        .size:           1
        .value_kind:     by_value
    .group_segment_fixed_size: 0
    .kernarg_segment_align: 8
    .kernarg_segment_size: 28
    .language:       OpenCL C
    .language_version:
      - 2
      - 0
    .max_flat_workgroup_size: 256
    .name:           _ZN2at6native27unrolled_elementwise_kernelINS0_13BUnaryFunctorIaaaZZZNS0_18rshift_kernel_cudaERNS_18TensorIteratorBaseEENKUlvE_clEvENKUlvE0_clEvEUlaaE_EESt5arrayIPcLm2EELi4E23TrivialOffsetCalculatorILi1EjESD_NS0_6memory15LoadWithoutCastENSE_16StoreWithoutCastEEEviT_T0_T2_T3_T4_T5_
    .private_segment_fixed_size: 0
    .sgpr_count:     20
    .sgpr_spill_count: 0
    .symbol:         _ZN2at6native27unrolled_elementwise_kernelINS0_13BUnaryFunctorIaaaZZZNS0_18rshift_kernel_cudaERNS_18TensorIteratorBaseEENKUlvE_clEvENKUlvE0_clEvEUlaaE_EESt5arrayIPcLm2EELi4E23TrivialOffsetCalculatorILi1EjESD_NS0_6memory15LoadWithoutCastENSE_16StoreWithoutCastEEEviT_T0_T2_T3_T4_T5_.kd
    .uniform_work_group_size: 1
    .uses_dynamic_stack: false
    .vgpr_count:     10
    .vgpr_spill_count: 0
    .wavefront_size: 64
  - .args:
      - .offset:         0
        .size:           4
        .value_kind:     by_value
      - .offset:         8
        .size:           352
        .value_kind:     by_value
    .group_segment_fixed_size: 0
    .kernarg_segment_align: 8
    .kernarg_segment_size: 360
    .language:       OpenCL C
    .language_version:
      - 2
      - 0
    .max_flat_workgroup_size: 128
    .name:           _ZN2at6native32elementwise_kernel_manual_unrollILi128ELi8EZNS0_22gpu_kernel_impl_nocastINS0_13BUnaryFunctorIaaaZZZNS0_18rshift_kernel_cudaERNS_18TensorIteratorBaseEENKUlvE_clEvENKUlvE0_clEvEUlaaE_EEEEvS5_RKT_EUlibE_EEviT1_
    .private_segment_fixed_size: 0
    .sgpr_count:     69
    .sgpr_spill_count: 0
    .symbol:         _ZN2at6native32elementwise_kernel_manual_unrollILi128ELi8EZNS0_22gpu_kernel_impl_nocastINS0_13BUnaryFunctorIaaaZZZNS0_18rshift_kernel_cudaERNS_18TensorIteratorBaseEENKUlvE_clEvENKUlvE0_clEvEUlaaE_EEEEvS5_RKT_EUlibE_EEviT1_.kd
    .uniform_work_group_size: 1
    .uses_dynamic_stack: false
    .vgpr_count:     26
    .vgpr_spill_count: 0
    .wavefront_size: 64
  - .args:
      - .offset:         0
        .size:           4
        .value_kind:     by_value
      - .offset:         8
        .size:           32
        .value_kind:     by_value
    .group_segment_fixed_size: 0
    .kernarg_segment_align: 8
    .kernarg_segment_size: 40
    .language:       OpenCL C
    .language_version:
      - 2
      - 0
    .max_flat_workgroup_size: 128
    .name:           _ZN2at6native32elementwise_kernel_manual_unrollILi128ELi4EZNS0_15gpu_kernel_implINS0_13BUnaryFunctorIaaaZZZNS0_18rshift_kernel_cudaERNS_18TensorIteratorBaseEENKUlvE_clEvENKUlvE0_clEvEUlaaE_EEEEvS5_RKT_EUlibE_EEviT1_
    .private_segment_fixed_size: 0
    .sgpr_count:     54
    .sgpr_spill_count: 0
    .symbol:         _ZN2at6native32elementwise_kernel_manual_unrollILi128ELi4EZNS0_15gpu_kernel_implINS0_13BUnaryFunctorIaaaZZZNS0_18rshift_kernel_cudaERNS_18TensorIteratorBaseEENKUlvE_clEvENKUlvE0_clEvEUlaaE_EEEEvS5_RKT_EUlibE_EEviT1_.kd
    .uniform_work_group_size: 1
    .uses_dynamic_stack: false
    .vgpr_count:     12
    .vgpr_spill_count: 0
    .wavefront_size: 64
  - .args:
      - .offset:         0
        .size:           4
        .value_kind:     by_value
      - .offset:         8
        .size:           352
        .value_kind:     by_value
    .group_segment_fixed_size: 0
    .kernarg_segment_align: 8
    .kernarg_segment_size: 360
    .language:       OpenCL C
    .language_version:
      - 2
      - 0
    .max_flat_workgroup_size: 128
    .name:           _ZN2at6native32elementwise_kernel_manual_unrollILi128ELi4EZNS0_15gpu_kernel_implINS0_13BUnaryFunctorIaaaZZZNS0_18rshift_kernel_cudaERNS_18TensorIteratorBaseEENKUlvE_clEvENKUlvE0_clEvEUlaaE_EEEEvS5_RKT_EUlibE0_EEviT1_
    .private_segment_fixed_size: 0
    .sgpr_count:     85
    .sgpr_spill_count: 0
    .symbol:         _ZN2at6native32elementwise_kernel_manual_unrollILi128ELi4EZNS0_15gpu_kernel_implINS0_13BUnaryFunctorIaaaZZZNS0_18rshift_kernel_cudaERNS_18TensorIteratorBaseEENKUlvE_clEvENKUlvE0_clEvEUlaaE_EEEEvS5_RKT_EUlibE0_EEviT1_.kd
    .uniform_work_group_size: 1
    .uses_dynamic_stack: false
    .vgpr_count:     18
    .vgpr_spill_count: 0
    .wavefront_size: 64
  - .args:
      - .offset:         0
        .size:           4
        .value_kind:     by_value
      - .offset:         4
        .size:           1
        .value_kind:     by_value
      - .offset:         8
        .size:           24
        .value_kind:     by_value
    .group_segment_fixed_size: 0
    .kernarg_segment_align: 8
    .kernarg_segment_size: 32
    .language:       OpenCL C
    .language_version:
      - 2
      - 0
    .max_flat_workgroup_size: 256
    .name:           _ZN2at6native29vectorized_elementwise_kernelILi16ENS0_13BinaryFunctorIaaaZZZNS0_18rshift_kernel_cudaERNS_18TensorIteratorBaseEENKUlvE_clEvENKUlvE0_clEvEUlaaE_EESt5arrayIPcLm3EEEEviT0_T1_
    .private_segment_fixed_size: 0
    .sgpr_count:     43
    .sgpr_spill_count: 0
    .symbol:         _ZN2at6native29vectorized_elementwise_kernelILi16ENS0_13BinaryFunctorIaaaZZZNS0_18rshift_kernel_cudaERNS_18TensorIteratorBaseEENKUlvE_clEvENKUlvE0_clEvEUlaaE_EESt5arrayIPcLm3EEEEviT0_T1_.kd
    .uniform_work_group_size: 1
    .uses_dynamic_stack: false
    .vgpr_count:     39
    .vgpr_spill_count: 0
    .wavefront_size: 64
  - .args:
      - .offset:         0
        .size:           4
        .value_kind:     by_value
      - .offset:         4
        .size:           1
        .value_kind:     by_value
      - .offset:         8
        .size:           24
        .value_kind:     by_value
    .group_segment_fixed_size: 0
    .kernarg_segment_align: 8
    .kernarg_segment_size: 32
    .language:       OpenCL C
    .language_version:
      - 2
      - 0
    .max_flat_workgroup_size: 256
    .name:           _ZN2at6native29vectorized_elementwise_kernelILi8ENS0_13BinaryFunctorIaaaZZZNS0_18rshift_kernel_cudaERNS_18TensorIteratorBaseEENKUlvE_clEvENKUlvE0_clEvEUlaaE_EESt5arrayIPcLm3EEEEviT0_T1_
    .private_segment_fixed_size: 0
    .sgpr_count:     43
    .sgpr_spill_count: 0
    .symbol:         _ZN2at6native29vectorized_elementwise_kernelILi8ENS0_13BinaryFunctorIaaaZZZNS0_18rshift_kernel_cudaERNS_18TensorIteratorBaseEENKUlvE_clEvENKUlvE0_clEvEUlaaE_EESt5arrayIPcLm3EEEEviT0_T1_.kd
    .uniform_work_group_size: 1
    .uses_dynamic_stack: false
    .vgpr_count:     39
    .vgpr_spill_count: 0
    .wavefront_size: 64
  - .args:
      - .offset:         0
        .size:           4
        .value_kind:     by_value
      - .offset:         4
        .size:           1
        .value_kind:     by_value
      - .offset:         8
        .size:           24
        .value_kind:     by_value
    .group_segment_fixed_size: 0
    .kernarg_segment_align: 8
    .kernarg_segment_size: 32
    .language:       OpenCL C
    .language_version:
      - 2
      - 0
    .max_flat_workgroup_size: 256
    .name:           _ZN2at6native29vectorized_elementwise_kernelILi4ENS0_13BinaryFunctorIaaaZZZNS0_18rshift_kernel_cudaERNS_18TensorIteratorBaseEENKUlvE_clEvENKUlvE0_clEvEUlaaE_EESt5arrayIPcLm3EEEEviT0_T1_
    .private_segment_fixed_size: 0
    .sgpr_count:     43
    .sgpr_spill_count: 0
    .symbol:         _ZN2at6native29vectorized_elementwise_kernelILi4ENS0_13BinaryFunctorIaaaZZZNS0_18rshift_kernel_cudaERNS_18TensorIteratorBaseEENKUlvE_clEvENKUlvE0_clEvEUlaaE_EESt5arrayIPcLm3EEEEviT0_T1_.kd
    .uniform_work_group_size: 1
    .uses_dynamic_stack: false
    .vgpr_count:     39
    .vgpr_spill_count: 0
    .wavefront_size: 64
  - .args:
      - .offset:         0
        .size:           4
        .value_kind:     by_value
      - .offset:         4
        .size:           1
        .value_kind:     by_value
      - .offset:         8
        .size:           24
        .value_kind:     by_value
    .group_segment_fixed_size: 0
    .kernarg_segment_align: 8
    .kernarg_segment_size: 32
    .language:       OpenCL C
    .language_version:
      - 2
      - 0
    .max_flat_workgroup_size: 256
    .name:           _ZN2at6native29vectorized_elementwise_kernelILi2ENS0_13BinaryFunctorIaaaZZZNS0_18rshift_kernel_cudaERNS_18TensorIteratorBaseEENKUlvE_clEvENKUlvE0_clEvEUlaaE_EESt5arrayIPcLm3EEEEviT0_T1_
    .private_segment_fixed_size: 0
    .sgpr_count:     43
    .sgpr_spill_count: 0
    .symbol:         _ZN2at6native29vectorized_elementwise_kernelILi2ENS0_13BinaryFunctorIaaaZZZNS0_18rshift_kernel_cudaERNS_18TensorIteratorBaseEENKUlvE_clEvENKUlvE0_clEvEUlaaE_EESt5arrayIPcLm3EEEEviT0_T1_.kd
    .uniform_work_group_size: 1
    .uses_dynamic_stack: false
    .vgpr_count:     39
    .vgpr_spill_count: 0
    .wavefront_size: 64
  - .args:
      - .offset:         0
        .size:           4
        .value_kind:     by_value
      - .offset:         4
        .size:           1
        .value_kind:     by_value
      - .offset:         8
        .size:           24
        .value_kind:     by_value
      - .offset:         32
        .size:           1
        .value_kind:     by_value
      - .offset:         33
        .size:           1
        .value_kind:     by_value
      - .offset:         34
        .size:           1
        .value_kind:     by_value
      - .offset:         35
        .size:           1
        .value_kind:     by_value
    .group_segment_fixed_size: 0
    .kernarg_segment_align: 8
    .kernarg_segment_size: 36
    .language:       OpenCL C
    .language_version:
      - 2
      - 0
    .max_flat_workgroup_size: 256
    .name:           _ZN2at6native27unrolled_elementwise_kernelINS0_13BinaryFunctorIaaaZZZNS0_18rshift_kernel_cudaERNS_18TensorIteratorBaseEENKUlvE_clEvENKUlvE0_clEvEUlaaE_EESt5arrayIPcLm3EELi4E23TrivialOffsetCalculatorILi2EjESC_ILi1EjENS0_6memory15LoadWithoutCastENSF_16StoreWithoutCastEEEviT_T0_T2_T3_T4_T5_
    .private_segment_fixed_size: 0
    .sgpr_count:     22
    .sgpr_spill_count: 0
    .symbol:         _ZN2at6native27unrolled_elementwise_kernelINS0_13BinaryFunctorIaaaZZZNS0_18rshift_kernel_cudaERNS_18TensorIteratorBaseEENKUlvE_clEvENKUlvE0_clEvEUlaaE_EESt5arrayIPcLm3EELi4E23TrivialOffsetCalculatorILi2EjESC_ILi1EjENS0_6memory15LoadWithoutCastENSF_16StoreWithoutCastEEEviT_T0_T2_T3_T4_T5_.kd
    .uniform_work_group_size: 1
    .uses_dynamic_stack: false
    .vgpr_count:     14
    .vgpr_spill_count: 0
    .wavefront_size: 64
  - .args:
      - .offset:         0
        .size:           4
        .value_kind:     by_value
      - .offset:         8
        .size:           424
        .value_kind:     by_value
    .group_segment_fixed_size: 0
    .kernarg_segment_align: 8
    .kernarg_segment_size: 432
    .language:       OpenCL C
    .language_version:
      - 2
      - 0
    .max_flat_workgroup_size: 128
    .name:           _ZN2at6native32elementwise_kernel_manual_unrollILi128ELi8EZNS0_22gpu_kernel_impl_nocastINS0_13BinaryFunctorIaaaZZZNS0_18rshift_kernel_cudaERNS_18TensorIteratorBaseEENKUlvE_clEvENKUlvE0_clEvEUlaaE_EEEEvS5_RKT_EUlibE_EEviT1_
    .private_segment_fixed_size: 0
    .sgpr_count:     54
    .sgpr_spill_count: 0
    .symbol:         _ZN2at6native32elementwise_kernel_manual_unrollILi128ELi8EZNS0_22gpu_kernel_impl_nocastINS0_13BinaryFunctorIaaaZZZNS0_18rshift_kernel_cudaERNS_18TensorIteratorBaseEENKUlvE_clEvENKUlvE0_clEvEUlaaE_EEEEvS5_RKT_EUlibE_EEviT1_.kd
    .uniform_work_group_size: 1
    .uses_dynamic_stack: false
    .vgpr_count:     42
    .vgpr_spill_count: 0
    .wavefront_size: 64
  - .args:
      - .offset:         0
        .size:           4
        .value_kind:     by_value
      - .offset:         8
        .size:           40
        .value_kind:     by_value
    .group_segment_fixed_size: 0
    .kernarg_segment_align: 8
    .kernarg_segment_size: 48
    .language:       OpenCL C
    .language_version:
      - 2
      - 0
    .max_flat_workgroup_size: 128
    .name:           _ZN2at6native32elementwise_kernel_manual_unrollILi128ELi4EZNS0_15gpu_kernel_implINS0_13BinaryFunctorIaaaZZZNS0_18rshift_kernel_cudaERNS_18TensorIteratorBaseEENKUlvE_clEvENKUlvE0_clEvEUlaaE_EEEEvS5_RKT_EUlibE_EEviT1_
    .private_segment_fixed_size: 0
    .sgpr_count:     60
    .sgpr_spill_count: 0
    .symbol:         _ZN2at6native32elementwise_kernel_manual_unrollILi128ELi4EZNS0_15gpu_kernel_implINS0_13BinaryFunctorIaaaZZZNS0_18rshift_kernel_cudaERNS_18TensorIteratorBaseEENKUlvE_clEvENKUlvE0_clEvEUlaaE_EEEEvS5_RKT_EUlibE_EEviT1_.kd
    .uniform_work_group_size: 1
    .uses_dynamic_stack: false
    .vgpr_count:     16
    .vgpr_spill_count: 0
    .wavefront_size: 64
  - .args:
      - .offset:         0
        .size:           4
        .value_kind:     by_value
      - .offset:         8
        .size:           424
        .value_kind:     by_value
    .group_segment_fixed_size: 0
    .kernarg_segment_align: 8
    .kernarg_segment_size: 432
    .language:       OpenCL C
    .language_version:
      - 2
      - 0
    .max_flat_workgroup_size: 128
    .name:           _ZN2at6native32elementwise_kernel_manual_unrollILi128ELi4EZNS0_15gpu_kernel_implINS0_13BinaryFunctorIaaaZZZNS0_18rshift_kernel_cudaERNS_18TensorIteratorBaseEENKUlvE_clEvENKUlvE0_clEvEUlaaE_EEEEvS5_RKT_EUlibE0_EEviT1_
    .private_segment_fixed_size: 0
    .sgpr_count:     84
    .sgpr_spill_count: 0
    .symbol:         _ZN2at6native32elementwise_kernel_manual_unrollILi128ELi4EZNS0_15gpu_kernel_implINS0_13BinaryFunctorIaaaZZZNS0_18rshift_kernel_cudaERNS_18TensorIteratorBaseEENKUlvE_clEvENKUlvE0_clEvEUlaaE_EEEEvS5_RKT_EUlibE0_EEviT1_.kd
    .uniform_work_group_size: 1
    .uses_dynamic_stack: false
    .vgpr_count:     23
    .vgpr_spill_count: 0
    .wavefront_size: 64
  - .args:
      - .offset:         0
        .size:           4
        .value_kind:     by_value
      - .offset:         4
        .size:           8
        .value_kind:     by_value
      - .offset:         16
        .size:           16
        .value_kind:     by_value
    .group_segment_fixed_size: 0
    .kernarg_segment_align: 8
    .kernarg_segment_size: 32
    .language:       OpenCL C
    .language_version:
      - 2
      - 0
    .max_flat_workgroup_size: 256
    .name:           _ZN2at6native29vectorized_elementwise_kernelILi16ENS0_13AUnaryFunctorIiiiZZZNS0_18rshift_kernel_cudaERNS_18TensorIteratorBaseEENKUlvE_clEvENKUlvE1_clEvEUliiE_EESt5arrayIPcLm2EEEEviT0_T1_
    .private_segment_fixed_size: 0
    .sgpr_count:     20
    .sgpr_spill_count: 0
    .symbol:         _ZN2at6native29vectorized_elementwise_kernelILi16ENS0_13AUnaryFunctorIiiiZZZNS0_18rshift_kernel_cudaERNS_18TensorIteratorBaseEENKUlvE_clEvENKUlvE1_clEvEUliiE_EESt5arrayIPcLm2EEEEviT0_T1_.kd
    .uniform_work_group_size: 1
    .uses_dynamic_stack: false
    .vgpr_count:     9
    .vgpr_spill_count: 0
    .wavefront_size: 64
  - .args:
      - .offset:         0
        .size:           4
        .value_kind:     by_value
      - .offset:         4
        .size:           8
        .value_kind:     by_value
      - .offset:         16
        .size:           16
        .value_kind:     by_value
    .group_segment_fixed_size: 0
    .kernarg_segment_align: 8
    .kernarg_segment_size: 32
    .language:       OpenCL C
    .language_version:
      - 2
      - 0
    .max_flat_workgroup_size: 256
    .name:           _ZN2at6native29vectorized_elementwise_kernelILi8ENS0_13AUnaryFunctorIiiiZZZNS0_18rshift_kernel_cudaERNS_18TensorIteratorBaseEENKUlvE_clEvENKUlvE1_clEvEUliiE_EESt5arrayIPcLm2EEEEviT0_T1_
    .private_segment_fixed_size: 0
    .sgpr_count:     20
    .sgpr_spill_count: 0
    .symbol:         _ZN2at6native29vectorized_elementwise_kernelILi8ENS0_13AUnaryFunctorIiiiZZZNS0_18rshift_kernel_cudaERNS_18TensorIteratorBaseEENKUlvE_clEvENKUlvE1_clEvEUliiE_EESt5arrayIPcLm2EEEEviT0_T1_.kd
    .uniform_work_group_size: 1
    .uses_dynamic_stack: false
    .vgpr_count:     9
    .vgpr_spill_count: 0
    .wavefront_size: 64
  - .args:
      - .offset:         0
        .size:           4
        .value_kind:     by_value
      - .offset:         4
        .size:           8
        .value_kind:     by_value
      - .offset:         16
        .size:           16
        .value_kind:     by_value
    .group_segment_fixed_size: 0
    .kernarg_segment_align: 8
    .kernarg_segment_size: 32
    .language:       OpenCL C
    .language_version:
      - 2
      - 0
    .max_flat_workgroup_size: 256
    .name:           _ZN2at6native29vectorized_elementwise_kernelILi4ENS0_13AUnaryFunctorIiiiZZZNS0_18rshift_kernel_cudaERNS_18TensorIteratorBaseEENKUlvE_clEvENKUlvE1_clEvEUliiE_EESt5arrayIPcLm2EEEEviT0_T1_
    .private_segment_fixed_size: 0
    .sgpr_count:     20
    .sgpr_spill_count: 0
    .symbol:         _ZN2at6native29vectorized_elementwise_kernelILi4ENS0_13AUnaryFunctorIiiiZZZNS0_18rshift_kernel_cudaERNS_18TensorIteratorBaseEENKUlvE_clEvENKUlvE1_clEvEUliiE_EESt5arrayIPcLm2EEEEviT0_T1_.kd
    .uniform_work_group_size: 1
    .uses_dynamic_stack: false
    .vgpr_count:     9
    .vgpr_spill_count: 0
    .wavefront_size: 64
  - .args:
      - .offset:         0
        .size:           4
        .value_kind:     by_value
      - .offset:         4
        .size:           8
        .value_kind:     by_value
      - .offset:         16
        .size:           16
        .value_kind:     by_value
    .group_segment_fixed_size: 0
    .kernarg_segment_align: 8
    .kernarg_segment_size: 32
    .language:       OpenCL C
    .language_version:
      - 2
      - 0
    .max_flat_workgroup_size: 256
    .name:           _ZN2at6native29vectorized_elementwise_kernelILi2ENS0_13AUnaryFunctorIiiiZZZNS0_18rshift_kernel_cudaERNS_18TensorIteratorBaseEENKUlvE_clEvENKUlvE1_clEvEUliiE_EESt5arrayIPcLm2EEEEviT0_T1_
    .private_segment_fixed_size: 0
    .sgpr_count:     20
    .sgpr_spill_count: 0
    .symbol:         _ZN2at6native29vectorized_elementwise_kernelILi2ENS0_13AUnaryFunctorIiiiZZZNS0_18rshift_kernel_cudaERNS_18TensorIteratorBaseEENKUlvE_clEvENKUlvE1_clEvEUliiE_EESt5arrayIPcLm2EEEEviT0_T1_.kd
    .uniform_work_group_size: 1
    .uses_dynamic_stack: false
    .vgpr_count:     9
    .vgpr_spill_count: 0
    .wavefront_size: 64
  - .args:
      - .offset:         0
        .size:           4
        .value_kind:     by_value
      - .offset:         4
        .size:           8
        .value_kind:     by_value
      - .offset:         16
        .size:           16
        .value_kind:     by_value
      - .offset:         32
        .size:           1
        .value_kind:     by_value
      - .offset:         33
        .size:           1
        .value_kind:     by_value
      - .offset:         34
        .size:           1
        .value_kind:     by_value
      - .offset:         35
        .size:           1
        .value_kind:     by_value
    .group_segment_fixed_size: 0
    .kernarg_segment_align: 8
    .kernarg_segment_size: 36
    .language:       OpenCL C
    .language_version:
      - 2
      - 0
    .max_flat_workgroup_size: 256
    .name:           _ZN2at6native27unrolled_elementwise_kernelINS0_13AUnaryFunctorIiiiZZZNS0_18rshift_kernel_cudaERNS_18TensorIteratorBaseEENKUlvE_clEvENKUlvE1_clEvEUliiE_EESt5arrayIPcLm2EELi4E23TrivialOffsetCalculatorILi1EjESD_NS0_6memory15LoadWithoutCastENSE_16StoreWithoutCastEEEviT_T0_T2_T3_T4_T5_
    .private_segment_fixed_size: 0
    .sgpr_count:     21
    .sgpr_spill_count: 0
    .symbol:         _ZN2at6native27unrolled_elementwise_kernelINS0_13AUnaryFunctorIiiiZZZNS0_18rshift_kernel_cudaERNS_18TensorIteratorBaseEENKUlvE_clEvENKUlvE1_clEvEUliiE_EESt5arrayIPcLm2EELi4E23TrivialOffsetCalculatorILi1EjESD_NS0_6memory15LoadWithoutCastENSE_16StoreWithoutCastEEEviT_T0_T2_T3_T4_T5_.kd
    .uniform_work_group_size: 1
    .uses_dynamic_stack: false
    .vgpr_count:     9
    .vgpr_spill_count: 0
    .wavefront_size: 64
  - .args:
      - .offset:         0
        .size:           4
        .value_kind:     by_value
      - .offset:         8
        .size:           352
        .value_kind:     by_value
    .group_segment_fixed_size: 0
    .kernarg_segment_align: 8
    .kernarg_segment_size: 360
    .language:       OpenCL C
    .language_version:
      - 2
      - 0
    .max_flat_workgroup_size: 128
    .name:           _ZN2at6native32elementwise_kernel_manual_unrollILi128ELi4EZNS0_22gpu_kernel_impl_nocastINS0_13AUnaryFunctorIiiiZZZNS0_18rshift_kernel_cudaERNS_18TensorIteratorBaseEENKUlvE_clEvENKUlvE1_clEvEUliiE_EEEEvS5_RKT_EUlibE_EEviT1_
    .private_segment_fixed_size: 0
    .sgpr_count:     65
    .sgpr_spill_count: 0
    .symbol:         _ZN2at6native32elementwise_kernel_manual_unrollILi128ELi4EZNS0_22gpu_kernel_impl_nocastINS0_13AUnaryFunctorIiiiZZZNS0_18rshift_kernel_cudaERNS_18TensorIteratorBaseEENKUlvE_clEvENKUlvE1_clEvEUliiE_EEEEvS5_RKT_EUlibE_EEviT1_.kd
    .uniform_work_group_size: 1
    .uses_dynamic_stack: false
    .vgpr_count:     18
    .vgpr_spill_count: 0
    .wavefront_size: 64
  - .args:
      - .offset:         0
        .size:           4
        .value_kind:     by_value
      - .offset:         8
        .size:           40
        .value_kind:     by_value
    .group_segment_fixed_size: 0
    .kernarg_segment_align: 8
    .kernarg_segment_size: 48
    .language:       OpenCL C
    .language_version:
      - 2
      - 0
    .max_flat_workgroup_size: 128
    .name:           _ZN2at6native32elementwise_kernel_manual_unrollILi128ELi4EZNS0_15gpu_kernel_implINS0_13AUnaryFunctorIiiiZZZNS0_18rshift_kernel_cudaERNS_18TensorIteratorBaseEENKUlvE_clEvENKUlvE1_clEvEUliiE_EEEEvS5_RKT_EUlibE_EEviT1_
    .private_segment_fixed_size: 0
    .sgpr_count:     50
    .sgpr_spill_count: 0
    .symbol:         _ZN2at6native32elementwise_kernel_manual_unrollILi128ELi4EZNS0_15gpu_kernel_implINS0_13AUnaryFunctorIiiiZZZNS0_18rshift_kernel_cudaERNS_18TensorIteratorBaseEENKUlvE_clEvENKUlvE1_clEvEUliiE_EEEEvS5_RKT_EUlibE_EEviT1_.kd
    .uniform_work_group_size: 1
    .uses_dynamic_stack: false
    .vgpr_count:     12
    .vgpr_spill_count: 0
    .wavefront_size: 64
  - .args:
      - .offset:         0
        .size:           4
        .value_kind:     by_value
      - .offset:         8
        .size:           360
        .value_kind:     by_value
    .group_segment_fixed_size: 0
    .kernarg_segment_align: 8
    .kernarg_segment_size: 368
    .language:       OpenCL C
    .language_version:
      - 2
      - 0
    .max_flat_workgroup_size: 128
    .name:           _ZN2at6native32elementwise_kernel_manual_unrollILi128ELi4EZNS0_15gpu_kernel_implINS0_13AUnaryFunctorIiiiZZZNS0_18rshift_kernel_cudaERNS_18TensorIteratorBaseEENKUlvE_clEvENKUlvE1_clEvEUliiE_EEEEvS5_RKT_EUlibE0_EEviT1_
    .private_segment_fixed_size: 0
    .sgpr_count:     83
    .sgpr_spill_count: 0
    .symbol:         _ZN2at6native32elementwise_kernel_manual_unrollILi128ELi4EZNS0_15gpu_kernel_implINS0_13AUnaryFunctorIiiiZZZNS0_18rshift_kernel_cudaERNS_18TensorIteratorBaseEENKUlvE_clEvENKUlvE1_clEvEUliiE_EEEEvS5_RKT_EUlibE0_EEviT1_.kd
    .uniform_work_group_size: 1
    .uses_dynamic_stack: false
    .vgpr_count:     18
    .vgpr_spill_count: 0
    .wavefront_size: 64
  - .args:
      - .offset:         0
        .size:           4
        .value_kind:     by_value
      - .offset:         4
        .size:           8
        .value_kind:     by_value
      - .offset:         16
        .size:           16
        .value_kind:     by_value
    .group_segment_fixed_size: 0
    .kernarg_segment_align: 8
    .kernarg_segment_size: 32
    .language:       OpenCL C
    .language_version:
      - 2
      - 0
    .max_flat_workgroup_size: 256
    .name:           _ZN2at6native29vectorized_elementwise_kernelILi16ENS0_13BUnaryFunctorIiiiZZZNS0_18rshift_kernel_cudaERNS_18TensorIteratorBaseEENKUlvE_clEvENKUlvE1_clEvEUliiE_EESt5arrayIPcLm2EEEEviT0_T1_
    .private_segment_fixed_size: 0
    .sgpr_count:     20
    .sgpr_spill_count: 0
    .symbol:         _ZN2at6native29vectorized_elementwise_kernelILi16ENS0_13BUnaryFunctorIiiiZZZNS0_18rshift_kernel_cudaERNS_18TensorIteratorBaseEENKUlvE_clEvENKUlvE1_clEvEUliiE_EESt5arrayIPcLm2EEEEviT0_T1_.kd
    .uniform_work_group_size: 1
    .uses_dynamic_stack: false
    .vgpr_count:     9
    .vgpr_spill_count: 0
    .wavefront_size: 64
  - .args:
      - .offset:         0
        .size:           4
        .value_kind:     by_value
      - .offset:         4
        .size:           8
        .value_kind:     by_value
      - .offset:         16
        .size:           16
        .value_kind:     by_value
    .group_segment_fixed_size: 0
    .kernarg_segment_align: 8
    .kernarg_segment_size: 32
    .language:       OpenCL C
    .language_version:
      - 2
      - 0
    .max_flat_workgroup_size: 256
    .name:           _ZN2at6native29vectorized_elementwise_kernelILi8ENS0_13BUnaryFunctorIiiiZZZNS0_18rshift_kernel_cudaERNS_18TensorIteratorBaseEENKUlvE_clEvENKUlvE1_clEvEUliiE_EESt5arrayIPcLm2EEEEviT0_T1_
    .private_segment_fixed_size: 0
    .sgpr_count:     20
    .sgpr_spill_count: 0
    .symbol:         _ZN2at6native29vectorized_elementwise_kernelILi8ENS0_13BUnaryFunctorIiiiZZZNS0_18rshift_kernel_cudaERNS_18TensorIteratorBaseEENKUlvE_clEvENKUlvE1_clEvEUliiE_EESt5arrayIPcLm2EEEEviT0_T1_.kd
    .uniform_work_group_size: 1
    .uses_dynamic_stack: false
    .vgpr_count:     9
    .vgpr_spill_count: 0
    .wavefront_size: 64
  - .args:
      - .offset:         0
        .size:           4
        .value_kind:     by_value
      - .offset:         4
        .size:           8
        .value_kind:     by_value
      - .offset:         16
        .size:           16
        .value_kind:     by_value
    .group_segment_fixed_size: 0
    .kernarg_segment_align: 8
    .kernarg_segment_size: 32
    .language:       OpenCL C
    .language_version:
      - 2
      - 0
    .max_flat_workgroup_size: 256
    .name:           _ZN2at6native29vectorized_elementwise_kernelILi4ENS0_13BUnaryFunctorIiiiZZZNS0_18rshift_kernel_cudaERNS_18TensorIteratorBaseEENKUlvE_clEvENKUlvE1_clEvEUliiE_EESt5arrayIPcLm2EEEEviT0_T1_
    .private_segment_fixed_size: 0
    .sgpr_count:     20
    .sgpr_spill_count: 0
    .symbol:         _ZN2at6native29vectorized_elementwise_kernelILi4ENS0_13BUnaryFunctorIiiiZZZNS0_18rshift_kernel_cudaERNS_18TensorIteratorBaseEENKUlvE_clEvENKUlvE1_clEvEUliiE_EESt5arrayIPcLm2EEEEviT0_T1_.kd
    .uniform_work_group_size: 1
    .uses_dynamic_stack: false
    .vgpr_count:     9
    .vgpr_spill_count: 0
    .wavefront_size: 64
  - .args:
      - .offset:         0
        .size:           4
        .value_kind:     by_value
      - .offset:         4
        .size:           8
        .value_kind:     by_value
      - .offset:         16
        .size:           16
        .value_kind:     by_value
    .group_segment_fixed_size: 0
    .kernarg_segment_align: 8
    .kernarg_segment_size: 32
    .language:       OpenCL C
    .language_version:
      - 2
      - 0
    .max_flat_workgroup_size: 256
    .name:           _ZN2at6native29vectorized_elementwise_kernelILi2ENS0_13BUnaryFunctorIiiiZZZNS0_18rshift_kernel_cudaERNS_18TensorIteratorBaseEENKUlvE_clEvENKUlvE1_clEvEUliiE_EESt5arrayIPcLm2EEEEviT0_T1_
    .private_segment_fixed_size: 0
    .sgpr_count:     20
    .sgpr_spill_count: 0
    .symbol:         _ZN2at6native29vectorized_elementwise_kernelILi2ENS0_13BUnaryFunctorIiiiZZZNS0_18rshift_kernel_cudaERNS_18TensorIteratorBaseEENKUlvE_clEvENKUlvE1_clEvEUliiE_EESt5arrayIPcLm2EEEEviT0_T1_.kd
    .uniform_work_group_size: 1
    .uses_dynamic_stack: false
    .vgpr_count:     9
    .vgpr_spill_count: 0
    .wavefront_size: 64
  - .args:
      - .offset:         0
        .size:           4
        .value_kind:     by_value
      - .offset:         4
        .size:           8
        .value_kind:     by_value
      - .offset:         16
        .size:           16
        .value_kind:     by_value
      - .offset:         32
        .size:           1
        .value_kind:     by_value
      - .offset:         33
        .size:           1
        .value_kind:     by_value
      - .offset:         34
        .size:           1
        .value_kind:     by_value
      - .offset:         35
        .size:           1
        .value_kind:     by_value
    .group_segment_fixed_size: 0
    .kernarg_segment_align: 8
    .kernarg_segment_size: 36
    .language:       OpenCL C
    .language_version:
      - 2
      - 0
    .max_flat_workgroup_size: 256
    .name:           _ZN2at6native27unrolled_elementwise_kernelINS0_13BUnaryFunctorIiiiZZZNS0_18rshift_kernel_cudaERNS_18TensorIteratorBaseEENKUlvE_clEvENKUlvE1_clEvEUliiE_EESt5arrayIPcLm2EELi4E23TrivialOffsetCalculatorILi1EjESD_NS0_6memory15LoadWithoutCastENSE_16StoreWithoutCastEEEviT_T0_T2_T3_T4_T5_
    .private_segment_fixed_size: 0
    .sgpr_count:     21
    .sgpr_spill_count: 0
    .symbol:         _ZN2at6native27unrolled_elementwise_kernelINS0_13BUnaryFunctorIiiiZZZNS0_18rshift_kernel_cudaERNS_18TensorIteratorBaseEENKUlvE_clEvENKUlvE1_clEvEUliiE_EESt5arrayIPcLm2EELi4E23TrivialOffsetCalculatorILi1EjESD_NS0_6memory15LoadWithoutCastENSE_16StoreWithoutCastEEEviT_T0_T2_T3_T4_T5_.kd
    .uniform_work_group_size: 1
    .uses_dynamic_stack: false
    .vgpr_count:     9
    .vgpr_spill_count: 0
    .wavefront_size: 64
  - .args:
      - .offset:         0
        .size:           4
        .value_kind:     by_value
      - .offset:         8
        .size:           352
        .value_kind:     by_value
    .group_segment_fixed_size: 0
    .kernarg_segment_align: 8
    .kernarg_segment_size: 360
    .language:       OpenCL C
    .language_version:
      - 2
      - 0
    .max_flat_workgroup_size: 128
    .name:           _ZN2at6native32elementwise_kernel_manual_unrollILi128ELi4EZNS0_22gpu_kernel_impl_nocastINS0_13BUnaryFunctorIiiiZZZNS0_18rshift_kernel_cudaERNS_18TensorIteratorBaseEENKUlvE_clEvENKUlvE1_clEvEUliiE_EEEEvS5_RKT_EUlibE_EEviT1_
    .private_segment_fixed_size: 0
    .sgpr_count:     65
    .sgpr_spill_count: 0
    .symbol:         _ZN2at6native32elementwise_kernel_manual_unrollILi128ELi4EZNS0_22gpu_kernel_impl_nocastINS0_13BUnaryFunctorIiiiZZZNS0_18rshift_kernel_cudaERNS_18TensorIteratorBaseEENKUlvE_clEvENKUlvE1_clEvEUliiE_EEEEvS5_RKT_EUlibE_EEviT1_.kd
    .uniform_work_group_size: 1
    .uses_dynamic_stack: false
    .vgpr_count:     18
    .vgpr_spill_count: 0
    .wavefront_size: 64
  - .args:
      - .offset:         0
        .size:           4
        .value_kind:     by_value
      - .offset:         8
        .size:           40
        .value_kind:     by_value
    .group_segment_fixed_size: 0
    .kernarg_segment_align: 8
    .kernarg_segment_size: 48
    .language:       OpenCL C
    .language_version:
      - 2
      - 0
    .max_flat_workgroup_size: 128
    .name:           _ZN2at6native32elementwise_kernel_manual_unrollILi128ELi4EZNS0_15gpu_kernel_implINS0_13BUnaryFunctorIiiiZZZNS0_18rshift_kernel_cudaERNS_18TensorIteratorBaseEENKUlvE_clEvENKUlvE1_clEvEUliiE_EEEEvS5_RKT_EUlibE_EEviT1_
    .private_segment_fixed_size: 0
    .sgpr_count:     52
    .sgpr_spill_count: 0
    .symbol:         _ZN2at6native32elementwise_kernel_manual_unrollILi128ELi4EZNS0_15gpu_kernel_implINS0_13BUnaryFunctorIiiiZZZNS0_18rshift_kernel_cudaERNS_18TensorIteratorBaseEENKUlvE_clEvENKUlvE1_clEvEUliiE_EEEEvS5_RKT_EUlibE_EEviT1_.kd
    .uniform_work_group_size: 1
    .uses_dynamic_stack: false
    .vgpr_count:     12
    .vgpr_spill_count: 0
    .wavefront_size: 64
  - .args:
      - .offset:         0
        .size:           4
        .value_kind:     by_value
      - .offset:         8
        .size:           360
        .value_kind:     by_value
    .group_segment_fixed_size: 0
    .kernarg_segment_align: 8
    .kernarg_segment_size: 368
    .language:       OpenCL C
    .language_version:
      - 2
      - 0
    .max_flat_workgroup_size: 128
    .name:           _ZN2at6native32elementwise_kernel_manual_unrollILi128ELi4EZNS0_15gpu_kernel_implINS0_13BUnaryFunctorIiiiZZZNS0_18rshift_kernel_cudaERNS_18TensorIteratorBaseEENKUlvE_clEvENKUlvE1_clEvEUliiE_EEEEvS5_RKT_EUlibE0_EEviT1_
    .private_segment_fixed_size: 0
    .sgpr_count:     83
    .sgpr_spill_count: 0
    .symbol:         _ZN2at6native32elementwise_kernel_manual_unrollILi128ELi4EZNS0_15gpu_kernel_implINS0_13BUnaryFunctorIiiiZZZNS0_18rshift_kernel_cudaERNS_18TensorIteratorBaseEENKUlvE_clEvENKUlvE1_clEvEUliiE_EEEEvS5_RKT_EUlibE0_EEviT1_.kd
    .uniform_work_group_size: 1
    .uses_dynamic_stack: false
    .vgpr_count:     18
    .vgpr_spill_count: 0
    .wavefront_size: 64
  - .args:
      - .offset:         0
        .size:           4
        .value_kind:     by_value
      - .offset:         4
        .size:           1
        .value_kind:     by_value
      - .offset:         8
        .size:           24
        .value_kind:     by_value
    .group_segment_fixed_size: 0
    .kernarg_segment_align: 8
    .kernarg_segment_size: 32
    .language:       OpenCL C
    .language_version:
      - 2
      - 0
    .max_flat_workgroup_size: 256
    .name:           _ZN2at6native29vectorized_elementwise_kernelILi16ENS0_13BinaryFunctorIiiiZZZNS0_18rshift_kernel_cudaERNS_18TensorIteratorBaseEENKUlvE_clEvENKUlvE1_clEvEUliiE_EESt5arrayIPcLm3EEEEviT0_T1_
    .private_segment_fixed_size: 0
    .sgpr_count:     19
    .sgpr_spill_count: 0
    .symbol:         _ZN2at6native29vectorized_elementwise_kernelILi16ENS0_13BinaryFunctorIiiiZZZNS0_18rshift_kernel_cudaERNS_18TensorIteratorBaseEENKUlvE_clEvENKUlvE1_clEvEUliiE_EESt5arrayIPcLm3EEEEviT0_T1_.kd
    .uniform_work_group_size: 1
    .uses_dynamic_stack: false
    .vgpr_count:     15
    .vgpr_spill_count: 0
    .wavefront_size: 64
  - .args:
      - .offset:         0
        .size:           4
        .value_kind:     by_value
      - .offset:         4
        .size:           1
        .value_kind:     by_value
      - .offset:         8
        .size:           24
        .value_kind:     by_value
    .group_segment_fixed_size: 0
    .kernarg_segment_align: 8
    .kernarg_segment_size: 32
    .language:       OpenCL C
    .language_version:
      - 2
      - 0
    .max_flat_workgroup_size: 256
    .name:           _ZN2at6native29vectorized_elementwise_kernelILi8ENS0_13BinaryFunctorIiiiZZZNS0_18rshift_kernel_cudaERNS_18TensorIteratorBaseEENKUlvE_clEvENKUlvE1_clEvEUliiE_EESt5arrayIPcLm3EEEEviT0_T1_
    .private_segment_fixed_size: 0
    .sgpr_count:     19
    .sgpr_spill_count: 0
    .symbol:         _ZN2at6native29vectorized_elementwise_kernelILi8ENS0_13BinaryFunctorIiiiZZZNS0_18rshift_kernel_cudaERNS_18TensorIteratorBaseEENKUlvE_clEvENKUlvE1_clEvEUliiE_EESt5arrayIPcLm3EEEEviT0_T1_.kd
    .uniform_work_group_size: 1
    .uses_dynamic_stack: false
    .vgpr_count:     15
    .vgpr_spill_count: 0
    .wavefront_size: 64
  - .args:
      - .offset:         0
        .size:           4
        .value_kind:     by_value
      - .offset:         4
        .size:           1
        .value_kind:     by_value
      - .offset:         8
        .size:           24
        .value_kind:     by_value
    .group_segment_fixed_size: 0
    .kernarg_segment_align: 8
    .kernarg_segment_size: 32
    .language:       OpenCL C
    .language_version:
      - 2
      - 0
    .max_flat_workgroup_size: 256
    .name:           _ZN2at6native29vectorized_elementwise_kernelILi4ENS0_13BinaryFunctorIiiiZZZNS0_18rshift_kernel_cudaERNS_18TensorIteratorBaseEENKUlvE_clEvENKUlvE1_clEvEUliiE_EESt5arrayIPcLm3EEEEviT0_T1_
    .private_segment_fixed_size: 0
    .sgpr_count:     19
    .sgpr_spill_count: 0
    .symbol:         _ZN2at6native29vectorized_elementwise_kernelILi4ENS0_13BinaryFunctorIiiiZZZNS0_18rshift_kernel_cudaERNS_18TensorIteratorBaseEENKUlvE_clEvENKUlvE1_clEvEUliiE_EESt5arrayIPcLm3EEEEviT0_T1_.kd
    .uniform_work_group_size: 1
    .uses_dynamic_stack: false
    .vgpr_count:     15
    .vgpr_spill_count: 0
    .wavefront_size: 64
  - .args:
      - .offset:         0
        .size:           4
        .value_kind:     by_value
      - .offset:         4
        .size:           1
        .value_kind:     by_value
      - .offset:         8
        .size:           24
        .value_kind:     by_value
    .group_segment_fixed_size: 0
    .kernarg_segment_align: 8
    .kernarg_segment_size: 32
    .language:       OpenCL C
    .language_version:
      - 2
      - 0
    .max_flat_workgroup_size: 256
    .name:           _ZN2at6native29vectorized_elementwise_kernelILi2ENS0_13BinaryFunctorIiiiZZZNS0_18rshift_kernel_cudaERNS_18TensorIteratorBaseEENKUlvE_clEvENKUlvE1_clEvEUliiE_EESt5arrayIPcLm3EEEEviT0_T1_
    .private_segment_fixed_size: 0
    .sgpr_count:     19
    .sgpr_spill_count: 0
    .symbol:         _ZN2at6native29vectorized_elementwise_kernelILi2ENS0_13BinaryFunctorIiiiZZZNS0_18rshift_kernel_cudaERNS_18TensorIteratorBaseEENKUlvE_clEvENKUlvE1_clEvEUliiE_EESt5arrayIPcLm3EEEEviT0_T1_.kd
    .uniform_work_group_size: 1
    .uses_dynamic_stack: false
    .vgpr_count:     15
    .vgpr_spill_count: 0
    .wavefront_size: 64
  - .args:
      - .offset:         0
        .size:           4
        .value_kind:     by_value
      - .offset:         4
        .size:           1
        .value_kind:     by_value
      - .offset:         8
        .size:           24
        .value_kind:     by_value
      - .offset:         32
        .size:           1
        .value_kind:     by_value
      - .offset:         33
        .size:           1
        .value_kind:     by_value
      - .offset:         34
        .size:           1
        .value_kind:     by_value
      - .offset:         35
        .size:           1
        .value_kind:     by_value
    .group_segment_fixed_size: 0
    .kernarg_segment_align: 8
    .kernarg_segment_size: 36
    .language:       OpenCL C
    .language_version:
      - 2
      - 0
    .max_flat_workgroup_size: 256
    .name:           _ZN2at6native27unrolled_elementwise_kernelINS0_13BinaryFunctorIiiiZZZNS0_18rshift_kernel_cudaERNS_18TensorIteratorBaseEENKUlvE_clEvENKUlvE1_clEvEUliiE_EESt5arrayIPcLm3EELi4E23TrivialOffsetCalculatorILi2EjESC_ILi1EjENS0_6memory15LoadWithoutCastENSF_16StoreWithoutCastEEEviT_T0_T2_T3_T4_T5_
    .private_segment_fixed_size: 0
    .sgpr_count:     22
    .sgpr_spill_count: 0
    .symbol:         _ZN2at6native27unrolled_elementwise_kernelINS0_13BinaryFunctorIiiiZZZNS0_18rshift_kernel_cudaERNS_18TensorIteratorBaseEENKUlvE_clEvENKUlvE1_clEvEUliiE_EESt5arrayIPcLm3EELi4E23TrivialOffsetCalculatorILi2EjESC_ILi1EjENS0_6memory15LoadWithoutCastENSF_16StoreWithoutCastEEEviT_T0_T2_T3_T4_T5_.kd
    .uniform_work_group_size: 1
    .uses_dynamic_stack: false
    .vgpr_count:     16
    .vgpr_spill_count: 0
    .wavefront_size: 64
  - .args:
      - .offset:         0
        .size:           4
        .value_kind:     by_value
      - .offset:         8
        .size:           424
        .value_kind:     by_value
    .group_segment_fixed_size: 0
    .kernarg_segment_align: 8
    .kernarg_segment_size: 432
    .language:       OpenCL C
    .language_version:
      - 2
      - 0
    .max_flat_workgroup_size: 128
    .name:           _ZN2at6native32elementwise_kernel_manual_unrollILi128ELi4EZNS0_22gpu_kernel_impl_nocastINS0_13BinaryFunctorIiiiZZZNS0_18rshift_kernel_cudaERNS_18TensorIteratorBaseEENKUlvE_clEvENKUlvE1_clEvEUliiE_EEEEvS5_RKT_EUlibE_EEviT1_
    .private_segment_fixed_size: 0
    .sgpr_count:     54
    .sgpr_spill_count: 0
    .symbol:         _ZN2at6native32elementwise_kernel_manual_unrollILi128ELi4EZNS0_22gpu_kernel_impl_nocastINS0_13BinaryFunctorIiiiZZZNS0_18rshift_kernel_cudaERNS_18TensorIteratorBaseEENKUlvE_clEvENKUlvE1_clEvEUliiE_EEEEvS5_RKT_EUlibE_EEviT1_.kd
    .uniform_work_group_size: 1
    .uses_dynamic_stack: false
    .vgpr_count:     22
    .vgpr_spill_count: 0
    .wavefront_size: 64
  - .args:
      - .offset:         0
        .size:           4
        .value_kind:     by_value
      - .offset:         8
        .size:           40
        .value_kind:     by_value
    .group_segment_fixed_size: 0
    .kernarg_segment_align: 8
    .kernarg_segment_size: 48
    .language:       OpenCL C
    .language_version:
      - 2
      - 0
    .max_flat_workgroup_size: 128
    .name:           _ZN2at6native32elementwise_kernel_manual_unrollILi128ELi4EZNS0_15gpu_kernel_implINS0_13BinaryFunctorIiiiZZZNS0_18rshift_kernel_cudaERNS_18TensorIteratorBaseEENKUlvE_clEvENKUlvE1_clEvEUliiE_EEEEvS5_RKT_EUlibE_EEviT1_
    .private_segment_fixed_size: 0
    .sgpr_count:     60
    .sgpr_spill_count: 0
    .symbol:         _ZN2at6native32elementwise_kernel_manual_unrollILi128ELi4EZNS0_15gpu_kernel_implINS0_13BinaryFunctorIiiiZZZNS0_18rshift_kernel_cudaERNS_18TensorIteratorBaseEENKUlvE_clEvENKUlvE1_clEvEUliiE_EEEEvS5_RKT_EUlibE_EEviT1_.kd
    .uniform_work_group_size: 1
    .uses_dynamic_stack: false
    .vgpr_count:     16
    .vgpr_spill_count: 0
    .wavefront_size: 64
  - .args:
      - .offset:         0
        .size:           4
        .value_kind:     by_value
      - .offset:         8
        .size:           424
        .value_kind:     by_value
    .group_segment_fixed_size: 0
    .kernarg_segment_align: 8
    .kernarg_segment_size: 432
    .language:       OpenCL C
    .language_version:
      - 2
      - 0
    .max_flat_workgroup_size: 128
    .name:           _ZN2at6native32elementwise_kernel_manual_unrollILi128ELi4EZNS0_15gpu_kernel_implINS0_13BinaryFunctorIiiiZZZNS0_18rshift_kernel_cudaERNS_18TensorIteratorBaseEENKUlvE_clEvENKUlvE1_clEvEUliiE_EEEEvS5_RKT_EUlibE0_EEviT1_
    .private_segment_fixed_size: 0
    .sgpr_count:     84
    .sgpr_spill_count: 0
    .symbol:         _ZN2at6native32elementwise_kernel_manual_unrollILi128ELi4EZNS0_15gpu_kernel_implINS0_13BinaryFunctorIiiiZZZNS0_18rshift_kernel_cudaERNS_18TensorIteratorBaseEENKUlvE_clEvENKUlvE1_clEvEUliiE_EEEEvS5_RKT_EUlibE0_EEviT1_.kd
    .uniform_work_group_size: 1
    .uses_dynamic_stack: false
    .vgpr_count:     24
    .vgpr_spill_count: 0
    .wavefront_size: 64
  - .args:
      - .offset:         0
        .size:           4
        .value_kind:     by_value
      - .offset:         8
        .size:           16
        .value_kind:     by_value
      - .offset:         24
        .size:           16
        .value_kind:     by_value
    .group_segment_fixed_size: 0
    .kernarg_segment_align: 8
    .kernarg_segment_size: 40
    .language:       OpenCL C
    .language_version:
      - 2
      - 0
    .max_flat_workgroup_size: 256
    .name:           _ZN2at6native29vectorized_elementwise_kernelILi16ENS0_13AUnaryFunctorIlllZZZNS0_18rshift_kernel_cudaERNS_18TensorIteratorBaseEENKUlvE_clEvENKUlvE2_clEvEUlllE_EESt5arrayIPcLm2EEEEviT0_T1_
    .private_segment_fixed_size: 0
    .sgpr_count:     18
    .sgpr_spill_count: 0
    .symbol:         _ZN2at6native29vectorized_elementwise_kernelILi16ENS0_13AUnaryFunctorIlllZZZNS0_18rshift_kernel_cudaERNS_18TensorIteratorBaseEENKUlvE_clEvENKUlvE2_clEvEUlllE_EESt5arrayIPcLm2EEEEviT0_T1_.kd
    .uniform_work_group_size: 1
    .uses_dynamic_stack: false
    .vgpr_count:     13
    .vgpr_spill_count: 0
    .wavefront_size: 64
  - .args:
      - .offset:         0
        .size:           4
        .value_kind:     by_value
      - .offset:         8
        .size:           16
        .value_kind:     by_value
      - .offset:         24
        .size:           16
        .value_kind:     by_value
    .group_segment_fixed_size: 0
    .kernarg_segment_align: 8
    .kernarg_segment_size: 40
    .language:       OpenCL C
    .language_version:
      - 2
      - 0
    .max_flat_workgroup_size: 256
    .name:           _ZN2at6native29vectorized_elementwise_kernelILi8ENS0_13AUnaryFunctorIlllZZZNS0_18rshift_kernel_cudaERNS_18TensorIteratorBaseEENKUlvE_clEvENKUlvE2_clEvEUlllE_EESt5arrayIPcLm2EEEEviT0_T1_
    .private_segment_fixed_size: 0
    .sgpr_count:     18
    .sgpr_spill_count: 0
    .symbol:         _ZN2at6native29vectorized_elementwise_kernelILi8ENS0_13AUnaryFunctorIlllZZZNS0_18rshift_kernel_cudaERNS_18TensorIteratorBaseEENKUlvE_clEvENKUlvE2_clEvEUlllE_EESt5arrayIPcLm2EEEEviT0_T1_.kd
    .uniform_work_group_size: 1
    .uses_dynamic_stack: false
    .vgpr_count:     13
    .vgpr_spill_count: 0
    .wavefront_size: 64
  - .args:
      - .offset:         0
        .size:           4
        .value_kind:     by_value
      - .offset:         8
        .size:           16
        .value_kind:     by_value
      - .offset:         24
        .size:           16
        .value_kind:     by_value
    .group_segment_fixed_size: 0
    .kernarg_segment_align: 8
    .kernarg_segment_size: 40
    .language:       OpenCL C
    .language_version:
      - 2
      - 0
    .max_flat_workgroup_size: 256
    .name:           _ZN2at6native29vectorized_elementwise_kernelILi4ENS0_13AUnaryFunctorIlllZZZNS0_18rshift_kernel_cudaERNS_18TensorIteratorBaseEENKUlvE_clEvENKUlvE2_clEvEUlllE_EESt5arrayIPcLm2EEEEviT0_T1_
    .private_segment_fixed_size: 0
    .sgpr_count:     18
    .sgpr_spill_count: 0
    .symbol:         _ZN2at6native29vectorized_elementwise_kernelILi4ENS0_13AUnaryFunctorIlllZZZNS0_18rshift_kernel_cudaERNS_18TensorIteratorBaseEENKUlvE_clEvENKUlvE2_clEvEUlllE_EESt5arrayIPcLm2EEEEviT0_T1_.kd
    .uniform_work_group_size: 1
    .uses_dynamic_stack: false
    .vgpr_count:     13
    .vgpr_spill_count: 0
    .wavefront_size: 64
  - .args:
      - .offset:         0
        .size:           4
        .value_kind:     by_value
      - .offset:         8
        .size:           16
        .value_kind:     by_value
      - .offset:         24
        .size:           16
        .value_kind:     by_value
    .group_segment_fixed_size: 0
    .kernarg_segment_align: 8
    .kernarg_segment_size: 40
    .language:       OpenCL C
    .language_version:
      - 2
      - 0
    .max_flat_workgroup_size: 256
    .name:           _ZN2at6native29vectorized_elementwise_kernelILi2ENS0_13AUnaryFunctorIlllZZZNS0_18rshift_kernel_cudaERNS_18TensorIteratorBaseEENKUlvE_clEvENKUlvE2_clEvEUlllE_EESt5arrayIPcLm2EEEEviT0_T1_
    .private_segment_fixed_size: 0
    .sgpr_count:     18
    .sgpr_spill_count: 0
    .symbol:         _ZN2at6native29vectorized_elementwise_kernelILi2ENS0_13AUnaryFunctorIlllZZZNS0_18rshift_kernel_cudaERNS_18TensorIteratorBaseEENKUlvE_clEvENKUlvE2_clEvEUlllE_EESt5arrayIPcLm2EEEEviT0_T1_.kd
    .uniform_work_group_size: 1
    .uses_dynamic_stack: false
    .vgpr_count:     13
    .vgpr_spill_count: 0
    .wavefront_size: 64
  - .args:
      - .offset:         0
        .size:           4
        .value_kind:     by_value
      - .offset:         8
        .size:           16
        .value_kind:     by_value
      - .offset:         24
        .size:           16
        .value_kind:     by_value
      - .offset:         40
        .size:           1
        .value_kind:     by_value
      - .offset:         41
        .size:           1
        .value_kind:     by_value
      - .offset:         42
        .size:           1
        .value_kind:     by_value
      - .offset:         43
        .size:           1
        .value_kind:     by_value
    .group_segment_fixed_size: 0
    .kernarg_segment_align: 8
    .kernarg_segment_size: 44
    .language:       OpenCL C
    .language_version:
      - 2
      - 0
    .max_flat_workgroup_size: 256
    .name:           _ZN2at6native27unrolled_elementwise_kernelINS0_13AUnaryFunctorIlllZZZNS0_18rshift_kernel_cudaERNS_18TensorIteratorBaseEENKUlvE_clEvENKUlvE2_clEvEUlllE_EESt5arrayIPcLm2EELi4E23TrivialOffsetCalculatorILi1EjESD_NS0_6memory15LoadWithoutCastENSE_16StoreWithoutCastEEEviT_T0_T2_T3_T4_T5_
    .private_segment_fixed_size: 0
    .sgpr_count:     18
    .sgpr_spill_count: 0
    .symbol:         _ZN2at6native27unrolled_elementwise_kernelINS0_13AUnaryFunctorIlllZZZNS0_18rshift_kernel_cudaERNS_18TensorIteratorBaseEENKUlvE_clEvENKUlvE2_clEvEUlllE_EESt5arrayIPcLm2EELi4E23TrivialOffsetCalculatorILi1EjESD_NS0_6memory15LoadWithoutCastENSE_16StoreWithoutCastEEEviT_T0_T2_T3_T4_T5_.kd
    .uniform_work_group_size: 1
    .uses_dynamic_stack: false
    .vgpr_count:     13
    .vgpr_spill_count: 0
    .wavefront_size: 64
  - .args:
      - .offset:         0
        .size:           4
        .value_kind:     by_value
      - .offset:         8
        .size:           360
        .value_kind:     by_value
    .group_segment_fixed_size: 0
    .kernarg_segment_align: 8
    .kernarg_segment_size: 368
    .language:       OpenCL C
    .language_version:
      - 2
      - 0
    .max_flat_workgroup_size: 128
    .name:           _ZN2at6native32elementwise_kernel_manual_unrollILi128ELi4EZNS0_22gpu_kernel_impl_nocastINS0_13AUnaryFunctorIlllZZZNS0_18rshift_kernel_cudaERNS_18TensorIteratorBaseEENKUlvE_clEvENKUlvE2_clEvEUlllE_EEEEvS5_RKT_EUlibE_EEviT1_
    .private_segment_fixed_size: 0
    .sgpr_count:     66
    .sgpr_spill_count: 0
    .symbol:         _ZN2at6native32elementwise_kernel_manual_unrollILi128ELi4EZNS0_22gpu_kernel_impl_nocastINS0_13AUnaryFunctorIlllZZZNS0_18rshift_kernel_cudaERNS_18TensorIteratorBaseEENKUlvE_clEvENKUlvE2_clEvEUlllE_EEEEvS5_RKT_EUlibE_EEviT1_.kd
    .uniform_work_group_size: 1
    .uses_dynamic_stack: false
    .vgpr_count:     20
    .vgpr_spill_count: 0
    .wavefront_size: 64
  - .args:
      - .offset:         0
        .size:           4
        .value_kind:     by_value
      - .offset:         8
        .size:           48
        .value_kind:     by_value
    .group_segment_fixed_size: 0
    .kernarg_segment_align: 8
    .kernarg_segment_size: 56
    .language:       OpenCL C
    .language_version:
      - 2
      - 0
    .max_flat_workgroup_size: 128
    .name:           _ZN2at6native32elementwise_kernel_manual_unrollILi128ELi4EZNS0_15gpu_kernel_implINS0_13AUnaryFunctorIlllZZZNS0_18rshift_kernel_cudaERNS_18TensorIteratorBaseEENKUlvE_clEvENKUlvE2_clEvEUlllE_EEEEvS5_RKT_EUlibE_EEviT1_
    .private_segment_fixed_size: 0
    .sgpr_count:     52
    .sgpr_spill_count: 0
    .symbol:         _ZN2at6native32elementwise_kernel_manual_unrollILi128ELi4EZNS0_15gpu_kernel_implINS0_13AUnaryFunctorIlllZZZNS0_18rshift_kernel_cudaERNS_18TensorIteratorBaseEENKUlvE_clEvENKUlvE2_clEvEUlllE_EEEEvS5_RKT_EUlibE_EEviT1_.kd
    .uniform_work_group_size: 1
    .uses_dynamic_stack: false
    .vgpr_count:     15
    .vgpr_spill_count: 0
    .wavefront_size: 64
  - .args:
      - .offset:         0
        .size:           4
        .value_kind:     by_value
      - .offset:         8
        .size:           368
        .value_kind:     by_value
    .group_segment_fixed_size: 0
    .kernarg_segment_align: 8
    .kernarg_segment_size: 376
    .language:       OpenCL C
    .language_version:
      - 2
      - 0
    .max_flat_workgroup_size: 128
    .name:           _ZN2at6native32elementwise_kernel_manual_unrollILi128ELi4EZNS0_15gpu_kernel_implINS0_13AUnaryFunctorIlllZZZNS0_18rshift_kernel_cudaERNS_18TensorIteratorBaseEENKUlvE_clEvENKUlvE2_clEvEUlllE_EEEEvS5_RKT_EUlibE0_EEviT1_
    .private_segment_fixed_size: 0
    .sgpr_count:     84
    .sgpr_spill_count: 0
    .symbol:         _ZN2at6native32elementwise_kernel_manual_unrollILi128ELi4EZNS0_15gpu_kernel_implINS0_13AUnaryFunctorIlllZZZNS0_18rshift_kernel_cudaERNS_18TensorIteratorBaseEENKUlvE_clEvENKUlvE2_clEvEUlllE_EEEEvS5_RKT_EUlibE0_EEviT1_.kd
    .uniform_work_group_size: 1
    .uses_dynamic_stack: false
    .vgpr_count:     21
    .vgpr_spill_count: 0
    .wavefront_size: 64
  - .args:
      - .offset:         0
        .size:           4
        .value_kind:     by_value
      - .offset:         8
        .size:           16
        .value_kind:     by_value
      - .offset:         24
        .size:           16
        .value_kind:     by_value
    .group_segment_fixed_size: 0
    .kernarg_segment_align: 8
    .kernarg_segment_size: 40
    .language:       OpenCL C
    .language_version:
      - 2
      - 0
    .max_flat_workgroup_size: 256
    .name:           _ZN2at6native29vectorized_elementwise_kernelILi16ENS0_13BUnaryFunctorIlllZZZNS0_18rshift_kernel_cudaERNS_18TensorIteratorBaseEENKUlvE_clEvENKUlvE2_clEvEUlllE_EESt5arrayIPcLm2EEEEviT0_T1_
    .private_segment_fixed_size: 0
    .sgpr_count:     19
    .sgpr_spill_count: 0
    .symbol:         _ZN2at6native29vectorized_elementwise_kernelILi16ENS0_13BUnaryFunctorIlllZZZNS0_18rshift_kernel_cudaERNS_18TensorIteratorBaseEENKUlvE_clEvENKUlvE2_clEvEUlllE_EESt5arrayIPcLm2EEEEviT0_T1_.kd
    .uniform_work_group_size: 1
    .uses_dynamic_stack: false
    .vgpr_count:     16
    .vgpr_spill_count: 0
    .wavefront_size: 64
  - .args:
      - .offset:         0
        .size:           4
        .value_kind:     by_value
      - .offset:         8
        .size:           16
        .value_kind:     by_value
      - .offset:         24
        .size:           16
        .value_kind:     by_value
    .group_segment_fixed_size: 0
    .kernarg_segment_align: 8
    .kernarg_segment_size: 40
    .language:       OpenCL C
    .language_version:
      - 2
      - 0
    .max_flat_workgroup_size: 256
    .name:           _ZN2at6native29vectorized_elementwise_kernelILi8ENS0_13BUnaryFunctorIlllZZZNS0_18rshift_kernel_cudaERNS_18TensorIteratorBaseEENKUlvE_clEvENKUlvE2_clEvEUlllE_EESt5arrayIPcLm2EEEEviT0_T1_
    .private_segment_fixed_size: 0
    .sgpr_count:     19
    .sgpr_spill_count: 0
    .symbol:         _ZN2at6native29vectorized_elementwise_kernelILi8ENS0_13BUnaryFunctorIlllZZZNS0_18rshift_kernel_cudaERNS_18TensorIteratorBaseEENKUlvE_clEvENKUlvE2_clEvEUlllE_EESt5arrayIPcLm2EEEEviT0_T1_.kd
    .uniform_work_group_size: 1
    .uses_dynamic_stack: false
    .vgpr_count:     16
    .vgpr_spill_count: 0
    .wavefront_size: 64
  - .args:
      - .offset:         0
        .size:           4
        .value_kind:     by_value
      - .offset:         8
        .size:           16
        .value_kind:     by_value
      - .offset:         24
        .size:           16
        .value_kind:     by_value
    .group_segment_fixed_size: 0
    .kernarg_segment_align: 8
    .kernarg_segment_size: 40
    .language:       OpenCL C
    .language_version:
      - 2
      - 0
    .max_flat_workgroup_size: 256
    .name:           _ZN2at6native29vectorized_elementwise_kernelILi4ENS0_13BUnaryFunctorIlllZZZNS0_18rshift_kernel_cudaERNS_18TensorIteratorBaseEENKUlvE_clEvENKUlvE2_clEvEUlllE_EESt5arrayIPcLm2EEEEviT0_T1_
    .private_segment_fixed_size: 0
    .sgpr_count:     19
    .sgpr_spill_count: 0
    .symbol:         _ZN2at6native29vectorized_elementwise_kernelILi4ENS0_13BUnaryFunctorIlllZZZNS0_18rshift_kernel_cudaERNS_18TensorIteratorBaseEENKUlvE_clEvENKUlvE2_clEvEUlllE_EESt5arrayIPcLm2EEEEviT0_T1_.kd
    .uniform_work_group_size: 1
    .uses_dynamic_stack: false
    .vgpr_count:     16
    .vgpr_spill_count: 0
    .wavefront_size: 64
  - .args:
      - .offset:         0
        .size:           4
        .value_kind:     by_value
      - .offset:         8
        .size:           16
        .value_kind:     by_value
      - .offset:         24
        .size:           16
        .value_kind:     by_value
    .group_segment_fixed_size: 0
    .kernarg_segment_align: 8
    .kernarg_segment_size: 40
    .language:       OpenCL C
    .language_version:
      - 2
      - 0
    .max_flat_workgroup_size: 256
    .name:           _ZN2at6native29vectorized_elementwise_kernelILi2ENS0_13BUnaryFunctorIlllZZZNS0_18rshift_kernel_cudaERNS_18TensorIteratorBaseEENKUlvE_clEvENKUlvE2_clEvEUlllE_EESt5arrayIPcLm2EEEEviT0_T1_
    .private_segment_fixed_size: 0
    .sgpr_count:     19
    .sgpr_spill_count: 0
    .symbol:         _ZN2at6native29vectorized_elementwise_kernelILi2ENS0_13BUnaryFunctorIlllZZZNS0_18rshift_kernel_cudaERNS_18TensorIteratorBaseEENKUlvE_clEvENKUlvE2_clEvEUlllE_EESt5arrayIPcLm2EEEEviT0_T1_.kd
    .uniform_work_group_size: 1
    .uses_dynamic_stack: false
    .vgpr_count:     16
    .vgpr_spill_count: 0
    .wavefront_size: 64
  - .args:
      - .offset:         0
        .size:           4
        .value_kind:     by_value
      - .offset:         8
        .size:           16
        .value_kind:     by_value
      - .offset:         24
        .size:           16
        .value_kind:     by_value
      - .offset:         40
        .size:           1
        .value_kind:     by_value
      - .offset:         41
        .size:           1
        .value_kind:     by_value
      - .offset:         42
        .size:           1
        .value_kind:     by_value
      - .offset:         43
        .size:           1
        .value_kind:     by_value
    .group_segment_fixed_size: 0
    .kernarg_segment_align: 8
    .kernarg_segment_size: 44
    .language:       OpenCL C
    .language_version:
      - 2
      - 0
    .max_flat_workgroup_size: 256
    .name:           _ZN2at6native27unrolled_elementwise_kernelINS0_13BUnaryFunctorIlllZZZNS0_18rshift_kernel_cudaERNS_18TensorIteratorBaseEENKUlvE_clEvENKUlvE2_clEvEUlllE_EESt5arrayIPcLm2EELi4E23TrivialOffsetCalculatorILi1EjESD_NS0_6memory15LoadWithoutCastENSE_16StoreWithoutCastEEEviT_T0_T2_T3_T4_T5_
    .private_segment_fixed_size: 0
    .sgpr_count:     18
    .sgpr_spill_count: 0
    .symbol:         _ZN2at6native27unrolled_elementwise_kernelINS0_13BUnaryFunctorIlllZZZNS0_18rshift_kernel_cudaERNS_18TensorIteratorBaseEENKUlvE_clEvENKUlvE2_clEvEUlllE_EESt5arrayIPcLm2EELi4E23TrivialOffsetCalculatorILi1EjESD_NS0_6memory15LoadWithoutCastENSE_16StoreWithoutCastEEEviT_T0_T2_T3_T4_T5_.kd
    .uniform_work_group_size: 1
    .uses_dynamic_stack: false
    .vgpr_count:     16
    .vgpr_spill_count: 0
    .wavefront_size: 64
  - .args:
      - .offset:         0
        .size:           4
        .value_kind:     by_value
      - .offset:         8
        .size:           360
        .value_kind:     by_value
    .group_segment_fixed_size: 0
    .kernarg_segment_align: 8
    .kernarg_segment_size: 368
    .language:       OpenCL C
    .language_version:
      - 2
      - 0
    .max_flat_workgroup_size: 128
    .name:           _ZN2at6native32elementwise_kernel_manual_unrollILi128ELi4EZNS0_22gpu_kernel_impl_nocastINS0_13BUnaryFunctorIlllZZZNS0_18rshift_kernel_cudaERNS_18TensorIteratorBaseEENKUlvE_clEvENKUlvE2_clEvEUlllE_EEEEvS5_RKT_EUlibE_EEviT1_
    .private_segment_fixed_size: 0
    .sgpr_count:     65
    .sgpr_spill_count: 0
    .symbol:         _ZN2at6native32elementwise_kernel_manual_unrollILi128ELi4EZNS0_22gpu_kernel_impl_nocastINS0_13BUnaryFunctorIlllZZZNS0_18rshift_kernel_cudaERNS_18TensorIteratorBaseEENKUlvE_clEvENKUlvE2_clEvEUlllE_EEEEvS5_RKT_EUlibE_EEviT1_.kd
    .uniform_work_group_size: 1
    .uses_dynamic_stack: false
    .vgpr_count:     20
    .vgpr_spill_count: 0
    .wavefront_size: 64
  - .args:
      - .offset:         0
        .size:           4
        .value_kind:     by_value
      - .offset:         8
        .size:           48
        .value_kind:     by_value
    .group_segment_fixed_size: 0
    .kernarg_segment_align: 8
    .kernarg_segment_size: 56
    .language:       OpenCL C
    .language_version:
      - 2
      - 0
    .max_flat_workgroup_size: 128
    .name:           _ZN2at6native32elementwise_kernel_manual_unrollILi128ELi4EZNS0_15gpu_kernel_implINS0_13BUnaryFunctorIlllZZZNS0_18rshift_kernel_cudaERNS_18TensorIteratorBaseEENKUlvE_clEvENKUlvE2_clEvEUlllE_EEEEvS5_RKT_EUlibE_EEviT1_
    .private_segment_fixed_size: 0
    .sgpr_count:     52
    .sgpr_spill_count: 0
    .symbol:         _ZN2at6native32elementwise_kernel_manual_unrollILi128ELi4EZNS0_15gpu_kernel_implINS0_13BUnaryFunctorIlllZZZNS0_18rshift_kernel_cudaERNS_18TensorIteratorBaseEENKUlvE_clEvENKUlvE2_clEvEUlllE_EEEEvS5_RKT_EUlibE_EEviT1_.kd
    .uniform_work_group_size: 1
    .uses_dynamic_stack: false
    .vgpr_count:     15
    .vgpr_spill_count: 0
    .wavefront_size: 64
  - .args:
      - .offset:         0
        .size:           4
        .value_kind:     by_value
      - .offset:         8
        .size:           368
        .value_kind:     by_value
    .group_segment_fixed_size: 0
    .kernarg_segment_align: 8
    .kernarg_segment_size: 376
    .language:       OpenCL C
    .language_version:
      - 2
      - 0
    .max_flat_workgroup_size: 128
    .name:           _ZN2at6native32elementwise_kernel_manual_unrollILi128ELi4EZNS0_15gpu_kernel_implINS0_13BUnaryFunctorIlllZZZNS0_18rshift_kernel_cudaERNS_18TensorIteratorBaseEENKUlvE_clEvENKUlvE2_clEvEUlllE_EEEEvS5_RKT_EUlibE0_EEviT1_
    .private_segment_fixed_size: 0
    .sgpr_count:     83
    .sgpr_spill_count: 0
    .symbol:         _ZN2at6native32elementwise_kernel_manual_unrollILi128ELi4EZNS0_15gpu_kernel_implINS0_13BUnaryFunctorIlllZZZNS0_18rshift_kernel_cudaERNS_18TensorIteratorBaseEENKUlvE_clEvENKUlvE2_clEvEUlllE_EEEEvS5_RKT_EUlibE0_EEviT1_.kd
    .uniform_work_group_size: 1
    .uses_dynamic_stack: false
    .vgpr_count:     21
    .vgpr_spill_count: 0
    .wavefront_size: 64
  - .args:
      - .offset:         0
        .size:           4
        .value_kind:     by_value
      - .offset:         4
        .size:           1
        .value_kind:     by_value
      - .offset:         8
        .size:           24
        .value_kind:     by_value
    .group_segment_fixed_size: 0
    .kernarg_segment_align: 8
    .kernarg_segment_size: 32
    .language:       OpenCL C
    .language_version:
      - 2
      - 0
    .max_flat_workgroup_size: 256
    .name:           _ZN2at6native29vectorized_elementwise_kernelILi16ENS0_13BinaryFunctorIlllZZZNS0_18rshift_kernel_cudaERNS_18TensorIteratorBaseEENKUlvE_clEvENKUlvE2_clEvEUlllE_EESt5arrayIPcLm3EEEEviT0_T1_
    .private_segment_fixed_size: 0
    .sgpr_count:     20
    .sgpr_spill_count: 0
    .symbol:         _ZN2at6native29vectorized_elementwise_kernelILi16ENS0_13BinaryFunctorIlllZZZNS0_18rshift_kernel_cudaERNS_18TensorIteratorBaseEENKUlvE_clEvENKUlvE2_clEvEUlllE_EESt5arrayIPcLm3EEEEviT0_T1_.kd
    .uniform_work_group_size: 1
    .uses_dynamic_stack: false
    .vgpr_count:     18
    .vgpr_spill_count: 0
    .wavefront_size: 64
  - .args:
      - .offset:         0
        .size:           4
        .value_kind:     by_value
      - .offset:         4
        .size:           1
        .value_kind:     by_value
      - .offset:         8
        .size:           24
        .value_kind:     by_value
    .group_segment_fixed_size: 0
    .kernarg_segment_align: 8
    .kernarg_segment_size: 32
    .language:       OpenCL C
    .language_version:
      - 2
      - 0
    .max_flat_workgroup_size: 256
    .name:           _ZN2at6native29vectorized_elementwise_kernelILi8ENS0_13BinaryFunctorIlllZZZNS0_18rshift_kernel_cudaERNS_18TensorIteratorBaseEENKUlvE_clEvENKUlvE2_clEvEUlllE_EESt5arrayIPcLm3EEEEviT0_T1_
    .private_segment_fixed_size: 0
    .sgpr_count:     20
    .sgpr_spill_count: 0
    .symbol:         _ZN2at6native29vectorized_elementwise_kernelILi8ENS0_13BinaryFunctorIlllZZZNS0_18rshift_kernel_cudaERNS_18TensorIteratorBaseEENKUlvE_clEvENKUlvE2_clEvEUlllE_EESt5arrayIPcLm3EEEEviT0_T1_.kd
    .uniform_work_group_size: 1
    .uses_dynamic_stack: false
    .vgpr_count:     18
    .vgpr_spill_count: 0
    .wavefront_size: 64
  - .args:
      - .offset:         0
        .size:           4
        .value_kind:     by_value
      - .offset:         4
        .size:           1
        .value_kind:     by_value
      - .offset:         8
        .size:           24
        .value_kind:     by_value
    .group_segment_fixed_size: 0
    .kernarg_segment_align: 8
    .kernarg_segment_size: 32
    .language:       OpenCL C
    .language_version:
      - 2
      - 0
    .max_flat_workgroup_size: 256
    .name:           _ZN2at6native29vectorized_elementwise_kernelILi4ENS0_13BinaryFunctorIlllZZZNS0_18rshift_kernel_cudaERNS_18TensorIteratorBaseEENKUlvE_clEvENKUlvE2_clEvEUlllE_EESt5arrayIPcLm3EEEEviT0_T1_
    .private_segment_fixed_size: 0
    .sgpr_count:     20
    .sgpr_spill_count: 0
    .symbol:         _ZN2at6native29vectorized_elementwise_kernelILi4ENS0_13BinaryFunctorIlllZZZNS0_18rshift_kernel_cudaERNS_18TensorIteratorBaseEENKUlvE_clEvENKUlvE2_clEvEUlllE_EESt5arrayIPcLm3EEEEviT0_T1_.kd
    .uniform_work_group_size: 1
    .uses_dynamic_stack: false
    .vgpr_count:     18
    .vgpr_spill_count: 0
    .wavefront_size: 64
  - .args:
      - .offset:         0
        .size:           4
        .value_kind:     by_value
      - .offset:         4
        .size:           1
        .value_kind:     by_value
      - .offset:         8
        .size:           24
        .value_kind:     by_value
    .group_segment_fixed_size: 0
    .kernarg_segment_align: 8
    .kernarg_segment_size: 32
    .language:       OpenCL C
    .language_version:
      - 2
      - 0
    .max_flat_workgroup_size: 256
    .name:           _ZN2at6native29vectorized_elementwise_kernelILi2ENS0_13BinaryFunctorIlllZZZNS0_18rshift_kernel_cudaERNS_18TensorIteratorBaseEENKUlvE_clEvENKUlvE2_clEvEUlllE_EESt5arrayIPcLm3EEEEviT0_T1_
    .private_segment_fixed_size: 0
    .sgpr_count:     20
    .sgpr_spill_count: 0
    .symbol:         _ZN2at6native29vectorized_elementwise_kernelILi2ENS0_13BinaryFunctorIlllZZZNS0_18rshift_kernel_cudaERNS_18TensorIteratorBaseEENKUlvE_clEvENKUlvE2_clEvEUlllE_EESt5arrayIPcLm3EEEEviT0_T1_.kd
    .uniform_work_group_size: 1
    .uses_dynamic_stack: false
    .vgpr_count:     20
    .vgpr_spill_count: 0
    .wavefront_size: 64
  - .args:
      - .offset:         0
        .size:           4
        .value_kind:     by_value
      - .offset:         4
        .size:           1
        .value_kind:     by_value
      - .offset:         8
        .size:           24
        .value_kind:     by_value
      - .offset:         32
        .size:           1
        .value_kind:     by_value
      - .offset:         33
        .size:           1
        .value_kind:     by_value
      - .offset:         34
        .size:           1
        .value_kind:     by_value
      - .offset:         35
        .size:           1
        .value_kind:     by_value
    .group_segment_fixed_size: 0
    .kernarg_segment_align: 8
    .kernarg_segment_size: 36
    .language:       OpenCL C
    .language_version:
      - 2
      - 0
    .max_flat_workgroup_size: 256
    .name:           _ZN2at6native27unrolled_elementwise_kernelINS0_13BinaryFunctorIlllZZZNS0_18rshift_kernel_cudaERNS_18TensorIteratorBaseEENKUlvE_clEvENKUlvE2_clEvEUlllE_EESt5arrayIPcLm3EELi4E23TrivialOffsetCalculatorILi2EjESC_ILi1EjENS0_6memory15LoadWithoutCastENSF_16StoreWithoutCastEEEviT_T0_T2_T3_T4_T5_
    .private_segment_fixed_size: 0
    .sgpr_count:     16
    .sgpr_spill_count: 0
    .symbol:         _ZN2at6native27unrolled_elementwise_kernelINS0_13BinaryFunctorIlllZZZNS0_18rshift_kernel_cudaERNS_18TensorIteratorBaseEENKUlvE_clEvENKUlvE2_clEvEUlllE_EESt5arrayIPcLm3EELi4E23TrivialOffsetCalculatorILi2EjESC_ILi1EjENS0_6memory15LoadWithoutCastENSF_16StoreWithoutCastEEEviT_T0_T2_T3_T4_T5_.kd
    .uniform_work_group_size: 1
    .uses_dynamic_stack: false
    .vgpr_count:     16
    .vgpr_spill_count: 0
    .wavefront_size: 64
  - .args:
      - .offset:         0
        .size:           4
        .value_kind:     by_value
      - .offset:         8
        .size:           424
        .value_kind:     by_value
    .group_segment_fixed_size: 0
    .kernarg_segment_align: 8
    .kernarg_segment_size: 432
    .language:       OpenCL C
    .language_version:
      - 2
      - 0
    .max_flat_workgroup_size: 128
    .name:           _ZN2at6native32elementwise_kernel_manual_unrollILi128ELi4EZNS0_22gpu_kernel_impl_nocastINS0_13BinaryFunctorIlllZZZNS0_18rshift_kernel_cudaERNS_18TensorIteratorBaseEENKUlvE_clEvENKUlvE2_clEvEUlllE_EEEEvS5_RKT_EUlibE_EEviT1_
    .private_segment_fixed_size: 0
    .sgpr_count:     54
    .sgpr_spill_count: 0
    .symbol:         _ZN2at6native32elementwise_kernel_manual_unrollILi128ELi4EZNS0_22gpu_kernel_impl_nocastINS0_13BinaryFunctorIlllZZZNS0_18rshift_kernel_cudaERNS_18TensorIteratorBaseEENKUlvE_clEvENKUlvE2_clEvEUlllE_EEEEvS5_RKT_EUlibE_EEviT1_.kd
    .uniform_work_group_size: 1
    .uses_dynamic_stack: false
    .vgpr_count:     22
    .vgpr_spill_count: 0
    .wavefront_size: 64
  - .args:
      - .offset:         0
        .size:           4
        .value_kind:     by_value
      - .offset:         8
        .size:           40
        .value_kind:     by_value
    .group_segment_fixed_size: 0
    .kernarg_segment_align: 8
    .kernarg_segment_size: 48
    .language:       OpenCL C
    .language_version:
      - 2
      - 0
    .max_flat_workgroup_size: 128
    .name:           _ZN2at6native32elementwise_kernel_manual_unrollILi128ELi4EZNS0_15gpu_kernel_implINS0_13BinaryFunctorIlllZZZNS0_18rshift_kernel_cudaERNS_18TensorIteratorBaseEENKUlvE_clEvENKUlvE2_clEvEUlllE_EEEEvS5_RKT_EUlibE_EEviT1_
    .private_segment_fixed_size: 0
    .sgpr_count:     60
    .sgpr_spill_count: 0
    .symbol:         _ZN2at6native32elementwise_kernel_manual_unrollILi128ELi4EZNS0_15gpu_kernel_implINS0_13BinaryFunctorIlllZZZNS0_18rshift_kernel_cudaERNS_18TensorIteratorBaseEENKUlvE_clEvENKUlvE2_clEvEUlllE_EEEEvS5_RKT_EUlibE_EEviT1_.kd
    .uniform_work_group_size: 1
    .uses_dynamic_stack: false
    .vgpr_count:     23
    .vgpr_spill_count: 0
    .wavefront_size: 64
  - .args:
      - .offset:         0
        .size:           4
        .value_kind:     by_value
      - .offset:         8
        .size:           424
        .value_kind:     by_value
    .group_segment_fixed_size: 0
    .kernarg_segment_align: 8
    .kernarg_segment_size: 432
    .language:       OpenCL C
    .language_version:
      - 2
      - 0
    .max_flat_workgroup_size: 128
    .name:           _ZN2at6native32elementwise_kernel_manual_unrollILi128ELi4EZNS0_15gpu_kernel_implINS0_13BinaryFunctorIlllZZZNS0_18rshift_kernel_cudaERNS_18TensorIteratorBaseEENKUlvE_clEvENKUlvE2_clEvEUlllE_EEEEvS5_RKT_EUlibE0_EEviT1_
    .private_segment_fixed_size: 0
    .sgpr_count:     84
    .sgpr_spill_count: 0
    .symbol:         _ZN2at6native32elementwise_kernel_manual_unrollILi128ELi4EZNS0_15gpu_kernel_implINS0_13BinaryFunctorIlllZZZNS0_18rshift_kernel_cudaERNS_18TensorIteratorBaseEENKUlvE_clEvENKUlvE2_clEvEUlllE_EEEEvS5_RKT_EUlibE0_EEviT1_.kd
    .uniform_work_group_size: 1
    .uses_dynamic_stack: false
    .vgpr_count:     31
    .vgpr_spill_count: 0
    .wavefront_size: 64
  - .args:
      - .offset:         0
        .size:           4
        .value_kind:     by_value
      - .offset:         4
        .size:           4
        .value_kind:     by_value
      - .offset:         8
        .size:           16
        .value_kind:     by_value
    .group_segment_fixed_size: 0
    .kernarg_segment_align: 8
    .kernarg_segment_size: 24
    .language:       OpenCL C
    .language_version:
      - 2
      - 0
    .max_flat_workgroup_size: 256
    .name:           _ZN2at6native29vectorized_elementwise_kernelILi16ENS0_13AUnaryFunctorIsssZZZNS0_18rshift_kernel_cudaERNS_18TensorIteratorBaseEENKUlvE_clEvENKUlvE3_clEvEUlssE_EESt5arrayIPcLm2EEEEviT0_T1_
    .private_segment_fixed_size: 0
    .sgpr_count:     18
    .sgpr_spill_count: 0
    .symbol:         _ZN2at6native29vectorized_elementwise_kernelILi16ENS0_13AUnaryFunctorIsssZZZNS0_18rshift_kernel_cudaERNS_18TensorIteratorBaseEENKUlvE_clEvENKUlvE3_clEvEUlssE_EESt5arrayIPcLm2EEEEviT0_T1_.kd
    .uniform_work_group_size: 1
    .uses_dynamic_stack: false
    .vgpr_count:     16
    .vgpr_spill_count: 0
    .wavefront_size: 64
  - .args:
      - .offset:         0
        .size:           4
        .value_kind:     by_value
      - .offset:         4
        .size:           4
        .value_kind:     by_value
      - .offset:         8
        .size:           16
        .value_kind:     by_value
    .group_segment_fixed_size: 0
    .kernarg_segment_align: 8
    .kernarg_segment_size: 24
    .language:       OpenCL C
    .language_version:
      - 2
      - 0
    .max_flat_workgroup_size: 256
    .name:           _ZN2at6native29vectorized_elementwise_kernelILi8ENS0_13AUnaryFunctorIsssZZZNS0_18rshift_kernel_cudaERNS_18TensorIteratorBaseEENKUlvE_clEvENKUlvE3_clEvEUlssE_EESt5arrayIPcLm2EEEEviT0_T1_
    .private_segment_fixed_size: 0
    .sgpr_count:     18
    .sgpr_spill_count: 0
    .symbol:         _ZN2at6native29vectorized_elementwise_kernelILi8ENS0_13AUnaryFunctorIsssZZZNS0_18rshift_kernel_cudaERNS_18TensorIteratorBaseEENKUlvE_clEvENKUlvE3_clEvEUlssE_EESt5arrayIPcLm2EEEEviT0_T1_.kd
    .uniform_work_group_size: 1
    .uses_dynamic_stack: false
    .vgpr_count:     16
    .vgpr_spill_count: 0
    .wavefront_size: 64
  - .args:
      - .offset:         0
        .size:           4
        .value_kind:     by_value
      - .offset:         4
        .size:           4
        .value_kind:     by_value
      - .offset:         8
        .size:           16
        .value_kind:     by_value
    .group_segment_fixed_size: 0
    .kernarg_segment_align: 8
    .kernarg_segment_size: 24
    .language:       OpenCL C
    .language_version:
      - 2
      - 0
    .max_flat_workgroup_size: 256
    .name:           _ZN2at6native29vectorized_elementwise_kernelILi4ENS0_13AUnaryFunctorIsssZZZNS0_18rshift_kernel_cudaERNS_18TensorIteratorBaseEENKUlvE_clEvENKUlvE3_clEvEUlssE_EESt5arrayIPcLm2EEEEviT0_T1_
    .private_segment_fixed_size: 0
    .sgpr_count:     18
    .sgpr_spill_count: 0
    .symbol:         _ZN2at6native29vectorized_elementwise_kernelILi4ENS0_13AUnaryFunctorIsssZZZNS0_18rshift_kernel_cudaERNS_18TensorIteratorBaseEENKUlvE_clEvENKUlvE3_clEvEUlssE_EESt5arrayIPcLm2EEEEviT0_T1_.kd
    .uniform_work_group_size: 1
    .uses_dynamic_stack: false
    .vgpr_count:     15
    .vgpr_spill_count: 0
    .wavefront_size: 64
  - .args:
      - .offset:         0
        .size:           4
        .value_kind:     by_value
      - .offset:         4
        .size:           4
        .value_kind:     by_value
      - .offset:         8
        .size:           16
        .value_kind:     by_value
    .group_segment_fixed_size: 0
    .kernarg_segment_align: 8
    .kernarg_segment_size: 24
    .language:       OpenCL C
    .language_version:
      - 2
      - 0
    .max_flat_workgroup_size: 256
    .name:           _ZN2at6native29vectorized_elementwise_kernelILi2ENS0_13AUnaryFunctorIsssZZZNS0_18rshift_kernel_cudaERNS_18TensorIteratorBaseEENKUlvE_clEvENKUlvE3_clEvEUlssE_EESt5arrayIPcLm2EEEEviT0_T1_
    .private_segment_fixed_size: 0
    .sgpr_count:     18
    .sgpr_spill_count: 0
    .symbol:         _ZN2at6native29vectorized_elementwise_kernelILi2ENS0_13AUnaryFunctorIsssZZZNS0_18rshift_kernel_cudaERNS_18TensorIteratorBaseEENKUlvE_clEvENKUlvE3_clEvEUlssE_EESt5arrayIPcLm2EEEEviT0_T1_.kd
    .uniform_work_group_size: 1
    .uses_dynamic_stack: false
    .vgpr_count:     15
    .vgpr_spill_count: 0
    .wavefront_size: 64
  - .args:
      - .offset:         0
        .size:           4
        .value_kind:     by_value
      - .offset:         4
        .size:           4
        .value_kind:     by_value
      - .offset:         8
        .size:           16
        .value_kind:     by_value
      - .offset:         24
        .size:           1
        .value_kind:     by_value
      - .offset:         25
        .size:           1
        .value_kind:     by_value
      - .offset:         26
        .size:           1
        .value_kind:     by_value
      - .offset:         27
        .size:           1
        .value_kind:     by_value
    .group_segment_fixed_size: 0
    .kernarg_segment_align: 8
    .kernarg_segment_size: 28
    .language:       OpenCL C
    .language_version:
      - 2
      - 0
    .max_flat_workgroup_size: 256
    .name:           _ZN2at6native27unrolled_elementwise_kernelINS0_13AUnaryFunctorIsssZZZNS0_18rshift_kernel_cudaERNS_18TensorIteratorBaseEENKUlvE_clEvENKUlvE3_clEvEUlssE_EESt5arrayIPcLm2EELi4E23TrivialOffsetCalculatorILi1EjESD_NS0_6memory15LoadWithoutCastENSE_16StoreWithoutCastEEEviT_T0_T2_T3_T4_T5_
    .private_segment_fixed_size: 0
    .sgpr_count:     16
    .sgpr_spill_count: 0
    .symbol:         _ZN2at6native27unrolled_elementwise_kernelINS0_13AUnaryFunctorIsssZZZNS0_18rshift_kernel_cudaERNS_18TensorIteratorBaseEENKUlvE_clEvENKUlvE3_clEvEUlssE_EESt5arrayIPcLm2EELi4E23TrivialOffsetCalculatorILi1EjESD_NS0_6memory15LoadWithoutCastENSE_16StoreWithoutCastEEEviT_T0_T2_T3_T4_T5_.kd
    .uniform_work_group_size: 1
    .uses_dynamic_stack: false
    .vgpr_count:     9
    .vgpr_spill_count: 0
    .wavefront_size: 64
  - .args:
      - .offset:         0
        .size:           4
        .value_kind:     by_value
      - .offset:         8
        .size:           352
        .value_kind:     by_value
    .group_segment_fixed_size: 0
    .kernarg_segment_align: 8
    .kernarg_segment_size: 360
    .language:       OpenCL C
    .language_version:
      - 2
      - 0
    .max_flat_workgroup_size: 128
    .name:           _ZN2at6native32elementwise_kernel_manual_unrollILi128ELi8EZNS0_22gpu_kernel_impl_nocastINS0_13AUnaryFunctorIsssZZZNS0_18rshift_kernel_cudaERNS_18TensorIteratorBaseEENKUlvE_clEvENKUlvE3_clEvEUlssE_EEEEvS5_RKT_EUlibE_EEviT1_
    .private_segment_fixed_size: 0
    .sgpr_count:     68
    .sgpr_spill_count: 0
    .symbol:         _ZN2at6native32elementwise_kernel_manual_unrollILi128ELi8EZNS0_22gpu_kernel_impl_nocastINS0_13AUnaryFunctorIsssZZZNS0_18rshift_kernel_cudaERNS_18TensorIteratorBaseEENKUlvE_clEvENKUlvE3_clEvEUlssE_EEEEvS5_RKT_EUlibE_EEviT1_.kd
    .uniform_work_group_size: 1
    .uses_dynamic_stack: false
    .vgpr_count:     26
    .vgpr_spill_count: 0
    .wavefront_size: 64
  - .args:
      - .offset:         0
        .size:           4
        .value_kind:     by_value
      - .offset:         8
        .size:           32
        .value_kind:     by_value
    .group_segment_fixed_size: 0
    .kernarg_segment_align: 8
    .kernarg_segment_size: 40
    .language:       OpenCL C
    .language_version:
      - 2
      - 0
    .max_flat_workgroup_size: 128
    .name:           _ZN2at6native32elementwise_kernel_manual_unrollILi128ELi4EZNS0_15gpu_kernel_implINS0_13AUnaryFunctorIsssZZZNS0_18rshift_kernel_cudaERNS_18TensorIteratorBaseEENKUlvE_clEvENKUlvE3_clEvEUlssE_EEEEvS5_RKT_EUlibE_EEviT1_
    .private_segment_fixed_size: 0
    .sgpr_count:     52
    .sgpr_spill_count: 0
    .symbol:         _ZN2at6native32elementwise_kernel_manual_unrollILi128ELi4EZNS0_15gpu_kernel_implINS0_13AUnaryFunctorIsssZZZNS0_18rshift_kernel_cudaERNS_18TensorIteratorBaseEENKUlvE_clEvENKUlvE3_clEvEUlssE_EEEEvS5_RKT_EUlibE_EEviT1_.kd
    .uniform_work_group_size: 1
    .uses_dynamic_stack: false
    .vgpr_count:     12
    .vgpr_spill_count: 0
    .wavefront_size: 64
  - .args:
      - .offset:         0
        .size:           4
        .value_kind:     by_value
      - .offset:         8
        .size:           352
        .value_kind:     by_value
    .group_segment_fixed_size: 0
    .kernarg_segment_align: 8
    .kernarg_segment_size: 360
    .language:       OpenCL C
    .language_version:
      - 2
      - 0
    .max_flat_workgroup_size: 128
    .name:           _ZN2at6native32elementwise_kernel_manual_unrollILi128ELi4EZNS0_15gpu_kernel_implINS0_13AUnaryFunctorIsssZZZNS0_18rshift_kernel_cudaERNS_18TensorIteratorBaseEENKUlvE_clEvENKUlvE3_clEvEUlssE_EEEEvS5_RKT_EUlibE0_EEviT1_
    .private_segment_fixed_size: 0
    .sgpr_count:     84
    .sgpr_spill_count: 0
    .symbol:         _ZN2at6native32elementwise_kernel_manual_unrollILi128ELi4EZNS0_15gpu_kernel_implINS0_13AUnaryFunctorIsssZZZNS0_18rshift_kernel_cudaERNS_18TensorIteratorBaseEENKUlvE_clEvENKUlvE3_clEvEUlssE_EEEEvS5_RKT_EUlibE0_EEviT1_.kd
    .uniform_work_group_size: 1
    .uses_dynamic_stack: false
    .vgpr_count:     18
    .vgpr_spill_count: 0
    .wavefront_size: 64
  - .args:
      - .offset:         0
        .size:           4
        .value_kind:     by_value
      - .offset:         4
        .size:           4
        .value_kind:     by_value
      - .offset:         8
        .size:           16
        .value_kind:     by_value
    .group_segment_fixed_size: 0
    .kernarg_segment_align: 8
    .kernarg_segment_size: 24
    .language:       OpenCL C
    .language_version:
      - 2
      - 0
    .max_flat_workgroup_size: 256
    .name:           _ZN2at6native29vectorized_elementwise_kernelILi16ENS0_13BUnaryFunctorIsssZZZNS0_18rshift_kernel_cudaERNS_18TensorIteratorBaseEENKUlvE_clEvENKUlvE3_clEvEUlssE_EESt5arrayIPcLm2EEEEviT0_T1_
    .private_segment_fixed_size: 0
    .sgpr_count:     18
    .sgpr_spill_count: 0
    .symbol:         _ZN2at6native29vectorized_elementwise_kernelILi16ENS0_13BUnaryFunctorIsssZZZNS0_18rshift_kernel_cudaERNS_18TensorIteratorBaseEENKUlvE_clEvENKUlvE3_clEvEUlssE_EESt5arrayIPcLm2EEEEviT0_T1_.kd
    .uniform_work_group_size: 1
    .uses_dynamic_stack: false
    .vgpr_count:     14
    .vgpr_spill_count: 0
    .wavefront_size: 64
  - .args:
      - .offset:         0
        .size:           4
        .value_kind:     by_value
      - .offset:         4
        .size:           4
        .value_kind:     by_value
      - .offset:         8
        .size:           16
        .value_kind:     by_value
    .group_segment_fixed_size: 0
    .kernarg_segment_align: 8
    .kernarg_segment_size: 24
    .language:       OpenCL C
    .language_version:
      - 2
      - 0
    .max_flat_workgroup_size: 256
    .name:           _ZN2at6native29vectorized_elementwise_kernelILi8ENS0_13BUnaryFunctorIsssZZZNS0_18rshift_kernel_cudaERNS_18TensorIteratorBaseEENKUlvE_clEvENKUlvE3_clEvEUlssE_EESt5arrayIPcLm2EEEEviT0_T1_
    .private_segment_fixed_size: 0
    .sgpr_count:     18
    .sgpr_spill_count: 0
    .symbol:         _ZN2at6native29vectorized_elementwise_kernelILi8ENS0_13BUnaryFunctorIsssZZZNS0_18rshift_kernel_cudaERNS_18TensorIteratorBaseEENKUlvE_clEvENKUlvE3_clEvEUlssE_EESt5arrayIPcLm2EEEEviT0_T1_.kd
    .uniform_work_group_size: 1
    .uses_dynamic_stack: false
    .vgpr_count:     14
    .vgpr_spill_count: 0
    .wavefront_size: 64
  - .args:
      - .offset:         0
        .size:           4
        .value_kind:     by_value
      - .offset:         4
        .size:           4
        .value_kind:     by_value
      - .offset:         8
        .size:           16
        .value_kind:     by_value
    .group_segment_fixed_size: 0
    .kernarg_segment_align: 8
    .kernarg_segment_size: 24
    .language:       OpenCL C
    .language_version:
      - 2
      - 0
    .max_flat_workgroup_size: 256
    .name:           _ZN2at6native29vectorized_elementwise_kernelILi4ENS0_13BUnaryFunctorIsssZZZNS0_18rshift_kernel_cudaERNS_18TensorIteratorBaseEENKUlvE_clEvENKUlvE3_clEvEUlssE_EESt5arrayIPcLm2EEEEviT0_T1_
    .private_segment_fixed_size: 0
    .sgpr_count:     18
    .sgpr_spill_count: 0
    .symbol:         _ZN2at6native29vectorized_elementwise_kernelILi4ENS0_13BUnaryFunctorIsssZZZNS0_18rshift_kernel_cudaERNS_18TensorIteratorBaseEENKUlvE_clEvENKUlvE3_clEvEUlssE_EESt5arrayIPcLm2EEEEviT0_T1_.kd
    .uniform_work_group_size: 1
    .uses_dynamic_stack: false
    .vgpr_count:     18
    .vgpr_spill_count: 0
    .wavefront_size: 64
  - .args:
      - .offset:         0
        .size:           4
        .value_kind:     by_value
      - .offset:         4
        .size:           4
        .value_kind:     by_value
      - .offset:         8
        .size:           16
        .value_kind:     by_value
    .group_segment_fixed_size: 0
    .kernarg_segment_align: 8
    .kernarg_segment_size: 24
    .language:       OpenCL C
    .language_version:
      - 2
      - 0
    .max_flat_workgroup_size: 256
    .name:           _ZN2at6native29vectorized_elementwise_kernelILi2ENS0_13BUnaryFunctorIsssZZZNS0_18rshift_kernel_cudaERNS_18TensorIteratorBaseEENKUlvE_clEvENKUlvE3_clEvEUlssE_EESt5arrayIPcLm2EEEEviT0_T1_
    .private_segment_fixed_size: 0
    .sgpr_count:     18
    .sgpr_spill_count: 0
    .symbol:         _ZN2at6native29vectorized_elementwise_kernelILi2ENS0_13BUnaryFunctorIsssZZZNS0_18rshift_kernel_cudaERNS_18TensorIteratorBaseEENKUlvE_clEvENKUlvE3_clEvEUlssE_EESt5arrayIPcLm2EEEEviT0_T1_.kd
    .uniform_work_group_size: 1
    .uses_dynamic_stack: false
    .vgpr_count:     18
    .vgpr_spill_count: 0
    .wavefront_size: 64
  - .args:
      - .offset:         0
        .size:           4
        .value_kind:     by_value
      - .offset:         4
        .size:           4
        .value_kind:     by_value
      - .offset:         8
        .size:           16
        .value_kind:     by_value
      - .offset:         24
        .size:           1
        .value_kind:     by_value
      - .offset:         25
        .size:           1
        .value_kind:     by_value
      - .offset:         26
        .size:           1
        .value_kind:     by_value
      - .offset:         27
        .size:           1
        .value_kind:     by_value
    .group_segment_fixed_size: 0
    .kernarg_segment_align: 8
    .kernarg_segment_size: 28
    .language:       OpenCL C
    .language_version:
      - 2
      - 0
    .max_flat_workgroup_size: 256
    .name:           _ZN2at6native27unrolled_elementwise_kernelINS0_13BUnaryFunctorIsssZZZNS0_18rshift_kernel_cudaERNS_18TensorIteratorBaseEENKUlvE_clEvENKUlvE3_clEvEUlssE_EESt5arrayIPcLm2EELi4E23TrivialOffsetCalculatorILi1EjESD_NS0_6memory15LoadWithoutCastENSE_16StoreWithoutCastEEEviT_T0_T2_T3_T4_T5_
    .private_segment_fixed_size: 0
    .sgpr_count:     16
    .sgpr_spill_count: 0
    .symbol:         _ZN2at6native27unrolled_elementwise_kernelINS0_13BUnaryFunctorIsssZZZNS0_18rshift_kernel_cudaERNS_18TensorIteratorBaseEENKUlvE_clEvENKUlvE3_clEvEUlssE_EESt5arrayIPcLm2EELi4E23TrivialOffsetCalculatorILi1EjESD_NS0_6memory15LoadWithoutCastENSE_16StoreWithoutCastEEEviT_T0_T2_T3_T4_T5_.kd
    .uniform_work_group_size: 1
    .uses_dynamic_stack: false
    .vgpr_count:     9
    .vgpr_spill_count: 0
    .wavefront_size: 64
  - .args:
      - .offset:         0
        .size:           4
        .value_kind:     by_value
      - .offset:         8
        .size:           352
        .value_kind:     by_value
    .group_segment_fixed_size: 0
    .kernarg_segment_align: 8
    .kernarg_segment_size: 360
    .language:       OpenCL C
    .language_version:
      - 2
      - 0
    .max_flat_workgroup_size: 128
    .name:           _ZN2at6native32elementwise_kernel_manual_unrollILi128ELi8EZNS0_22gpu_kernel_impl_nocastINS0_13BUnaryFunctorIsssZZZNS0_18rshift_kernel_cudaERNS_18TensorIteratorBaseEENKUlvE_clEvENKUlvE3_clEvEUlssE_EEEEvS5_RKT_EUlibE_EEviT1_
    .private_segment_fixed_size: 0
    .sgpr_count:     69
    .sgpr_spill_count: 0
    .symbol:         _ZN2at6native32elementwise_kernel_manual_unrollILi128ELi8EZNS0_22gpu_kernel_impl_nocastINS0_13BUnaryFunctorIsssZZZNS0_18rshift_kernel_cudaERNS_18TensorIteratorBaseEENKUlvE_clEvENKUlvE3_clEvEUlssE_EEEEvS5_RKT_EUlibE_EEviT1_.kd
    .uniform_work_group_size: 1
    .uses_dynamic_stack: false
    .vgpr_count:     26
    .vgpr_spill_count: 0
    .wavefront_size: 64
  - .args:
      - .offset:         0
        .size:           4
        .value_kind:     by_value
      - .offset:         8
        .size:           32
        .value_kind:     by_value
    .group_segment_fixed_size: 0
    .kernarg_segment_align: 8
    .kernarg_segment_size: 40
    .language:       OpenCL C
    .language_version:
      - 2
      - 0
    .max_flat_workgroup_size: 128
    .name:           _ZN2at6native32elementwise_kernel_manual_unrollILi128ELi4EZNS0_15gpu_kernel_implINS0_13BUnaryFunctorIsssZZZNS0_18rshift_kernel_cudaERNS_18TensorIteratorBaseEENKUlvE_clEvENKUlvE3_clEvEUlssE_EEEEvS5_RKT_EUlibE_EEviT1_
    .private_segment_fixed_size: 0
    .sgpr_count:     54
    .sgpr_spill_count: 0
    .symbol:         _ZN2at6native32elementwise_kernel_manual_unrollILi128ELi4EZNS0_15gpu_kernel_implINS0_13BUnaryFunctorIsssZZZNS0_18rshift_kernel_cudaERNS_18TensorIteratorBaseEENKUlvE_clEvENKUlvE3_clEvEUlssE_EEEEvS5_RKT_EUlibE_EEviT1_.kd
    .uniform_work_group_size: 1
    .uses_dynamic_stack: false
    .vgpr_count:     12
    .vgpr_spill_count: 0
    .wavefront_size: 64
  - .args:
      - .offset:         0
        .size:           4
        .value_kind:     by_value
      - .offset:         8
        .size:           352
        .value_kind:     by_value
    .group_segment_fixed_size: 0
    .kernarg_segment_align: 8
    .kernarg_segment_size: 360
    .language:       OpenCL C
    .language_version:
      - 2
      - 0
    .max_flat_workgroup_size: 128
    .name:           _ZN2at6native32elementwise_kernel_manual_unrollILi128ELi4EZNS0_15gpu_kernel_implINS0_13BUnaryFunctorIsssZZZNS0_18rshift_kernel_cudaERNS_18TensorIteratorBaseEENKUlvE_clEvENKUlvE3_clEvEUlssE_EEEEvS5_RKT_EUlibE0_EEviT1_
    .private_segment_fixed_size: 0
    .sgpr_count:     85
    .sgpr_spill_count: 0
    .symbol:         _ZN2at6native32elementwise_kernel_manual_unrollILi128ELi4EZNS0_15gpu_kernel_implINS0_13BUnaryFunctorIsssZZZNS0_18rshift_kernel_cudaERNS_18TensorIteratorBaseEENKUlvE_clEvENKUlvE3_clEvEUlssE_EEEEvS5_RKT_EUlibE0_EEviT1_.kd
    .uniform_work_group_size: 1
    .uses_dynamic_stack: false
    .vgpr_count:     18
    .vgpr_spill_count: 0
    .wavefront_size: 64
  - .args:
      - .offset:         0
        .size:           4
        .value_kind:     by_value
      - .offset:         4
        .size:           1
        .value_kind:     by_value
      - .offset:         8
        .size:           24
        .value_kind:     by_value
    .group_segment_fixed_size: 0
    .kernarg_segment_align: 8
    .kernarg_segment_size: 32
    .language:       OpenCL C
    .language_version:
      - 2
      - 0
    .max_flat_workgroup_size: 256
    .name:           _ZN2at6native29vectorized_elementwise_kernelILi16ENS0_13BinaryFunctorIsssZZZNS0_18rshift_kernel_cudaERNS_18TensorIteratorBaseEENKUlvE_clEvENKUlvE3_clEvEUlssE_EESt5arrayIPcLm3EEEEviT0_T1_
    .private_segment_fixed_size: 0
    .sgpr_count:     18
    .sgpr_spill_count: 0
    .symbol:         _ZN2at6native29vectorized_elementwise_kernelILi16ENS0_13BinaryFunctorIsssZZZNS0_18rshift_kernel_cudaERNS_18TensorIteratorBaseEENKUlvE_clEvENKUlvE3_clEvEUlssE_EESt5arrayIPcLm3EEEEviT0_T1_.kd
    .uniform_work_group_size: 1
    .uses_dynamic_stack: false
    .vgpr_count:     24
    .vgpr_spill_count: 0
    .wavefront_size: 64
  - .args:
      - .offset:         0
        .size:           4
        .value_kind:     by_value
      - .offset:         4
        .size:           1
        .value_kind:     by_value
      - .offset:         8
        .size:           24
        .value_kind:     by_value
    .group_segment_fixed_size: 0
    .kernarg_segment_align: 8
    .kernarg_segment_size: 32
    .language:       OpenCL C
    .language_version:
      - 2
      - 0
    .max_flat_workgroup_size: 256
    .name:           _ZN2at6native29vectorized_elementwise_kernelILi8ENS0_13BinaryFunctorIsssZZZNS0_18rshift_kernel_cudaERNS_18TensorIteratorBaseEENKUlvE_clEvENKUlvE3_clEvEUlssE_EESt5arrayIPcLm3EEEEviT0_T1_
    .private_segment_fixed_size: 0
    .sgpr_count:     18
    .sgpr_spill_count: 0
    .symbol:         _ZN2at6native29vectorized_elementwise_kernelILi8ENS0_13BinaryFunctorIsssZZZNS0_18rshift_kernel_cudaERNS_18TensorIteratorBaseEENKUlvE_clEvENKUlvE3_clEvEUlssE_EESt5arrayIPcLm3EEEEviT0_T1_.kd
    .uniform_work_group_size: 1
    .uses_dynamic_stack: false
    .vgpr_count:     24
    .vgpr_spill_count: 0
    .wavefront_size: 64
  - .args:
      - .offset:         0
        .size:           4
        .value_kind:     by_value
      - .offset:         4
        .size:           1
        .value_kind:     by_value
      - .offset:         8
        .size:           24
        .value_kind:     by_value
    .group_segment_fixed_size: 0
    .kernarg_segment_align: 8
    .kernarg_segment_size: 32
    .language:       OpenCL C
    .language_version:
      - 2
      - 0
    .max_flat_workgroup_size: 256
    .name:           _ZN2at6native29vectorized_elementwise_kernelILi4ENS0_13BinaryFunctorIsssZZZNS0_18rshift_kernel_cudaERNS_18TensorIteratorBaseEENKUlvE_clEvENKUlvE3_clEvEUlssE_EESt5arrayIPcLm3EEEEviT0_T1_
    .private_segment_fixed_size: 0
    .sgpr_count:     18
    .sgpr_spill_count: 0
    .symbol:         _ZN2at6native29vectorized_elementwise_kernelILi4ENS0_13BinaryFunctorIsssZZZNS0_18rshift_kernel_cudaERNS_18TensorIteratorBaseEENKUlvE_clEvENKUlvE3_clEvEUlssE_EESt5arrayIPcLm3EEEEviT0_T1_.kd
    .uniform_work_group_size: 1
    .uses_dynamic_stack: false
    .vgpr_count:     24
    .vgpr_spill_count: 0
    .wavefront_size: 64
  - .args:
      - .offset:         0
        .size:           4
        .value_kind:     by_value
      - .offset:         4
        .size:           1
        .value_kind:     by_value
      - .offset:         8
        .size:           24
        .value_kind:     by_value
    .group_segment_fixed_size: 0
    .kernarg_segment_align: 8
    .kernarg_segment_size: 32
    .language:       OpenCL C
    .language_version:
      - 2
      - 0
    .max_flat_workgroup_size: 256
    .name:           _ZN2at6native29vectorized_elementwise_kernelILi2ENS0_13BinaryFunctorIsssZZZNS0_18rshift_kernel_cudaERNS_18TensorIteratorBaseEENKUlvE_clEvENKUlvE3_clEvEUlssE_EESt5arrayIPcLm3EEEEviT0_T1_
    .private_segment_fixed_size: 0
    .sgpr_count:     18
    .sgpr_spill_count: 0
    .symbol:         _ZN2at6native29vectorized_elementwise_kernelILi2ENS0_13BinaryFunctorIsssZZZNS0_18rshift_kernel_cudaERNS_18TensorIteratorBaseEENKUlvE_clEvENKUlvE3_clEvEUlssE_EESt5arrayIPcLm3EEEEviT0_T1_.kd
    .uniform_work_group_size: 1
    .uses_dynamic_stack: false
    .vgpr_count:     24
    .vgpr_spill_count: 0
    .wavefront_size: 64
  - .args:
      - .offset:         0
        .size:           4
        .value_kind:     by_value
      - .offset:         4
        .size:           1
        .value_kind:     by_value
      - .offset:         8
        .size:           24
        .value_kind:     by_value
      - .offset:         32
        .size:           1
        .value_kind:     by_value
      - .offset:         33
        .size:           1
        .value_kind:     by_value
      - .offset:         34
        .size:           1
        .value_kind:     by_value
      - .offset:         35
        .size:           1
        .value_kind:     by_value
    .group_segment_fixed_size: 0
    .kernarg_segment_align: 8
    .kernarg_segment_size: 36
    .language:       OpenCL C
    .language_version:
      - 2
      - 0
    .max_flat_workgroup_size: 256
    .name:           _ZN2at6native27unrolled_elementwise_kernelINS0_13BinaryFunctorIsssZZZNS0_18rshift_kernel_cudaERNS_18TensorIteratorBaseEENKUlvE_clEvENKUlvE3_clEvEUlssE_EESt5arrayIPcLm3EELi4E23TrivialOffsetCalculatorILi2EjESC_ILi1EjENS0_6memory15LoadWithoutCastENSF_16StoreWithoutCastEEEviT_T0_T2_T3_T4_T5_
    .private_segment_fixed_size: 0
    .sgpr_count:     16
    .sgpr_spill_count: 0
    .symbol:         _ZN2at6native27unrolled_elementwise_kernelINS0_13BinaryFunctorIsssZZZNS0_18rshift_kernel_cudaERNS_18TensorIteratorBaseEENKUlvE_clEvENKUlvE3_clEvEUlssE_EESt5arrayIPcLm3EELi4E23TrivialOffsetCalculatorILi2EjESC_ILi1EjENS0_6memory15LoadWithoutCastENSF_16StoreWithoutCastEEEviT_T0_T2_T3_T4_T5_.kd
    .uniform_work_group_size: 1
    .uses_dynamic_stack: false
    .vgpr_count:     15
    .vgpr_spill_count: 0
    .wavefront_size: 64
  - .args:
      - .offset:         0
        .size:           4
        .value_kind:     by_value
      - .offset:         8
        .size:           424
        .value_kind:     by_value
    .group_segment_fixed_size: 0
    .kernarg_segment_align: 8
    .kernarg_segment_size: 432
    .language:       OpenCL C
    .language_version:
      - 2
      - 0
    .max_flat_workgroup_size: 128
    .name:           _ZN2at6native32elementwise_kernel_manual_unrollILi128ELi8EZNS0_22gpu_kernel_impl_nocastINS0_13BinaryFunctorIsssZZZNS0_18rshift_kernel_cudaERNS_18TensorIteratorBaseEENKUlvE_clEvENKUlvE3_clEvEUlssE_EEEEvS5_RKT_EUlibE_EEviT1_
    .private_segment_fixed_size: 0
    .sgpr_count:     54
    .sgpr_spill_count: 0
    .symbol:         _ZN2at6native32elementwise_kernel_manual_unrollILi128ELi8EZNS0_22gpu_kernel_impl_nocastINS0_13BinaryFunctorIsssZZZNS0_18rshift_kernel_cudaERNS_18TensorIteratorBaseEENKUlvE_clEvENKUlvE3_clEvEUlssE_EEEEvS5_RKT_EUlibE_EEviT1_.kd
    .uniform_work_group_size: 1
    .uses_dynamic_stack: false
    .vgpr_count:     42
    .vgpr_spill_count: 0
    .wavefront_size: 64
  - .args:
      - .offset:         0
        .size:           4
        .value_kind:     by_value
      - .offset:         8
        .size:           40
        .value_kind:     by_value
    .group_segment_fixed_size: 0
    .kernarg_segment_align: 8
    .kernarg_segment_size: 48
    .language:       OpenCL C
    .language_version:
      - 2
      - 0
    .max_flat_workgroup_size: 128
    .name:           _ZN2at6native32elementwise_kernel_manual_unrollILi128ELi4EZNS0_15gpu_kernel_implINS0_13BinaryFunctorIsssZZZNS0_18rshift_kernel_cudaERNS_18TensorIteratorBaseEENKUlvE_clEvENKUlvE3_clEvEUlssE_EEEEvS5_RKT_EUlibE_EEviT1_
    .private_segment_fixed_size: 0
    .sgpr_count:     60
    .sgpr_spill_count: 0
    .symbol:         _ZN2at6native32elementwise_kernel_manual_unrollILi128ELi4EZNS0_15gpu_kernel_implINS0_13BinaryFunctorIsssZZZNS0_18rshift_kernel_cudaERNS_18TensorIteratorBaseEENKUlvE_clEvENKUlvE3_clEvEUlssE_EEEEvS5_RKT_EUlibE_EEviT1_.kd
    .uniform_work_group_size: 1
    .uses_dynamic_stack: false
    .vgpr_count:     16
    .vgpr_spill_count: 0
    .wavefront_size: 64
  - .args:
      - .offset:         0
        .size:           4
        .value_kind:     by_value
      - .offset:         8
        .size:           424
        .value_kind:     by_value
    .group_segment_fixed_size: 0
    .kernarg_segment_align: 8
    .kernarg_segment_size: 432
    .language:       OpenCL C
    .language_version:
      - 2
      - 0
    .max_flat_workgroup_size: 128
    .name:           _ZN2at6native32elementwise_kernel_manual_unrollILi128ELi4EZNS0_15gpu_kernel_implINS0_13BinaryFunctorIsssZZZNS0_18rshift_kernel_cudaERNS_18TensorIteratorBaseEENKUlvE_clEvENKUlvE3_clEvEUlssE_EEEEvS5_RKT_EUlibE0_EEviT1_
    .private_segment_fixed_size: 0
    .sgpr_count:     84
    .sgpr_spill_count: 0
    .symbol:         _ZN2at6native32elementwise_kernel_manual_unrollILi128ELi4EZNS0_15gpu_kernel_implINS0_13BinaryFunctorIsssZZZNS0_18rshift_kernel_cudaERNS_18TensorIteratorBaseEENKUlvE_clEvENKUlvE3_clEvEUlssE_EEEEvS5_RKT_EUlibE0_EEviT1_.kd
    .uniform_work_group_size: 1
    .uses_dynamic_stack: false
    .vgpr_count:     23
    .vgpr_spill_count: 0
    .wavefront_size: 64
amdhsa.target:   amdgcn-amd-amdhsa--gfx906
amdhsa.version:
  - 1
  - 2
...

	.end_amdgpu_metadata
